;; amdgpu-corpus repo=ROCm/rocThrust kind=compiled arch=gfx950 opt=O3
	.amdgcn_target "amdgcn-amd-amdhsa--gfx950"
	.amdhsa_code_object_version 6
	.section	.text._ZN6thrust23THRUST_200600_302600_NS11hip_rocprim14__parallel_for6kernelILj256ENS1_20__uninitialized_fill7functorINS0_10device_ptrIiEEiEEmLj1EEEvT0_T1_SA_,"axG",@progbits,_ZN6thrust23THRUST_200600_302600_NS11hip_rocprim14__parallel_for6kernelILj256ENS1_20__uninitialized_fill7functorINS0_10device_ptrIiEEiEEmLj1EEEvT0_T1_SA_,comdat
	.protected	_ZN6thrust23THRUST_200600_302600_NS11hip_rocprim14__parallel_for6kernelILj256ENS1_20__uninitialized_fill7functorINS0_10device_ptrIiEEiEEmLj1EEEvT0_T1_SA_ ; -- Begin function _ZN6thrust23THRUST_200600_302600_NS11hip_rocprim14__parallel_for6kernelILj256ENS1_20__uninitialized_fill7functorINS0_10device_ptrIiEEiEEmLj1EEEvT0_T1_SA_
	.globl	_ZN6thrust23THRUST_200600_302600_NS11hip_rocprim14__parallel_for6kernelILj256ENS1_20__uninitialized_fill7functorINS0_10device_ptrIiEEiEEmLj1EEEvT0_T1_SA_
	.p2align	8
	.type	_ZN6thrust23THRUST_200600_302600_NS11hip_rocprim14__parallel_for6kernelILj256ENS1_20__uninitialized_fill7functorINS0_10device_ptrIiEEiEEmLj1EEEvT0_T1_SA_,@function
_ZN6thrust23THRUST_200600_302600_NS11hip_rocprim14__parallel_for6kernelILj256ENS1_20__uninitialized_fill7functorINS0_10device_ptrIiEEiEEmLj1EEEvT0_T1_SA_: ; @_ZN6thrust23THRUST_200600_302600_NS11hip_rocprim14__parallel_for6kernelILj256ENS1_20__uninitialized_fill7functorINS0_10device_ptrIiEEiEEmLj1EEEvT0_T1_SA_
; %bb.0:
	s_load_dwordx4 s[12:15], s[0:1], 0x10
	s_load_dwordx2 s[4:5], s[0:1], 0x0
	s_load_dword s8, s[0:1], 0x8
	s_lshl_b32 s0, s2, 8
	v_mov_b64_e32 v[2:3], 0xff
	s_waitcnt lgkmcnt(0)
	s_add_u32 s0, s14, s0
	s_addc_u32 s1, s15, 0
	s_sub_u32 s2, s12, s0
	s_subb_u32 s3, s13, s1
	v_cmp_gt_u64_e32 vcc, s[2:3], v[2:3]
	s_mov_b64 s[6:7], -1
	s_cbranch_vccz .LBB0_3
; %bb.1:
	s_andn2_b64 vcc, exec, s[6:7]
	s_cbranch_vccz .LBB0_6
.LBB0_2:
	s_endpgm
.LBB0_3:
	v_cmp_gt_u32_e32 vcc, s2, v0
	s_and_saveexec_b64 s[2:3], vcc
	s_cbranch_execz .LBB0_5
; %bb.4:
	s_lshl_b64 s[6:7], s[0:1], 2
	s_add_u32 s6, s4, s6
	s_addc_u32 s7, s5, s7
	v_lshlrev_b32_e32 v2, 2, v0
	v_mov_b32_e32 v3, 0
	v_lshl_add_u64 v[2:3], s[6:7], 0, v[2:3]
	v_mov_b32_e32 v1, s8
	flat_store_dword v[2:3], v1
.LBB0_5:
	s_or_b64 exec, exec, s[2:3]
	s_cbranch_execnz .LBB0_2
.LBB0_6:
	s_lshl_b64 s[0:1], s[0:1], 2
	s_add_u32 s0, s4, s0
	s_addc_u32 s1, s5, s1
	v_lshlrev_b32_e32 v0, 2, v0
	v_mov_b32_e32 v1, 0
	v_lshl_add_u64 v[0:1], s[0:1], 0, v[0:1]
	v_mov_b32_e32 v2, s8
	flat_store_dword v[0:1], v2
	s_endpgm
	.section	.rodata,"a",@progbits
	.p2align	6, 0x0
	.amdhsa_kernel _ZN6thrust23THRUST_200600_302600_NS11hip_rocprim14__parallel_for6kernelILj256ENS1_20__uninitialized_fill7functorINS0_10device_ptrIiEEiEEmLj1EEEvT0_T1_SA_
		.amdhsa_group_segment_fixed_size 0
		.amdhsa_private_segment_fixed_size 0
		.amdhsa_kernarg_size 32
		.amdhsa_user_sgpr_count 2
		.amdhsa_user_sgpr_dispatch_ptr 0
		.amdhsa_user_sgpr_queue_ptr 0
		.amdhsa_user_sgpr_kernarg_segment_ptr 1
		.amdhsa_user_sgpr_dispatch_id 0
		.amdhsa_user_sgpr_kernarg_preload_length 0
		.amdhsa_user_sgpr_kernarg_preload_offset 0
		.amdhsa_user_sgpr_private_segment_size 0
		.amdhsa_uses_dynamic_stack 0
		.amdhsa_enable_private_segment 0
		.amdhsa_system_sgpr_workgroup_id_x 1
		.amdhsa_system_sgpr_workgroup_id_y 0
		.amdhsa_system_sgpr_workgroup_id_z 0
		.amdhsa_system_sgpr_workgroup_info 0
		.amdhsa_system_vgpr_workitem_id 0
		.amdhsa_next_free_vgpr 4
		.amdhsa_next_free_sgpr 16
		.amdhsa_accum_offset 4
		.amdhsa_reserve_vcc 1
		.amdhsa_float_round_mode_32 0
		.amdhsa_float_round_mode_16_64 0
		.amdhsa_float_denorm_mode_32 3
		.amdhsa_float_denorm_mode_16_64 3
		.amdhsa_dx10_clamp 1
		.amdhsa_ieee_mode 1
		.amdhsa_fp16_overflow 0
		.amdhsa_tg_split 0
		.amdhsa_exception_fp_ieee_invalid_op 0
		.amdhsa_exception_fp_denorm_src 0
		.amdhsa_exception_fp_ieee_div_zero 0
		.amdhsa_exception_fp_ieee_overflow 0
		.amdhsa_exception_fp_ieee_underflow 0
		.amdhsa_exception_fp_ieee_inexact 0
		.amdhsa_exception_int_div_zero 0
	.end_amdhsa_kernel
	.section	.text._ZN6thrust23THRUST_200600_302600_NS11hip_rocprim14__parallel_for6kernelILj256ENS1_20__uninitialized_fill7functorINS0_10device_ptrIiEEiEEmLj1EEEvT0_T1_SA_,"axG",@progbits,_ZN6thrust23THRUST_200600_302600_NS11hip_rocprim14__parallel_for6kernelILj256ENS1_20__uninitialized_fill7functorINS0_10device_ptrIiEEiEEmLj1EEEvT0_T1_SA_,comdat
.Lfunc_end0:
	.size	_ZN6thrust23THRUST_200600_302600_NS11hip_rocprim14__parallel_for6kernelILj256ENS1_20__uninitialized_fill7functorINS0_10device_ptrIiEEiEEmLj1EEEvT0_T1_SA_, .Lfunc_end0-_ZN6thrust23THRUST_200600_302600_NS11hip_rocprim14__parallel_for6kernelILj256ENS1_20__uninitialized_fill7functorINS0_10device_ptrIiEEiEEmLj1EEEvT0_T1_SA_
                                        ; -- End function
	.set _ZN6thrust23THRUST_200600_302600_NS11hip_rocprim14__parallel_for6kernelILj256ENS1_20__uninitialized_fill7functorINS0_10device_ptrIiEEiEEmLj1EEEvT0_T1_SA_.num_vgpr, 4
	.set _ZN6thrust23THRUST_200600_302600_NS11hip_rocprim14__parallel_for6kernelILj256ENS1_20__uninitialized_fill7functorINS0_10device_ptrIiEEiEEmLj1EEEvT0_T1_SA_.num_agpr, 0
	.set _ZN6thrust23THRUST_200600_302600_NS11hip_rocprim14__parallel_for6kernelILj256ENS1_20__uninitialized_fill7functorINS0_10device_ptrIiEEiEEmLj1EEEvT0_T1_SA_.numbered_sgpr, 16
	.set _ZN6thrust23THRUST_200600_302600_NS11hip_rocprim14__parallel_for6kernelILj256ENS1_20__uninitialized_fill7functorINS0_10device_ptrIiEEiEEmLj1EEEvT0_T1_SA_.num_named_barrier, 0
	.set _ZN6thrust23THRUST_200600_302600_NS11hip_rocprim14__parallel_for6kernelILj256ENS1_20__uninitialized_fill7functorINS0_10device_ptrIiEEiEEmLj1EEEvT0_T1_SA_.private_seg_size, 0
	.set _ZN6thrust23THRUST_200600_302600_NS11hip_rocprim14__parallel_for6kernelILj256ENS1_20__uninitialized_fill7functorINS0_10device_ptrIiEEiEEmLj1EEEvT0_T1_SA_.uses_vcc, 1
	.set _ZN6thrust23THRUST_200600_302600_NS11hip_rocprim14__parallel_for6kernelILj256ENS1_20__uninitialized_fill7functorINS0_10device_ptrIiEEiEEmLj1EEEvT0_T1_SA_.uses_flat_scratch, 0
	.set _ZN6thrust23THRUST_200600_302600_NS11hip_rocprim14__parallel_for6kernelILj256ENS1_20__uninitialized_fill7functorINS0_10device_ptrIiEEiEEmLj1EEEvT0_T1_SA_.has_dyn_sized_stack, 0
	.set _ZN6thrust23THRUST_200600_302600_NS11hip_rocprim14__parallel_for6kernelILj256ENS1_20__uninitialized_fill7functorINS0_10device_ptrIiEEiEEmLj1EEEvT0_T1_SA_.has_recursion, 0
	.set _ZN6thrust23THRUST_200600_302600_NS11hip_rocprim14__parallel_for6kernelILj256ENS1_20__uninitialized_fill7functorINS0_10device_ptrIiEEiEEmLj1EEEvT0_T1_SA_.has_indirect_call, 0
	.section	.AMDGPU.csdata,"",@progbits
; Kernel info:
; codeLenInByte = 184
; TotalNumSgprs: 22
; NumVgprs: 4
; NumAgprs: 0
; TotalNumVgprs: 4
; ScratchSize: 0
; MemoryBound: 0
; FloatMode: 240
; IeeeMode: 1
; LDSByteSize: 0 bytes/workgroup (compile time only)
; SGPRBlocks: 2
; VGPRBlocks: 0
; NumSGPRsForWavesPerEU: 22
; NumVGPRsForWavesPerEU: 4
; AccumOffset: 4
; Occupancy: 8
; WaveLimiterHint : 0
; COMPUTE_PGM_RSRC2:SCRATCH_EN: 0
; COMPUTE_PGM_RSRC2:USER_SGPR: 2
; COMPUTE_PGM_RSRC2:TRAP_HANDLER: 0
; COMPUTE_PGM_RSRC2:TGID_X_EN: 1
; COMPUTE_PGM_RSRC2:TGID_Y_EN: 0
; COMPUTE_PGM_RSRC2:TGID_Z_EN: 0
; COMPUTE_PGM_RSRC2:TIDIG_COMP_CNT: 0
; COMPUTE_PGM_RSRC3_GFX90A:ACCUM_OFFSET: 0
; COMPUTE_PGM_RSRC3_GFX90A:TG_SPLIT: 0
	.section	.text._ZN7rocprim17ROCPRIM_400000_NS6detail17trampoline_kernelINS0_13kernel_configILj256ELj4ELj4294967295EEENS1_37radix_sort_block_sort_config_selectorIiNS0_10empty_typeEEEZNS1_21radix_sort_block_sortIS4_Lb0EN6thrust23THRUST_200600_302600_NS6detail15normal_iteratorINSA_10device_ptrIiEEEESF_PS6_SG_NS0_19identity_decomposerEEE10hipError_tT1_T2_T3_T4_jRjT5_jjP12ihipStream_tbEUlT_E_NS1_11comp_targetILNS1_3genE0ELNS1_11target_archE4294967295ELNS1_3gpuE0ELNS1_3repE0EEENS1_44radix_sort_block_sort_config_static_selectorELNS0_4arch9wavefront6targetE1EEEvSJ_,"axG",@progbits,_ZN7rocprim17ROCPRIM_400000_NS6detail17trampoline_kernelINS0_13kernel_configILj256ELj4ELj4294967295EEENS1_37radix_sort_block_sort_config_selectorIiNS0_10empty_typeEEEZNS1_21radix_sort_block_sortIS4_Lb0EN6thrust23THRUST_200600_302600_NS6detail15normal_iteratorINSA_10device_ptrIiEEEESF_PS6_SG_NS0_19identity_decomposerEEE10hipError_tT1_T2_T3_T4_jRjT5_jjP12ihipStream_tbEUlT_E_NS1_11comp_targetILNS1_3genE0ELNS1_11target_archE4294967295ELNS1_3gpuE0ELNS1_3repE0EEENS1_44radix_sort_block_sort_config_static_selectorELNS0_4arch9wavefront6targetE1EEEvSJ_,comdat
	.protected	_ZN7rocprim17ROCPRIM_400000_NS6detail17trampoline_kernelINS0_13kernel_configILj256ELj4ELj4294967295EEENS1_37radix_sort_block_sort_config_selectorIiNS0_10empty_typeEEEZNS1_21radix_sort_block_sortIS4_Lb0EN6thrust23THRUST_200600_302600_NS6detail15normal_iteratorINSA_10device_ptrIiEEEESF_PS6_SG_NS0_19identity_decomposerEEE10hipError_tT1_T2_T3_T4_jRjT5_jjP12ihipStream_tbEUlT_E_NS1_11comp_targetILNS1_3genE0ELNS1_11target_archE4294967295ELNS1_3gpuE0ELNS1_3repE0EEENS1_44radix_sort_block_sort_config_static_selectorELNS0_4arch9wavefront6targetE1EEEvSJ_ ; -- Begin function _ZN7rocprim17ROCPRIM_400000_NS6detail17trampoline_kernelINS0_13kernel_configILj256ELj4ELj4294967295EEENS1_37radix_sort_block_sort_config_selectorIiNS0_10empty_typeEEEZNS1_21radix_sort_block_sortIS4_Lb0EN6thrust23THRUST_200600_302600_NS6detail15normal_iteratorINSA_10device_ptrIiEEEESF_PS6_SG_NS0_19identity_decomposerEEE10hipError_tT1_T2_T3_T4_jRjT5_jjP12ihipStream_tbEUlT_E_NS1_11comp_targetILNS1_3genE0ELNS1_11target_archE4294967295ELNS1_3gpuE0ELNS1_3repE0EEENS1_44radix_sort_block_sort_config_static_selectorELNS0_4arch9wavefront6targetE1EEEvSJ_
	.globl	_ZN7rocprim17ROCPRIM_400000_NS6detail17trampoline_kernelINS0_13kernel_configILj256ELj4ELj4294967295EEENS1_37radix_sort_block_sort_config_selectorIiNS0_10empty_typeEEEZNS1_21radix_sort_block_sortIS4_Lb0EN6thrust23THRUST_200600_302600_NS6detail15normal_iteratorINSA_10device_ptrIiEEEESF_PS6_SG_NS0_19identity_decomposerEEE10hipError_tT1_T2_T3_T4_jRjT5_jjP12ihipStream_tbEUlT_E_NS1_11comp_targetILNS1_3genE0ELNS1_11target_archE4294967295ELNS1_3gpuE0ELNS1_3repE0EEENS1_44radix_sort_block_sort_config_static_selectorELNS0_4arch9wavefront6targetE1EEEvSJ_
	.p2align	8
	.type	_ZN7rocprim17ROCPRIM_400000_NS6detail17trampoline_kernelINS0_13kernel_configILj256ELj4ELj4294967295EEENS1_37radix_sort_block_sort_config_selectorIiNS0_10empty_typeEEEZNS1_21radix_sort_block_sortIS4_Lb0EN6thrust23THRUST_200600_302600_NS6detail15normal_iteratorINSA_10device_ptrIiEEEESF_PS6_SG_NS0_19identity_decomposerEEE10hipError_tT1_T2_T3_T4_jRjT5_jjP12ihipStream_tbEUlT_E_NS1_11comp_targetILNS1_3genE0ELNS1_11target_archE4294967295ELNS1_3gpuE0ELNS1_3repE0EEENS1_44radix_sort_block_sort_config_static_selectorELNS0_4arch9wavefront6targetE1EEEvSJ_,@function
_ZN7rocprim17ROCPRIM_400000_NS6detail17trampoline_kernelINS0_13kernel_configILj256ELj4ELj4294967295EEENS1_37radix_sort_block_sort_config_selectorIiNS0_10empty_typeEEEZNS1_21radix_sort_block_sortIS4_Lb0EN6thrust23THRUST_200600_302600_NS6detail15normal_iteratorINSA_10device_ptrIiEEEESF_PS6_SG_NS0_19identity_decomposerEEE10hipError_tT1_T2_T3_T4_jRjT5_jjP12ihipStream_tbEUlT_E_NS1_11comp_targetILNS1_3genE0ELNS1_11target_archE4294967295ELNS1_3gpuE0ELNS1_3repE0EEENS1_44radix_sort_block_sort_config_static_selectorELNS0_4arch9wavefront6targetE1EEEvSJ_: ; @_ZN7rocprim17ROCPRIM_400000_NS6detail17trampoline_kernelINS0_13kernel_configILj256ELj4ELj4294967295EEENS1_37radix_sort_block_sort_config_selectorIiNS0_10empty_typeEEEZNS1_21radix_sort_block_sortIS4_Lb0EN6thrust23THRUST_200600_302600_NS6detail15normal_iteratorINSA_10device_ptrIiEEEESF_PS6_SG_NS0_19identity_decomposerEEE10hipError_tT1_T2_T3_T4_jRjT5_jjP12ihipStream_tbEUlT_E_NS1_11comp_targetILNS1_3genE0ELNS1_11target_archE4294967295ELNS1_3gpuE0ELNS1_3repE0EEENS1_44radix_sort_block_sort_config_static_selectorELNS0_4arch9wavefront6targetE1EEEvSJ_
; %bb.0:
	s_load_dword s8, s[0:1], 0x20
	s_load_dwordx4 s[28:31], s[0:1], 0x0
	s_lshl_b32 s4, s2, 10
	s_mov_b32 s5, 0
	v_mbcnt_lo_u32_b32 v1, -1, 0
	s_waitcnt lgkmcnt(0)
	s_lshr_b32 s3, s8, 10
	s_cmp_lg_u32 s2, s3
	v_and_b32_e32 v6, 0x3ff, v0
	s_cselect_b64 s[34:35], -1, 0
	s_lshl_b64 s[36:37], s[4:5], 2
	v_mbcnt_hi_u32_b32 v19, -1, v1
	s_add_u32 s6, s28, s36
	v_and_b32_e32 v1, 63, v19
	v_lshlrev_b32_e32 v8, 2, v6
	s_addc_u32 s7, s29, s37
	v_and_b32_e32 v7, 0x300, v8
	v_lshlrev_b32_e32 v10, 2, v1
	v_mov_b32_e32 v11, 0
	v_lshl_add_u64 v[2:3], s[6:7], 0, v[10:11]
	v_lshlrev_b32_e32 v10, 2, v7
	s_cmp_eq_u32 s2, s3
	v_lshl_add_u64 v[12:13], v[2:3], 0, v[10:11]
	s_cbranch_scc1 .LBB1_2
; %bb.1:
	global_load_dword v2, v[12:13], off
	global_load_dword v3, v[12:13], off offset:256
	global_load_dword v4, v[12:13], off offset:512
	s_mov_b64 s[2:3], -1
	s_load_dwordx2 s[28:29], s[0:1], 0x28
	s_sub_i32 s33, s8, s4
	s_cbranch_execz .LBB1_3
	s_branch .LBB1_10
.LBB1_2:
	s_mov_b64 s[2:3], 0
                                        ; implicit-def: $vgpr2_vgpr3_vgpr4_vgpr5
	s_load_dwordx2 s[28:29], s[0:1], 0x28
	s_sub_i32 s33, s8, s4
.LBB1_3:
	v_or_b32_e32 v7, v1, v7
	s_waitcnt vmcnt(2)
	v_bfrev_b32_e32 v2, -2
	v_cmp_gt_u32_e32 vcc, s33, v7
	s_waitcnt vmcnt(1)
	v_mov_b32_e32 v3, v2
	s_waitcnt vmcnt(0)
	v_mov_b32_e32 v4, v2
	v_mov_b32_e32 v5, v2
	s_and_saveexec_b64 s[2:3], vcc
	s_cbranch_execz .LBB1_5
; %bb.4:
	global_load_dword v14, v[12:13], off
	v_mov_b32_e32 v15, v2
	v_mov_b32_e32 v16, v2
	;; [unrolled: 1-line block ×3, first 2 shown]
	s_waitcnt vmcnt(0)
	v_mov_b64_e32 v[2:3], v[14:15]
	v_mov_b64_e32 v[4:5], v[16:17]
.LBB1_5:
	s_or_b64 exec, exec, s[2:3]
	v_or_b32_e32 v9, 64, v7
	v_cmp_gt_u32_e32 vcc, s33, v9
	s_and_saveexec_b64 s[2:3], vcc
	s_cbranch_execz .LBB1_7
; %bb.6:
	global_load_dword v3, v[12:13], off offset:256
.LBB1_7:
	s_or_b64 exec, exec, s[2:3]
	v_or_b32_e32 v9, 0x80, v7
	v_cmp_gt_u32_e32 vcc, s33, v9
	s_and_saveexec_b64 s[2:3], vcc
	s_cbranch_execz .LBB1_9
; %bb.8:
	global_load_dword v4, v[12:13], off offset:512
.LBB1_9:
	s_or_b64 exec, exec, s[2:3]
	v_or_b32_e32 v7, 0xc0, v7
	v_cmp_gt_u32_e64 s[2:3], s33, v7
.LBB1_10:
	s_and_saveexec_b64 s[4:5], s[2:3]
	s_cbranch_execz .LBB1_12
; %bb.11:
	global_load_dword v5, v[12:13], off offset:768
.LBB1_12:
	s_or_b64 exec, exec, s[4:5]
	s_load_dword s2, s[0:1], 0x3c
	s_waitcnt lgkmcnt(0)
	s_add_i32 s38, s29, s28
	s_getpc_b64 s[0:1]
	s_add_u32 s0, s0, _ZN7rocprim17ROCPRIM_400000_NS16block_radix_sortIiLj256ELj4ENS0_10empty_typeELj1ELj1ELj0ELNS0_26block_radix_rank_algorithmE1ELNS0_18block_padding_hintE2ELNS0_4arch9wavefront6targetE1EE19radix_bits_per_passE@rel32@lo+4
	s_addc_u32 s1, s1, _ZN7rocprim17ROCPRIM_400000_NS16block_radix_sortIiLj256ELj4ENS0_10empty_typeELj1ELj1ELj0ELNS0_26block_radix_rank_algorithmE1ELNS0_18block_padding_hintE2ELNS0_4arch9wavefront6targetE1EE19radix_bits_per_passE@rel32@hi+12
	s_waitcnt vmcnt(0)
	v_xor_b32_e32 v14, 0x80000000, v4
	s_load_dword s39, s[0:1], 0x0
	s_lshr_b32 s0, s2, 16
	v_bfe_u32 v4, v0, 10, 10
	v_bfe_u32 v0, v0, 20, 10
	s_and_b32 s1, s2, 0xffff
	v_mad_u32_u24 v0, v0, s0, v4
	v_xor_b32_e32 v15, 0x80000000, v5
	v_mad_u64_u32 v[4:5], s[0:1], v0, s1, v[6:7]
	v_lshrrev_b32_e32 v0, 4, v4
	v_and_b32_e32 v9, 0xffffffc, v0
	v_and_b32_e32 v0, 15, v19
	v_cmp_eq_u32_e64 s[0:1], 0, v0
	v_cmp_lt_u32_e64 s[2:3], 1, v0
	v_cmp_lt_u32_e64 s[4:5], 3, v0
	v_cmp_lt_u32_e64 s[6:7], 7, v0
	v_and_b32_e32 v0, 16, v19
	v_cmp_eq_u32_e64 s[8:9], 0, v0
	v_and_b32_e32 v0, 0x3c0, v6
	v_min_u32_e32 v0, 0xc0, v0
	v_or_b32_e32 v0, 63, v0
	v_cmp_eq_u32_e64 s[12:13], v6, v0
	v_subrev_co_u32_e64 v0, s[18:19], 1, v19
	v_and_b32_e32 v4, 64, v19
	v_cmp_lt_i32_e32 vcc, v0, v4
	s_mov_b32 s26, 0
	s_mov_b32 s27, s26
	v_cndmask_b32_e32 v0, v0, v19, vcc
	v_lshlrev_b32_e32 v17, 2, v0
	v_lshrrev_b32_e32 v0, 4, v6
	v_and_b32_e32 v18, 60, v0
	v_and_b32_e32 v0, 3, v19
	s_mov_b32 s40, s26
	s_mov_b32 s41, s26
	v_xor_b32_e32 v2, 0x80000000, v2
	v_xor_b32_e32 v3, 0x80000000, v3
	v_lshlrev_b32_e32 v7, 2, v8
	v_cmp_lt_u32_e64 s[10:11], 31, v19
	v_cmp_gt_u32_e64 s[14:15], 4, v6
	v_cmp_lt_u32_e64 s[16:17], 63, v6
	v_cmp_eq_u32_e64 s[20:21], 0, v6
	v_mul_i32_i24_e32 v16, -12, v6
	v_cmp_eq_u32_e64 s[22:23], 0, v0
	v_cmp_lt_u32_e64 s[24:25], 1, v0
	v_add_u32_e32 v19, -4, v18
	v_lshl_add_u32 v20, v1, 2, v10
	v_mov_b64_e32 v[4:5], s[26:27]
	v_mov_b64_e32 v[10:11], s[40:41]
	v_mov_b32_e32 v13, 0
	s_branch .LBB1_14
.LBB1_13:                               ;   in Loop: Header=BB1_14 Depth=1
	s_andn2_b64 vcc, exec, s[26:27]
	s_mov_b32 s29, s40
	s_cbranch_vccz .LBB1_30
.LBB1_14:                               ; =>This Inner Loop Header: Depth=1
	v_mov_b32_e32 v24, v2
	s_waitcnt lgkmcnt(0)
	s_min_u32 s26, s39, s29
	s_lshl_b32 s40, -1, s26
	v_lshrrev_b32_e32 v0, s28, v24
	v_bitop3_b32 v2, v0, s40, v0 bitop3:0x30
	v_and_b32_e32 v12, 1, v2
	v_lshl_add_u64 v[0:1], v[12:13], 0, -1
	v_cmp_ne_u32_e32 vcc, 0, v12
	v_mov_b32_e32 v22, v14
	v_mov_b32_e32 v23, v3
	v_xor_b32_e32 v1, vcc_hi, v1
	v_xor_b32_e32 v0, vcc_lo, v0
	v_and_b32_e32 v12, exec_hi, v1
	v_and_b32_e32 v14, exec_lo, v0
	v_lshlrev_b32_e32 v1, 30, v2
	v_mov_b32_e32 v0, v13
	v_cmp_gt_i64_e32 vcc, 0, v[0:1]
	v_not_b32_e32 v0, v1
	v_ashrrev_i32_e32 v0, 31, v0
	v_xor_b32_e32 v1, vcc_hi, v0
	v_xor_b32_e32 v0, vcc_lo, v0
	v_and_b32_e32 v12, v12, v1
	v_and_b32_e32 v14, v14, v0
	v_lshlrev_b32_e32 v1, 29, v2
	v_mov_b32_e32 v0, v13
	v_cmp_gt_i64_e32 vcc, 0, v[0:1]
	v_not_b32_e32 v0, v1
	v_ashrrev_i32_e32 v0, 31, v0
	v_xor_b32_e32 v1, vcc_hi, v0
	v_xor_b32_e32 v0, vcc_lo, v0
	v_and_b32_e32 v12, v12, v1
	v_and_b32_e32 v14, v14, v0
	;; [unrolled: 9-line block ×6, first 2 shown]
	v_lshlrev_b32_e32 v1, 24, v2
	v_mov_b32_e32 v0, v13
	v_cmp_gt_i64_e32 vcc, 0, v[0:1]
	v_not_b32_e32 v0, v1
	v_ashrrev_i32_e32 v0, 31, v0
	v_xor_b32_e32 v1, vcc_hi, v0
	v_xor_b32_e32 v0, vcc_lo, v0
	v_and_b32_e32 v0, v14, v0
	v_lshlrev_b32_e32 v3, 4, v2
	v_and_b32_e32 v1, v12, v1
	v_mbcnt_lo_u32_b32 v2, v0, 0
	v_mbcnt_hi_u32_b32 v14, v1, v2
	v_cmp_eq_u32_e32 vcc, 0, v14
	v_cmp_ne_u64_e64 s[26:27], 0, v[0:1]
	v_mov_b32_e32 v21, v15
	s_and_b64 s[42:43], s[26:27], vcc
	v_add_u32_e32 v15, v9, v3
	ds_write2_b64 v7, v[4:5], v[10:11] offset0:2 offset1:3
	s_waitcnt lgkmcnt(0)
	s_barrier
	; wave barrier
	s_and_saveexec_b64 s[26:27], s[42:43]
; %bb.15:                               ;   in Loop: Header=BB1_14 Depth=1
	v_bcnt_u32_b32 v0, v0, 0
	v_bcnt_u32_b32 v0, v1, v0
	ds_write_b32 v15, v0 offset:16
; %bb.16:                               ;   in Loop: Header=BB1_14 Depth=1
	s_or_b64 exec, exec, s[26:27]
	s_not_b32 s40, s40
	v_lshrrev_b32_e32 v0, s28, v23
	v_and_b32_e32 v2, s40, v0
	v_lshlrev_b32_e32 v0, 4, v2
	v_and_b32_e32 v12, 1, v2
	v_add_u32_e32 v26, v9, v0
	v_lshl_add_u64 v[0:1], v[12:13], 0, -1
	v_cmp_ne_u32_e32 vcc, 0, v12
	; wave barrier
	s_nop 1
	v_xor_b32_e32 v1, vcc_hi, v1
	v_xor_b32_e32 v0, vcc_lo, v0
	v_and_b32_e32 v3, exec_hi, v1
	v_and_b32_e32 v12, exec_lo, v0
	v_lshlrev_b32_e32 v1, 30, v2
	v_mov_b32_e32 v0, v13
	v_cmp_gt_i64_e32 vcc, 0, v[0:1]
	v_not_b32_e32 v0, v1
	v_ashrrev_i32_e32 v0, 31, v0
	v_xor_b32_e32 v1, vcc_hi, v0
	v_xor_b32_e32 v0, vcc_lo, v0
	v_and_b32_e32 v3, v3, v1
	v_and_b32_e32 v12, v12, v0
	v_lshlrev_b32_e32 v1, 29, v2
	v_mov_b32_e32 v0, v13
	v_cmp_gt_i64_e32 vcc, 0, v[0:1]
	v_not_b32_e32 v0, v1
	v_ashrrev_i32_e32 v0, 31, v0
	v_xor_b32_e32 v1, vcc_hi, v0
	v_xor_b32_e32 v0, vcc_lo, v0
	v_and_b32_e32 v3, v3, v1
	v_and_b32_e32 v12, v12, v0
	;; [unrolled: 9-line block ×6, first 2 shown]
	v_lshlrev_b32_e32 v1, 24, v2
	v_mov_b32_e32 v0, v13
	v_cmp_gt_i64_e32 vcc, 0, v[0:1]
	v_not_b32_e32 v0, v1
	v_ashrrev_i32_e32 v0, 31, v0
	v_xor_b32_e32 v1, vcc_hi, v0
	v_xor_b32_e32 v0, vcc_lo, v0
	ds_read_b32 v25, v26 offset:16
	v_and_b32_e32 v0, v12, v0
	v_and_b32_e32 v1, v3, v1
	v_mbcnt_lo_u32_b32 v2, v0, 0
	v_mbcnt_hi_u32_b32 v27, v1, v2
	v_cmp_eq_u32_e32 vcc, 0, v27
	v_cmp_ne_u64_e64 s[26:27], 0, v[0:1]
	s_and_b64 s[42:43], s[26:27], vcc
	; wave barrier
	s_and_saveexec_b64 s[26:27], s[42:43]
	s_cbranch_execz .LBB1_18
; %bb.17:                               ;   in Loop: Header=BB1_14 Depth=1
	v_bcnt_u32_b32 v0, v0, 0
	v_bcnt_u32_b32 v0, v1, v0
	s_waitcnt lgkmcnt(0)
	v_add_u32_e32 v0, v25, v0
	ds_write_b32 v26, v0 offset:16
.LBB1_18:                               ;   in Loop: Header=BB1_14 Depth=1
	s_or_b64 exec, exec, s[26:27]
	v_lshrrev_b32_e32 v0, s28, v22
	v_and_b32_e32 v2, s40, v0
	v_lshlrev_b32_e32 v0, 4, v2
	v_and_b32_e32 v12, 1, v2
	v_add_u32_e32 v29, v9, v0
	v_lshl_add_u64 v[0:1], v[12:13], 0, -1
	v_cmp_ne_u32_e32 vcc, 0, v12
	; wave barrier
	s_nop 1
	v_xor_b32_e32 v1, vcc_hi, v1
	v_xor_b32_e32 v0, vcc_lo, v0
	v_and_b32_e32 v3, exec_hi, v1
	v_and_b32_e32 v12, exec_lo, v0
	v_lshlrev_b32_e32 v1, 30, v2
	v_mov_b32_e32 v0, v13
	v_cmp_gt_i64_e32 vcc, 0, v[0:1]
	v_not_b32_e32 v0, v1
	v_ashrrev_i32_e32 v0, 31, v0
	v_xor_b32_e32 v1, vcc_hi, v0
	v_xor_b32_e32 v0, vcc_lo, v0
	v_and_b32_e32 v3, v3, v1
	v_and_b32_e32 v12, v12, v0
	v_lshlrev_b32_e32 v1, 29, v2
	v_mov_b32_e32 v0, v13
	v_cmp_gt_i64_e32 vcc, 0, v[0:1]
	v_not_b32_e32 v0, v1
	v_ashrrev_i32_e32 v0, 31, v0
	v_xor_b32_e32 v1, vcc_hi, v0
	v_xor_b32_e32 v0, vcc_lo, v0
	v_and_b32_e32 v3, v3, v1
	v_and_b32_e32 v12, v12, v0
	;; [unrolled: 9-line block ×6, first 2 shown]
	v_lshlrev_b32_e32 v1, 24, v2
	v_mov_b32_e32 v0, v13
	v_cmp_gt_i64_e32 vcc, 0, v[0:1]
	v_not_b32_e32 v0, v1
	v_ashrrev_i32_e32 v0, 31, v0
	v_xor_b32_e32 v1, vcc_hi, v0
	v_xor_b32_e32 v0, vcc_lo, v0
	ds_read_b32 v28, v29 offset:16
	v_and_b32_e32 v0, v12, v0
	v_and_b32_e32 v1, v3, v1
	v_mbcnt_lo_u32_b32 v2, v0, 0
	v_mbcnt_hi_u32_b32 v30, v1, v2
	v_cmp_eq_u32_e32 vcc, 0, v30
	v_cmp_ne_u64_e64 s[26:27], 0, v[0:1]
	s_and_b64 s[42:43], s[26:27], vcc
	; wave barrier
	s_and_saveexec_b64 s[26:27], s[42:43]
	s_cbranch_execz .LBB1_20
; %bb.19:                               ;   in Loop: Header=BB1_14 Depth=1
	v_bcnt_u32_b32 v0, v0, 0
	v_bcnt_u32_b32 v0, v1, v0
	s_waitcnt lgkmcnt(0)
	v_add_u32_e32 v0, v28, v0
	ds_write_b32 v29, v0 offset:16
.LBB1_20:                               ;   in Loop: Header=BB1_14 Depth=1
	s_or_b64 exec, exec, s[26:27]
	v_lshrrev_b32_e32 v0, s28, v21
	v_and_b32_e32 v2, s40, v0
	v_lshlrev_b32_e32 v0, 4, v2
	v_and_b32_e32 v12, 1, v2
	v_add_u32_e32 v32, v9, v0
	v_lshl_add_u64 v[0:1], v[12:13], 0, -1
	v_cmp_ne_u32_e32 vcc, 0, v12
	; wave barrier
	s_nop 1
	v_xor_b32_e32 v1, vcc_hi, v1
	v_xor_b32_e32 v0, vcc_lo, v0
	v_and_b32_e32 v3, exec_hi, v1
	v_and_b32_e32 v12, exec_lo, v0
	v_lshlrev_b32_e32 v1, 30, v2
	v_mov_b32_e32 v0, v13
	v_cmp_gt_i64_e32 vcc, 0, v[0:1]
	v_not_b32_e32 v0, v1
	v_ashrrev_i32_e32 v0, 31, v0
	v_xor_b32_e32 v1, vcc_hi, v0
	v_xor_b32_e32 v0, vcc_lo, v0
	v_and_b32_e32 v3, v3, v1
	v_and_b32_e32 v12, v12, v0
	v_lshlrev_b32_e32 v1, 29, v2
	v_mov_b32_e32 v0, v13
	v_cmp_gt_i64_e32 vcc, 0, v[0:1]
	v_not_b32_e32 v0, v1
	v_ashrrev_i32_e32 v0, 31, v0
	v_xor_b32_e32 v1, vcc_hi, v0
	v_xor_b32_e32 v0, vcc_lo, v0
	v_and_b32_e32 v3, v3, v1
	v_and_b32_e32 v12, v12, v0
	;; [unrolled: 9-line block ×6, first 2 shown]
	v_lshlrev_b32_e32 v1, 24, v2
	v_mov_b32_e32 v0, v13
	v_cmp_gt_i64_e32 vcc, 0, v[0:1]
	v_not_b32_e32 v0, v1
	v_ashrrev_i32_e32 v0, 31, v0
	v_xor_b32_e32 v1, vcc_hi, v0
	v_xor_b32_e32 v0, vcc_lo, v0
	ds_read_b32 v31, v32 offset:16
	v_and_b32_e32 v0, v12, v0
	v_and_b32_e32 v1, v3, v1
	v_mbcnt_lo_u32_b32 v2, v0, 0
	v_mbcnt_hi_u32_b32 v12, v1, v2
	v_cmp_eq_u32_e32 vcc, 0, v12
	v_cmp_ne_u64_e64 s[26:27], 0, v[0:1]
	s_and_b64 s[40:41], s[26:27], vcc
	; wave barrier
	s_and_saveexec_b64 s[26:27], s[40:41]
	s_cbranch_execz .LBB1_22
; %bb.21:                               ;   in Loop: Header=BB1_14 Depth=1
	v_bcnt_u32_b32 v0, v0, 0
	v_bcnt_u32_b32 v0, v1, v0
	s_waitcnt lgkmcnt(0)
	v_add_u32_e32 v0, v31, v0
	ds_write_b32 v32, v0 offset:16
.LBB1_22:                               ;   in Loop: Header=BB1_14 Depth=1
	s_or_b64 exec, exec, s[26:27]
	; wave barrier
	s_waitcnt lgkmcnt(0)
	s_barrier
	ds_read2_b64 v[0:3], v7 offset0:2 offset1:3
	s_waitcnt lgkmcnt(0)
	v_add_u32_e32 v33, v1, v0
	v_add3_u32 v3, v33, v2, v3
	s_nop 1
	v_mov_b32_dpp v33, v3 row_shr:1 row_mask:0xf bank_mask:0xf
	v_cndmask_b32_e64 v33, v33, 0, s[0:1]
	v_add_u32_e32 v3, v33, v3
	s_nop 1
	v_mov_b32_dpp v33, v3 row_shr:2 row_mask:0xf bank_mask:0xf
	v_cndmask_b32_e64 v33, 0, v33, s[2:3]
	v_add_u32_e32 v3, v3, v33
	;; [unrolled: 4-line block ×4, first 2 shown]
	s_nop 1
	v_mov_b32_dpp v33, v3 row_bcast:15 row_mask:0xf bank_mask:0xf
	v_cndmask_b32_e64 v33, v33, 0, s[8:9]
	v_add_u32_e32 v3, v3, v33
	s_nop 1
	v_mov_b32_dpp v33, v3 row_bcast:31 row_mask:0xf bank_mask:0xf
	v_cndmask_b32_e64 v33, 0, v33, s[10:11]
	v_add_u32_e32 v3, v3, v33
	s_and_saveexec_b64 s[26:27], s[12:13]
; %bb.23:                               ;   in Loop: Header=BB1_14 Depth=1
	ds_write_b32 v18, v3
; %bb.24:                               ;   in Loop: Header=BB1_14 Depth=1
	s_or_b64 exec, exec, s[26:27]
	s_waitcnt lgkmcnt(0)
	s_barrier
	s_and_saveexec_b64 s[26:27], s[14:15]
	s_cbranch_execz .LBB1_26
; %bb.25:                               ;   in Loop: Header=BB1_14 Depth=1
	v_add_u32_e32 v33, v7, v16
	ds_read_b32 v34, v33
	s_waitcnt lgkmcnt(0)
	s_nop 0
	v_mov_b32_dpp v35, v34 row_shr:1 row_mask:0xf bank_mask:0xf
	v_cndmask_b32_e64 v35, v35, 0, s[22:23]
	v_add_u32_e32 v34, v35, v34
	s_nop 1
	v_mov_b32_dpp v35, v34 row_shr:2 row_mask:0xf bank_mask:0xf
	v_cndmask_b32_e64 v35, 0, v35, s[24:25]
	v_add_u32_e32 v34, v34, v35
	ds_write_b32 v33, v34
.LBB1_26:                               ;   in Loop: Header=BB1_14 Depth=1
	s_or_b64 exec, exec, s[26:27]
	v_mov_b32_e32 v33, 0
	s_waitcnt lgkmcnt(0)
	s_barrier
	s_and_saveexec_b64 s[26:27], s[16:17]
; %bb.27:                               ;   in Loop: Header=BB1_14 Depth=1
	ds_read_b32 v33, v19
; %bb.28:                               ;   in Loop: Header=BB1_14 Depth=1
	s_or_b64 exec, exec, s[26:27]
	s_waitcnt lgkmcnt(0)
	v_add_u32_e32 v3, v33, v3
	ds_bpermute_b32 v3, v17, v3
	v_lshlrev_b32_e32 v14, 2, v14
	s_add_i32 s28, s28, 8
	s_cmp_ge_u32 s28, s38
	s_mov_b64 s[26:27], -1
	s_waitcnt lgkmcnt(0)
	v_cndmask_b32_e64 v3, v3, v33, s[18:19]
	v_cndmask_b32_e64 v34, v3, 0, s[20:21]
	v_add_u32_e32 v35, v34, v0
	v_add_u32_e32 v0, v35, v1
	;; [unrolled: 1-line block ×3, first 2 shown]
	ds_write2_b64 v7, v[34:35], v[0:1] offset0:2 offset1:3
	s_waitcnt lgkmcnt(0)
	s_barrier
	ds_read_b32 v0, v15 offset:16
	ds_read_b32 v1, v26 offset:16
	;; [unrolled: 1-line block ×4, first 2 shown]
	v_lshlrev_b32_e32 v15, 2, v25
	s_waitcnt lgkmcnt(3)
	v_lshl_add_u32 v0, v0, 2, v14
	v_lshlrev_b32_e32 v14, 2, v27
	s_waitcnt lgkmcnt(2)
	v_lshlrev_b32_e32 v1, 2, v1
	v_add3_u32 v1, v14, v15, v1
	v_lshlrev_b32_e32 v14, 2, v30
	v_lshlrev_b32_e32 v15, 2, v28
	s_waitcnt lgkmcnt(1)
	v_lshlrev_b32_e32 v2, 2, v2
	v_add3_u32 v25, v14, v15, v2
	v_lshlrev_b32_e32 v2, 2, v12
	v_lshlrev_b32_e32 v12, 2, v31
	s_waitcnt lgkmcnt(0)
	v_lshlrev_b32_e32 v3, 2, v3
	v_add3_u32 v12, v2, v12, v3
	v_readfirstlane_b32 s40, v0
                                        ; implicit-def: $vgpr15
                                        ; implicit-def: $vgpr3
	s_cbranch_scc1 .LBB1_13
; %bb.29:                               ;   in Loop: Header=BB1_14 Depth=1
	s_barrier
	ds_write_b32 v0, v24
	ds_write_b32 v1, v23
	ds_write_b32 v25, v22
	ds_write_b32 v12, v21
	s_waitcnt lgkmcnt(0)
	s_barrier
	ds_read2st64_b32 v[2:3], v20 offset1:1
	ds_read2st64_b32 v[14:15], v20 offset0:2 offset1:3
	s_add_i32 s40, s29, -8
	s_mov_b64 s[26:27], 0
	s_waitcnt lgkmcnt(0)
	s_barrier
	s_branch .LBB1_13
.LBB1_30:
	s_barrier
	ds_write_b32 v0, v24
	ds_write_b32 v1, v23
	;; [unrolled: 1-line block ×4, first 2 shown]
	v_add_u32_e32 v0, v7, v16
	s_waitcnt lgkmcnt(0)
	s_barrier
	ds_read2st64_b32 v[2:3], v0 offset1:4
	ds_read2st64_b32 v[0:1], v0 offset0:8 offset1:12
	s_add_u32 s0, s30, s36
	s_addc_u32 s1, s31, s37
	v_mov_b32_e32 v9, 0
	s_waitcnt lgkmcnt(1)
	v_xor_b32_e32 v5, 0x80000000, v2
	v_xor_b32_e32 v4, 0x80000000, v3
	s_waitcnt lgkmcnt(0)
	v_xor_b32_e32 v0, 0x80000000, v0
	s_andn2_b64 vcc, exec, s[34:35]
	v_lshl_add_u64 v[2:3], s[0:1], 0, v[8:9]
	s_cbranch_vccnz .LBB1_32
; %bb.31:
	s_mov_b64 s[0:1], -1
	global_store_dword v[2:3], v5, off
	global_store_dword v[2:3], v4, off offset:1024
	global_store_dword v[2:3], v0, off offset:2048
	s_cbranch_execz .LBB1_33
	s_branch .LBB1_40
.LBB1_32:
	s_mov_b64 s[0:1], 0
.LBB1_33:
	v_cmp_gt_u32_e32 vcc, s33, v6
	s_and_saveexec_b64 s[0:1], vcc
	s_cbranch_execz .LBB1_35
; %bb.34:
	global_store_dword v[2:3], v5, off
.LBB1_35:
	s_or_b64 exec, exec, s[0:1]
	v_add_u32_e32 v5, 0x100, v6
	v_cmp_gt_u32_e32 vcc, s33, v5
	s_and_saveexec_b64 s[0:1], vcc
	s_cbranch_execz .LBB1_37
; %bb.36:
	global_store_dword v[2:3], v4, off offset:1024
.LBB1_37:
	s_or_b64 exec, exec, s[0:1]
	v_add_u32_e32 v4, 0x200, v6
	v_cmp_gt_u32_e32 vcc, s33, v4
	s_and_saveexec_b64 s[0:1], vcc
	s_cbranch_execz .LBB1_39
; %bb.38:
	global_store_dword v[2:3], v0, off offset:2048
.LBB1_39:
	s_or_b64 exec, exec, s[0:1]
	v_add_u32_e32 v0, 0x300, v6
	v_cmp_gt_u32_e64 s[0:1], s33, v0
.LBB1_40:
	s_and_saveexec_b64 s[2:3], s[0:1]
	s_cbranch_execnz .LBB1_42
; %bb.41:
	s_endpgm
.LBB1_42:
	v_xor_b32_e32 v0, 0x80000000, v1
	global_store_dword v[2:3], v0, off offset:3072
	s_endpgm
	.section	.rodata,"a",@progbits
	.p2align	6, 0x0
	.amdhsa_kernel _ZN7rocprim17ROCPRIM_400000_NS6detail17trampoline_kernelINS0_13kernel_configILj256ELj4ELj4294967295EEENS1_37radix_sort_block_sort_config_selectorIiNS0_10empty_typeEEEZNS1_21radix_sort_block_sortIS4_Lb0EN6thrust23THRUST_200600_302600_NS6detail15normal_iteratorINSA_10device_ptrIiEEEESF_PS6_SG_NS0_19identity_decomposerEEE10hipError_tT1_T2_T3_T4_jRjT5_jjP12ihipStream_tbEUlT_E_NS1_11comp_targetILNS1_3genE0ELNS1_11target_archE4294967295ELNS1_3gpuE0ELNS1_3repE0EEENS1_44radix_sort_block_sort_config_static_selectorELNS0_4arch9wavefront6targetE1EEEvSJ_
		.amdhsa_group_segment_fixed_size 4112
		.amdhsa_private_segment_fixed_size 0
		.amdhsa_kernarg_size 304
		.amdhsa_user_sgpr_count 2
		.amdhsa_user_sgpr_dispatch_ptr 0
		.amdhsa_user_sgpr_queue_ptr 0
		.amdhsa_user_sgpr_kernarg_segment_ptr 1
		.amdhsa_user_sgpr_dispatch_id 0
		.amdhsa_user_sgpr_kernarg_preload_length 0
		.amdhsa_user_sgpr_kernarg_preload_offset 0
		.amdhsa_user_sgpr_private_segment_size 0
		.amdhsa_uses_dynamic_stack 0
		.amdhsa_enable_private_segment 0
		.amdhsa_system_sgpr_workgroup_id_x 1
		.amdhsa_system_sgpr_workgroup_id_y 0
		.amdhsa_system_sgpr_workgroup_id_z 0
		.amdhsa_system_sgpr_workgroup_info 0
		.amdhsa_system_vgpr_workitem_id 2
		.amdhsa_next_free_vgpr 36
		.amdhsa_next_free_sgpr 44
		.amdhsa_accum_offset 36
		.amdhsa_reserve_vcc 1
		.amdhsa_float_round_mode_32 0
		.amdhsa_float_round_mode_16_64 0
		.amdhsa_float_denorm_mode_32 3
		.amdhsa_float_denorm_mode_16_64 3
		.amdhsa_dx10_clamp 1
		.amdhsa_ieee_mode 1
		.amdhsa_fp16_overflow 0
		.amdhsa_tg_split 0
		.amdhsa_exception_fp_ieee_invalid_op 0
		.amdhsa_exception_fp_denorm_src 0
		.amdhsa_exception_fp_ieee_div_zero 0
		.amdhsa_exception_fp_ieee_overflow 0
		.amdhsa_exception_fp_ieee_underflow 0
		.amdhsa_exception_fp_ieee_inexact 0
		.amdhsa_exception_int_div_zero 0
	.end_amdhsa_kernel
	.section	.text._ZN7rocprim17ROCPRIM_400000_NS6detail17trampoline_kernelINS0_13kernel_configILj256ELj4ELj4294967295EEENS1_37radix_sort_block_sort_config_selectorIiNS0_10empty_typeEEEZNS1_21radix_sort_block_sortIS4_Lb0EN6thrust23THRUST_200600_302600_NS6detail15normal_iteratorINSA_10device_ptrIiEEEESF_PS6_SG_NS0_19identity_decomposerEEE10hipError_tT1_T2_T3_T4_jRjT5_jjP12ihipStream_tbEUlT_E_NS1_11comp_targetILNS1_3genE0ELNS1_11target_archE4294967295ELNS1_3gpuE0ELNS1_3repE0EEENS1_44radix_sort_block_sort_config_static_selectorELNS0_4arch9wavefront6targetE1EEEvSJ_,"axG",@progbits,_ZN7rocprim17ROCPRIM_400000_NS6detail17trampoline_kernelINS0_13kernel_configILj256ELj4ELj4294967295EEENS1_37radix_sort_block_sort_config_selectorIiNS0_10empty_typeEEEZNS1_21radix_sort_block_sortIS4_Lb0EN6thrust23THRUST_200600_302600_NS6detail15normal_iteratorINSA_10device_ptrIiEEEESF_PS6_SG_NS0_19identity_decomposerEEE10hipError_tT1_T2_T3_T4_jRjT5_jjP12ihipStream_tbEUlT_E_NS1_11comp_targetILNS1_3genE0ELNS1_11target_archE4294967295ELNS1_3gpuE0ELNS1_3repE0EEENS1_44radix_sort_block_sort_config_static_selectorELNS0_4arch9wavefront6targetE1EEEvSJ_,comdat
.Lfunc_end1:
	.size	_ZN7rocprim17ROCPRIM_400000_NS6detail17trampoline_kernelINS0_13kernel_configILj256ELj4ELj4294967295EEENS1_37radix_sort_block_sort_config_selectorIiNS0_10empty_typeEEEZNS1_21radix_sort_block_sortIS4_Lb0EN6thrust23THRUST_200600_302600_NS6detail15normal_iteratorINSA_10device_ptrIiEEEESF_PS6_SG_NS0_19identity_decomposerEEE10hipError_tT1_T2_T3_T4_jRjT5_jjP12ihipStream_tbEUlT_E_NS1_11comp_targetILNS1_3genE0ELNS1_11target_archE4294967295ELNS1_3gpuE0ELNS1_3repE0EEENS1_44radix_sort_block_sort_config_static_selectorELNS0_4arch9wavefront6targetE1EEEvSJ_, .Lfunc_end1-_ZN7rocprim17ROCPRIM_400000_NS6detail17trampoline_kernelINS0_13kernel_configILj256ELj4ELj4294967295EEENS1_37radix_sort_block_sort_config_selectorIiNS0_10empty_typeEEEZNS1_21radix_sort_block_sortIS4_Lb0EN6thrust23THRUST_200600_302600_NS6detail15normal_iteratorINSA_10device_ptrIiEEEESF_PS6_SG_NS0_19identity_decomposerEEE10hipError_tT1_T2_T3_T4_jRjT5_jjP12ihipStream_tbEUlT_E_NS1_11comp_targetILNS1_3genE0ELNS1_11target_archE4294967295ELNS1_3gpuE0ELNS1_3repE0EEENS1_44radix_sort_block_sort_config_static_selectorELNS0_4arch9wavefront6targetE1EEEvSJ_
                                        ; -- End function
	.set _ZN7rocprim17ROCPRIM_400000_NS6detail17trampoline_kernelINS0_13kernel_configILj256ELj4ELj4294967295EEENS1_37radix_sort_block_sort_config_selectorIiNS0_10empty_typeEEEZNS1_21radix_sort_block_sortIS4_Lb0EN6thrust23THRUST_200600_302600_NS6detail15normal_iteratorINSA_10device_ptrIiEEEESF_PS6_SG_NS0_19identity_decomposerEEE10hipError_tT1_T2_T3_T4_jRjT5_jjP12ihipStream_tbEUlT_E_NS1_11comp_targetILNS1_3genE0ELNS1_11target_archE4294967295ELNS1_3gpuE0ELNS1_3repE0EEENS1_44radix_sort_block_sort_config_static_selectorELNS0_4arch9wavefront6targetE1EEEvSJ_.num_vgpr, 36
	.set _ZN7rocprim17ROCPRIM_400000_NS6detail17trampoline_kernelINS0_13kernel_configILj256ELj4ELj4294967295EEENS1_37radix_sort_block_sort_config_selectorIiNS0_10empty_typeEEEZNS1_21radix_sort_block_sortIS4_Lb0EN6thrust23THRUST_200600_302600_NS6detail15normal_iteratorINSA_10device_ptrIiEEEESF_PS6_SG_NS0_19identity_decomposerEEE10hipError_tT1_T2_T3_T4_jRjT5_jjP12ihipStream_tbEUlT_E_NS1_11comp_targetILNS1_3genE0ELNS1_11target_archE4294967295ELNS1_3gpuE0ELNS1_3repE0EEENS1_44radix_sort_block_sort_config_static_selectorELNS0_4arch9wavefront6targetE1EEEvSJ_.num_agpr, 0
	.set _ZN7rocprim17ROCPRIM_400000_NS6detail17trampoline_kernelINS0_13kernel_configILj256ELj4ELj4294967295EEENS1_37radix_sort_block_sort_config_selectorIiNS0_10empty_typeEEEZNS1_21radix_sort_block_sortIS4_Lb0EN6thrust23THRUST_200600_302600_NS6detail15normal_iteratorINSA_10device_ptrIiEEEESF_PS6_SG_NS0_19identity_decomposerEEE10hipError_tT1_T2_T3_T4_jRjT5_jjP12ihipStream_tbEUlT_E_NS1_11comp_targetILNS1_3genE0ELNS1_11target_archE4294967295ELNS1_3gpuE0ELNS1_3repE0EEENS1_44radix_sort_block_sort_config_static_selectorELNS0_4arch9wavefront6targetE1EEEvSJ_.numbered_sgpr, 44
	.set _ZN7rocprim17ROCPRIM_400000_NS6detail17trampoline_kernelINS0_13kernel_configILj256ELj4ELj4294967295EEENS1_37radix_sort_block_sort_config_selectorIiNS0_10empty_typeEEEZNS1_21radix_sort_block_sortIS4_Lb0EN6thrust23THRUST_200600_302600_NS6detail15normal_iteratorINSA_10device_ptrIiEEEESF_PS6_SG_NS0_19identity_decomposerEEE10hipError_tT1_T2_T3_T4_jRjT5_jjP12ihipStream_tbEUlT_E_NS1_11comp_targetILNS1_3genE0ELNS1_11target_archE4294967295ELNS1_3gpuE0ELNS1_3repE0EEENS1_44radix_sort_block_sort_config_static_selectorELNS0_4arch9wavefront6targetE1EEEvSJ_.num_named_barrier, 0
	.set _ZN7rocprim17ROCPRIM_400000_NS6detail17trampoline_kernelINS0_13kernel_configILj256ELj4ELj4294967295EEENS1_37radix_sort_block_sort_config_selectorIiNS0_10empty_typeEEEZNS1_21radix_sort_block_sortIS4_Lb0EN6thrust23THRUST_200600_302600_NS6detail15normal_iteratorINSA_10device_ptrIiEEEESF_PS6_SG_NS0_19identity_decomposerEEE10hipError_tT1_T2_T3_T4_jRjT5_jjP12ihipStream_tbEUlT_E_NS1_11comp_targetILNS1_3genE0ELNS1_11target_archE4294967295ELNS1_3gpuE0ELNS1_3repE0EEENS1_44radix_sort_block_sort_config_static_selectorELNS0_4arch9wavefront6targetE1EEEvSJ_.private_seg_size, 0
	.set _ZN7rocprim17ROCPRIM_400000_NS6detail17trampoline_kernelINS0_13kernel_configILj256ELj4ELj4294967295EEENS1_37radix_sort_block_sort_config_selectorIiNS0_10empty_typeEEEZNS1_21radix_sort_block_sortIS4_Lb0EN6thrust23THRUST_200600_302600_NS6detail15normal_iteratorINSA_10device_ptrIiEEEESF_PS6_SG_NS0_19identity_decomposerEEE10hipError_tT1_T2_T3_T4_jRjT5_jjP12ihipStream_tbEUlT_E_NS1_11comp_targetILNS1_3genE0ELNS1_11target_archE4294967295ELNS1_3gpuE0ELNS1_3repE0EEENS1_44radix_sort_block_sort_config_static_selectorELNS0_4arch9wavefront6targetE1EEEvSJ_.uses_vcc, 1
	.set _ZN7rocprim17ROCPRIM_400000_NS6detail17trampoline_kernelINS0_13kernel_configILj256ELj4ELj4294967295EEENS1_37radix_sort_block_sort_config_selectorIiNS0_10empty_typeEEEZNS1_21radix_sort_block_sortIS4_Lb0EN6thrust23THRUST_200600_302600_NS6detail15normal_iteratorINSA_10device_ptrIiEEEESF_PS6_SG_NS0_19identity_decomposerEEE10hipError_tT1_T2_T3_T4_jRjT5_jjP12ihipStream_tbEUlT_E_NS1_11comp_targetILNS1_3genE0ELNS1_11target_archE4294967295ELNS1_3gpuE0ELNS1_3repE0EEENS1_44radix_sort_block_sort_config_static_selectorELNS0_4arch9wavefront6targetE1EEEvSJ_.uses_flat_scratch, 0
	.set _ZN7rocprim17ROCPRIM_400000_NS6detail17trampoline_kernelINS0_13kernel_configILj256ELj4ELj4294967295EEENS1_37radix_sort_block_sort_config_selectorIiNS0_10empty_typeEEEZNS1_21radix_sort_block_sortIS4_Lb0EN6thrust23THRUST_200600_302600_NS6detail15normal_iteratorINSA_10device_ptrIiEEEESF_PS6_SG_NS0_19identity_decomposerEEE10hipError_tT1_T2_T3_T4_jRjT5_jjP12ihipStream_tbEUlT_E_NS1_11comp_targetILNS1_3genE0ELNS1_11target_archE4294967295ELNS1_3gpuE0ELNS1_3repE0EEENS1_44radix_sort_block_sort_config_static_selectorELNS0_4arch9wavefront6targetE1EEEvSJ_.has_dyn_sized_stack, 0
	.set _ZN7rocprim17ROCPRIM_400000_NS6detail17trampoline_kernelINS0_13kernel_configILj256ELj4ELj4294967295EEENS1_37radix_sort_block_sort_config_selectorIiNS0_10empty_typeEEEZNS1_21radix_sort_block_sortIS4_Lb0EN6thrust23THRUST_200600_302600_NS6detail15normal_iteratorINSA_10device_ptrIiEEEESF_PS6_SG_NS0_19identity_decomposerEEE10hipError_tT1_T2_T3_T4_jRjT5_jjP12ihipStream_tbEUlT_E_NS1_11comp_targetILNS1_3genE0ELNS1_11target_archE4294967295ELNS1_3gpuE0ELNS1_3repE0EEENS1_44radix_sort_block_sort_config_static_selectorELNS0_4arch9wavefront6targetE1EEEvSJ_.has_recursion, 0
	.set _ZN7rocprim17ROCPRIM_400000_NS6detail17trampoline_kernelINS0_13kernel_configILj256ELj4ELj4294967295EEENS1_37radix_sort_block_sort_config_selectorIiNS0_10empty_typeEEEZNS1_21radix_sort_block_sortIS4_Lb0EN6thrust23THRUST_200600_302600_NS6detail15normal_iteratorINSA_10device_ptrIiEEEESF_PS6_SG_NS0_19identity_decomposerEEE10hipError_tT1_T2_T3_T4_jRjT5_jjP12ihipStream_tbEUlT_E_NS1_11comp_targetILNS1_3genE0ELNS1_11target_archE4294967295ELNS1_3gpuE0ELNS1_3repE0EEENS1_44radix_sort_block_sort_config_static_selectorELNS0_4arch9wavefront6targetE1EEEvSJ_.has_indirect_call, 0
	.section	.AMDGPU.csdata,"",@progbits
; Kernel info:
; codeLenInByte = 3204
; TotalNumSgprs: 50
; NumVgprs: 36
; NumAgprs: 0
; TotalNumVgprs: 36
; ScratchSize: 0
; MemoryBound: 0
; FloatMode: 240
; IeeeMode: 1
; LDSByteSize: 4112 bytes/workgroup (compile time only)
; SGPRBlocks: 6
; VGPRBlocks: 4
; NumSGPRsForWavesPerEU: 50
; NumVGPRsForWavesPerEU: 36
; AccumOffset: 36
; Occupancy: 8
; WaveLimiterHint : 1
; COMPUTE_PGM_RSRC2:SCRATCH_EN: 0
; COMPUTE_PGM_RSRC2:USER_SGPR: 2
; COMPUTE_PGM_RSRC2:TRAP_HANDLER: 0
; COMPUTE_PGM_RSRC2:TGID_X_EN: 1
; COMPUTE_PGM_RSRC2:TGID_Y_EN: 0
; COMPUTE_PGM_RSRC2:TGID_Z_EN: 0
; COMPUTE_PGM_RSRC2:TIDIG_COMP_CNT: 2
; COMPUTE_PGM_RSRC3_GFX90A:ACCUM_OFFSET: 8
; COMPUTE_PGM_RSRC3_GFX90A:TG_SPLIT: 0
	.section	.text._ZN7rocprim17ROCPRIM_400000_NS6detail17trampoline_kernelINS0_13kernel_configILj256ELj4ELj4294967295EEENS1_37radix_sort_block_sort_config_selectorIiNS0_10empty_typeEEEZNS1_21radix_sort_block_sortIS4_Lb0EN6thrust23THRUST_200600_302600_NS6detail15normal_iteratorINSA_10device_ptrIiEEEESF_PS6_SG_NS0_19identity_decomposerEEE10hipError_tT1_T2_T3_T4_jRjT5_jjP12ihipStream_tbEUlT_E_NS1_11comp_targetILNS1_3genE5ELNS1_11target_archE942ELNS1_3gpuE9ELNS1_3repE0EEENS1_44radix_sort_block_sort_config_static_selectorELNS0_4arch9wavefront6targetE1EEEvSJ_,"axG",@progbits,_ZN7rocprim17ROCPRIM_400000_NS6detail17trampoline_kernelINS0_13kernel_configILj256ELj4ELj4294967295EEENS1_37radix_sort_block_sort_config_selectorIiNS0_10empty_typeEEEZNS1_21radix_sort_block_sortIS4_Lb0EN6thrust23THRUST_200600_302600_NS6detail15normal_iteratorINSA_10device_ptrIiEEEESF_PS6_SG_NS0_19identity_decomposerEEE10hipError_tT1_T2_T3_T4_jRjT5_jjP12ihipStream_tbEUlT_E_NS1_11comp_targetILNS1_3genE5ELNS1_11target_archE942ELNS1_3gpuE9ELNS1_3repE0EEENS1_44radix_sort_block_sort_config_static_selectorELNS0_4arch9wavefront6targetE1EEEvSJ_,comdat
	.protected	_ZN7rocprim17ROCPRIM_400000_NS6detail17trampoline_kernelINS0_13kernel_configILj256ELj4ELj4294967295EEENS1_37radix_sort_block_sort_config_selectorIiNS0_10empty_typeEEEZNS1_21radix_sort_block_sortIS4_Lb0EN6thrust23THRUST_200600_302600_NS6detail15normal_iteratorINSA_10device_ptrIiEEEESF_PS6_SG_NS0_19identity_decomposerEEE10hipError_tT1_T2_T3_T4_jRjT5_jjP12ihipStream_tbEUlT_E_NS1_11comp_targetILNS1_3genE5ELNS1_11target_archE942ELNS1_3gpuE9ELNS1_3repE0EEENS1_44radix_sort_block_sort_config_static_selectorELNS0_4arch9wavefront6targetE1EEEvSJ_ ; -- Begin function _ZN7rocprim17ROCPRIM_400000_NS6detail17trampoline_kernelINS0_13kernel_configILj256ELj4ELj4294967295EEENS1_37radix_sort_block_sort_config_selectorIiNS0_10empty_typeEEEZNS1_21radix_sort_block_sortIS4_Lb0EN6thrust23THRUST_200600_302600_NS6detail15normal_iteratorINSA_10device_ptrIiEEEESF_PS6_SG_NS0_19identity_decomposerEEE10hipError_tT1_T2_T3_T4_jRjT5_jjP12ihipStream_tbEUlT_E_NS1_11comp_targetILNS1_3genE5ELNS1_11target_archE942ELNS1_3gpuE9ELNS1_3repE0EEENS1_44radix_sort_block_sort_config_static_selectorELNS0_4arch9wavefront6targetE1EEEvSJ_
	.globl	_ZN7rocprim17ROCPRIM_400000_NS6detail17trampoline_kernelINS0_13kernel_configILj256ELj4ELj4294967295EEENS1_37radix_sort_block_sort_config_selectorIiNS0_10empty_typeEEEZNS1_21radix_sort_block_sortIS4_Lb0EN6thrust23THRUST_200600_302600_NS6detail15normal_iteratorINSA_10device_ptrIiEEEESF_PS6_SG_NS0_19identity_decomposerEEE10hipError_tT1_T2_T3_T4_jRjT5_jjP12ihipStream_tbEUlT_E_NS1_11comp_targetILNS1_3genE5ELNS1_11target_archE942ELNS1_3gpuE9ELNS1_3repE0EEENS1_44radix_sort_block_sort_config_static_selectorELNS0_4arch9wavefront6targetE1EEEvSJ_
	.p2align	8
	.type	_ZN7rocprim17ROCPRIM_400000_NS6detail17trampoline_kernelINS0_13kernel_configILj256ELj4ELj4294967295EEENS1_37radix_sort_block_sort_config_selectorIiNS0_10empty_typeEEEZNS1_21radix_sort_block_sortIS4_Lb0EN6thrust23THRUST_200600_302600_NS6detail15normal_iteratorINSA_10device_ptrIiEEEESF_PS6_SG_NS0_19identity_decomposerEEE10hipError_tT1_T2_T3_T4_jRjT5_jjP12ihipStream_tbEUlT_E_NS1_11comp_targetILNS1_3genE5ELNS1_11target_archE942ELNS1_3gpuE9ELNS1_3repE0EEENS1_44radix_sort_block_sort_config_static_selectorELNS0_4arch9wavefront6targetE1EEEvSJ_,@function
_ZN7rocprim17ROCPRIM_400000_NS6detail17trampoline_kernelINS0_13kernel_configILj256ELj4ELj4294967295EEENS1_37radix_sort_block_sort_config_selectorIiNS0_10empty_typeEEEZNS1_21radix_sort_block_sortIS4_Lb0EN6thrust23THRUST_200600_302600_NS6detail15normal_iteratorINSA_10device_ptrIiEEEESF_PS6_SG_NS0_19identity_decomposerEEE10hipError_tT1_T2_T3_T4_jRjT5_jjP12ihipStream_tbEUlT_E_NS1_11comp_targetILNS1_3genE5ELNS1_11target_archE942ELNS1_3gpuE9ELNS1_3repE0EEENS1_44radix_sort_block_sort_config_static_selectorELNS0_4arch9wavefront6targetE1EEEvSJ_: ; @_ZN7rocprim17ROCPRIM_400000_NS6detail17trampoline_kernelINS0_13kernel_configILj256ELj4ELj4294967295EEENS1_37radix_sort_block_sort_config_selectorIiNS0_10empty_typeEEEZNS1_21radix_sort_block_sortIS4_Lb0EN6thrust23THRUST_200600_302600_NS6detail15normal_iteratorINSA_10device_ptrIiEEEESF_PS6_SG_NS0_19identity_decomposerEEE10hipError_tT1_T2_T3_T4_jRjT5_jjP12ihipStream_tbEUlT_E_NS1_11comp_targetILNS1_3genE5ELNS1_11target_archE942ELNS1_3gpuE9ELNS1_3repE0EEENS1_44radix_sort_block_sort_config_static_selectorELNS0_4arch9wavefront6targetE1EEEvSJ_
; %bb.0:
	.section	.rodata,"a",@progbits
	.p2align	6, 0x0
	.amdhsa_kernel _ZN7rocprim17ROCPRIM_400000_NS6detail17trampoline_kernelINS0_13kernel_configILj256ELj4ELj4294967295EEENS1_37radix_sort_block_sort_config_selectorIiNS0_10empty_typeEEEZNS1_21radix_sort_block_sortIS4_Lb0EN6thrust23THRUST_200600_302600_NS6detail15normal_iteratorINSA_10device_ptrIiEEEESF_PS6_SG_NS0_19identity_decomposerEEE10hipError_tT1_T2_T3_T4_jRjT5_jjP12ihipStream_tbEUlT_E_NS1_11comp_targetILNS1_3genE5ELNS1_11target_archE942ELNS1_3gpuE9ELNS1_3repE0EEENS1_44radix_sort_block_sort_config_static_selectorELNS0_4arch9wavefront6targetE1EEEvSJ_
		.amdhsa_group_segment_fixed_size 0
		.amdhsa_private_segment_fixed_size 0
		.amdhsa_kernarg_size 48
		.amdhsa_user_sgpr_count 2
		.amdhsa_user_sgpr_dispatch_ptr 0
		.amdhsa_user_sgpr_queue_ptr 0
		.amdhsa_user_sgpr_kernarg_segment_ptr 1
		.amdhsa_user_sgpr_dispatch_id 0
		.amdhsa_user_sgpr_kernarg_preload_length 0
		.amdhsa_user_sgpr_kernarg_preload_offset 0
		.amdhsa_user_sgpr_private_segment_size 0
		.amdhsa_uses_dynamic_stack 0
		.amdhsa_enable_private_segment 0
		.amdhsa_system_sgpr_workgroup_id_x 1
		.amdhsa_system_sgpr_workgroup_id_y 0
		.amdhsa_system_sgpr_workgroup_id_z 0
		.amdhsa_system_sgpr_workgroup_info 0
		.amdhsa_system_vgpr_workitem_id 0
		.amdhsa_next_free_vgpr 1
		.amdhsa_next_free_sgpr 0
		.amdhsa_accum_offset 4
		.amdhsa_reserve_vcc 0
		.amdhsa_float_round_mode_32 0
		.amdhsa_float_round_mode_16_64 0
		.amdhsa_float_denorm_mode_32 3
		.amdhsa_float_denorm_mode_16_64 3
		.amdhsa_dx10_clamp 1
		.amdhsa_ieee_mode 1
		.amdhsa_fp16_overflow 0
		.amdhsa_tg_split 0
		.amdhsa_exception_fp_ieee_invalid_op 0
		.amdhsa_exception_fp_denorm_src 0
		.amdhsa_exception_fp_ieee_div_zero 0
		.amdhsa_exception_fp_ieee_overflow 0
		.amdhsa_exception_fp_ieee_underflow 0
		.amdhsa_exception_fp_ieee_inexact 0
		.amdhsa_exception_int_div_zero 0
	.end_amdhsa_kernel
	.section	.text._ZN7rocprim17ROCPRIM_400000_NS6detail17trampoline_kernelINS0_13kernel_configILj256ELj4ELj4294967295EEENS1_37radix_sort_block_sort_config_selectorIiNS0_10empty_typeEEEZNS1_21radix_sort_block_sortIS4_Lb0EN6thrust23THRUST_200600_302600_NS6detail15normal_iteratorINSA_10device_ptrIiEEEESF_PS6_SG_NS0_19identity_decomposerEEE10hipError_tT1_T2_T3_T4_jRjT5_jjP12ihipStream_tbEUlT_E_NS1_11comp_targetILNS1_3genE5ELNS1_11target_archE942ELNS1_3gpuE9ELNS1_3repE0EEENS1_44radix_sort_block_sort_config_static_selectorELNS0_4arch9wavefront6targetE1EEEvSJ_,"axG",@progbits,_ZN7rocprim17ROCPRIM_400000_NS6detail17trampoline_kernelINS0_13kernel_configILj256ELj4ELj4294967295EEENS1_37radix_sort_block_sort_config_selectorIiNS0_10empty_typeEEEZNS1_21radix_sort_block_sortIS4_Lb0EN6thrust23THRUST_200600_302600_NS6detail15normal_iteratorINSA_10device_ptrIiEEEESF_PS6_SG_NS0_19identity_decomposerEEE10hipError_tT1_T2_T3_T4_jRjT5_jjP12ihipStream_tbEUlT_E_NS1_11comp_targetILNS1_3genE5ELNS1_11target_archE942ELNS1_3gpuE9ELNS1_3repE0EEENS1_44radix_sort_block_sort_config_static_selectorELNS0_4arch9wavefront6targetE1EEEvSJ_,comdat
.Lfunc_end2:
	.size	_ZN7rocprim17ROCPRIM_400000_NS6detail17trampoline_kernelINS0_13kernel_configILj256ELj4ELj4294967295EEENS1_37radix_sort_block_sort_config_selectorIiNS0_10empty_typeEEEZNS1_21radix_sort_block_sortIS4_Lb0EN6thrust23THRUST_200600_302600_NS6detail15normal_iteratorINSA_10device_ptrIiEEEESF_PS6_SG_NS0_19identity_decomposerEEE10hipError_tT1_T2_T3_T4_jRjT5_jjP12ihipStream_tbEUlT_E_NS1_11comp_targetILNS1_3genE5ELNS1_11target_archE942ELNS1_3gpuE9ELNS1_3repE0EEENS1_44radix_sort_block_sort_config_static_selectorELNS0_4arch9wavefront6targetE1EEEvSJ_, .Lfunc_end2-_ZN7rocprim17ROCPRIM_400000_NS6detail17trampoline_kernelINS0_13kernel_configILj256ELj4ELj4294967295EEENS1_37radix_sort_block_sort_config_selectorIiNS0_10empty_typeEEEZNS1_21radix_sort_block_sortIS4_Lb0EN6thrust23THRUST_200600_302600_NS6detail15normal_iteratorINSA_10device_ptrIiEEEESF_PS6_SG_NS0_19identity_decomposerEEE10hipError_tT1_T2_T3_T4_jRjT5_jjP12ihipStream_tbEUlT_E_NS1_11comp_targetILNS1_3genE5ELNS1_11target_archE942ELNS1_3gpuE9ELNS1_3repE0EEENS1_44radix_sort_block_sort_config_static_selectorELNS0_4arch9wavefront6targetE1EEEvSJ_
                                        ; -- End function
	.set _ZN7rocprim17ROCPRIM_400000_NS6detail17trampoline_kernelINS0_13kernel_configILj256ELj4ELj4294967295EEENS1_37radix_sort_block_sort_config_selectorIiNS0_10empty_typeEEEZNS1_21radix_sort_block_sortIS4_Lb0EN6thrust23THRUST_200600_302600_NS6detail15normal_iteratorINSA_10device_ptrIiEEEESF_PS6_SG_NS0_19identity_decomposerEEE10hipError_tT1_T2_T3_T4_jRjT5_jjP12ihipStream_tbEUlT_E_NS1_11comp_targetILNS1_3genE5ELNS1_11target_archE942ELNS1_3gpuE9ELNS1_3repE0EEENS1_44radix_sort_block_sort_config_static_selectorELNS0_4arch9wavefront6targetE1EEEvSJ_.num_vgpr, 0
	.set _ZN7rocprim17ROCPRIM_400000_NS6detail17trampoline_kernelINS0_13kernel_configILj256ELj4ELj4294967295EEENS1_37radix_sort_block_sort_config_selectorIiNS0_10empty_typeEEEZNS1_21radix_sort_block_sortIS4_Lb0EN6thrust23THRUST_200600_302600_NS6detail15normal_iteratorINSA_10device_ptrIiEEEESF_PS6_SG_NS0_19identity_decomposerEEE10hipError_tT1_T2_T3_T4_jRjT5_jjP12ihipStream_tbEUlT_E_NS1_11comp_targetILNS1_3genE5ELNS1_11target_archE942ELNS1_3gpuE9ELNS1_3repE0EEENS1_44radix_sort_block_sort_config_static_selectorELNS0_4arch9wavefront6targetE1EEEvSJ_.num_agpr, 0
	.set _ZN7rocprim17ROCPRIM_400000_NS6detail17trampoline_kernelINS0_13kernel_configILj256ELj4ELj4294967295EEENS1_37radix_sort_block_sort_config_selectorIiNS0_10empty_typeEEEZNS1_21radix_sort_block_sortIS4_Lb0EN6thrust23THRUST_200600_302600_NS6detail15normal_iteratorINSA_10device_ptrIiEEEESF_PS6_SG_NS0_19identity_decomposerEEE10hipError_tT1_T2_T3_T4_jRjT5_jjP12ihipStream_tbEUlT_E_NS1_11comp_targetILNS1_3genE5ELNS1_11target_archE942ELNS1_3gpuE9ELNS1_3repE0EEENS1_44radix_sort_block_sort_config_static_selectorELNS0_4arch9wavefront6targetE1EEEvSJ_.numbered_sgpr, 0
	.set _ZN7rocprim17ROCPRIM_400000_NS6detail17trampoline_kernelINS0_13kernel_configILj256ELj4ELj4294967295EEENS1_37radix_sort_block_sort_config_selectorIiNS0_10empty_typeEEEZNS1_21radix_sort_block_sortIS4_Lb0EN6thrust23THRUST_200600_302600_NS6detail15normal_iteratorINSA_10device_ptrIiEEEESF_PS6_SG_NS0_19identity_decomposerEEE10hipError_tT1_T2_T3_T4_jRjT5_jjP12ihipStream_tbEUlT_E_NS1_11comp_targetILNS1_3genE5ELNS1_11target_archE942ELNS1_3gpuE9ELNS1_3repE0EEENS1_44radix_sort_block_sort_config_static_selectorELNS0_4arch9wavefront6targetE1EEEvSJ_.num_named_barrier, 0
	.set _ZN7rocprim17ROCPRIM_400000_NS6detail17trampoline_kernelINS0_13kernel_configILj256ELj4ELj4294967295EEENS1_37radix_sort_block_sort_config_selectorIiNS0_10empty_typeEEEZNS1_21radix_sort_block_sortIS4_Lb0EN6thrust23THRUST_200600_302600_NS6detail15normal_iteratorINSA_10device_ptrIiEEEESF_PS6_SG_NS0_19identity_decomposerEEE10hipError_tT1_T2_T3_T4_jRjT5_jjP12ihipStream_tbEUlT_E_NS1_11comp_targetILNS1_3genE5ELNS1_11target_archE942ELNS1_3gpuE9ELNS1_3repE0EEENS1_44radix_sort_block_sort_config_static_selectorELNS0_4arch9wavefront6targetE1EEEvSJ_.private_seg_size, 0
	.set _ZN7rocprim17ROCPRIM_400000_NS6detail17trampoline_kernelINS0_13kernel_configILj256ELj4ELj4294967295EEENS1_37radix_sort_block_sort_config_selectorIiNS0_10empty_typeEEEZNS1_21radix_sort_block_sortIS4_Lb0EN6thrust23THRUST_200600_302600_NS6detail15normal_iteratorINSA_10device_ptrIiEEEESF_PS6_SG_NS0_19identity_decomposerEEE10hipError_tT1_T2_T3_T4_jRjT5_jjP12ihipStream_tbEUlT_E_NS1_11comp_targetILNS1_3genE5ELNS1_11target_archE942ELNS1_3gpuE9ELNS1_3repE0EEENS1_44radix_sort_block_sort_config_static_selectorELNS0_4arch9wavefront6targetE1EEEvSJ_.uses_vcc, 0
	.set _ZN7rocprim17ROCPRIM_400000_NS6detail17trampoline_kernelINS0_13kernel_configILj256ELj4ELj4294967295EEENS1_37radix_sort_block_sort_config_selectorIiNS0_10empty_typeEEEZNS1_21radix_sort_block_sortIS4_Lb0EN6thrust23THRUST_200600_302600_NS6detail15normal_iteratorINSA_10device_ptrIiEEEESF_PS6_SG_NS0_19identity_decomposerEEE10hipError_tT1_T2_T3_T4_jRjT5_jjP12ihipStream_tbEUlT_E_NS1_11comp_targetILNS1_3genE5ELNS1_11target_archE942ELNS1_3gpuE9ELNS1_3repE0EEENS1_44radix_sort_block_sort_config_static_selectorELNS0_4arch9wavefront6targetE1EEEvSJ_.uses_flat_scratch, 0
	.set _ZN7rocprim17ROCPRIM_400000_NS6detail17trampoline_kernelINS0_13kernel_configILj256ELj4ELj4294967295EEENS1_37radix_sort_block_sort_config_selectorIiNS0_10empty_typeEEEZNS1_21radix_sort_block_sortIS4_Lb0EN6thrust23THRUST_200600_302600_NS6detail15normal_iteratorINSA_10device_ptrIiEEEESF_PS6_SG_NS0_19identity_decomposerEEE10hipError_tT1_T2_T3_T4_jRjT5_jjP12ihipStream_tbEUlT_E_NS1_11comp_targetILNS1_3genE5ELNS1_11target_archE942ELNS1_3gpuE9ELNS1_3repE0EEENS1_44radix_sort_block_sort_config_static_selectorELNS0_4arch9wavefront6targetE1EEEvSJ_.has_dyn_sized_stack, 0
	.set _ZN7rocprim17ROCPRIM_400000_NS6detail17trampoline_kernelINS0_13kernel_configILj256ELj4ELj4294967295EEENS1_37radix_sort_block_sort_config_selectorIiNS0_10empty_typeEEEZNS1_21radix_sort_block_sortIS4_Lb0EN6thrust23THRUST_200600_302600_NS6detail15normal_iteratorINSA_10device_ptrIiEEEESF_PS6_SG_NS0_19identity_decomposerEEE10hipError_tT1_T2_T3_T4_jRjT5_jjP12ihipStream_tbEUlT_E_NS1_11comp_targetILNS1_3genE5ELNS1_11target_archE942ELNS1_3gpuE9ELNS1_3repE0EEENS1_44radix_sort_block_sort_config_static_selectorELNS0_4arch9wavefront6targetE1EEEvSJ_.has_recursion, 0
	.set _ZN7rocprim17ROCPRIM_400000_NS6detail17trampoline_kernelINS0_13kernel_configILj256ELj4ELj4294967295EEENS1_37radix_sort_block_sort_config_selectorIiNS0_10empty_typeEEEZNS1_21radix_sort_block_sortIS4_Lb0EN6thrust23THRUST_200600_302600_NS6detail15normal_iteratorINSA_10device_ptrIiEEEESF_PS6_SG_NS0_19identity_decomposerEEE10hipError_tT1_T2_T3_T4_jRjT5_jjP12ihipStream_tbEUlT_E_NS1_11comp_targetILNS1_3genE5ELNS1_11target_archE942ELNS1_3gpuE9ELNS1_3repE0EEENS1_44radix_sort_block_sort_config_static_selectorELNS0_4arch9wavefront6targetE1EEEvSJ_.has_indirect_call, 0
	.section	.AMDGPU.csdata,"",@progbits
; Kernel info:
; codeLenInByte = 0
; TotalNumSgprs: 6
; NumVgprs: 0
; NumAgprs: 0
; TotalNumVgprs: 0
; ScratchSize: 0
; MemoryBound: 0
; FloatMode: 240
; IeeeMode: 1
; LDSByteSize: 0 bytes/workgroup (compile time only)
; SGPRBlocks: 0
; VGPRBlocks: 0
; NumSGPRsForWavesPerEU: 6
; NumVGPRsForWavesPerEU: 1
; AccumOffset: 4
; Occupancy: 8
; WaveLimiterHint : 0
; COMPUTE_PGM_RSRC2:SCRATCH_EN: 0
; COMPUTE_PGM_RSRC2:USER_SGPR: 2
; COMPUTE_PGM_RSRC2:TRAP_HANDLER: 0
; COMPUTE_PGM_RSRC2:TGID_X_EN: 1
; COMPUTE_PGM_RSRC2:TGID_Y_EN: 0
; COMPUTE_PGM_RSRC2:TGID_Z_EN: 0
; COMPUTE_PGM_RSRC2:TIDIG_COMP_CNT: 0
; COMPUTE_PGM_RSRC3_GFX90A:ACCUM_OFFSET: 0
; COMPUTE_PGM_RSRC3_GFX90A:TG_SPLIT: 0
	.section	.text._ZN7rocprim17ROCPRIM_400000_NS6detail17trampoline_kernelINS0_13kernel_configILj256ELj4ELj4294967295EEENS1_37radix_sort_block_sort_config_selectorIiNS0_10empty_typeEEEZNS1_21radix_sort_block_sortIS4_Lb0EN6thrust23THRUST_200600_302600_NS6detail15normal_iteratorINSA_10device_ptrIiEEEESF_PS6_SG_NS0_19identity_decomposerEEE10hipError_tT1_T2_T3_T4_jRjT5_jjP12ihipStream_tbEUlT_E_NS1_11comp_targetILNS1_3genE4ELNS1_11target_archE910ELNS1_3gpuE8ELNS1_3repE0EEENS1_44radix_sort_block_sort_config_static_selectorELNS0_4arch9wavefront6targetE1EEEvSJ_,"axG",@progbits,_ZN7rocprim17ROCPRIM_400000_NS6detail17trampoline_kernelINS0_13kernel_configILj256ELj4ELj4294967295EEENS1_37radix_sort_block_sort_config_selectorIiNS0_10empty_typeEEEZNS1_21radix_sort_block_sortIS4_Lb0EN6thrust23THRUST_200600_302600_NS6detail15normal_iteratorINSA_10device_ptrIiEEEESF_PS6_SG_NS0_19identity_decomposerEEE10hipError_tT1_T2_T3_T4_jRjT5_jjP12ihipStream_tbEUlT_E_NS1_11comp_targetILNS1_3genE4ELNS1_11target_archE910ELNS1_3gpuE8ELNS1_3repE0EEENS1_44radix_sort_block_sort_config_static_selectorELNS0_4arch9wavefront6targetE1EEEvSJ_,comdat
	.protected	_ZN7rocprim17ROCPRIM_400000_NS6detail17trampoline_kernelINS0_13kernel_configILj256ELj4ELj4294967295EEENS1_37radix_sort_block_sort_config_selectorIiNS0_10empty_typeEEEZNS1_21radix_sort_block_sortIS4_Lb0EN6thrust23THRUST_200600_302600_NS6detail15normal_iteratorINSA_10device_ptrIiEEEESF_PS6_SG_NS0_19identity_decomposerEEE10hipError_tT1_T2_T3_T4_jRjT5_jjP12ihipStream_tbEUlT_E_NS1_11comp_targetILNS1_3genE4ELNS1_11target_archE910ELNS1_3gpuE8ELNS1_3repE0EEENS1_44radix_sort_block_sort_config_static_selectorELNS0_4arch9wavefront6targetE1EEEvSJ_ ; -- Begin function _ZN7rocprim17ROCPRIM_400000_NS6detail17trampoline_kernelINS0_13kernel_configILj256ELj4ELj4294967295EEENS1_37radix_sort_block_sort_config_selectorIiNS0_10empty_typeEEEZNS1_21radix_sort_block_sortIS4_Lb0EN6thrust23THRUST_200600_302600_NS6detail15normal_iteratorINSA_10device_ptrIiEEEESF_PS6_SG_NS0_19identity_decomposerEEE10hipError_tT1_T2_T3_T4_jRjT5_jjP12ihipStream_tbEUlT_E_NS1_11comp_targetILNS1_3genE4ELNS1_11target_archE910ELNS1_3gpuE8ELNS1_3repE0EEENS1_44radix_sort_block_sort_config_static_selectorELNS0_4arch9wavefront6targetE1EEEvSJ_
	.globl	_ZN7rocprim17ROCPRIM_400000_NS6detail17trampoline_kernelINS0_13kernel_configILj256ELj4ELj4294967295EEENS1_37radix_sort_block_sort_config_selectorIiNS0_10empty_typeEEEZNS1_21radix_sort_block_sortIS4_Lb0EN6thrust23THRUST_200600_302600_NS6detail15normal_iteratorINSA_10device_ptrIiEEEESF_PS6_SG_NS0_19identity_decomposerEEE10hipError_tT1_T2_T3_T4_jRjT5_jjP12ihipStream_tbEUlT_E_NS1_11comp_targetILNS1_3genE4ELNS1_11target_archE910ELNS1_3gpuE8ELNS1_3repE0EEENS1_44radix_sort_block_sort_config_static_selectorELNS0_4arch9wavefront6targetE1EEEvSJ_
	.p2align	8
	.type	_ZN7rocprim17ROCPRIM_400000_NS6detail17trampoline_kernelINS0_13kernel_configILj256ELj4ELj4294967295EEENS1_37radix_sort_block_sort_config_selectorIiNS0_10empty_typeEEEZNS1_21radix_sort_block_sortIS4_Lb0EN6thrust23THRUST_200600_302600_NS6detail15normal_iteratorINSA_10device_ptrIiEEEESF_PS6_SG_NS0_19identity_decomposerEEE10hipError_tT1_T2_T3_T4_jRjT5_jjP12ihipStream_tbEUlT_E_NS1_11comp_targetILNS1_3genE4ELNS1_11target_archE910ELNS1_3gpuE8ELNS1_3repE0EEENS1_44radix_sort_block_sort_config_static_selectorELNS0_4arch9wavefront6targetE1EEEvSJ_,@function
_ZN7rocprim17ROCPRIM_400000_NS6detail17trampoline_kernelINS0_13kernel_configILj256ELj4ELj4294967295EEENS1_37radix_sort_block_sort_config_selectorIiNS0_10empty_typeEEEZNS1_21radix_sort_block_sortIS4_Lb0EN6thrust23THRUST_200600_302600_NS6detail15normal_iteratorINSA_10device_ptrIiEEEESF_PS6_SG_NS0_19identity_decomposerEEE10hipError_tT1_T2_T3_T4_jRjT5_jjP12ihipStream_tbEUlT_E_NS1_11comp_targetILNS1_3genE4ELNS1_11target_archE910ELNS1_3gpuE8ELNS1_3repE0EEENS1_44radix_sort_block_sort_config_static_selectorELNS0_4arch9wavefront6targetE1EEEvSJ_: ; @_ZN7rocprim17ROCPRIM_400000_NS6detail17trampoline_kernelINS0_13kernel_configILj256ELj4ELj4294967295EEENS1_37radix_sort_block_sort_config_selectorIiNS0_10empty_typeEEEZNS1_21radix_sort_block_sortIS4_Lb0EN6thrust23THRUST_200600_302600_NS6detail15normal_iteratorINSA_10device_ptrIiEEEESF_PS6_SG_NS0_19identity_decomposerEEE10hipError_tT1_T2_T3_T4_jRjT5_jjP12ihipStream_tbEUlT_E_NS1_11comp_targetILNS1_3genE4ELNS1_11target_archE910ELNS1_3gpuE8ELNS1_3repE0EEENS1_44radix_sort_block_sort_config_static_selectorELNS0_4arch9wavefront6targetE1EEEvSJ_
; %bb.0:
	.section	.rodata,"a",@progbits
	.p2align	6, 0x0
	.amdhsa_kernel _ZN7rocprim17ROCPRIM_400000_NS6detail17trampoline_kernelINS0_13kernel_configILj256ELj4ELj4294967295EEENS1_37radix_sort_block_sort_config_selectorIiNS0_10empty_typeEEEZNS1_21radix_sort_block_sortIS4_Lb0EN6thrust23THRUST_200600_302600_NS6detail15normal_iteratorINSA_10device_ptrIiEEEESF_PS6_SG_NS0_19identity_decomposerEEE10hipError_tT1_T2_T3_T4_jRjT5_jjP12ihipStream_tbEUlT_E_NS1_11comp_targetILNS1_3genE4ELNS1_11target_archE910ELNS1_3gpuE8ELNS1_3repE0EEENS1_44radix_sort_block_sort_config_static_selectorELNS0_4arch9wavefront6targetE1EEEvSJ_
		.amdhsa_group_segment_fixed_size 0
		.amdhsa_private_segment_fixed_size 0
		.amdhsa_kernarg_size 48
		.amdhsa_user_sgpr_count 2
		.amdhsa_user_sgpr_dispatch_ptr 0
		.amdhsa_user_sgpr_queue_ptr 0
		.amdhsa_user_sgpr_kernarg_segment_ptr 1
		.amdhsa_user_sgpr_dispatch_id 0
		.amdhsa_user_sgpr_kernarg_preload_length 0
		.amdhsa_user_sgpr_kernarg_preload_offset 0
		.amdhsa_user_sgpr_private_segment_size 0
		.amdhsa_uses_dynamic_stack 0
		.amdhsa_enable_private_segment 0
		.amdhsa_system_sgpr_workgroup_id_x 1
		.amdhsa_system_sgpr_workgroup_id_y 0
		.amdhsa_system_sgpr_workgroup_id_z 0
		.amdhsa_system_sgpr_workgroup_info 0
		.amdhsa_system_vgpr_workitem_id 0
		.amdhsa_next_free_vgpr 1
		.amdhsa_next_free_sgpr 0
		.amdhsa_accum_offset 4
		.amdhsa_reserve_vcc 0
		.amdhsa_float_round_mode_32 0
		.amdhsa_float_round_mode_16_64 0
		.amdhsa_float_denorm_mode_32 3
		.amdhsa_float_denorm_mode_16_64 3
		.amdhsa_dx10_clamp 1
		.amdhsa_ieee_mode 1
		.amdhsa_fp16_overflow 0
		.amdhsa_tg_split 0
		.amdhsa_exception_fp_ieee_invalid_op 0
		.amdhsa_exception_fp_denorm_src 0
		.amdhsa_exception_fp_ieee_div_zero 0
		.amdhsa_exception_fp_ieee_overflow 0
		.amdhsa_exception_fp_ieee_underflow 0
		.amdhsa_exception_fp_ieee_inexact 0
		.amdhsa_exception_int_div_zero 0
	.end_amdhsa_kernel
	.section	.text._ZN7rocprim17ROCPRIM_400000_NS6detail17trampoline_kernelINS0_13kernel_configILj256ELj4ELj4294967295EEENS1_37radix_sort_block_sort_config_selectorIiNS0_10empty_typeEEEZNS1_21radix_sort_block_sortIS4_Lb0EN6thrust23THRUST_200600_302600_NS6detail15normal_iteratorINSA_10device_ptrIiEEEESF_PS6_SG_NS0_19identity_decomposerEEE10hipError_tT1_T2_T3_T4_jRjT5_jjP12ihipStream_tbEUlT_E_NS1_11comp_targetILNS1_3genE4ELNS1_11target_archE910ELNS1_3gpuE8ELNS1_3repE0EEENS1_44radix_sort_block_sort_config_static_selectorELNS0_4arch9wavefront6targetE1EEEvSJ_,"axG",@progbits,_ZN7rocprim17ROCPRIM_400000_NS6detail17trampoline_kernelINS0_13kernel_configILj256ELj4ELj4294967295EEENS1_37radix_sort_block_sort_config_selectorIiNS0_10empty_typeEEEZNS1_21radix_sort_block_sortIS4_Lb0EN6thrust23THRUST_200600_302600_NS6detail15normal_iteratorINSA_10device_ptrIiEEEESF_PS6_SG_NS0_19identity_decomposerEEE10hipError_tT1_T2_T3_T4_jRjT5_jjP12ihipStream_tbEUlT_E_NS1_11comp_targetILNS1_3genE4ELNS1_11target_archE910ELNS1_3gpuE8ELNS1_3repE0EEENS1_44radix_sort_block_sort_config_static_selectorELNS0_4arch9wavefront6targetE1EEEvSJ_,comdat
.Lfunc_end3:
	.size	_ZN7rocprim17ROCPRIM_400000_NS6detail17trampoline_kernelINS0_13kernel_configILj256ELj4ELj4294967295EEENS1_37radix_sort_block_sort_config_selectorIiNS0_10empty_typeEEEZNS1_21radix_sort_block_sortIS4_Lb0EN6thrust23THRUST_200600_302600_NS6detail15normal_iteratorINSA_10device_ptrIiEEEESF_PS6_SG_NS0_19identity_decomposerEEE10hipError_tT1_T2_T3_T4_jRjT5_jjP12ihipStream_tbEUlT_E_NS1_11comp_targetILNS1_3genE4ELNS1_11target_archE910ELNS1_3gpuE8ELNS1_3repE0EEENS1_44radix_sort_block_sort_config_static_selectorELNS0_4arch9wavefront6targetE1EEEvSJ_, .Lfunc_end3-_ZN7rocprim17ROCPRIM_400000_NS6detail17trampoline_kernelINS0_13kernel_configILj256ELj4ELj4294967295EEENS1_37radix_sort_block_sort_config_selectorIiNS0_10empty_typeEEEZNS1_21radix_sort_block_sortIS4_Lb0EN6thrust23THRUST_200600_302600_NS6detail15normal_iteratorINSA_10device_ptrIiEEEESF_PS6_SG_NS0_19identity_decomposerEEE10hipError_tT1_T2_T3_T4_jRjT5_jjP12ihipStream_tbEUlT_E_NS1_11comp_targetILNS1_3genE4ELNS1_11target_archE910ELNS1_3gpuE8ELNS1_3repE0EEENS1_44radix_sort_block_sort_config_static_selectorELNS0_4arch9wavefront6targetE1EEEvSJ_
                                        ; -- End function
	.set _ZN7rocprim17ROCPRIM_400000_NS6detail17trampoline_kernelINS0_13kernel_configILj256ELj4ELj4294967295EEENS1_37radix_sort_block_sort_config_selectorIiNS0_10empty_typeEEEZNS1_21radix_sort_block_sortIS4_Lb0EN6thrust23THRUST_200600_302600_NS6detail15normal_iteratorINSA_10device_ptrIiEEEESF_PS6_SG_NS0_19identity_decomposerEEE10hipError_tT1_T2_T3_T4_jRjT5_jjP12ihipStream_tbEUlT_E_NS1_11comp_targetILNS1_3genE4ELNS1_11target_archE910ELNS1_3gpuE8ELNS1_3repE0EEENS1_44radix_sort_block_sort_config_static_selectorELNS0_4arch9wavefront6targetE1EEEvSJ_.num_vgpr, 0
	.set _ZN7rocprim17ROCPRIM_400000_NS6detail17trampoline_kernelINS0_13kernel_configILj256ELj4ELj4294967295EEENS1_37radix_sort_block_sort_config_selectorIiNS0_10empty_typeEEEZNS1_21radix_sort_block_sortIS4_Lb0EN6thrust23THRUST_200600_302600_NS6detail15normal_iteratorINSA_10device_ptrIiEEEESF_PS6_SG_NS0_19identity_decomposerEEE10hipError_tT1_T2_T3_T4_jRjT5_jjP12ihipStream_tbEUlT_E_NS1_11comp_targetILNS1_3genE4ELNS1_11target_archE910ELNS1_3gpuE8ELNS1_3repE0EEENS1_44radix_sort_block_sort_config_static_selectorELNS0_4arch9wavefront6targetE1EEEvSJ_.num_agpr, 0
	.set _ZN7rocprim17ROCPRIM_400000_NS6detail17trampoline_kernelINS0_13kernel_configILj256ELj4ELj4294967295EEENS1_37radix_sort_block_sort_config_selectorIiNS0_10empty_typeEEEZNS1_21radix_sort_block_sortIS4_Lb0EN6thrust23THRUST_200600_302600_NS6detail15normal_iteratorINSA_10device_ptrIiEEEESF_PS6_SG_NS0_19identity_decomposerEEE10hipError_tT1_T2_T3_T4_jRjT5_jjP12ihipStream_tbEUlT_E_NS1_11comp_targetILNS1_3genE4ELNS1_11target_archE910ELNS1_3gpuE8ELNS1_3repE0EEENS1_44radix_sort_block_sort_config_static_selectorELNS0_4arch9wavefront6targetE1EEEvSJ_.numbered_sgpr, 0
	.set _ZN7rocprim17ROCPRIM_400000_NS6detail17trampoline_kernelINS0_13kernel_configILj256ELj4ELj4294967295EEENS1_37radix_sort_block_sort_config_selectorIiNS0_10empty_typeEEEZNS1_21radix_sort_block_sortIS4_Lb0EN6thrust23THRUST_200600_302600_NS6detail15normal_iteratorINSA_10device_ptrIiEEEESF_PS6_SG_NS0_19identity_decomposerEEE10hipError_tT1_T2_T3_T4_jRjT5_jjP12ihipStream_tbEUlT_E_NS1_11comp_targetILNS1_3genE4ELNS1_11target_archE910ELNS1_3gpuE8ELNS1_3repE0EEENS1_44radix_sort_block_sort_config_static_selectorELNS0_4arch9wavefront6targetE1EEEvSJ_.num_named_barrier, 0
	.set _ZN7rocprim17ROCPRIM_400000_NS6detail17trampoline_kernelINS0_13kernel_configILj256ELj4ELj4294967295EEENS1_37radix_sort_block_sort_config_selectorIiNS0_10empty_typeEEEZNS1_21radix_sort_block_sortIS4_Lb0EN6thrust23THRUST_200600_302600_NS6detail15normal_iteratorINSA_10device_ptrIiEEEESF_PS6_SG_NS0_19identity_decomposerEEE10hipError_tT1_T2_T3_T4_jRjT5_jjP12ihipStream_tbEUlT_E_NS1_11comp_targetILNS1_3genE4ELNS1_11target_archE910ELNS1_3gpuE8ELNS1_3repE0EEENS1_44radix_sort_block_sort_config_static_selectorELNS0_4arch9wavefront6targetE1EEEvSJ_.private_seg_size, 0
	.set _ZN7rocprim17ROCPRIM_400000_NS6detail17trampoline_kernelINS0_13kernel_configILj256ELj4ELj4294967295EEENS1_37radix_sort_block_sort_config_selectorIiNS0_10empty_typeEEEZNS1_21radix_sort_block_sortIS4_Lb0EN6thrust23THRUST_200600_302600_NS6detail15normal_iteratorINSA_10device_ptrIiEEEESF_PS6_SG_NS0_19identity_decomposerEEE10hipError_tT1_T2_T3_T4_jRjT5_jjP12ihipStream_tbEUlT_E_NS1_11comp_targetILNS1_3genE4ELNS1_11target_archE910ELNS1_3gpuE8ELNS1_3repE0EEENS1_44radix_sort_block_sort_config_static_selectorELNS0_4arch9wavefront6targetE1EEEvSJ_.uses_vcc, 0
	.set _ZN7rocprim17ROCPRIM_400000_NS6detail17trampoline_kernelINS0_13kernel_configILj256ELj4ELj4294967295EEENS1_37radix_sort_block_sort_config_selectorIiNS0_10empty_typeEEEZNS1_21radix_sort_block_sortIS4_Lb0EN6thrust23THRUST_200600_302600_NS6detail15normal_iteratorINSA_10device_ptrIiEEEESF_PS6_SG_NS0_19identity_decomposerEEE10hipError_tT1_T2_T3_T4_jRjT5_jjP12ihipStream_tbEUlT_E_NS1_11comp_targetILNS1_3genE4ELNS1_11target_archE910ELNS1_3gpuE8ELNS1_3repE0EEENS1_44radix_sort_block_sort_config_static_selectorELNS0_4arch9wavefront6targetE1EEEvSJ_.uses_flat_scratch, 0
	.set _ZN7rocprim17ROCPRIM_400000_NS6detail17trampoline_kernelINS0_13kernel_configILj256ELj4ELj4294967295EEENS1_37radix_sort_block_sort_config_selectorIiNS0_10empty_typeEEEZNS1_21radix_sort_block_sortIS4_Lb0EN6thrust23THRUST_200600_302600_NS6detail15normal_iteratorINSA_10device_ptrIiEEEESF_PS6_SG_NS0_19identity_decomposerEEE10hipError_tT1_T2_T3_T4_jRjT5_jjP12ihipStream_tbEUlT_E_NS1_11comp_targetILNS1_3genE4ELNS1_11target_archE910ELNS1_3gpuE8ELNS1_3repE0EEENS1_44radix_sort_block_sort_config_static_selectorELNS0_4arch9wavefront6targetE1EEEvSJ_.has_dyn_sized_stack, 0
	.set _ZN7rocprim17ROCPRIM_400000_NS6detail17trampoline_kernelINS0_13kernel_configILj256ELj4ELj4294967295EEENS1_37radix_sort_block_sort_config_selectorIiNS0_10empty_typeEEEZNS1_21radix_sort_block_sortIS4_Lb0EN6thrust23THRUST_200600_302600_NS6detail15normal_iteratorINSA_10device_ptrIiEEEESF_PS6_SG_NS0_19identity_decomposerEEE10hipError_tT1_T2_T3_T4_jRjT5_jjP12ihipStream_tbEUlT_E_NS1_11comp_targetILNS1_3genE4ELNS1_11target_archE910ELNS1_3gpuE8ELNS1_3repE0EEENS1_44radix_sort_block_sort_config_static_selectorELNS0_4arch9wavefront6targetE1EEEvSJ_.has_recursion, 0
	.set _ZN7rocprim17ROCPRIM_400000_NS6detail17trampoline_kernelINS0_13kernel_configILj256ELj4ELj4294967295EEENS1_37radix_sort_block_sort_config_selectorIiNS0_10empty_typeEEEZNS1_21radix_sort_block_sortIS4_Lb0EN6thrust23THRUST_200600_302600_NS6detail15normal_iteratorINSA_10device_ptrIiEEEESF_PS6_SG_NS0_19identity_decomposerEEE10hipError_tT1_T2_T3_T4_jRjT5_jjP12ihipStream_tbEUlT_E_NS1_11comp_targetILNS1_3genE4ELNS1_11target_archE910ELNS1_3gpuE8ELNS1_3repE0EEENS1_44radix_sort_block_sort_config_static_selectorELNS0_4arch9wavefront6targetE1EEEvSJ_.has_indirect_call, 0
	.section	.AMDGPU.csdata,"",@progbits
; Kernel info:
; codeLenInByte = 0
; TotalNumSgprs: 6
; NumVgprs: 0
; NumAgprs: 0
; TotalNumVgprs: 0
; ScratchSize: 0
; MemoryBound: 0
; FloatMode: 240
; IeeeMode: 1
; LDSByteSize: 0 bytes/workgroup (compile time only)
; SGPRBlocks: 0
; VGPRBlocks: 0
; NumSGPRsForWavesPerEU: 6
; NumVGPRsForWavesPerEU: 1
; AccumOffset: 4
; Occupancy: 8
; WaveLimiterHint : 0
; COMPUTE_PGM_RSRC2:SCRATCH_EN: 0
; COMPUTE_PGM_RSRC2:USER_SGPR: 2
; COMPUTE_PGM_RSRC2:TRAP_HANDLER: 0
; COMPUTE_PGM_RSRC2:TGID_X_EN: 1
; COMPUTE_PGM_RSRC2:TGID_Y_EN: 0
; COMPUTE_PGM_RSRC2:TGID_Z_EN: 0
; COMPUTE_PGM_RSRC2:TIDIG_COMP_CNT: 0
; COMPUTE_PGM_RSRC3_GFX90A:ACCUM_OFFSET: 0
; COMPUTE_PGM_RSRC3_GFX90A:TG_SPLIT: 0
	.section	.text._ZN7rocprim17ROCPRIM_400000_NS6detail17trampoline_kernelINS0_13kernel_configILj256ELj4ELj4294967295EEENS1_37radix_sort_block_sort_config_selectorIiNS0_10empty_typeEEEZNS1_21radix_sort_block_sortIS4_Lb0EN6thrust23THRUST_200600_302600_NS6detail15normal_iteratorINSA_10device_ptrIiEEEESF_PS6_SG_NS0_19identity_decomposerEEE10hipError_tT1_T2_T3_T4_jRjT5_jjP12ihipStream_tbEUlT_E_NS1_11comp_targetILNS1_3genE3ELNS1_11target_archE908ELNS1_3gpuE7ELNS1_3repE0EEENS1_44radix_sort_block_sort_config_static_selectorELNS0_4arch9wavefront6targetE1EEEvSJ_,"axG",@progbits,_ZN7rocprim17ROCPRIM_400000_NS6detail17trampoline_kernelINS0_13kernel_configILj256ELj4ELj4294967295EEENS1_37radix_sort_block_sort_config_selectorIiNS0_10empty_typeEEEZNS1_21radix_sort_block_sortIS4_Lb0EN6thrust23THRUST_200600_302600_NS6detail15normal_iteratorINSA_10device_ptrIiEEEESF_PS6_SG_NS0_19identity_decomposerEEE10hipError_tT1_T2_T3_T4_jRjT5_jjP12ihipStream_tbEUlT_E_NS1_11comp_targetILNS1_3genE3ELNS1_11target_archE908ELNS1_3gpuE7ELNS1_3repE0EEENS1_44radix_sort_block_sort_config_static_selectorELNS0_4arch9wavefront6targetE1EEEvSJ_,comdat
	.protected	_ZN7rocprim17ROCPRIM_400000_NS6detail17trampoline_kernelINS0_13kernel_configILj256ELj4ELj4294967295EEENS1_37radix_sort_block_sort_config_selectorIiNS0_10empty_typeEEEZNS1_21radix_sort_block_sortIS4_Lb0EN6thrust23THRUST_200600_302600_NS6detail15normal_iteratorINSA_10device_ptrIiEEEESF_PS6_SG_NS0_19identity_decomposerEEE10hipError_tT1_T2_T3_T4_jRjT5_jjP12ihipStream_tbEUlT_E_NS1_11comp_targetILNS1_3genE3ELNS1_11target_archE908ELNS1_3gpuE7ELNS1_3repE0EEENS1_44radix_sort_block_sort_config_static_selectorELNS0_4arch9wavefront6targetE1EEEvSJ_ ; -- Begin function _ZN7rocprim17ROCPRIM_400000_NS6detail17trampoline_kernelINS0_13kernel_configILj256ELj4ELj4294967295EEENS1_37radix_sort_block_sort_config_selectorIiNS0_10empty_typeEEEZNS1_21radix_sort_block_sortIS4_Lb0EN6thrust23THRUST_200600_302600_NS6detail15normal_iteratorINSA_10device_ptrIiEEEESF_PS6_SG_NS0_19identity_decomposerEEE10hipError_tT1_T2_T3_T4_jRjT5_jjP12ihipStream_tbEUlT_E_NS1_11comp_targetILNS1_3genE3ELNS1_11target_archE908ELNS1_3gpuE7ELNS1_3repE0EEENS1_44radix_sort_block_sort_config_static_selectorELNS0_4arch9wavefront6targetE1EEEvSJ_
	.globl	_ZN7rocprim17ROCPRIM_400000_NS6detail17trampoline_kernelINS0_13kernel_configILj256ELj4ELj4294967295EEENS1_37radix_sort_block_sort_config_selectorIiNS0_10empty_typeEEEZNS1_21radix_sort_block_sortIS4_Lb0EN6thrust23THRUST_200600_302600_NS6detail15normal_iteratorINSA_10device_ptrIiEEEESF_PS6_SG_NS0_19identity_decomposerEEE10hipError_tT1_T2_T3_T4_jRjT5_jjP12ihipStream_tbEUlT_E_NS1_11comp_targetILNS1_3genE3ELNS1_11target_archE908ELNS1_3gpuE7ELNS1_3repE0EEENS1_44radix_sort_block_sort_config_static_selectorELNS0_4arch9wavefront6targetE1EEEvSJ_
	.p2align	8
	.type	_ZN7rocprim17ROCPRIM_400000_NS6detail17trampoline_kernelINS0_13kernel_configILj256ELj4ELj4294967295EEENS1_37radix_sort_block_sort_config_selectorIiNS0_10empty_typeEEEZNS1_21radix_sort_block_sortIS4_Lb0EN6thrust23THRUST_200600_302600_NS6detail15normal_iteratorINSA_10device_ptrIiEEEESF_PS6_SG_NS0_19identity_decomposerEEE10hipError_tT1_T2_T3_T4_jRjT5_jjP12ihipStream_tbEUlT_E_NS1_11comp_targetILNS1_3genE3ELNS1_11target_archE908ELNS1_3gpuE7ELNS1_3repE0EEENS1_44radix_sort_block_sort_config_static_selectorELNS0_4arch9wavefront6targetE1EEEvSJ_,@function
_ZN7rocprim17ROCPRIM_400000_NS6detail17trampoline_kernelINS0_13kernel_configILj256ELj4ELj4294967295EEENS1_37radix_sort_block_sort_config_selectorIiNS0_10empty_typeEEEZNS1_21radix_sort_block_sortIS4_Lb0EN6thrust23THRUST_200600_302600_NS6detail15normal_iteratorINSA_10device_ptrIiEEEESF_PS6_SG_NS0_19identity_decomposerEEE10hipError_tT1_T2_T3_T4_jRjT5_jjP12ihipStream_tbEUlT_E_NS1_11comp_targetILNS1_3genE3ELNS1_11target_archE908ELNS1_3gpuE7ELNS1_3repE0EEENS1_44radix_sort_block_sort_config_static_selectorELNS0_4arch9wavefront6targetE1EEEvSJ_: ; @_ZN7rocprim17ROCPRIM_400000_NS6detail17trampoline_kernelINS0_13kernel_configILj256ELj4ELj4294967295EEENS1_37radix_sort_block_sort_config_selectorIiNS0_10empty_typeEEEZNS1_21radix_sort_block_sortIS4_Lb0EN6thrust23THRUST_200600_302600_NS6detail15normal_iteratorINSA_10device_ptrIiEEEESF_PS6_SG_NS0_19identity_decomposerEEE10hipError_tT1_T2_T3_T4_jRjT5_jjP12ihipStream_tbEUlT_E_NS1_11comp_targetILNS1_3genE3ELNS1_11target_archE908ELNS1_3gpuE7ELNS1_3repE0EEENS1_44radix_sort_block_sort_config_static_selectorELNS0_4arch9wavefront6targetE1EEEvSJ_
; %bb.0:
	.section	.rodata,"a",@progbits
	.p2align	6, 0x0
	.amdhsa_kernel _ZN7rocprim17ROCPRIM_400000_NS6detail17trampoline_kernelINS0_13kernel_configILj256ELj4ELj4294967295EEENS1_37radix_sort_block_sort_config_selectorIiNS0_10empty_typeEEEZNS1_21radix_sort_block_sortIS4_Lb0EN6thrust23THRUST_200600_302600_NS6detail15normal_iteratorINSA_10device_ptrIiEEEESF_PS6_SG_NS0_19identity_decomposerEEE10hipError_tT1_T2_T3_T4_jRjT5_jjP12ihipStream_tbEUlT_E_NS1_11comp_targetILNS1_3genE3ELNS1_11target_archE908ELNS1_3gpuE7ELNS1_3repE0EEENS1_44radix_sort_block_sort_config_static_selectorELNS0_4arch9wavefront6targetE1EEEvSJ_
		.amdhsa_group_segment_fixed_size 0
		.amdhsa_private_segment_fixed_size 0
		.amdhsa_kernarg_size 48
		.amdhsa_user_sgpr_count 2
		.amdhsa_user_sgpr_dispatch_ptr 0
		.amdhsa_user_sgpr_queue_ptr 0
		.amdhsa_user_sgpr_kernarg_segment_ptr 1
		.amdhsa_user_sgpr_dispatch_id 0
		.amdhsa_user_sgpr_kernarg_preload_length 0
		.amdhsa_user_sgpr_kernarg_preload_offset 0
		.amdhsa_user_sgpr_private_segment_size 0
		.amdhsa_uses_dynamic_stack 0
		.amdhsa_enable_private_segment 0
		.amdhsa_system_sgpr_workgroup_id_x 1
		.amdhsa_system_sgpr_workgroup_id_y 0
		.amdhsa_system_sgpr_workgroup_id_z 0
		.amdhsa_system_sgpr_workgroup_info 0
		.amdhsa_system_vgpr_workitem_id 0
		.amdhsa_next_free_vgpr 1
		.amdhsa_next_free_sgpr 0
		.amdhsa_accum_offset 4
		.amdhsa_reserve_vcc 0
		.amdhsa_float_round_mode_32 0
		.amdhsa_float_round_mode_16_64 0
		.amdhsa_float_denorm_mode_32 3
		.amdhsa_float_denorm_mode_16_64 3
		.amdhsa_dx10_clamp 1
		.amdhsa_ieee_mode 1
		.amdhsa_fp16_overflow 0
		.amdhsa_tg_split 0
		.amdhsa_exception_fp_ieee_invalid_op 0
		.amdhsa_exception_fp_denorm_src 0
		.amdhsa_exception_fp_ieee_div_zero 0
		.amdhsa_exception_fp_ieee_overflow 0
		.amdhsa_exception_fp_ieee_underflow 0
		.amdhsa_exception_fp_ieee_inexact 0
		.amdhsa_exception_int_div_zero 0
	.end_amdhsa_kernel
	.section	.text._ZN7rocprim17ROCPRIM_400000_NS6detail17trampoline_kernelINS0_13kernel_configILj256ELj4ELj4294967295EEENS1_37radix_sort_block_sort_config_selectorIiNS0_10empty_typeEEEZNS1_21radix_sort_block_sortIS4_Lb0EN6thrust23THRUST_200600_302600_NS6detail15normal_iteratorINSA_10device_ptrIiEEEESF_PS6_SG_NS0_19identity_decomposerEEE10hipError_tT1_T2_T3_T4_jRjT5_jjP12ihipStream_tbEUlT_E_NS1_11comp_targetILNS1_3genE3ELNS1_11target_archE908ELNS1_3gpuE7ELNS1_3repE0EEENS1_44radix_sort_block_sort_config_static_selectorELNS0_4arch9wavefront6targetE1EEEvSJ_,"axG",@progbits,_ZN7rocprim17ROCPRIM_400000_NS6detail17trampoline_kernelINS0_13kernel_configILj256ELj4ELj4294967295EEENS1_37radix_sort_block_sort_config_selectorIiNS0_10empty_typeEEEZNS1_21radix_sort_block_sortIS4_Lb0EN6thrust23THRUST_200600_302600_NS6detail15normal_iteratorINSA_10device_ptrIiEEEESF_PS6_SG_NS0_19identity_decomposerEEE10hipError_tT1_T2_T3_T4_jRjT5_jjP12ihipStream_tbEUlT_E_NS1_11comp_targetILNS1_3genE3ELNS1_11target_archE908ELNS1_3gpuE7ELNS1_3repE0EEENS1_44radix_sort_block_sort_config_static_selectorELNS0_4arch9wavefront6targetE1EEEvSJ_,comdat
.Lfunc_end4:
	.size	_ZN7rocprim17ROCPRIM_400000_NS6detail17trampoline_kernelINS0_13kernel_configILj256ELj4ELj4294967295EEENS1_37radix_sort_block_sort_config_selectorIiNS0_10empty_typeEEEZNS1_21radix_sort_block_sortIS4_Lb0EN6thrust23THRUST_200600_302600_NS6detail15normal_iteratorINSA_10device_ptrIiEEEESF_PS6_SG_NS0_19identity_decomposerEEE10hipError_tT1_T2_T3_T4_jRjT5_jjP12ihipStream_tbEUlT_E_NS1_11comp_targetILNS1_3genE3ELNS1_11target_archE908ELNS1_3gpuE7ELNS1_3repE0EEENS1_44radix_sort_block_sort_config_static_selectorELNS0_4arch9wavefront6targetE1EEEvSJ_, .Lfunc_end4-_ZN7rocprim17ROCPRIM_400000_NS6detail17trampoline_kernelINS0_13kernel_configILj256ELj4ELj4294967295EEENS1_37radix_sort_block_sort_config_selectorIiNS0_10empty_typeEEEZNS1_21radix_sort_block_sortIS4_Lb0EN6thrust23THRUST_200600_302600_NS6detail15normal_iteratorINSA_10device_ptrIiEEEESF_PS6_SG_NS0_19identity_decomposerEEE10hipError_tT1_T2_T3_T4_jRjT5_jjP12ihipStream_tbEUlT_E_NS1_11comp_targetILNS1_3genE3ELNS1_11target_archE908ELNS1_3gpuE7ELNS1_3repE0EEENS1_44radix_sort_block_sort_config_static_selectorELNS0_4arch9wavefront6targetE1EEEvSJ_
                                        ; -- End function
	.set _ZN7rocprim17ROCPRIM_400000_NS6detail17trampoline_kernelINS0_13kernel_configILj256ELj4ELj4294967295EEENS1_37radix_sort_block_sort_config_selectorIiNS0_10empty_typeEEEZNS1_21radix_sort_block_sortIS4_Lb0EN6thrust23THRUST_200600_302600_NS6detail15normal_iteratorINSA_10device_ptrIiEEEESF_PS6_SG_NS0_19identity_decomposerEEE10hipError_tT1_T2_T3_T4_jRjT5_jjP12ihipStream_tbEUlT_E_NS1_11comp_targetILNS1_3genE3ELNS1_11target_archE908ELNS1_3gpuE7ELNS1_3repE0EEENS1_44radix_sort_block_sort_config_static_selectorELNS0_4arch9wavefront6targetE1EEEvSJ_.num_vgpr, 0
	.set _ZN7rocprim17ROCPRIM_400000_NS6detail17trampoline_kernelINS0_13kernel_configILj256ELj4ELj4294967295EEENS1_37radix_sort_block_sort_config_selectorIiNS0_10empty_typeEEEZNS1_21radix_sort_block_sortIS4_Lb0EN6thrust23THRUST_200600_302600_NS6detail15normal_iteratorINSA_10device_ptrIiEEEESF_PS6_SG_NS0_19identity_decomposerEEE10hipError_tT1_T2_T3_T4_jRjT5_jjP12ihipStream_tbEUlT_E_NS1_11comp_targetILNS1_3genE3ELNS1_11target_archE908ELNS1_3gpuE7ELNS1_3repE0EEENS1_44radix_sort_block_sort_config_static_selectorELNS0_4arch9wavefront6targetE1EEEvSJ_.num_agpr, 0
	.set _ZN7rocprim17ROCPRIM_400000_NS6detail17trampoline_kernelINS0_13kernel_configILj256ELj4ELj4294967295EEENS1_37radix_sort_block_sort_config_selectorIiNS0_10empty_typeEEEZNS1_21radix_sort_block_sortIS4_Lb0EN6thrust23THRUST_200600_302600_NS6detail15normal_iteratorINSA_10device_ptrIiEEEESF_PS6_SG_NS0_19identity_decomposerEEE10hipError_tT1_T2_T3_T4_jRjT5_jjP12ihipStream_tbEUlT_E_NS1_11comp_targetILNS1_3genE3ELNS1_11target_archE908ELNS1_3gpuE7ELNS1_3repE0EEENS1_44radix_sort_block_sort_config_static_selectorELNS0_4arch9wavefront6targetE1EEEvSJ_.numbered_sgpr, 0
	.set _ZN7rocprim17ROCPRIM_400000_NS6detail17trampoline_kernelINS0_13kernel_configILj256ELj4ELj4294967295EEENS1_37radix_sort_block_sort_config_selectorIiNS0_10empty_typeEEEZNS1_21radix_sort_block_sortIS4_Lb0EN6thrust23THRUST_200600_302600_NS6detail15normal_iteratorINSA_10device_ptrIiEEEESF_PS6_SG_NS0_19identity_decomposerEEE10hipError_tT1_T2_T3_T4_jRjT5_jjP12ihipStream_tbEUlT_E_NS1_11comp_targetILNS1_3genE3ELNS1_11target_archE908ELNS1_3gpuE7ELNS1_3repE0EEENS1_44radix_sort_block_sort_config_static_selectorELNS0_4arch9wavefront6targetE1EEEvSJ_.num_named_barrier, 0
	.set _ZN7rocprim17ROCPRIM_400000_NS6detail17trampoline_kernelINS0_13kernel_configILj256ELj4ELj4294967295EEENS1_37radix_sort_block_sort_config_selectorIiNS0_10empty_typeEEEZNS1_21radix_sort_block_sortIS4_Lb0EN6thrust23THRUST_200600_302600_NS6detail15normal_iteratorINSA_10device_ptrIiEEEESF_PS6_SG_NS0_19identity_decomposerEEE10hipError_tT1_T2_T3_T4_jRjT5_jjP12ihipStream_tbEUlT_E_NS1_11comp_targetILNS1_3genE3ELNS1_11target_archE908ELNS1_3gpuE7ELNS1_3repE0EEENS1_44radix_sort_block_sort_config_static_selectorELNS0_4arch9wavefront6targetE1EEEvSJ_.private_seg_size, 0
	.set _ZN7rocprim17ROCPRIM_400000_NS6detail17trampoline_kernelINS0_13kernel_configILj256ELj4ELj4294967295EEENS1_37radix_sort_block_sort_config_selectorIiNS0_10empty_typeEEEZNS1_21radix_sort_block_sortIS4_Lb0EN6thrust23THRUST_200600_302600_NS6detail15normal_iteratorINSA_10device_ptrIiEEEESF_PS6_SG_NS0_19identity_decomposerEEE10hipError_tT1_T2_T3_T4_jRjT5_jjP12ihipStream_tbEUlT_E_NS1_11comp_targetILNS1_3genE3ELNS1_11target_archE908ELNS1_3gpuE7ELNS1_3repE0EEENS1_44radix_sort_block_sort_config_static_selectorELNS0_4arch9wavefront6targetE1EEEvSJ_.uses_vcc, 0
	.set _ZN7rocprim17ROCPRIM_400000_NS6detail17trampoline_kernelINS0_13kernel_configILj256ELj4ELj4294967295EEENS1_37radix_sort_block_sort_config_selectorIiNS0_10empty_typeEEEZNS1_21radix_sort_block_sortIS4_Lb0EN6thrust23THRUST_200600_302600_NS6detail15normal_iteratorINSA_10device_ptrIiEEEESF_PS6_SG_NS0_19identity_decomposerEEE10hipError_tT1_T2_T3_T4_jRjT5_jjP12ihipStream_tbEUlT_E_NS1_11comp_targetILNS1_3genE3ELNS1_11target_archE908ELNS1_3gpuE7ELNS1_3repE0EEENS1_44radix_sort_block_sort_config_static_selectorELNS0_4arch9wavefront6targetE1EEEvSJ_.uses_flat_scratch, 0
	.set _ZN7rocprim17ROCPRIM_400000_NS6detail17trampoline_kernelINS0_13kernel_configILj256ELj4ELj4294967295EEENS1_37radix_sort_block_sort_config_selectorIiNS0_10empty_typeEEEZNS1_21radix_sort_block_sortIS4_Lb0EN6thrust23THRUST_200600_302600_NS6detail15normal_iteratorINSA_10device_ptrIiEEEESF_PS6_SG_NS0_19identity_decomposerEEE10hipError_tT1_T2_T3_T4_jRjT5_jjP12ihipStream_tbEUlT_E_NS1_11comp_targetILNS1_3genE3ELNS1_11target_archE908ELNS1_3gpuE7ELNS1_3repE0EEENS1_44radix_sort_block_sort_config_static_selectorELNS0_4arch9wavefront6targetE1EEEvSJ_.has_dyn_sized_stack, 0
	.set _ZN7rocprim17ROCPRIM_400000_NS6detail17trampoline_kernelINS0_13kernel_configILj256ELj4ELj4294967295EEENS1_37radix_sort_block_sort_config_selectorIiNS0_10empty_typeEEEZNS1_21radix_sort_block_sortIS4_Lb0EN6thrust23THRUST_200600_302600_NS6detail15normal_iteratorINSA_10device_ptrIiEEEESF_PS6_SG_NS0_19identity_decomposerEEE10hipError_tT1_T2_T3_T4_jRjT5_jjP12ihipStream_tbEUlT_E_NS1_11comp_targetILNS1_3genE3ELNS1_11target_archE908ELNS1_3gpuE7ELNS1_3repE0EEENS1_44radix_sort_block_sort_config_static_selectorELNS0_4arch9wavefront6targetE1EEEvSJ_.has_recursion, 0
	.set _ZN7rocprim17ROCPRIM_400000_NS6detail17trampoline_kernelINS0_13kernel_configILj256ELj4ELj4294967295EEENS1_37radix_sort_block_sort_config_selectorIiNS0_10empty_typeEEEZNS1_21radix_sort_block_sortIS4_Lb0EN6thrust23THRUST_200600_302600_NS6detail15normal_iteratorINSA_10device_ptrIiEEEESF_PS6_SG_NS0_19identity_decomposerEEE10hipError_tT1_T2_T3_T4_jRjT5_jjP12ihipStream_tbEUlT_E_NS1_11comp_targetILNS1_3genE3ELNS1_11target_archE908ELNS1_3gpuE7ELNS1_3repE0EEENS1_44radix_sort_block_sort_config_static_selectorELNS0_4arch9wavefront6targetE1EEEvSJ_.has_indirect_call, 0
	.section	.AMDGPU.csdata,"",@progbits
; Kernel info:
; codeLenInByte = 0
; TotalNumSgprs: 6
; NumVgprs: 0
; NumAgprs: 0
; TotalNumVgprs: 0
; ScratchSize: 0
; MemoryBound: 0
; FloatMode: 240
; IeeeMode: 1
; LDSByteSize: 0 bytes/workgroup (compile time only)
; SGPRBlocks: 0
; VGPRBlocks: 0
; NumSGPRsForWavesPerEU: 6
; NumVGPRsForWavesPerEU: 1
; AccumOffset: 4
; Occupancy: 8
; WaveLimiterHint : 0
; COMPUTE_PGM_RSRC2:SCRATCH_EN: 0
; COMPUTE_PGM_RSRC2:USER_SGPR: 2
; COMPUTE_PGM_RSRC2:TRAP_HANDLER: 0
; COMPUTE_PGM_RSRC2:TGID_X_EN: 1
; COMPUTE_PGM_RSRC2:TGID_Y_EN: 0
; COMPUTE_PGM_RSRC2:TGID_Z_EN: 0
; COMPUTE_PGM_RSRC2:TIDIG_COMP_CNT: 0
; COMPUTE_PGM_RSRC3_GFX90A:ACCUM_OFFSET: 0
; COMPUTE_PGM_RSRC3_GFX90A:TG_SPLIT: 0
	.section	.text._ZN7rocprim17ROCPRIM_400000_NS6detail17trampoline_kernelINS0_13kernel_configILj256ELj4ELj4294967295EEENS1_37radix_sort_block_sort_config_selectorIiNS0_10empty_typeEEEZNS1_21radix_sort_block_sortIS4_Lb0EN6thrust23THRUST_200600_302600_NS6detail15normal_iteratorINSA_10device_ptrIiEEEESF_PS6_SG_NS0_19identity_decomposerEEE10hipError_tT1_T2_T3_T4_jRjT5_jjP12ihipStream_tbEUlT_E_NS1_11comp_targetILNS1_3genE2ELNS1_11target_archE906ELNS1_3gpuE6ELNS1_3repE0EEENS1_44radix_sort_block_sort_config_static_selectorELNS0_4arch9wavefront6targetE1EEEvSJ_,"axG",@progbits,_ZN7rocprim17ROCPRIM_400000_NS6detail17trampoline_kernelINS0_13kernel_configILj256ELj4ELj4294967295EEENS1_37radix_sort_block_sort_config_selectorIiNS0_10empty_typeEEEZNS1_21radix_sort_block_sortIS4_Lb0EN6thrust23THRUST_200600_302600_NS6detail15normal_iteratorINSA_10device_ptrIiEEEESF_PS6_SG_NS0_19identity_decomposerEEE10hipError_tT1_T2_T3_T4_jRjT5_jjP12ihipStream_tbEUlT_E_NS1_11comp_targetILNS1_3genE2ELNS1_11target_archE906ELNS1_3gpuE6ELNS1_3repE0EEENS1_44radix_sort_block_sort_config_static_selectorELNS0_4arch9wavefront6targetE1EEEvSJ_,comdat
	.protected	_ZN7rocprim17ROCPRIM_400000_NS6detail17trampoline_kernelINS0_13kernel_configILj256ELj4ELj4294967295EEENS1_37radix_sort_block_sort_config_selectorIiNS0_10empty_typeEEEZNS1_21radix_sort_block_sortIS4_Lb0EN6thrust23THRUST_200600_302600_NS6detail15normal_iteratorINSA_10device_ptrIiEEEESF_PS6_SG_NS0_19identity_decomposerEEE10hipError_tT1_T2_T3_T4_jRjT5_jjP12ihipStream_tbEUlT_E_NS1_11comp_targetILNS1_3genE2ELNS1_11target_archE906ELNS1_3gpuE6ELNS1_3repE0EEENS1_44radix_sort_block_sort_config_static_selectorELNS0_4arch9wavefront6targetE1EEEvSJ_ ; -- Begin function _ZN7rocprim17ROCPRIM_400000_NS6detail17trampoline_kernelINS0_13kernel_configILj256ELj4ELj4294967295EEENS1_37radix_sort_block_sort_config_selectorIiNS0_10empty_typeEEEZNS1_21radix_sort_block_sortIS4_Lb0EN6thrust23THRUST_200600_302600_NS6detail15normal_iteratorINSA_10device_ptrIiEEEESF_PS6_SG_NS0_19identity_decomposerEEE10hipError_tT1_T2_T3_T4_jRjT5_jjP12ihipStream_tbEUlT_E_NS1_11comp_targetILNS1_3genE2ELNS1_11target_archE906ELNS1_3gpuE6ELNS1_3repE0EEENS1_44radix_sort_block_sort_config_static_selectorELNS0_4arch9wavefront6targetE1EEEvSJ_
	.globl	_ZN7rocprim17ROCPRIM_400000_NS6detail17trampoline_kernelINS0_13kernel_configILj256ELj4ELj4294967295EEENS1_37radix_sort_block_sort_config_selectorIiNS0_10empty_typeEEEZNS1_21radix_sort_block_sortIS4_Lb0EN6thrust23THRUST_200600_302600_NS6detail15normal_iteratorINSA_10device_ptrIiEEEESF_PS6_SG_NS0_19identity_decomposerEEE10hipError_tT1_T2_T3_T4_jRjT5_jjP12ihipStream_tbEUlT_E_NS1_11comp_targetILNS1_3genE2ELNS1_11target_archE906ELNS1_3gpuE6ELNS1_3repE0EEENS1_44radix_sort_block_sort_config_static_selectorELNS0_4arch9wavefront6targetE1EEEvSJ_
	.p2align	8
	.type	_ZN7rocprim17ROCPRIM_400000_NS6detail17trampoline_kernelINS0_13kernel_configILj256ELj4ELj4294967295EEENS1_37radix_sort_block_sort_config_selectorIiNS0_10empty_typeEEEZNS1_21radix_sort_block_sortIS4_Lb0EN6thrust23THRUST_200600_302600_NS6detail15normal_iteratorINSA_10device_ptrIiEEEESF_PS6_SG_NS0_19identity_decomposerEEE10hipError_tT1_T2_T3_T4_jRjT5_jjP12ihipStream_tbEUlT_E_NS1_11comp_targetILNS1_3genE2ELNS1_11target_archE906ELNS1_3gpuE6ELNS1_3repE0EEENS1_44radix_sort_block_sort_config_static_selectorELNS0_4arch9wavefront6targetE1EEEvSJ_,@function
_ZN7rocprim17ROCPRIM_400000_NS6detail17trampoline_kernelINS0_13kernel_configILj256ELj4ELj4294967295EEENS1_37radix_sort_block_sort_config_selectorIiNS0_10empty_typeEEEZNS1_21radix_sort_block_sortIS4_Lb0EN6thrust23THRUST_200600_302600_NS6detail15normal_iteratorINSA_10device_ptrIiEEEESF_PS6_SG_NS0_19identity_decomposerEEE10hipError_tT1_T2_T3_T4_jRjT5_jjP12ihipStream_tbEUlT_E_NS1_11comp_targetILNS1_3genE2ELNS1_11target_archE906ELNS1_3gpuE6ELNS1_3repE0EEENS1_44radix_sort_block_sort_config_static_selectorELNS0_4arch9wavefront6targetE1EEEvSJ_: ; @_ZN7rocprim17ROCPRIM_400000_NS6detail17trampoline_kernelINS0_13kernel_configILj256ELj4ELj4294967295EEENS1_37radix_sort_block_sort_config_selectorIiNS0_10empty_typeEEEZNS1_21radix_sort_block_sortIS4_Lb0EN6thrust23THRUST_200600_302600_NS6detail15normal_iteratorINSA_10device_ptrIiEEEESF_PS6_SG_NS0_19identity_decomposerEEE10hipError_tT1_T2_T3_T4_jRjT5_jjP12ihipStream_tbEUlT_E_NS1_11comp_targetILNS1_3genE2ELNS1_11target_archE906ELNS1_3gpuE6ELNS1_3repE0EEENS1_44radix_sort_block_sort_config_static_selectorELNS0_4arch9wavefront6targetE1EEEvSJ_
; %bb.0:
	.section	.rodata,"a",@progbits
	.p2align	6, 0x0
	.amdhsa_kernel _ZN7rocprim17ROCPRIM_400000_NS6detail17trampoline_kernelINS0_13kernel_configILj256ELj4ELj4294967295EEENS1_37radix_sort_block_sort_config_selectorIiNS0_10empty_typeEEEZNS1_21radix_sort_block_sortIS4_Lb0EN6thrust23THRUST_200600_302600_NS6detail15normal_iteratorINSA_10device_ptrIiEEEESF_PS6_SG_NS0_19identity_decomposerEEE10hipError_tT1_T2_T3_T4_jRjT5_jjP12ihipStream_tbEUlT_E_NS1_11comp_targetILNS1_3genE2ELNS1_11target_archE906ELNS1_3gpuE6ELNS1_3repE0EEENS1_44radix_sort_block_sort_config_static_selectorELNS0_4arch9wavefront6targetE1EEEvSJ_
		.amdhsa_group_segment_fixed_size 0
		.amdhsa_private_segment_fixed_size 0
		.amdhsa_kernarg_size 48
		.amdhsa_user_sgpr_count 2
		.amdhsa_user_sgpr_dispatch_ptr 0
		.amdhsa_user_sgpr_queue_ptr 0
		.amdhsa_user_sgpr_kernarg_segment_ptr 1
		.amdhsa_user_sgpr_dispatch_id 0
		.amdhsa_user_sgpr_kernarg_preload_length 0
		.amdhsa_user_sgpr_kernarg_preload_offset 0
		.amdhsa_user_sgpr_private_segment_size 0
		.amdhsa_uses_dynamic_stack 0
		.amdhsa_enable_private_segment 0
		.amdhsa_system_sgpr_workgroup_id_x 1
		.amdhsa_system_sgpr_workgroup_id_y 0
		.amdhsa_system_sgpr_workgroup_id_z 0
		.amdhsa_system_sgpr_workgroup_info 0
		.amdhsa_system_vgpr_workitem_id 0
		.amdhsa_next_free_vgpr 1
		.amdhsa_next_free_sgpr 0
		.amdhsa_accum_offset 4
		.amdhsa_reserve_vcc 0
		.amdhsa_float_round_mode_32 0
		.amdhsa_float_round_mode_16_64 0
		.amdhsa_float_denorm_mode_32 3
		.amdhsa_float_denorm_mode_16_64 3
		.amdhsa_dx10_clamp 1
		.amdhsa_ieee_mode 1
		.amdhsa_fp16_overflow 0
		.amdhsa_tg_split 0
		.amdhsa_exception_fp_ieee_invalid_op 0
		.amdhsa_exception_fp_denorm_src 0
		.amdhsa_exception_fp_ieee_div_zero 0
		.amdhsa_exception_fp_ieee_overflow 0
		.amdhsa_exception_fp_ieee_underflow 0
		.amdhsa_exception_fp_ieee_inexact 0
		.amdhsa_exception_int_div_zero 0
	.end_amdhsa_kernel
	.section	.text._ZN7rocprim17ROCPRIM_400000_NS6detail17trampoline_kernelINS0_13kernel_configILj256ELj4ELj4294967295EEENS1_37radix_sort_block_sort_config_selectorIiNS0_10empty_typeEEEZNS1_21radix_sort_block_sortIS4_Lb0EN6thrust23THRUST_200600_302600_NS6detail15normal_iteratorINSA_10device_ptrIiEEEESF_PS6_SG_NS0_19identity_decomposerEEE10hipError_tT1_T2_T3_T4_jRjT5_jjP12ihipStream_tbEUlT_E_NS1_11comp_targetILNS1_3genE2ELNS1_11target_archE906ELNS1_3gpuE6ELNS1_3repE0EEENS1_44radix_sort_block_sort_config_static_selectorELNS0_4arch9wavefront6targetE1EEEvSJ_,"axG",@progbits,_ZN7rocprim17ROCPRIM_400000_NS6detail17trampoline_kernelINS0_13kernel_configILj256ELj4ELj4294967295EEENS1_37radix_sort_block_sort_config_selectorIiNS0_10empty_typeEEEZNS1_21radix_sort_block_sortIS4_Lb0EN6thrust23THRUST_200600_302600_NS6detail15normal_iteratorINSA_10device_ptrIiEEEESF_PS6_SG_NS0_19identity_decomposerEEE10hipError_tT1_T2_T3_T4_jRjT5_jjP12ihipStream_tbEUlT_E_NS1_11comp_targetILNS1_3genE2ELNS1_11target_archE906ELNS1_3gpuE6ELNS1_3repE0EEENS1_44radix_sort_block_sort_config_static_selectorELNS0_4arch9wavefront6targetE1EEEvSJ_,comdat
.Lfunc_end5:
	.size	_ZN7rocprim17ROCPRIM_400000_NS6detail17trampoline_kernelINS0_13kernel_configILj256ELj4ELj4294967295EEENS1_37radix_sort_block_sort_config_selectorIiNS0_10empty_typeEEEZNS1_21radix_sort_block_sortIS4_Lb0EN6thrust23THRUST_200600_302600_NS6detail15normal_iteratorINSA_10device_ptrIiEEEESF_PS6_SG_NS0_19identity_decomposerEEE10hipError_tT1_T2_T3_T4_jRjT5_jjP12ihipStream_tbEUlT_E_NS1_11comp_targetILNS1_3genE2ELNS1_11target_archE906ELNS1_3gpuE6ELNS1_3repE0EEENS1_44radix_sort_block_sort_config_static_selectorELNS0_4arch9wavefront6targetE1EEEvSJ_, .Lfunc_end5-_ZN7rocprim17ROCPRIM_400000_NS6detail17trampoline_kernelINS0_13kernel_configILj256ELj4ELj4294967295EEENS1_37radix_sort_block_sort_config_selectorIiNS0_10empty_typeEEEZNS1_21radix_sort_block_sortIS4_Lb0EN6thrust23THRUST_200600_302600_NS6detail15normal_iteratorINSA_10device_ptrIiEEEESF_PS6_SG_NS0_19identity_decomposerEEE10hipError_tT1_T2_T3_T4_jRjT5_jjP12ihipStream_tbEUlT_E_NS1_11comp_targetILNS1_3genE2ELNS1_11target_archE906ELNS1_3gpuE6ELNS1_3repE0EEENS1_44radix_sort_block_sort_config_static_selectorELNS0_4arch9wavefront6targetE1EEEvSJ_
                                        ; -- End function
	.set _ZN7rocprim17ROCPRIM_400000_NS6detail17trampoline_kernelINS0_13kernel_configILj256ELj4ELj4294967295EEENS1_37radix_sort_block_sort_config_selectorIiNS0_10empty_typeEEEZNS1_21radix_sort_block_sortIS4_Lb0EN6thrust23THRUST_200600_302600_NS6detail15normal_iteratorINSA_10device_ptrIiEEEESF_PS6_SG_NS0_19identity_decomposerEEE10hipError_tT1_T2_T3_T4_jRjT5_jjP12ihipStream_tbEUlT_E_NS1_11comp_targetILNS1_3genE2ELNS1_11target_archE906ELNS1_3gpuE6ELNS1_3repE0EEENS1_44radix_sort_block_sort_config_static_selectorELNS0_4arch9wavefront6targetE1EEEvSJ_.num_vgpr, 0
	.set _ZN7rocprim17ROCPRIM_400000_NS6detail17trampoline_kernelINS0_13kernel_configILj256ELj4ELj4294967295EEENS1_37radix_sort_block_sort_config_selectorIiNS0_10empty_typeEEEZNS1_21radix_sort_block_sortIS4_Lb0EN6thrust23THRUST_200600_302600_NS6detail15normal_iteratorINSA_10device_ptrIiEEEESF_PS6_SG_NS0_19identity_decomposerEEE10hipError_tT1_T2_T3_T4_jRjT5_jjP12ihipStream_tbEUlT_E_NS1_11comp_targetILNS1_3genE2ELNS1_11target_archE906ELNS1_3gpuE6ELNS1_3repE0EEENS1_44radix_sort_block_sort_config_static_selectorELNS0_4arch9wavefront6targetE1EEEvSJ_.num_agpr, 0
	.set _ZN7rocprim17ROCPRIM_400000_NS6detail17trampoline_kernelINS0_13kernel_configILj256ELj4ELj4294967295EEENS1_37radix_sort_block_sort_config_selectorIiNS0_10empty_typeEEEZNS1_21radix_sort_block_sortIS4_Lb0EN6thrust23THRUST_200600_302600_NS6detail15normal_iteratorINSA_10device_ptrIiEEEESF_PS6_SG_NS0_19identity_decomposerEEE10hipError_tT1_T2_T3_T4_jRjT5_jjP12ihipStream_tbEUlT_E_NS1_11comp_targetILNS1_3genE2ELNS1_11target_archE906ELNS1_3gpuE6ELNS1_3repE0EEENS1_44radix_sort_block_sort_config_static_selectorELNS0_4arch9wavefront6targetE1EEEvSJ_.numbered_sgpr, 0
	.set _ZN7rocprim17ROCPRIM_400000_NS6detail17trampoline_kernelINS0_13kernel_configILj256ELj4ELj4294967295EEENS1_37radix_sort_block_sort_config_selectorIiNS0_10empty_typeEEEZNS1_21radix_sort_block_sortIS4_Lb0EN6thrust23THRUST_200600_302600_NS6detail15normal_iteratorINSA_10device_ptrIiEEEESF_PS6_SG_NS0_19identity_decomposerEEE10hipError_tT1_T2_T3_T4_jRjT5_jjP12ihipStream_tbEUlT_E_NS1_11comp_targetILNS1_3genE2ELNS1_11target_archE906ELNS1_3gpuE6ELNS1_3repE0EEENS1_44radix_sort_block_sort_config_static_selectorELNS0_4arch9wavefront6targetE1EEEvSJ_.num_named_barrier, 0
	.set _ZN7rocprim17ROCPRIM_400000_NS6detail17trampoline_kernelINS0_13kernel_configILj256ELj4ELj4294967295EEENS1_37radix_sort_block_sort_config_selectorIiNS0_10empty_typeEEEZNS1_21radix_sort_block_sortIS4_Lb0EN6thrust23THRUST_200600_302600_NS6detail15normal_iteratorINSA_10device_ptrIiEEEESF_PS6_SG_NS0_19identity_decomposerEEE10hipError_tT1_T2_T3_T4_jRjT5_jjP12ihipStream_tbEUlT_E_NS1_11comp_targetILNS1_3genE2ELNS1_11target_archE906ELNS1_3gpuE6ELNS1_3repE0EEENS1_44radix_sort_block_sort_config_static_selectorELNS0_4arch9wavefront6targetE1EEEvSJ_.private_seg_size, 0
	.set _ZN7rocprim17ROCPRIM_400000_NS6detail17trampoline_kernelINS0_13kernel_configILj256ELj4ELj4294967295EEENS1_37radix_sort_block_sort_config_selectorIiNS0_10empty_typeEEEZNS1_21radix_sort_block_sortIS4_Lb0EN6thrust23THRUST_200600_302600_NS6detail15normal_iteratorINSA_10device_ptrIiEEEESF_PS6_SG_NS0_19identity_decomposerEEE10hipError_tT1_T2_T3_T4_jRjT5_jjP12ihipStream_tbEUlT_E_NS1_11comp_targetILNS1_3genE2ELNS1_11target_archE906ELNS1_3gpuE6ELNS1_3repE0EEENS1_44radix_sort_block_sort_config_static_selectorELNS0_4arch9wavefront6targetE1EEEvSJ_.uses_vcc, 0
	.set _ZN7rocprim17ROCPRIM_400000_NS6detail17trampoline_kernelINS0_13kernel_configILj256ELj4ELj4294967295EEENS1_37radix_sort_block_sort_config_selectorIiNS0_10empty_typeEEEZNS1_21radix_sort_block_sortIS4_Lb0EN6thrust23THRUST_200600_302600_NS6detail15normal_iteratorINSA_10device_ptrIiEEEESF_PS6_SG_NS0_19identity_decomposerEEE10hipError_tT1_T2_T3_T4_jRjT5_jjP12ihipStream_tbEUlT_E_NS1_11comp_targetILNS1_3genE2ELNS1_11target_archE906ELNS1_3gpuE6ELNS1_3repE0EEENS1_44radix_sort_block_sort_config_static_selectorELNS0_4arch9wavefront6targetE1EEEvSJ_.uses_flat_scratch, 0
	.set _ZN7rocprim17ROCPRIM_400000_NS6detail17trampoline_kernelINS0_13kernel_configILj256ELj4ELj4294967295EEENS1_37radix_sort_block_sort_config_selectorIiNS0_10empty_typeEEEZNS1_21radix_sort_block_sortIS4_Lb0EN6thrust23THRUST_200600_302600_NS6detail15normal_iteratorINSA_10device_ptrIiEEEESF_PS6_SG_NS0_19identity_decomposerEEE10hipError_tT1_T2_T3_T4_jRjT5_jjP12ihipStream_tbEUlT_E_NS1_11comp_targetILNS1_3genE2ELNS1_11target_archE906ELNS1_3gpuE6ELNS1_3repE0EEENS1_44radix_sort_block_sort_config_static_selectorELNS0_4arch9wavefront6targetE1EEEvSJ_.has_dyn_sized_stack, 0
	.set _ZN7rocprim17ROCPRIM_400000_NS6detail17trampoline_kernelINS0_13kernel_configILj256ELj4ELj4294967295EEENS1_37radix_sort_block_sort_config_selectorIiNS0_10empty_typeEEEZNS1_21radix_sort_block_sortIS4_Lb0EN6thrust23THRUST_200600_302600_NS6detail15normal_iteratorINSA_10device_ptrIiEEEESF_PS6_SG_NS0_19identity_decomposerEEE10hipError_tT1_T2_T3_T4_jRjT5_jjP12ihipStream_tbEUlT_E_NS1_11comp_targetILNS1_3genE2ELNS1_11target_archE906ELNS1_3gpuE6ELNS1_3repE0EEENS1_44radix_sort_block_sort_config_static_selectorELNS0_4arch9wavefront6targetE1EEEvSJ_.has_recursion, 0
	.set _ZN7rocprim17ROCPRIM_400000_NS6detail17trampoline_kernelINS0_13kernel_configILj256ELj4ELj4294967295EEENS1_37radix_sort_block_sort_config_selectorIiNS0_10empty_typeEEEZNS1_21radix_sort_block_sortIS4_Lb0EN6thrust23THRUST_200600_302600_NS6detail15normal_iteratorINSA_10device_ptrIiEEEESF_PS6_SG_NS0_19identity_decomposerEEE10hipError_tT1_T2_T3_T4_jRjT5_jjP12ihipStream_tbEUlT_E_NS1_11comp_targetILNS1_3genE2ELNS1_11target_archE906ELNS1_3gpuE6ELNS1_3repE0EEENS1_44radix_sort_block_sort_config_static_selectorELNS0_4arch9wavefront6targetE1EEEvSJ_.has_indirect_call, 0
	.section	.AMDGPU.csdata,"",@progbits
; Kernel info:
; codeLenInByte = 0
; TotalNumSgprs: 6
; NumVgprs: 0
; NumAgprs: 0
; TotalNumVgprs: 0
; ScratchSize: 0
; MemoryBound: 0
; FloatMode: 240
; IeeeMode: 1
; LDSByteSize: 0 bytes/workgroup (compile time only)
; SGPRBlocks: 0
; VGPRBlocks: 0
; NumSGPRsForWavesPerEU: 6
; NumVGPRsForWavesPerEU: 1
; AccumOffset: 4
; Occupancy: 8
; WaveLimiterHint : 0
; COMPUTE_PGM_RSRC2:SCRATCH_EN: 0
; COMPUTE_PGM_RSRC2:USER_SGPR: 2
; COMPUTE_PGM_RSRC2:TRAP_HANDLER: 0
; COMPUTE_PGM_RSRC2:TGID_X_EN: 1
; COMPUTE_PGM_RSRC2:TGID_Y_EN: 0
; COMPUTE_PGM_RSRC2:TGID_Z_EN: 0
; COMPUTE_PGM_RSRC2:TIDIG_COMP_CNT: 0
; COMPUTE_PGM_RSRC3_GFX90A:ACCUM_OFFSET: 0
; COMPUTE_PGM_RSRC3_GFX90A:TG_SPLIT: 0
	.section	.text._ZN7rocprim17ROCPRIM_400000_NS6detail17trampoline_kernelINS0_13kernel_configILj256ELj4ELj4294967295EEENS1_37radix_sort_block_sort_config_selectorIiNS0_10empty_typeEEEZNS1_21radix_sort_block_sortIS4_Lb0EN6thrust23THRUST_200600_302600_NS6detail15normal_iteratorINSA_10device_ptrIiEEEESF_PS6_SG_NS0_19identity_decomposerEEE10hipError_tT1_T2_T3_T4_jRjT5_jjP12ihipStream_tbEUlT_E_NS1_11comp_targetILNS1_3genE10ELNS1_11target_archE1201ELNS1_3gpuE5ELNS1_3repE0EEENS1_44radix_sort_block_sort_config_static_selectorELNS0_4arch9wavefront6targetE1EEEvSJ_,"axG",@progbits,_ZN7rocprim17ROCPRIM_400000_NS6detail17trampoline_kernelINS0_13kernel_configILj256ELj4ELj4294967295EEENS1_37radix_sort_block_sort_config_selectorIiNS0_10empty_typeEEEZNS1_21radix_sort_block_sortIS4_Lb0EN6thrust23THRUST_200600_302600_NS6detail15normal_iteratorINSA_10device_ptrIiEEEESF_PS6_SG_NS0_19identity_decomposerEEE10hipError_tT1_T2_T3_T4_jRjT5_jjP12ihipStream_tbEUlT_E_NS1_11comp_targetILNS1_3genE10ELNS1_11target_archE1201ELNS1_3gpuE5ELNS1_3repE0EEENS1_44radix_sort_block_sort_config_static_selectorELNS0_4arch9wavefront6targetE1EEEvSJ_,comdat
	.protected	_ZN7rocprim17ROCPRIM_400000_NS6detail17trampoline_kernelINS0_13kernel_configILj256ELj4ELj4294967295EEENS1_37radix_sort_block_sort_config_selectorIiNS0_10empty_typeEEEZNS1_21radix_sort_block_sortIS4_Lb0EN6thrust23THRUST_200600_302600_NS6detail15normal_iteratorINSA_10device_ptrIiEEEESF_PS6_SG_NS0_19identity_decomposerEEE10hipError_tT1_T2_T3_T4_jRjT5_jjP12ihipStream_tbEUlT_E_NS1_11comp_targetILNS1_3genE10ELNS1_11target_archE1201ELNS1_3gpuE5ELNS1_3repE0EEENS1_44radix_sort_block_sort_config_static_selectorELNS0_4arch9wavefront6targetE1EEEvSJ_ ; -- Begin function _ZN7rocprim17ROCPRIM_400000_NS6detail17trampoline_kernelINS0_13kernel_configILj256ELj4ELj4294967295EEENS1_37radix_sort_block_sort_config_selectorIiNS0_10empty_typeEEEZNS1_21radix_sort_block_sortIS4_Lb0EN6thrust23THRUST_200600_302600_NS6detail15normal_iteratorINSA_10device_ptrIiEEEESF_PS6_SG_NS0_19identity_decomposerEEE10hipError_tT1_T2_T3_T4_jRjT5_jjP12ihipStream_tbEUlT_E_NS1_11comp_targetILNS1_3genE10ELNS1_11target_archE1201ELNS1_3gpuE5ELNS1_3repE0EEENS1_44radix_sort_block_sort_config_static_selectorELNS0_4arch9wavefront6targetE1EEEvSJ_
	.globl	_ZN7rocprim17ROCPRIM_400000_NS6detail17trampoline_kernelINS0_13kernel_configILj256ELj4ELj4294967295EEENS1_37radix_sort_block_sort_config_selectorIiNS0_10empty_typeEEEZNS1_21radix_sort_block_sortIS4_Lb0EN6thrust23THRUST_200600_302600_NS6detail15normal_iteratorINSA_10device_ptrIiEEEESF_PS6_SG_NS0_19identity_decomposerEEE10hipError_tT1_T2_T3_T4_jRjT5_jjP12ihipStream_tbEUlT_E_NS1_11comp_targetILNS1_3genE10ELNS1_11target_archE1201ELNS1_3gpuE5ELNS1_3repE0EEENS1_44radix_sort_block_sort_config_static_selectorELNS0_4arch9wavefront6targetE1EEEvSJ_
	.p2align	8
	.type	_ZN7rocprim17ROCPRIM_400000_NS6detail17trampoline_kernelINS0_13kernel_configILj256ELj4ELj4294967295EEENS1_37radix_sort_block_sort_config_selectorIiNS0_10empty_typeEEEZNS1_21radix_sort_block_sortIS4_Lb0EN6thrust23THRUST_200600_302600_NS6detail15normal_iteratorINSA_10device_ptrIiEEEESF_PS6_SG_NS0_19identity_decomposerEEE10hipError_tT1_T2_T3_T4_jRjT5_jjP12ihipStream_tbEUlT_E_NS1_11comp_targetILNS1_3genE10ELNS1_11target_archE1201ELNS1_3gpuE5ELNS1_3repE0EEENS1_44radix_sort_block_sort_config_static_selectorELNS0_4arch9wavefront6targetE1EEEvSJ_,@function
_ZN7rocprim17ROCPRIM_400000_NS6detail17trampoline_kernelINS0_13kernel_configILj256ELj4ELj4294967295EEENS1_37radix_sort_block_sort_config_selectorIiNS0_10empty_typeEEEZNS1_21radix_sort_block_sortIS4_Lb0EN6thrust23THRUST_200600_302600_NS6detail15normal_iteratorINSA_10device_ptrIiEEEESF_PS6_SG_NS0_19identity_decomposerEEE10hipError_tT1_T2_T3_T4_jRjT5_jjP12ihipStream_tbEUlT_E_NS1_11comp_targetILNS1_3genE10ELNS1_11target_archE1201ELNS1_3gpuE5ELNS1_3repE0EEENS1_44radix_sort_block_sort_config_static_selectorELNS0_4arch9wavefront6targetE1EEEvSJ_: ; @_ZN7rocprim17ROCPRIM_400000_NS6detail17trampoline_kernelINS0_13kernel_configILj256ELj4ELj4294967295EEENS1_37radix_sort_block_sort_config_selectorIiNS0_10empty_typeEEEZNS1_21radix_sort_block_sortIS4_Lb0EN6thrust23THRUST_200600_302600_NS6detail15normal_iteratorINSA_10device_ptrIiEEEESF_PS6_SG_NS0_19identity_decomposerEEE10hipError_tT1_T2_T3_T4_jRjT5_jjP12ihipStream_tbEUlT_E_NS1_11comp_targetILNS1_3genE10ELNS1_11target_archE1201ELNS1_3gpuE5ELNS1_3repE0EEENS1_44radix_sort_block_sort_config_static_selectorELNS0_4arch9wavefront6targetE1EEEvSJ_
; %bb.0:
	.section	.rodata,"a",@progbits
	.p2align	6, 0x0
	.amdhsa_kernel _ZN7rocprim17ROCPRIM_400000_NS6detail17trampoline_kernelINS0_13kernel_configILj256ELj4ELj4294967295EEENS1_37radix_sort_block_sort_config_selectorIiNS0_10empty_typeEEEZNS1_21radix_sort_block_sortIS4_Lb0EN6thrust23THRUST_200600_302600_NS6detail15normal_iteratorINSA_10device_ptrIiEEEESF_PS6_SG_NS0_19identity_decomposerEEE10hipError_tT1_T2_T3_T4_jRjT5_jjP12ihipStream_tbEUlT_E_NS1_11comp_targetILNS1_3genE10ELNS1_11target_archE1201ELNS1_3gpuE5ELNS1_3repE0EEENS1_44radix_sort_block_sort_config_static_selectorELNS0_4arch9wavefront6targetE1EEEvSJ_
		.amdhsa_group_segment_fixed_size 0
		.amdhsa_private_segment_fixed_size 0
		.amdhsa_kernarg_size 48
		.amdhsa_user_sgpr_count 2
		.amdhsa_user_sgpr_dispatch_ptr 0
		.amdhsa_user_sgpr_queue_ptr 0
		.amdhsa_user_sgpr_kernarg_segment_ptr 1
		.amdhsa_user_sgpr_dispatch_id 0
		.amdhsa_user_sgpr_kernarg_preload_length 0
		.amdhsa_user_sgpr_kernarg_preload_offset 0
		.amdhsa_user_sgpr_private_segment_size 0
		.amdhsa_uses_dynamic_stack 0
		.amdhsa_enable_private_segment 0
		.amdhsa_system_sgpr_workgroup_id_x 1
		.amdhsa_system_sgpr_workgroup_id_y 0
		.amdhsa_system_sgpr_workgroup_id_z 0
		.amdhsa_system_sgpr_workgroup_info 0
		.amdhsa_system_vgpr_workitem_id 0
		.amdhsa_next_free_vgpr 1
		.amdhsa_next_free_sgpr 0
		.amdhsa_accum_offset 4
		.amdhsa_reserve_vcc 0
		.amdhsa_float_round_mode_32 0
		.amdhsa_float_round_mode_16_64 0
		.amdhsa_float_denorm_mode_32 3
		.amdhsa_float_denorm_mode_16_64 3
		.amdhsa_dx10_clamp 1
		.amdhsa_ieee_mode 1
		.amdhsa_fp16_overflow 0
		.amdhsa_tg_split 0
		.amdhsa_exception_fp_ieee_invalid_op 0
		.amdhsa_exception_fp_denorm_src 0
		.amdhsa_exception_fp_ieee_div_zero 0
		.amdhsa_exception_fp_ieee_overflow 0
		.amdhsa_exception_fp_ieee_underflow 0
		.amdhsa_exception_fp_ieee_inexact 0
		.amdhsa_exception_int_div_zero 0
	.end_amdhsa_kernel
	.section	.text._ZN7rocprim17ROCPRIM_400000_NS6detail17trampoline_kernelINS0_13kernel_configILj256ELj4ELj4294967295EEENS1_37radix_sort_block_sort_config_selectorIiNS0_10empty_typeEEEZNS1_21radix_sort_block_sortIS4_Lb0EN6thrust23THRUST_200600_302600_NS6detail15normal_iteratorINSA_10device_ptrIiEEEESF_PS6_SG_NS0_19identity_decomposerEEE10hipError_tT1_T2_T3_T4_jRjT5_jjP12ihipStream_tbEUlT_E_NS1_11comp_targetILNS1_3genE10ELNS1_11target_archE1201ELNS1_3gpuE5ELNS1_3repE0EEENS1_44radix_sort_block_sort_config_static_selectorELNS0_4arch9wavefront6targetE1EEEvSJ_,"axG",@progbits,_ZN7rocprim17ROCPRIM_400000_NS6detail17trampoline_kernelINS0_13kernel_configILj256ELj4ELj4294967295EEENS1_37radix_sort_block_sort_config_selectorIiNS0_10empty_typeEEEZNS1_21radix_sort_block_sortIS4_Lb0EN6thrust23THRUST_200600_302600_NS6detail15normal_iteratorINSA_10device_ptrIiEEEESF_PS6_SG_NS0_19identity_decomposerEEE10hipError_tT1_T2_T3_T4_jRjT5_jjP12ihipStream_tbEUlT_E_NS1_11comp_targetILNS1_3genE10ELNS1_11target_archE1201ELNS1_3gpuE5ELNS1_3repE0EEENS1_44radix_sort_block_sort_config_static_selectorELNS0_4arch9wavefront6targetE1EEEvSJ_,comdat
.Lfunc_end6:
	.size	_ZN7rocprim17ROCPRIM_400000_NS6detail17trampoline_kernelINS0_13kernel_configILj256ELj4ELj4294967295EEENS1_37radix_sort_block_sort_config_selectorIiNS0_10empty_typeEEEZNS1_21radix_sort_block_sortIS4_Lb0EN6thrust23THRUST_200600_302600_NS6detail15normal_iteratorINSA_10device_ptrIiEEEESF_PS6_SG_NS0_19identity_decomposerEEE10hipError_tT1_T2_T3_T4_jRjT5_jjP12ihipStream_tbEUlT_E_NS1_11comp_targetILNS1_3genE10ELNS1_11target_archE1201ELNS1_3gpuE5ELNS1_3repE0EEENS1_44radix_sort_block_sort_config_static_selectorELNS0_4arch9wavefront6targetE1EEEvSJ_, .Lfunc_end6-_ZN7rocprim17ROCPRIM_400000_NS6detail17trampoline_kernelINS0_13kernel_configILj256ELj4ELj4294967295EEENS1_37radix_sort_block_sort_config_selectorIiNS0_10empty_typeEEEZNS1_21radix_sort_block_sortIS4_Lb0EN6thrust23THRUST_200600_302600_NS6detail15normal_iteratorINSA_10device_ptrIiEEEESF_PS6_SG_NS0_19identity_decomposerEEE10hipError_tT1_T2_T3_T4_jRjT5_jjP12ihipStream_tbEUlT_E_NS1_11comp_targetILNS1_3genE10ELNS1_11target_archE1201ELNS1_3gpuE5ELNS1_3repE0EEENS1_44radix_sort_block_sort_config_static_selectorELNS0_4arch9wavefront6targetE1EEEvSJ_
                                        ; -- End function
	.set _ZN7rocprim17ROCPRIM_400000_NS6detail17trampoline_kernelINS0_13kernel_configILj256ELj4ELj4294967295EEENS1_37radix_sort_block_sort_config_selectorIiNS0_10empty_typeEEEZNS1_21radix_sort_block_sortIS4_Lb0EN6thrust23THRUST_200600_302600_NS6detail15normal_iteratorINSA_10device_ptrIiEEEESF_PS6_SG_NS0_19identity_decomposerEEE10hipError_tT1_T2_T3_T4_jRjT5_jjP12ihipStream_tbEUlT_E_NS1_11comp_targetILNS1_3genE10ELNS1_11target_archE1201ELNS1_3gpuE5ELNS1_3repE0EEENS1_44radix_sort_block_sort_config_static_selectorELNS0_4arch9wavefront6targetE1EEEvSJ_.num_vgpr, 0
	.set _ZN7rocprim17ROCPRIM_400000_NS6detail17trampoline_kernelINS0_13kernel_configILj256ELj4ELj4294967295EEENS1_37radix_sort_block_sort_config_selectorIiNS0_10empty_typeEEEZNS1_21radix_sort_block_sortIS4_Lb0EN6thrust23THRUST_200600_302600_NS6detail15normal_iteratorINSA_10device_ptrIiEEEESF_PS6_SG_NS0_19identity_decomposerEEE10hipError_tT1_T2_T3_T4_jRjT5_jjP12ihipStream_tbEUlT_E_NS1_11comp_targetILNS1_3genE10ELNS1_11target_archE1201ELNS1_3gpuE5ELNS1_3repE0EEENS1_44radix_sort_block_sort_config_static_selectorELNS0_4arch9wavefront6targetE1EEEvSJ_.num_agpr, 0
	.set _ZN7rocprim17ROCPRIM_400000_NS6detail17trampoline_kernelINS0_13kernel_configILj256ELj4ELj4294967295EEENS1_37radix_sort_block_sort_config_selectorIiNS0_10empty_typeEEEZNS1_21radix_sort_block_sortIS4_Lb0EN6thrust23THRUST_200600_302600_NS6detail15normal_iteratorINSA_10device_ptrIiEEEESF_PS6_SG_NS0_19identity_decomposerEEE10hipError_tT1_T2_T3_T4_jRjT5_jjP12ihipStream_tbEUlT_E_NS1_11comp_targetILNS1_3genE10ELNS1_11target_archE1201ELNS1_3gpuE5ELNS1_3repE0EEENS1_44radix_sort_block_sort_config_static_selectorELNS0_4arch9wavefront6targetE1EEEvSJ_.numbered_sgpr, 0
	.set _ZN7rocprim17ROCPRIM_400000_NS6detail17trampoline_kernelINS0_13kernel_configILj256ELj4ELj4294967295EEENS1_37radix_sort_block_sort_config_selectorIiNS0_10empty_typeEEEZNS1_21radix_sort_block_sortIS4_Lb0EN6thrust23THRUST_200600_302600_NS6detail15normal_iteratorINSA_10device_ptrIiEEEESF_PS6_SG_NS0_19identity_decomposerEEE10hipError_tT1_T2_T3_T4_jRjT5_jjP12ihipStream_tbEUlT_E_NS1_11comp_targetILNS1_3genE10ELNS1_11target_archE1201ELNS1_3gpuE5ELNS1_3repE0EEENS1_44radix_sort_block_sort_config_static_selectorELNS0_4arch9wavefront6targetE1EEEvSJ_.num_named_barrier, 0
	.set _ZN7rocprim17ROCPRIM_400000_NS6detail17trampoline_kernelINS0_13kernel_configILj256ELj4ELj4294967295EEENS1_37radix_sort_block_sort_config_selectorIiNS0_10empty_typeEEEZNS1_21radix_sort_block_sortIS4_Lb0EN6thrust23THRUST_200600_302600_NS6detail15normal_iteratorINSA_10device_ptrIiEEEESF_PS6_SG_NS0_19identity_decomposerEEE10hipError_tT1_T2_T3_T4_jRjT5_jjP12ihipStream_tbEUlT_E_NS1_11comp_targetILNS1_3genE10ELNS1_11target_archE1201ELNS1_3gpuE5ELNS1_3repE0EEENS1_44radix_sort_block_sort_config_static_selectorELNS0_4arch9wavefront6targetE1EEEvSJ_.private_seg_size, 0
	.set _ZN7rocprim17ROCPRIM_400000_NS6detail17trampoline_kernelINS0_13kernel_configILj256ELj4ELj4294967295EEENS1_37radix_sort_block_sort_config_selectorIiNS0_10empty_typeEEEZNS1_21radix_sort_block_sortIS4_Lb0EN6thrust23THRUST_200600_302600_NS6detail15normal_iteratorINSA_10device_ptrIiEEEESF_PS6_SG_NS0_19identity_decomposerEEE10hipError_tT1_T2_T3_T4_jRjT5_jjP12ihipStream_tbEUlT_E_NS1_11comp_targetILNS1_3genE10ELNS1_11target_archE1201ELNS1_3gpuE5ELNS1_3repE0EEENS1_44radix_sort_block_sort_config_static_selectorELNS0_4arch9wavefront6targetE1EEEvSJ_.uses_vcc, 0
	.set _ZN7rocprim17ROCPRIM_400000_NS6detail17trampoline_kernelINS0_13kernel_configILj256ELj4ELj4294967295EEENS1_37radix_sort_block_sort_config_selectorIiNS0_10empty_typeEEEZNS1_21radix_sort_block_sortIS4_Lb0EN6thrust23THRUST_200600_302600_NS6detail15normal_iteratorINSA_10device_ptrIiEEEESF_PS6_SG_NS0_19identity_decomposerEEE10hipError_tT1_T2_T3_T4_jRjT5_jjP12ihipStream_tbEUlT_E_NS1_11comp_targetILNS1_3genE10ELNS1_11target_archE1201ELNS1_3gpuE5ELNS1_3repE0EEENS1_44radix_sort_block_sort_config_static_selectorELNS0_4arch9wavefront6targetE1EEEvSJ_.uses_flat_scratch, 0
	.set _ZN7rocprim17ROCPRIM_400000_NS6detail17trampoline_kernelINS0_13kernel_configILj256ELj4ELj4294967295EEENS1_37radix_sort_block_sort_config_selectorIiNS0_10empty_typeEEEZNS1_21radix_sort_block_sortIS4_Lb0EN6thrust23THRUST_200600_302600_NS6detail15normal_iteratorINSA_10device_ptrIiEEEESF_PS6_SG_NS0_19identity_decomposerEEE10hipError_tT1_T2_T3_T4_jRjT5_jjP12ihipStream_tbEUlT_E_NS1_11comp_targetILNS1_3genE10ELNS1_11target_archE1201ELNS1_3gpuE5ELNS1_3repE0EEENS1_44radix_sort_block_sort_config_static_selectorELNS0_4arch9wavefront6targetE1EEEvSJ_.has_dyn_sized_stack, 0
	.set _ZN7rocprim17ROCPRIM_400000_NS6detail17trampoline_kernelINS0_13kernel_configILj256ELj4ELj4294967295EEENS1_37radix_sort_block_sort_config_selectorIiNS0_10empty_typeEEEZNS1_21radix_sort_block_sortIS4_Lb0EN6thrust23THRUST_200600_302600_NS6detail15normal_iteratorINSA_10device_ptrIiEEEESF_PS6_SG_NS0_19identity_decomposerEEE10hipError_tT1_T2_T3_T4_jRjT5_jjP12ihipStream_tbEUlT_E_NS1_11comp_targetILNS1_3genE10ELNS1_11target_archE1201ELNS1_3gpuE5ELNS1_3repE0EEENS1_44radix_sort_block_sort_config_static_selectorELNS0_4arch9wavefront6targetE1EEEvSJ_.has_recursion, 0
	.set _ZN7rocprim17ROCPRIM_400000_NS6detail17trampoline_kernelINS0_13kernel_configILj256ELj4ELj4294967295EEENS1_37radix_sort_block_sort_config_selectorIiNS0_10empty_typeEEEZNS1_21radix_sort_block_sortIS4_Lb0EN6thrust23THRUST_200600_302600_NS6detail15normal_iteratorINSA_10device_ptrIiEEEESF_PS6_SG_NS0_19identity_decomposerEEE10hipError_tT1_T2_T3_T4_jRjT5_jjP12ihipStream_tbEUlT_E_NS1_11comp_targetILNS1_3genE10ELNS1_11target_archE1201ELNS1_3gpuE5ELNS1_3repE0EEENS1_44radix_sort_block_sort_config_static_selectorELNS0_4arch9wavefront6targetE1EEEvSJ_.has_indirect_call, 0
	.section	.AMDGPU.csdata,"",@progbits
; Kernel info:
; codeLenInByte = 0
; TotalNumSgprs: 6
; NumVgprs: 0
; NumAgprs: 0
; TotalNumVgprs: 0
; ScratchSize: 0
; MemoryBound: 0
; FloatMode: 240
; IeeeMode: 1
; LDSByteSize: 0 bytes/workgroup (compile time only)
; SGPRBlocks: 0
; VGPRBlocks: 0
; NumSGPRsForWavesPerEU: 6
; NumVGPRsForWavesPerEU: 1
; AccumOffset: 4
; Occupancy: 8
; WaveLimiterHint : 0
; COMPUTE_PGM_RSRC2:SCRATCH_EN: 0
; COMPUTE_PGM_RSRC2:USER_SGPR: 2
; COMPUTE_PGM_RSRC2:TRAP_HANDLER: 0
; COMPUTE_PGM_RSRC2:TGID_X_EN: 1
; COMPUTE_PGM_RSRC2:TGID_Y_EN: 0
; COMPUTE_PGM_RSRC2:TGID_Z_EN: 0
; COMPUTE_PGM_RSRC2:TIDIG_COMP_CNT: 0
; COMPUTE_PGM_RSRC3_GFX90A:ACCUM_OFFSET: 0
; COMPUTE_PGM_RSRC3_GFX90A:TG_SPLIT: 0
	.section	.text._ZN7rocprim17ROCPRIM_400000_NS6detail17trampoline_kernelINS0_13kernel_configILj256ELj4ELj4294967295EEENS1_37radix_sort_block_sort_config_selectorIiNS0_10empty_typeEEEZNS1_21radix_sort_block_sortIS4_Lb0EN6thrust23THRUST_200600_302600_NS6detail15normal_iteratorINSA_10device_ptrIiEEEESF_PS6_SG_NS0_19identity_decomposerEEE10hipError_tT1_T2_T3_T4_jRjT5_jjP12ihipStream_tbEUlT_E_NS1_11comp_targetILNS1_3genE10ELNS1_11target_archE1200ELNS1_3gpuE4ELNS1_3repE0EEENS1_44radix_sort_block_sort_config_static_selectorELNS0_4arch9wavefront6targetE1EEEvSJ_,"axG",@progbits,_ZN7rocprim17ROCPRIM_400000_NS6detail17trampoline_kernelINS0_13kernel_configILj256ELj4ELj4294967295EEENS1_37radix_sort_block_sort_config_selectorIiNS0_10empty_typeEEEZNS1_21radix_sort_block_sortIS4_Lb0EN6thrust23THRUST_200600_302600_NS6detail15normal_iteratorINSA_10device_ptrIiEEEESF_PS6_SG_NS0_19identity_decomposerEEE10hipError_tT1_T2_T3_T4_jRjT5_jjP12ihipStream_tbEUlT_E_NS1_11comp_targetILNS1_3genE10ELNS1_11target_archE1200ELNS1_3gpuE4ELNS1_3repE0EEENS1_44radix_sort_block_sort_config_static_selectorELNS0_4arch9wavefront6targetE1EEEvSJ_,comdat
	.protected	_ZN7rocprim17ROCPRIM_400000_NS6detail17trampoline_kernelINS0_13kernel_configILj256ELj4ELj4294967295EEENS1_37radix_sort_block_sort_config_selectorIiNS0_10empty_typeEEEZNS1_21radix_sort_block_sortIS4_Lb0EN6thrust23THRUST_200600_302600_NS6detail15normal_iteratorINSA_10device_ptrIiEEEESF_PS6_SG_NS0_19identity_decomposerEEE10hipError_tT1_T2_T3_T4_jRjT5_jjP12ihipStream_tbEUlT_E_NS1_11comp_targetILNS1_3genE10ELNS1_11target_archE1200ELNS1_3gpuE4ELNS1_3repE0EEENS1_44radix_sort_block_sort_config_static_selectorELNS0_4arch9wavefront6targetE1EEEvSJ_ ; -- Begin function _ZN7rocprim17ROCPRIM_400000_NS6detail17trampoline_kernelINS0_13kernel_configILj256ELj4ELj4294967295EEENS1_37radix_sort_block_sort_config_selectorIiNS0_10empty_typeEEEZNS1_21radix_sort_block_sortIS4_Lb0EN6thrust23THRUST_200600_302600_NS6detail15normal_iteratorINSA_10device_ptrIiEEEESF_PS6_SG_NS0_19identity_decomposerEEE10hipError_tT1_T2_T3_T4_jRjT5_jjP12ihipStream_tbEUlT_E_NS1_11comp_targetILNS1_3genE10ELNS1_11target_archE1200ELNS1_3gpuE4ELNS1_3repE0EEENS1_44radix_sort_block_sort_config_static_selectorELNS0_4arch9wavefront6targetE1EEEvSJ_
	.globl	_ZN7rocprim17ROCPRIM_400000_NS6detail17trampoline_kernelINS0_13kernel_configILj256ELj4ELj4294967295EEENS1_37radix_sort_block_sort_config_selectorIiNS0_10empty_typeEEEZNS1_21radix_sort_block_sortIS4_Lb0EN6thrust23THRUST_200600_302600_NS6detail15normal_iteratorINSA_10device_ptrIiEEEESF_PS6_SG_NS0_19identity_decomposerEEE10hipError_tT1_T2_T3_T4_jRjT5_jjP12ihipStream_tbEUlT_E_NS1_11comp_targetILNS1_3genE10ELNS1_11target_archE1200ELNS1_3gpuE4ELNS1_3repE0EEENS1_44radix_sort_block_sort_config_static_selectorELNS0_4arch9wavefront6targetE1EEEvSJ_
	.p2align	8
	.type	_ZN7rocprim17ROCPRIM_400000_NS6detail17trampoline_kernelINS0_13kernel_configILj256ELj4ELj4294967295EEENS1_37radix_sort_block_sort_config_selectorIiNS0_10empty_typeEEEZNS1_21radix_sort_block_sortIS4_Lb0EN6thrust23THRUST_200600_302600_NS6detail15normal_iteratorINSA_10device_ptrIiEEEESF_PS6_SG_NS0_19identity_decomposerEEE10hipError_tT1_T2_T3_T4_jRjT5_jjP12ihipStream_tbEUlT_E_NS1_11comp_targetILNS1_3genE10ELNS1_11target_archE1200ELNS1_3gpuE4ELNS1_3repE0EEENS1_44radix_sort_block_sort_config_static_selectorELNS0_4arch9wavefront6targetE1EEEvSJ_,@function
_ZN7rocprim17ROCPRIM_400000_NS6detail17trampoline_kernelINS0_13kernel_configILj256ELj4ELj4294967295EEENS1_37radix_sort_block_sort_config_selectorIiNS0_10empty_typeEEEZNS1_21radix_sort_block_sortIS4_Lb0EN6thrust23THRUST_200600_302600_NS6detail15normal_iteratorINSA_10device_ptrIiEEEESF_PS6_SG_NS0_19identity_decomposerEEE10hipError_tT1_T2_T3_T4_jRjT5_jjP12ihipStream_tbEUlT_E_NS1_11comp_targetILNS1_3genE10ELNS1_11target_archE1200ELNS1_3gpuE4ELNS1_3repE0EEENS1_44radix_sort_block_sort_config_static_selectorELNS0_4arch9wavefront6targetE1EEEvSJ_: ; @_ZN7rocprim17ROCPRIM_400000_NS6detail17trampoline_kernelINS0_13kernel_configILj256ELj4ELj4294967295EEENS1_37radix_sort_block_sort_config_selectorIiNS0_10empty_typeEEEZNS1_21radix_sort_block_sortIS4_Lb0EN6thrust23THRUST_200600_302600_NS6detail15normal_iteratorINSA_10device_ptrIiEEEESF_PS6_SG_NS0_19identity_decomposerEEE10hipError_tT1_T2_T3_T4_jRjT5_jjP12ihipStream_tbEUlT_E_NS1_11comp_targetILNS1_3genE10ELNS1_11target_archE1200ELNS1_3gpuE4ELNS1_3repE0EEENS1_44radix_sort_block_sort_config_static_selectorELNS0_4arch9wavefront6targetE1EEEvSJ_
; %bb.0:
	.section	.rodata,"a",@progbits
	.p2align	6, 0x0
	.amdhsa_kernel _ZN7rocprim17ROCPRIM_400000_NS6detail17trampoline_kernelINS0_13kernel_configILj256ELj4ELj4294967295EEENS1_37radix_sort_block_sort_config_selectorIiNS0_10empty_typeEEEZNS1_21radix_sort_block_sortIS4_Lb0EN6thrust23THRUST_200600_302600_NS6detail15normal_iteratorINSA_10device_ptrIiEEEESF_PS6_SG_NS0_19identity_decomposerEEE10hipError_tT1_T2_T3_T4_jRjT5_jjP12ihipStream_tbEUlT_E_NS1_11comp_targetILNS1_3genE10ELNS1_11target_archE1200ELNS1_3gpuE4ELNS1_3repE0EEENS1_44radix_sort_block_sort_config_static_selectorELNS0_4arch9wavefront6targetE1EEEvSJ_
		.amdhsa_group_segment_fixed_size 0
		.amdhsa_private_segment_fixed_size 0
		.amdhsa_kernarg_size 48
		.amdhsa_user_sgpr_count 2
		.amdhsa_user_sgpr_dispatch_ptr 0
		.amdhsa_user_sgpr_queue_ptr 0
		.amdhsa_user_sgpr_kernarg_segment_ptr 1
		.amdhsa_user_sgpr_dispatch_id 0
		.amdhsa_user_sgpr_kernarg_preload_length 0
		.amdhsa_user_sgpr_kernarg_preload_offset 0
		.amdhsa_user_sgpr_private_segment_size 0
		.amdhsa_uses_dynamic_stack 0
		.amdhsa_enable_private_segment 0
		.amdhsa_system_sgpr_workgroup_id_x 1
		.amdhsa_system_sgpr_workgroup_id_y 0
		.amdhsa_system_sgpr_workgroup_id_z 0
		.amdhsa_system_sgpr_workgroup_info 0
		.amdhsa_system_vgpr_workitem_id 0
		.amdhsa_next_free_vgpr 1
		.amdhsa_next_free_sgpr 0
		.amdhsa_accum_offset 4
		.amdhsa_reserve_vcc 0
		.amdhsa_float_round_mode_32 0
		.amdhsa_float_round_mode_16_64 0
		.amdhsa_float_denorm_mode_32 3
		.amdhsa_float_denorm_mode_16_64 3
		.amdhsa_dx10_clamp 1
		.amdhsa_ieee_mode 1
		.amdhsa_fp16_overflow 0
		.amdhsa_tg_split 0
		.amdhsa_exception_fp_ieee_invalid_op 0
		.amdhsa_exception_fp_denorm_src 0
		.amdhsa_exception_fp_ieee_div_zero 0
		.amdhsa_exception_fp_ieee_overflow 0
		.amdhsa_exception_fp_ieee_underflow 0
		.amdhsa_exception_fp_ieee_inexact 0
		.amdhsa_exception_int_div_zero 0
	.end_amdhsa_kernel
	.section	.text._ZN7rocprim17ROCPRIM_400000_NS6detail17trampoline_kernelINS0_13kernel_configILj256ELj4ELj4294967295EEENS1_37radix_sort_block_sort_config_selectorIiNS0_10empty_typeEEEZNS1_21radix_sort_block_sortIS4_Lb0EN6thrust23THRUST_200600_302600_NS6detail15normal_iteratorINSA_10device_ptrIiEEEESF_PS6_SG_NS0_19identity_decomposerEEE10hipError_tT1_T2_T3_T4_jRjT5_jjP12ihipStream_tbEUlT_E_NS1_11comp_targetILNS1_3genE10ELNS1_11target_archE1200ELNS1_3gpuE4ELNS1_3repE0EEENS1_44radix_sort_block_sort_config_static_selectorELNS0_4arch9wavefront6targetE1EEEvSJ_,"axG",@progbits,_ZN7rocprim17ROCPRIM_400000_NS6detail17trampoline_kernelINS0_13kernel_configILj256ELj4ELj4294967295EEENS1_37radix_sort_block_sort_config_selectorIiNS0_10empty_typeEEEZNS1_21radix_sort_block_sortIS4_Lb0EN6thrust23THRUST_200600_302600_NS6detail15normal_iteratorINSA_10device_ptrIiEEEESF_PS6_SG_NS0_19identity_decomposerEEE10hipError_tT1_T2_T3_T4_jRjT5_jjP12ihipStream_tbEUlT_E_NS1_11comp_targetILNS1_3genE10ELNS1_11target_archE1200ELNS1_3gpuE4ELNS1_3repE0EEENS1_44radix_sort_block_sort_config_static_selectorELNS0_4arch9wavefront6targetE1EEEvSJ_,comdat
.Lfunc_end7:
	.size	_ZN7rocprim17ROCPRIM_400000_NS6detail17trampoline_kernelINS0_13kernel_configILj256ELj4ELj4294967295EEENS1_37radix_sort_block_sort_config_selectorIiNS0_10empty_typeEEEZNS1_21radix_sort_block_sortIS4_Lb0EN6thrust23THRUST_200600_302600_NS6detail15normal_iteratorINSA_10device_ptrIiEEEESF_PS6_SG_NS0_19identity_decomposerEEE10hipError_tT1_T2_T3_T4_jRjT5_jjP12ihipStream_tbEUlT_E_NS1_11comp_targetILNS1_3genE10ELNS1_11target_archE1200ELNS1_3gpuE4ELNS1_3repE0EEENS1_44radix_sort_block_sort_config_static_selectorELNS0_4arch9wavefront6targetE1EEEvSJ_, .Lfunc_end7-_ZN7rocprim17ROCPRIM_400000_NS6detail17trampoline_kernelINS0_13kernel_configILj256ELj4ELj4294967295EEENS1_37radix_sort_block_sort_config_selectorIiNS0_10empty_typeEEEZNS1_21radix_sort_block_sortIS4_Lb0EN6thrust23THRUST_200600_302600_NS6detail15normal_iteratorINSA_10device_ptrIiEEEESF_PS6_SG_NS0_19identity_decomposerEEE10hipError_tT1_T2_T3_T4_jRjT5_jjP12ihipStream_tbEUlT_E_NS1_11comp_targetILNS1_3genE10ELNS1_11target_archE1200ELNS1_3gpuE4ELNS1_3repE0EEENS1_44radix_sort_block_sort_config_static_selectorELNS0_4arch9wavefront6targetE1EEEvSJ_
                                        ; -- End function
	.set _ZN7rocprim17ROCPRIM_400000_NS6detail17trampoline_kernelINS0_13kernel_configILj256ELj4ELj4294967295EEENS1_37radix_sort_block_sort_config_selectorIiNS0_10empty_typeEEEZNS1_21radix_sort_block_sortIS4_Lb0EN6thrust23THRUST_200600_302600_NS6detail15normal_iteratorINSA_10device_ptrIiEEEESF_PS6_SG_NS0_19identity_decomposerEEE10hipError_tT1_T2_T3_T4_jRjT5_jjP12ihipStream_tbEUlT_E_NS1_11comp_targetILNS1_3genE10ELNS1_11target_archE1200ELNS1_3gpuE4ELNS1_3repE0EEENS1_44radix_sort_block_sort_config_static_selectorELNS0_4arch9wavefront6targetE1EEEvSJ_.num_vgpr, 0
	.set _ZN7rocprim17ROCPRIM_400000_NS6detail17trampoline_kernelINS0_13kernel_configILj256ELj4ELj4294967295EEENS1_37radix_sort_block_sort_config_selectorIiNS0_10empty_typeEEEZNS1_21radix_sort_block_sortIS4_Lb0EN6thrust23THRUST_200600_302600_NS6detail15normal_iteratorINSA_10device_ptrIiEEEESF_PS6_SG_NS0_19identity_decomposerEEE10hipError_tT1_T2_T3_T4_jRjT5_jjP12ihipStream_tbEUlT_E_NS1_11comp_targetILNS1_3genE10ELNS1_11target_archE1200ELNS1_3gpuE4ELNS1_3repE0EEENS1_44radix_sort_block_sort_config_static_selectorELNS0_4arch9wavefront6targetE1EEEvSJ_.num_agpr, 0
	.set _ZN7rocprim17ROCPRIM_400000_NS6detail17trampoline_kernelINS0_13kernel_configILj256ELj4ELj4294967295EEENS1_37radix_sort_block_sort_config_selectorIiNS0_10empty_typeEEEZNS1_21radix_sort_block_sortIS4_Lb0EN6thrust23THRUST_200600_302600_NS6detail15normal_iteratorINSA_10device_ptrIiEEEESF_PS6_SG_NS0_19identity_decomposerEEE10hipError_tT1_T2_T3_T4_jRjT5_jjP12ihipStream_tbEUlT_E_NS1_11comp_targetILNS1_3genE10ELNS1_11target_archE1200ELNS1_3gpuE4ELNS1_3repE0EEENS1_44radix_sort_block_sort_config_static_selectorELNS0_4arch9wavefront6targetE1EEEvSJ_.numbered_sgpr, 0
	.set _ZN7rocprim17ROCPRIM_400000_NS6detail17trampoline_kernelINS0_13kernel_configILj256ELj4ELj4294967295EEENS1_37radix_sort_block_sort_config_selectorIiNS0_10empty_typeEEEZNS1_21radix_sort_block_sortIS4_Lb0EN6thrust23THRUST_200600_302600_NS6detail15normal_iteratorINSA_10device_ptrIiEEEESF_PS6_SG_NS0_19identity_decomposerEEE10hipError_tT1_T2_T3_T4_jRjT5_jjP12ihipStream_tbEUlT_E_NS1_11comp_targetILNS1_3genE10ELNS1_11target_archE1200ELNS1_3gpuE4ELNS1_3repE0EEENS1_44radix_sort_block_sort_config_static_selectorELNS0_4arch9wavefront6targetE1EEEvSJ_.num_named_barrier, 0
	.set _ZN7rocprim17ROCPRIM_400000_NS6detail17trampoline_kernelINS0_13kernel_configILj256ELj4ELj4294967295EEENS1_37radix_sort_block_sort_config_selectorIiNS0_10empty_typeEEEZNS1_21radix_sort_block_sortIS4_Lb0EN6thrust23THRUST_200600_302600_NS6detail15normal_iteratorINSA_10device_ptrIiEEEESF_PS6_SG_NS0_19identity_decomposerEEE10hipError_tT1_T2_T3_T4_jRjT5_jjP12ihipStream_tbEUlT_E_NS1_11comp_targetILNS1_3genE10ELNS1_11target_archE1200ELNS1_3gpuE4ELNS1_3repE0EEENS1_44radix_sort_block_sort_config_static_selectorELNS0_4arch9wavefront6targetE1EEEvSJ_.private_seg_size, 0
	.set _ZN7rocprim17ROCPRIM_400000_NS6detail17trampoline_kernelINS0_13kernel_configILj256ELj4ELj4294967295EEENS1_37radix_sort_block_sort_config_selectorIiNS0_10empty_typeEEEZNS1_21radix_sort_block_sortIS4_Lb0EN6thrust23THRUST_200600_302600_NS6detail15normal_iteratorINSA_10device_ptrIiEEEESF_PS6_SG_NS0_19identity_decomposerEEE10hipError_tT1_T2_T3_T4_jRjT5_jjP12ihipStream_tbEUlT_E_NS1_11comp_targetILNS1_3genE10ELNS1_11target_archE1200ELNS1_3gpuE4ELNS1_3repE0EEENS1_44radix_sort_block_sort_config_static_selectorELNS0_4arch9wavefront6targetE1EEEvSJ_.uses_vcc, 0
	.set _ZN7rocprim17ROCPRIM_400000_NS6detail17trampoline_kernelINS0_13kernel_configILj256ELj4ELj4294967295EEENS1_37radix_sort_block_sort_config_selectorIiNS0_10empty_typeEEEZNS1_21radix_sort_block_sortIS4_Lb0EN6thrust23THRUST_200600_302600_NS6detail15normal_iteratorINSA_10device_ptrIiEEEESF_PS6_SG_NS0_19identity_decomposerEEE10hipError_tT1_T2_T3_T4_jRjT5_jjP12ihipStream_tbEUlT_E_NS1_11comp_targetILNS1_3genE10ELNS1_11target_archE1200ELNS1_3gpuE4ELNS1_3repE0EEENS1_44radix_sort_block_sort_config_static_selectorELNS0_4arch9wavefront6targetE1EEEvSJ_.uses_flat_scratch, 0
	.set _ZN7rocprim17ROCPRIM_400000_NS6detail17trampoline_kernelINS0_13kernel_configILj256ELj4ELj4294967295EEENS1_37radix_sort_block_sort_config_selectorIiNS0_10empty_typeEEEZNS1_21radix_sort_block_sortIS4_Lb0EN6thrust23THRUST_200600_302600_NS6detail15normal_iteratorINSA_10device_ptrIiEEEESF_PS6_SG_NS0_19identity_decomposerEEE10hipError_tT1_T2_T3_T4_jRjT5_jjP12ihipStream_tbEUlT_E_NS1_11comp_targetILNS1_3genE10ELNS1_11target_archE1200ELNS1_3gpuE4ELNS1_3repE0EEENS1_44radix_sort_block_sort_config_static_selectorELNS0_4arch9wavefront6targetE1EEEvSJ_.has_dyn_sized_stack, 0
	.set _ZN7rocprim17ROCPRIM_400000_NS6detail17trampoline_kernelINS0_13kernel_configILj256ELj4ELj4294967295EEENS1_37radix_sort_block_sort_config_selectorIiNS0_10empty_typeEEEZNS1_21radix_sort_block_sortIS4_Lb0EN6thrust23THRUST_200600_302600_NS6detail15normal_iteratorINSA_10device_ptrIiEEEESF_PS6_SG_NS0_19identity_decomposerEEE10hipError_tT1_T2_T3_T4_jRjT5_jjP12ihipStream_tbEUlT_E_NS1_11comp_targetILNS1_3genE10ELNS1_11target_archE1200ELNS1_3gpuE4ELNS1_3repE0EEENS1_44radix_sort_block_sort_config_static_selectorELNS0_4arch9wavefront6targetE1EEEvSJ_.has_recursion, 0
	.set _ZN7rocprim17ROCPRIM_400000_NS6detail17trampoline_kernelINS0_13kernel_configILj256ELj4ELj4294967295EEENS1_37radix_sort_block_sort_config_selectorIiNS0_10empty_typeEEEZNS1_21radix_sort_block_sortIS4_Lb0EN6thrust23THRUST_200600_302600_NS6detail15normal_iteratorINSA_10device_ptrIiEEEESF_PS6_SG_NS0_19identity_decomposerEEE10hipError_tT1_T2_T3_T4_jRjT5_jjP12ihipStream_tbEUlT_E_NS1_11comp_targetILNS1_3genE10ELNS1_11target_archE1200ELNS1_3gpuE4ELNS1_3repE0EEENS1_44radix_sort_block_sort_config_static_selectorELNS0_4arch9wavefront6targetE1EEEvSJ_.has_indirect_call, 0
	.section	.AMDGPU.csdata,"",@progbits
; Kernel info:
; codeLenInByte = 0
; TotalNumSgprs: 6
; NumVgprs: 0
; NumAgprs: 0
; TotalNumVgprs: 0
; ScratchSize: 0
; MemoryBound: 0
; FloatMode: 240
; IeeeMode: 1
; LDSByteSize: 0 bytes/workgroup (compile time only)
; SGPRBlocks: 0
; VGPRBlocks: 0
; NumSGPRsForWavesPerEU: 6
; NumVGPRsForWavesPerEU: 1
; AccumOffset: 4
; Occupancy: 8
; WaveLimiterHint : 0
; COMPUTE_PGM_RSRC2:SCRATCH_EN: 0
; COMPUTE_PGM_RSRC2:USER_SGPR: 2
; COMPUTE_PGM_RSRC2:TRAP_HANDLER: 0
; COMPUTE_PGM_RSRC2:TGID_X_EN: 1
; COMPUTE_PGM_RSRC2:TGID_Y_EN: 0
; COMPUTE_PGM_RSRC2:TGID_Z_EN: 0
; COMPUTE_PGM_RSRC2:TIDIG_COMP_CNT: 0
; COMPUTE_PGM_RSRC3_GFX90A:ACCUM_OFFSET: 0
; COMPUTE_PGM_RSRC3_GFX90A:TG_SPLIT: 0
	.section	.text._ZN7rocprim17ROCPRIM_400000_NS6detail17trampoline_kernelINS0_13kernel_configILj256ELj4ELj4294967295EEENS1_37radix_sort_block_sort_config_selectorIiNS0_10empty_typeEEEZNS1_21radix_sort_block_sortIS4_Lb0EN6thrust23THRUST_200600_302600_NS6detail15normal_iteratorINSA_10device_ptrIiEEEESF_PS6_SG_NS0_19identity_decomposerEEE10hipError_tT1_T2_T3_T4_jRjT5_jjP12ihipStream_tbEUlT_E_NS1_11comp_targetILNS1_3genE9ELNS1_11target_archE1100ELNS1_3gpuE3ELNS1_3repE0EEENS1_44radix_sort_block_sort_config_static_selectorELNS0_4arch9wavefront6targetE1EEEvSJ_,"axG",@progbits,_ZN7rocprim17ROCPRIM_400000_NS6detail17trampoline_kernelINS0_13kernel_configILj256ELj4ELj4294967295EEENS1_37radix_sort_block_sort_config_selectorIiNS0_10empty_typeEEEZNS1_21radix_sort_block_sortIS4_Lb0EN6thrust23THRUST_200600_302600_NS6detail15normal_iteratorINSA_10device_ptrIiEEEESF_PS6_SG_NS0_19identity_decomposerEEE10hipError_tT1_T2_T3_T4_jRjT5_jjP12ihipStream_tbEUlT_E_NS1_11comp_targetILNS1_3genE9ELNS1_11target_archE1100ELNS1_3gpuE3ELNS1_3repE0EEENS1_44radix_sort_block_sort_config_static_selectorELNS0_4arch9wavefront6targetE1EEEvSJ_,comdat
	.protected	_ZN7rocprim17ROCPRIM_400000_NS6detail17trampoline_kernelINS0_13kernel_configILj256ELj4ELj4294967295EEENS1_37radix_sort_block_sort_config_selectorIiNS0_10empty_typeEEEZNS1_21radix_sort_block_sortIS4_Lb0EN6thrust23THRUST_200600_302600_NS6detail15normal_iteratorINSA_10device_ptrIiEEEESF_PS6_SG_NS0_19identity_decomposerEEE10hipError_tT1_T2_T3_T4_jRjT5_jjP12ihipStream_tbEUlT_E_NS1_11comp_targetILNS1_3genE9ELNS1_11target_archE1100ELNS1_3gpuE3ELNS1_3repE0EEENS1_44radix_sort_block_sort_config_static_selectorELNS0_4arch9wavefront6targetE1EEEvSJ_ ; -- Begin function _ZN7rocprim17ROCPRIM_400000_NS6detail17trampoline_kernelINS0_13kernel_configILj256ELj4ELj4294967295EEENS1_37radix_sort_block_sort_config_selectorIiNS0_10empty_typeEEEZNS1_21radix_sort_block_sortIS4_Lb0EN6thrust23THRUST_200600_302600_NS6detail15normal_iteratorINSA_10device_ptrIiEEEESF_PS6_SG_NS0_19identity_decomposerEEE10hipError_tT1_T2_T3_T4_jRjT5_jjP12ihipStream_tbEUlT_E_NS1_11comp_targetILNS1_3genE9ELNS1_11target_archE1100ELNS1_3gpuE3ELNS1_3repE0EEENS1_44radix_sort_block_sort_config_static_selectorELNS0_4arch9wavefront6targetE1EEEvSJ_
	.globl	_ZN7rocprim17ROCPRIM_400000_NS6detail17trampoline_kernelINS0_13kernel_configILj256ELj4ELj4294967295EEENS1_37radix_sort_block_sort_config_selectorIiNS0_10empty_typeEEEZNS1_21radix_sort_block_sortIS4_Lb0EN6thrust23THRUST_200600_302600_NS6detail15normal_iteratorINSA_10device_ptrIiEEEESF_PS6_SG_NS0_19identity_decomposerEEE10hipError_tT1_T2_T3_T4_jRjT5_jjP12ihipStream_tbEUlT_E_NS1_11comp_targetILNS1_3genE9ELNS1_11target_archE1100ELNS1_3gpuE3ELNS1_3repE0EEENS1_44radix_sort_block_sort_config_static_selectorELNS0_4arch9wavefront6targetE1EEEvSJ_
	.p2align	8
	.type	_ZN7rocprim17ROCPRIM_400000_NS6detail17trampoline_kernelINS0_13kernel_configILj256ELj4ELj4294967295EEENS1_37radix_sort_block_sort_config_selectorIiNS0_10empty_typeEEEZNS1_21radix_sort_block_sortIS4_Lb0EN6thrust23THRUST_200600_302600_NS6detail15normal_iteratorINSA_10device_ptrIiEEEESF_PS6_SG_NS0_19identity_decomposerEEE10hipError_tT1_T2_T3_T4_jRjT5_jjP12ihipStream_tbEUlT_E_NS1_11comp_targetILNS1_3genE9ELNS1_11target_archE1100ELNS1_3gpuE3ELNS1_3repE0EEENS1_44radix_sort_block_sort_config_static_selectorELNS0_4arch9wavefront6targetE1EEEvSJ_,@function
_ZN7rocprim17ROCPRIM_400000_NS6detail17trampoline_kernelINS0_13kernel_configILj256ELj4ELj4294967295EEENS1_37radix_sort_block_sort_config_selectorIiNS0_10empty_typeEEEZNS1_21radix_sort_block_sortIS4_Lb0EN6thrust23THRUST_200600_302600_NS6detail15normal_iteratorINSA_10device_ptrIiEEEESF_PS6_SG_NS0_19identity_decomposerEEE10hipError_tT1_T2_T3_T4_jRjT5_jjP12ihipStream_tbEUlT_E_NS1_11comp_targetILNS1_3genE9ELNS1_11target_archE1100ELNS1_3gpuE3ELNS1_3repE0EEENS1_44radix_sort_block_sort_config_static_selectorELNS0_4arch9wavefront6targetE1EEEvSJ_: ; @_ZN7rocprim17ROCPRIM_400000_NS6detail17trampoline_kernelINS0_13kernel_configILj256ELj4ELj4294967295EEENS1_37radix_sort_block_sort_config_selectorIiNS0_10empty_typeEEEZNS1_21radix_sort_block_sortIS4_Lb0EN6thrust23THRUST_200600_302600_NS6detail15normal_iteratorINSA_10device_ptrIiEEEESF_PS6_SG_NS0_19identity_decomposerEEE10hipError_tT1_T2_T3_T4_jRjT5_jjP12ihipStream_tbEUlT_E_NS1_11comp_targetILNS1_3genE9ELNS1_11target_archE1100ELNS1_3gpuE3ELNS1_3repE0EEENS1_44radix_sort_block_sort_config_static_selectorELNS0_4arch9wavefront6targetE1EEEvSJ_
; %bb.0:
	.section	.rodata,"a",@progbits
	.p2align	6, 0x0
	.amdhsa_kernel _ZN7rocprim17ROCPRIM_400000_NS6detail17trampoline_kernelINS0_13kernel_configILj256ELj4ELj4294967295EEENS1_37radix_sort_block_sort_config_selectorIiNS0_10empty_typeEEEZNS1_21radix_sort_block_sortIS4_Lb0EN6thrust23THRUST_200600_302600_NS6detail15normal_iteratorINSA_10device_ptrIiEEEESF_PS6_SG_NS0_19identity_decomposerEEE10hipError_tT1_T2_T3_T4_jRjT5_jjP12ihipStream_tbEUlT_E_NS1_11comp_targetILNS1_3genE9ELNS1_11target_archE1100ELNS1_3gpuE3ELNS1_3repE0EEENS1_44radix_sort_block_sort_config_static_selectorELNS0_4arch9wavefront6targetE1EEEvSJ_
		.amdhsa_group_segment_fixed_size 0
		.amdhsa_private_segment_fixed_size 0
		.amdhsa_kernarg_size 48
		.amdhsa_user_sgpr_count 2
		.amdhsa_user_sgpr_dispatch_ptr 0
		.amdhsa_user_sgpr_queue_ptr 0
		.amdhsa_user_sgpr_kernarg_segment_ptr 1
		.amdhsa_user_sgpr_dispatch_id 0
		.amdhsa_user_sgpr_kernarg_preload_length 0
		.amdhsa_user_sgpr_kernarg_preload_offset 0
		.amdhsa_user_sgpr_private_segment_size 0
		.amdhsa_uses_dynamic_stack 0
		.amdhsa_enable_private_segment 0
		.amdhsa_system_sgpr_workgroup_id_x 1
		.amdhsa_system_sgpr_workgroup_id_y 0
		.amdhsa_system_sgpr_workgroup_id_z 0
		.amdhsa_system_sgpr_workgroup_info 0
		.amdhsa_system_vgpr_workitem_id 0
		.amdhsa_next_free_vgpr 1
		.amdhsa_next_free_sgpr 0
		.amdhsa_accum_offset 4
		.amdhsa_reserve_vcc 0
		.amdhsa_float_round_mode_32 0
		.amdhsa_float_round_mode_16_64 0
		.amdhsa_float_denorm_mode_32 3
		.amdhsa_float_denorm_mode_16_64 3
		.amdhsa_dx10_clamp 1
		.amdhsa_ieee_mode 1
		.amdhsa_fp16_overflow 0
		.amdhsa_tg_split 0
		.amdhsa_exception_fp_ieee_invalid_op 0
		.amdhsa_exception_fp_denorm_src 0
		.amdhsa_exception_fp_ieee_div_zero 0
		.amdhsa_exception_fp_ieee_overflow 0
		.amdhsa_exception_fp_ieee_underflow 0
		.amdhsa_exception_fp_ieee_inexact 0
		.amdhsa_exception_int_div_zero 0
	.end_amdhsa_kernel
	.section	.text._ZN7rocprim17ROCPRIM_400000_NS6detail17trampoline_kernelINS0_13kernel_configILj256ELj4ELj4294967295EEENS1_37radix_sort_block_sort_config_selectorIiNS0_10empty_typeEEEZNS1_21radix_sort_block_sortIS4_Lb0EN6thrust23THRUST_200600_302600_NS6detail15normal_iteratorINSA_10device_ptrIiEEEESF_PS6_SG_NS0_19identity_decomposerEEE10hipError_tT1_T2_T3_T4_jRjT5_jjP12ihipStream_tbEUlT_E_NS1_11comp_targetILNS1_3genE9ELNS1_11target_archE1100ELNS1_3gpuE3ELNS1_3repE0EEENS1_44radix_sort_block_sort_config_static_selectorELNS0_4arch9wavefront6targetE1EEEvSJ_,"axG",@progbits,_ZN7rocprim17ROCPRIM_400000_NS6detail17trampoline_kernelINS0_13kernel_configILj256ELj4ELj4294967295EEENS1_37radix_sort_block_sort_config_selectorIiNS0_10empty_typeEEEZNS1_21radix_sort_block_sortIS4_Lb0EN6thrust23THRUST_200600_302600_NS6detail15normal_iteratorINSA_10device_ptrIiEEEESF_PS6_SG_NS0_19identity_decomposerEEE10hipError_tT1_T2_T3_T4_jRjT5_jjP12ihipStream_tbEUlT_E_NS1_11comp_targetILNS1_3genE9ELNS1_11target_archE1100ELNS1_3gpuE3ELNS1_3repE0EEENS1_44radix_sort_block_sort_config_static_selectorELNS0_4arch9wavefront6targetE1EEEvSJ_,comdat
.Lfunc_end8:
	.size	_ZN7rocprim17ROCPRIM_400000_NS6detail17trampoline_kernelINS0_13kernel_configILj256ELj4ELj4294967295EEENS1_37radix_sort_block_sort_config_selectorIiNS0_10empty_typeEEEZNS1_21radix_sort_block_sortIS4_Lb0EN6thrust23THRUST_200600_302600_NS6detail15normal_iteratorINSA_10device_ptrIiEEEESF_PS6_SG_NS0_19identity_decomposerEEE10hipError_tT1_T2_T3_T4_jRjT5_jjP12ihipStream_tbEUlT_E_NS1_11comp_targetILNS1_3genE9ELNS1_11target_archE1100ELNS1_3gpuE3ELNS1_3repE0EEENS1_44radix_sort_block_sort_config_static_selectorELNS0_4arch9wavefront6targetE1EEEvSJ_, .Lfunc_end8-_ZN7rocprim17ROCPRIM_400000_NS6detail17trampoline_kernelINS0_13kernel_configILj256ELj4ELj4294967295EEENS1_37radix_sort_block_sort_config_selectorIiNS0_10empty_typeEEEZNS1_21radix_sort_block_sortIS4_Lb0EN6thrust23THRUST_200600_302600_NS6detail15normal_iteratorINSA_10device_ptrIiEEEESF_PS6_SG_NS0_19identity_decomposerEEE10hipError_tT1_T2_T3_T4_jRjT5_jjP12ihipStream_tbEUlT_E_NS1_11comp_targetILNS1_3genE9ELNS1_11target_archE1100ELNS1_3gpuE3ELNS1_3repE0EEENS1_44radix_sort_block_sort_config_static_selectorELNS0_4arch9wavefront6targetE1EEEvSJ_
                                        ; -- End function
	.set _ZN7rocprim17ROCPRIM_400000_NS6detail17trampoline_kernelINS0_13kernel_configILj256ELj4ELj4294967295EEENS1_37radix_sort_block_sort_config_selectorIiNS0_10empty_typeEEEZNS1_21radix_sort_block_sortIS4_Lb0EN6thrust23THRUST_200600_302600_NS6detail15normal_iteratorINSA_10device_ptrIiEEEESF_PS6_SG_NS0_19identity_decomposerEEE10hipError_tT1_T2_T3_T4_jRjT5_jjP12ihipStream_tbEUlT_E_NS1_11comp_targetILNS1_3genE9ELNS1_11target_archE1100ELNS1_3gpuE3ELNS1_3repE0EEENS1_44radix_sort_block_sort_config_static_selectorELNS0_4arch9wavefront6targetE1EEEvSJ_.num_vgpr, 0
	.set _ZN7rocprim17ROCPRIM_400000_NS6detail17trampoline_kernelINS0_13kernel_configILj256ELj4ELj4294967295EEENS1_37radix_sort_block_sort_config_selectorIiNS0_10empty_typeEEEZNS1_21radix_sort_block_sortIS4_Lb0EN6thrust23THRUST_200600_302600_NS6detail15normal_iteratorINSA_10device_ptrIiEEEESF_PS6_SG_NS0_19identity_decomposerEEE10hipError_tT1_T2_T3_T4_jRjT5_jjP12ihipStream_tbEUlT_E_NS1_11comp_targetILNS1_3genE9ELNS1_11target_archE1100ELNS1_3gpuE3ELNS1_3repE0EEENS1_44radix_sort_block_sort_config_static_selectorELNS0_4arch9wavefront6targetE1EEEvSJ_.num_agpr, 0
	.set _ZN7rocprim17ROCPRIM_400000_NS6detail17trampoline_kernelINS0_13kernel_configILj256ELj4ELj4294967295EEENS1_37radix_sort_block_sort_config_selectorIiNS0_10empty_typeEEEZNS1_21radix_sort_block_sortIS4_Lb0EN6thrust23THRUST_200600_302600_NS6detail15normal_iteratorINSA_10device_ptrIiEEEESF_PS6_SG_NS0_19identity_decomposerEEE10hipError_tT1_T2_T3_T4_jRjT5_jjP12ihipStream_tbEUlT_E_NS1_11comp_targetILNS1_3genE9ELNS1_11target_archE1100ELNS1_3gpuE3ELNS1_3repE0EEENS1_44radix_sort_block_sort_config_static_selectorELNS0_4arch9wavefront6targetE1EEEvSJ_.numbered_sgpr, 0
	.set _ZN7rocprim17ROCPRIM_400000_NS6detail17trampoline_kernelINS0_13kernel_configILj256ELj4ELj4294967295EEENS1_37radix_sort_block_sort_config_selectorIiNS0_10empty_typeEEEZNS1_21radix_sort_block_sortIS4_Lb0EN6thrust23THRUST_200600_302600_NS6detail15normal_iteratorINSA_10device_ptrIiEEEESF_PS6_SG_NS0_19identity_decomposerEEE10hipError_tT1_T2_T3_T4_jRjT5_jjP12ihipStream_tbEUlT_E_NS1_11comp_targetILNS1_3genE9ELNS1_11target_archE1100ELNS1_3gpuE3ELNS1_3repE0EEENS1_44radix_sort_block_sort_config_static_selectorELNS0_4arch9wavefront6targetE1EEEvSJ_.num_named_barrier, 0
	.set _ZN7rocprim17ROCPRIM_400000_NS6detail17trampoline_kernelINS0_13kernel_configILj256ELj4ELj4294967295EEENS1_37radix_sort_block_sort_config_selectorIiNS0_10empty_typeEEEZNS1_21radix_sort_block_sortIS4_Lb0EN6thrust23THRUST_200600_302600_NS6detail15normal_iteratorINSA_10device_ptrIiEEEESF_PS6_SG_NS0_19identity_decomposerEEE10hipError_tT1_T2_T3_T4_jRjT5_jjP12ihipStream_tbEUlT_E_NS1_11comp_targetILNS1_3genE9ELNS1_11target_archE1100ELNS1_3gpuE3ELNS1_3repE0EEENS1_44radix_sort_block_sort_config_static_selectorELNS0_4arch9wavefront6targetE1EEEvSJ_.private_seg_size, 0
	.set _ZN7rocprim17ROCPRIM_400000_NS6detail17trampoline_kernelINS0_13kernel_configILj256ELj4ELj4294967295EEENS1_37radix_sort_block_sort_config_selectorIiNS0_10empty_typeEEEZNS1_21radix_sort_block_sortIS4_Lb0EN6thrust23THRUST_200600_302600_NS6detail15normal_iteratorINSA_10device_ptrIiEEEESF_PS6_SG_NS0_19identity_decomposerEEE10hipError_tT1_T2_T3_T4_jRjT5_jjP12ihipStream_tbEUlT_E_NS1_11comp_targetILNS1_3genE9ELNS1_11target_archE1100ELNS1_3gpuE3ELNS1_3repE0EEENS1_44radix_sort_block_sort_config_static_selectorELNS0_4arch9wavefront6targetE1EEEvSJ_.uses_vcc, 0
	.set _ZN7rocprim17ROCPRIM_400000_NS6detail17trampoline_kernelINS0_13kernel_configILj256ELj4ELj4294967295EEENS1_37radix_sort_block_sort_config_selectorIiNS0_10empty_typeEEEZNS1_21radix_sort_block_sortIS4_Lb0EN6thrust23THRUST_200600_302600_NS6detail15normal_iteratorINSA_10device_ptrIiEEEESF_PS6_SG_NS0_19identity_decomposerEEE10hipError_tT1_T2_T3_T4_jRjT5_jjP12ihipStream_tbEUlT_E_NS1_11comp_targetILNS1_3genE9ELNS1_11target_archE1100ELNS1_3gpuE3ELNS1_3repE0EEENS1_44radix_sort_block_sort_config_static_selectorELNS0_4arch9wavefront6targetE1EEEvSJ_.uses_flat_scratch, 0
	.set _ZN7rocprim17ROCPRIM_400000_NS6detail17trampoline_kernelINS0_13kernel_configILj256ELj4ELj4294967295EEENS1_37radix_sort_block_sort_config_selectorIiNS0_10empty_typeEEEZNS1_21radix_sort_block_sortIS4_Lb0EN6thrust23THRUST_200600_302600_NS6detail15normal_iteratorINSA_10device_ptrIiEEEESF_PS6_SG_NS0_19identity_decomposerEEE10hipError_tT1_T2_T3_T4_jRjT5_jjP12ihipStream_tbEUlT_E_NS1_11comp_targetILNS1_3genE9ELNS1_11target_archE1100ELNS1_3gpuE3ELNS1_3repE0EEENS1_44radix_sort_block_sort_config_static_selectorELNS0_4arch9wavefront6targetE1EEEvSJ_.has_dyn_sized_stack, 0
	.set _ZN7rocprim17ROCPRIM_400000_NS6detail17trampoline_kernelINS0_13kernel_configILj256ELj4ELj4294967295EEENS1_37radix_sort_block_sort_config_selectorIiNS0_10empty_typeEEEZNS1_21radix_sort_block_sortIS4_Lb0EN6thrust23THRUST_200600_302600_NS6detail15normal_iteratorINSA_10device_ptrIiEEEESF_PS6_SG_NS0_19identity_decomposerEEE10hipError_tT1_T2_T3_T4_jRjT5_jjP12ihipStream_tbEUlT_E_NS1_11comp_targetILNS1_3genE9ELNS1_11target_archE1100ELNS1_3gpuE3ELNS1_3repE0EEENS1_44radix_sort_block_sort_config_static_selectorELNS0_4arch9wavefront6targetE1EEEvSJ_.has_recursion, 0
	.set _ZN7rocprim17ROCPRIM_400000_NS6detail17trampoline_kernelINS0_13kernel_configILj256ELj4ELj4294967295EEENS1_37radix_sort_block_sort_config_selectorIiNS0_10empty_typeEEEZNS1_21radix_sort_block_sortIS4_Lb0EN6thrust23THRUST_200600_302600_NS6detail15normal_iteratorINSA_10device_ptrIiEEEESF_PS6_SG_NS0_19identity_decomposerEEE10hipError_tT1_T2_T3_T4_jRjT5_jjP12ihipStream_tbEUlT_E_NS1_11comp_targetILNS1_3genE9ELNS1_11target_archE1100ELNS1_3gpuE3ELNS1_3repE0EEENS1_44radix_sort_block_sort_config_static_selectorELNS0_4arch9wavefront6targetE1EEEvSJ_.has_indirect_call, 0
	.section	.AMDGPU.csdata,"",@progbits
; Kernel info:
; codeLenInByte = 0
; TotalNumSgprs: 6
; NumVgprs: 0
; NumAgprs: 0
; TotalNumVgprs: 0
; ScratchSize: 0
; MemoryBound: 0
; FloatMode: 240
; IeeeMode: 1
; LDSByteSize: 0 bytes/workgroup (compile time only)
; SGPRBlocks: 0
; VGPRBlocks: 0
; NumSGPRsForWavesPerEU: 6
; NumVGPRsForWavesPerEU: 1
; AccumOffset: 4
; Occupancy: 8
; WaveLimiterHint : 0
; COMPUTE_PGM_RSRC2:SCRATCH_EN: 0
; COMPUTE_PGM_RSRC2:USER_SGPR: 2
; COMPUTE_PGM_RSRC2:TRAP_HANDLER: 0
; COMPUTE_PGM_RSRC2:TGID_X_EN: 1
; COMPUTE_PGM_RSRC2:TGID_Y_EN: 0
; COMPUTE_PGM_RSRC2:TGID_Z_EN: 0
; COMPUTE_PGM_RSRC2:TIDIG_COMP_CNT: 0
; COMPUTE_PGM_RSRC3_GFX90A:ACCUM_OFFSET: 0
; COMPUTE_PGM_RSRC3_GFX90A:TG_SPLIT: 0
	.section	.text._ZN7rocprim17ROCPRIM_400000_NS6detail17trampoline_kernelINS0_13kernel_configILj256ELj4ELj4294967295EEENS1_37radix_sort_block_sort_config_selectorIiNS0_10empty_typeEEEZNS1_21radix_sort_block_sortIS4_Lb0EN6thrust23THRUST_200600_302600_NS6detail15normal_iteratorINSA_10device_ptrIiEEEESF_PS6_SG_NS0_19identity_decomposerEEE10hipError_tT1_T2_T3_T4_jRjT5_jjP12ihipStream_tbEUlT_E_NS1_11comp_targetILNS1_3genE8ELNS1_11target_archE1030ELNS1_3gpuE2ELNS1_3repE0EEENS1_44radix_sort_block_sort_config_static_selectorELNS0_4arch9wavefront6targetE1EEEvSJ_,"axG",@progbits,_ZN7rocprim17ROCPRIM_400000_NS6detail17trampoline_kernelINS0_13kernel_configILj256ELj4ELj4294967295EEENS1_37radix_sort_block_sort_config_selectorIiNS0_10empty_typeEEEZNS1_21radix_sort_block_sortIS4_Lb0EN6thrust23THRUST_200600_302600_NS6detail15normal_iteratorINSA_10device_ptrIiEEEESF_PS6_SG_NS0_19identity_decomposerEEE10hipError_tT1_T2_T3_T4_jRjT5_jjP12ihipStream_tbEUlT_E_NS1_11comp_targetILNS1_3genE8ELNS1_11target_archE1030ELNS1_3gpuE2ELNS1_3repE0EEENS1_44radix_sort_block_sort_config_static_selectorELNS0_4arch9wavefront6targetE1EEEvSJ_,comdat
	.protected	_ZN7rocprim17ROCPRIM_400000_NS6detail17trampoline_kernelINS0_13kernel_configILj256ELj4ELj4294967295EEENS1_37radix_sort_block_sort_config_selectorIiNS0_10empty_typeEEEZNS1_21radix_sort_block_sortIS4_Lb0EN6thrust23THRUST_200600_302600_NS6detail15normal_iteratorINSA_10device_ptrIiEEEESF_PS6_SG_NS0_19identity_decomposerEEE10hipError_tT1_T2_T3_T4_jRjT5_jjP12ihipStream_tbEUlT_E_NS1_11comp_targetILNS1_3genE8ELNS1_11target_archE1030ELNS1_3gpuE2ELNS1_3repE0EEENS1_44radix_sort_block_sort_config_static_selectorELNS0_4arch9wavefront6targetE1EEEvSJ_ ; -- Begin function _ZN7rocprim17ROCPRIM_400000_NS6detail17trampoline_kernelINS0_13kernel_configILj256ELj4ELj4294967295EEENS1_37radix_sort_block_sort_config_selectorIiNS0_10empty_typeEEEZNS1_21radix_sort_block_sortIS4_Lb0EN6thrust23THRUST_200600_302600_NS6detail15normal_iteratorINSA_10device_ptrIiEEEESF_PS6_SG_NS0_19identity_decomposerEEE10hipError_tT1_T2_T3_T4_jRjT5_jjP12ihipStream_tbEUlT_E_NS1_11comp_targetILNS1_3genE8ELNS1_11target_archE1030ELNS1_3gpuE2ELNS1_3repE0EEENS1_44radix_sort_block_sort_config_static_selectorELNS0_4arch9wavefront6targetE1EEEvSJ_
	.globl	_ZN7rocprim17ROCPRIM_400000_NS6detail17trampoline_kernelINS0_13kernel_configILj256ELj4ELj4294967295EEENS1_37radix_sort_block_sort_config_selectorIiNS0_10empty_typeEEEZNS1_21radix_sort_block_sortIS4_Lb0EN6thrust23THRUST_200600_302600_NS6detail15normal_iteratorINSA_10device_ptrIiEEEESF_PS6_SG_NS0_19identity_decomposerEEE10hipError_tT1_T2_T3_T4_jRjT5_jjP12ihipStream_tbEUlT_E_NS1_11comp_targetILNS1_3genE8ELNS1_11target_archE1030ELNS1_3gpuE2ELNS1_3repE0EEENS1_44radix_sort_block_sort_config_static_selectorELNS0_4arch9wavefront6targetE1EEEvSJ_
	.p2align	8
	.type	_ZN7rocprim17ROCPRIM_400000_NS6detail17trampoline_kernelINS0_13kernel_configILj256ELj4ELj4294967295EEENS1_37radix_sort_block_sort_config_selectorIiNS0_10empty_typeEEEZNS1_21radix_sort_block_sortIS4_Lb0EN6thrust23THRUST_200600_302600_NS6detail15normal_iteratorINSA_10device_ptrIiEEEESF_PS6_SG_NS0_19identity_decomposerEEE10hipError_tT1_T2_T3_T4_jRjT5_jjP12ihipStream_tbEUlT_E_NS1_11comp_targetILNS1_3genE8ELNS1_11target_archE1030ELNS1_3gpuE2ELNS1_3repE0EEENS1_44radix_sort_block_sort_config_static_selectorELNS0_4arch9wavefront6targetE1EEEvSJ_,@function
_ZN7rocprim17ROCPRIM_400000_NS6detail17trampoline_kernelINS0_13kernel_configILj256ELj4ELj4294967295EEENS1_37radix_sort_block_sort_config_selectorIiNS0_10empty_typeEEEZNS1_21radix_sort_block_sortIS4_Lb0EN6thrust23THRUST_200600_302600_NS6detail15normal_iteratorINSA_10device_ptrIiEEEESF_PS6_SG_NS0_19identity_decomposerEEE10hipError_tT1_T2_T3_T4_jRjT5_jjP12ihipStream_tbEUlT_E_NS1_11comp_targetILNS1_3genE8ELNS1_11target_archE1030ELNS1_3gpuE2ELNS1_3repE0EEENS1_44radix_sort_block_sort_config_static_selectorELNS0_4arch9wavefront6targetE1EEEvSJ_: ; @_ZN7rocprim17ROCPRIM_400000_NS6detail17trampoline_kernelINS0_13kernel_configILj256ELj4ELj4294967295EEENS1_37radix_sort_block_sort_config_selectorIiNS0_10empty_typeEEEZNS1_21radix_sort_block_sortIS4_Lb0EN6thrust23THRUST_200600_302600_NS6detail15normal_iteratorINSA_10device_ptrIiEEEESF_PS6_SG_NS0_19identity_decomposerEEE10hipError_tT1_T2_T3_T4_jRjT5_jjP12ihipStream_tbEUlT_E_NS1_11comp_targetILNS1_3genE8ELNS1_11target_archE1030ELNS1_3gpuE2ELNS1_3repE0EEENS1_44radix_sort_block_sort_config_static_selectorELNS0_4arch9wavefront6targetE1EEEvSJ_
; %bb.0:
	.section	.rodata,"a",@progbits
	.p2align	6, 0x0
	.amdhsa_kernel _ZN7rocprim17ROCPRIM_400000_NS6detail17trampoline_kernelINS0_13kernel_configILj256ELj4ELj4294967295EEENS1_37radix_sort_block_sort_config_selectorIiNS0_10empty_typeEEEZNS1_21radix_sort_block_sortIS4_Lb0EN6thrust23THRUST_200600_302600_NS6detail15normal_iteratorINSA_10device_ptrIiEEEESF_PS6_SG_NS0_19identity_decomposerEEE10hipError_tT1_T2_T3_T4_jRjT5_jjP12ihipStream_tbEUlT_E_NS1_11comp_targetILNS1_3genE8ELNS1_11target_archE1030ELNS1_3gpuE2ELNS1_3repE0EEENS1_44radix_sort_block_sort_config_static_selectorELNS0_4arch9wavefront6targetE1EEEvSJ_
		.amdhsa_group_segment_fixed_size 0
		.amdhsa_private_segment_fixed_size 0
		.amdhsa_kernarg_size 48
		.amdhsa_user_sgpr_count 2
		.amdhsa_user_sgpr_dispatch_ptr 0
		.amdhsa_user_sgpr_queue_ptr 0
		.amdhsa_user_sgpr_kernarg_segment_ptr 1
		.amdhsa_user_sgpr_dispatch_id 0
		.amdhsa_user_sgpr_kernarg_preload_length 0
		.amdhsa_user_sgpr_kernarg_preload_offset 0
		.amdhsa_user_sgpr_private_segment_size 0
		.amdhsa_uses_dynamic_stack 0
		.amdhsa_enable_private_segment 0
		.amdhsa_system_sgpr_workgroup_id_x 1
		.amdhsa_system_sgpr_workgroup_id_y 0
		.amdhsa_system_sgpr_workgroup_id_z 0
		.amdhsa_system_sgpr_workgroup_info 0
		.amdhsa_system_vgpr_workitem_id 0
		.amdhsa_next_free_vgpr 1
		.amdhsa_next_free_sgpr 0
		.amdhsa_accum_offset 4
		.amdhsa_reserve_vcc 0
		.amdhsa_float_round_mode_32 0
		.amdhsa_float_round_mode_16_64 0
		.amdhsa_float_denorm_mode_32 3
		.amdhsa_float_denorm_mode_16_64 3
		.amdhsa_dx10_clamp 1
		.amdhsa_ieee_mode 1
		.amdhsa_fp16_overflow 0
		.amdhsa_tg_split 0
		.amdhsa_exception_fp_ieee_invalid_op 0
		.amdhsa_exception_fp_denorm_src 0
		.amdhsa_exception_fp_ieee_div_zero 0
		.amdhsa_exception_fp_ieee_overflow 0
		.amdhsa_exception_fp_ieee_underflow 0
		.amdhsa_exception_fp_ieee_inexact 0
		.amdhsa_exception_int_div_zero 0
	.end_amdhsa_kernel
	.section	.text._ZN7rocprim17ROCPRIM_400000_NS6detail17trampoline_kernelINS0_13kernel_configILj256ELj4ELj4294967295EEENS1_37radix_sort_block_sort_config_selectorIiNS0_10empty_typeEEEZNS1_21radix_sort_block_sortIS4_Lb0EN6thrust23THRUST_200600_302600_NS6detail15normal_iteratorINSA_10device_ptrIiEEEESF_PS6_SG_NS0_19identity_decomposerEEE10hipError_tT1_T2_T3_T4_jRjT5_jjP12ihipStream_tbEUlT_E_NS1_11comp_targetILNS1_3genE8ELNS1_11target_archE1030ELNS1_3gpuE2ELNS1_3repE0EEENS1_44radix_sort_block_sort_config_static_selectorELNS0_4arch9wavefront6targetE1EEEvSJ_,"axG",@progbits,_ZN7rocprim17ROCPRIM_400000_NS6detail17trampoline_kernelINS0_13kernel_configILj256ELj4ELj4294967295EEENS1_37radix_sort_block_sort_config_selectorIiNS0_10empty_typeEEEZNS1_21radix_sort_block_sortIS4_Lb0EN6thrust23THRUST_200600_302600_NS6detail15normal_iteratorINSA_10device_ptrIiEEEESF_PS6_SG_NS0_19identity_decomposerEEE10hipError_tT1_T2_T3_T4_jRjT5_jjP12ihipStream_tbEUlT_E_NS1_11comp_targetILNS1_3genE8ELNS1_11target_archE1030ELNS1_3gpuE2ELNS1_3repE0EEENS1_44radix_sort_block_sort_config_static_selectorELNS0_4arch9wavefront6targetE1EEEvSJ_,comdat
.Lfunc_end9:
	.size	_ZN7rocprim17ROCPRIM_400000_NS6detail17trampoline_kernelINS0_13kernel_configILj256ELj4ELj4294967295EEENS1_37radix_sort_block_sort_config_selectorIiNS0_10empty_typeEEEZNS1_21radix_sort_block_sortIS4_Lb0EN6thrust23THRUST_200600_302600_NS6detail15normal_iteratorINSA_10device_ptrIiEEEESF_PS6_SG_NS0_19identity_decomposerEEE10hipError_tT1_T2_T3_T4_jRjT5_jjP12ihipStream_tbEUlT_E_NS1_11comp_targetILNS1_3genE8ELNS1_11target_archE1030ELNS1_3gpuE2ELNS1_3repE0EEENS1_44radix_sort_block_sort_config_static_selectorELNS0_4arch9wavefront6targetE1EEEvSJ_, .Lfunc_end9-_ZN7rocprim17ROCPRIM_400000_NS6detail17trampoline_kernelINS0_13kernel_configILj256ELj4ELj4294967295EEENS1_37radix_sort_block_sort_config_selectorIiNS0_10empty_typeEEEZNS1_21radix_sort_block_sortIS4_Lb0EN6thrust23THRUST_200600_302600_NS6detail15normal_iteratorINSA_10device_ptrIiEEEESF_PS6_SG_NS0_19identity_decomposerEEE10hipError_tT1_T2_T3_T4_jRjT5_jjP12ihipStream_tbEUlT_E_NS1_11comp_targetILNS1_3genE8ELNS1_11target_archE1030ELNS1_3gpuE2ELNS1_3repE0EEENS1_44radix_sort_block_sort_config_static_selectorELNS0_4arch9wavefront6targetE1EEEvSJ_
                                        ; -- End function
	.set _ZN7rocprim17ROCPRIM_400000_NS6detail17trampoline_kernelINS0_13kernel_configILj256ELj4ELj4294967295EEENS1_37radix_sort_block_sort_config_selectorIiNS0_10empty_typeEEEZNS1_21radix_sort_block_sortIS4_Lb0EN6thrust23THRUST_200600_302600_NS6detail15normal_iteratorINSA_10device_ptrIiEEEESF_PS6_SG_NS0_19identity_decomposerEEE10hipError_tT1_T2_T3_T4_jRjT5_jjP12ihipStream_tbEUlT_E_NS1_11comp_targetILNS1_3genE8ELNS1_11target_archE1030ELNS1_3gpuE2ELNS1_3repE0EEENS1_44radix_sort_block_sort_config_static_selectorELNS0_4arch9wavefront6targetE1EEEvSJ_.num_vgpr, 0
	.set _ZN7rocprim17ROCPRIM_400000_NS6detail17trampoline_kernelINS0_13kernel_configILj256ELj4ELj4294967295EEENS1_37radix_sort_block_sort_config_selectorIiNS0_10empty_typeEEEZNS1_21radix_sort_block_sortIS4_Lb0EN6thrust23THRUST_200600_302600_NS6detail15normal_iteratorINSA_10device_ptrIiEEEESF_PS6_SG_NS0_19identity_decomposerEEE10hipError_tT1_T2_T3_T4_jRjT5_jjP12ihipStream_tbEUlT_E_NS1_11comp_targetILNS1_3genE8ELNS1_11target_archE1030ELNS1_3gpuE2ELNS1_3repE0EEENS1_44radix_sort_block_sort_config_static_selectorELNS0_4arch9wavefront6targetE1EEEvSJ_.num_agpr, 0
	.set _ZN7rocprim17ROCPRIM_400000_NS6detail17trampoline_kernelINS0_13kernel_configILj256ELj4ELj4294967295EEENS1_37radix_sort_block_sort_config_selectorIiNS0_10empty_typeEEEZNS1_21radix_sort_block_sortIS4_Lb0EN6thrust23THRUST_200600_302600_NS6detail15normal_iteratorINSA_10device_ptrIiEEEESF_PS6_SG_NS0_19identity_decomposerEEE10hipError_tT1_T2_T3_T4_jRjT5_jjP12ihipStream_tbEUlT_E_NS1_11comp_targetILNS1_3genE8ELNS1_11target_archE1030ELNS1_3gpuE2ELNS1_3repE0EEENS1_44radix_sort_block_sort_config_static_selectorELNS0_4arch9wavefront6targetE1EEEvSJ_.numbered_sgpr, 0
	.set _ZN7rocprim17ROCPRIM_400000_NS6detail17trampoline_kernelINS0_13kernel_configILj256ELj4ELj4294967295EEENS1_37radix_sort_block_sort_config_selectorIiNS0_10empty_typeEEEZNS1_21radix_sort_block_sortIS4_Lb0EN6thrust23THRUST_200600_302600_NS6detail15normal_iteratorINSA_10device_ptrIiEEEESF_PS6_SG_NS0_19identity_decomposerEEE10hipError_tT1_T2_T3_T4_jRjT5_jjP12ihipStream_tbEUlT_E_NS1_11comp_targetILNS1_3genE8ELNS1_11target_archE1030ELNS1_3gpuE2ELNS1_3repE0EEENS1_44radix_sort_block_sort_config_static_selectorELNS0_4arch9wavefront6targetE1EEEvSJ_.num_named_barrier, 0
	.set _ZN7rocprim17ROCPRIM_400000_NS6detail17trampoline_kernelINS0_13kernel_configILj256ELj4ELj4294967295EEENS1_37radix_sort_block_sort_config_selectorIiNS0_10empty_typeEEEZNS1_21radix_sort_block_sortIS4_Lb0EN6thrust23THRUST_200600_302600_NS6detail15normal_iteratorINSA_10device_ptrIiEEEESF_PS6_SG_NS0_19identity_decomposerEEE10hipError_tT1_T2_T3_T4_jRjT5_jjP12ihipStream_tbEUlT_E_NS1_11comp_targetILNS1_3genE8ELNS1_11target_archE1030ELNS1_3gpuE2ELNS1_3repE0EEENS1_44radix_sort_block_sort_config_static_selectorELNS0_4arch9wavefront6targetE1EEEvSJ_.private_seg_size, 0
	.set _ZN7rocprim17ROCPRIM_400000_NS6detail17trampoline_kernelINS0_13kernel_configILj256ELj4ELj4294967295EEENS1_37radix_sort_block_sort_config_selectorIiNS0_10empty_typeEEEZNS1_21radix_sort_block_sortIS4_Lb0EN6thrust23THRUST_200600_302600_NS6detail15normal_iteratorINSA_10device_ptrIiEEEESF_PS6_SG_NS0_19identity_decomposerEEE10hipError_tT1_T2_T3_T4_jRjT5_jjP12ihipStream_tbEUlT_E_NS1_11comp_targetILNS1_3genE8ELNS1_11target_archE1030ELNS1_3gpuE2ELNS1_3repE0EEENS1_44radix_sort_block_sort_config_static_selectorELNS0_4arch9wavefront6targetE1EEEvSJ_.uses_vcc, 0
	.set _ZN7rocprim17ROCPRIM_400000_NS6detail17trampoline_kernelINS0_13kernel_configILj256ELj4ELj4294967295EEENS1_37radix_sort_block_sort_config_selectorIiNS0_10empty_typeEEEZNS1_21radix_sort_block_sortIS4_Lb0EN6thrust23THRUST_200600_302600_NS6detail15normal_iteratorINSA_10device_ptrIiEEEESF_PS6_SG_NS0_19identity_decomposerEEE10hipError_tT1_T2_T3_T4_jRjT5_jjP12ihipStream_tbEUlT_E_NS1_11comp_targetILNS1_3genE8ELNS1_11target_archE1030ELNS1_3gpuE2ELNS1_3repE0EEENS1_44radix_sort_block_sort_config_static_selectorELNS0_4arch9wavefront6targetE1EEEvSJ_.uses_flat_scratch, 0
	.set _ZN7rocprim17ROCPRIM_400000_NS6detail17trampoline_kernelINS0_13kernel_configILj256ELj4ELj4294967295EEENS1_37radix_sort_block_sort_config_selectorIiNS0_10empty_typeEEEZNS1_21radix_sort_block_sortIS4_Lb0EN6thrust23THRUST_200600_302600_NS6detail15normal_iteratorINSA_10device_ptrIiEEEESF_PS6_SG_NS0_19identity_decomposerEEE10hipError_tT1_T2_T3_T4_jRjT5_jjP12ihipStream_tbEUlT_E_NS1_11comp_targetILNS1_3genE8ELNS1_11target_archE1030ELNS1_3gpuE2ELNS1_3repE0EEENS1_44radix_sort_block_sort_config_static_selectorELNS0_4arch9wavefront6targetE1EEEvSJ_.has_dyn_sized_stack, 0
	.set _ZN7rocprim17ROCPRIM_400000_NS6detail17trampoline_kernelINS0_13kernel_configILj256ELj4ELj4294967295EEENS1_37radix_sort_block_sort_config_selectorIiNS0_10empty_typeEEEZNS1_21radix_sort_block_sortIS4_Lb0EN6thrust23THRUST_200600_302600_NS6detail15normal_iteratorINSA_10device_ptrIiEEEESF_PS6_SG_NS0_19identity_decomposerEEE10hipError_tT1_T2_T3_T4_jRjT5_jjP12ihipStream_tbEUlT_E_NS1_11comp_targetILNS1_3genE8ELNS1_11target_archE1030ELNS1_3gpuE2ELNS1_3repE0EEENS1_44radix_sort_block_sort_config_static_selectorELNS0_4arch9wavefront6targetE1EEEvSJ_.has_recursion, 0
	.set _ZN7rocprim17ROCPRIM_400000_NS6detail17trampoline_kernelINS0_13kernel_configILj256ELj4ELj4294967295EEENS1_37radix_sort_block_sort_config_selectorIiNS0_10empty_typeEEEZNS1_21radix_sort_block_sortIS4_Lb0EN6thrust23THRUST_200600_302600_NS6detail15normal_iteratorINSA_10device_ptrIiEEEESF_PS6_SG_NS0_19identity_decomposerEEE10hipError_tT1_T2_T3_T4_jRjT5_jjP12ihipStream_tbEUlT_E_NS1_11comp_targetILNS1_3genE8ELNS1_11target_archE1030ELNS1_3gpuE2ELNS1_3repE0EEENS1_44radix_sort_block_sort_config_static_selectorELNS0_4arch9wavefront6targetE1EEEvSJ_.has_indirect_call, 0
	.section	.AMDGPU.csdata,"",@progbits
; Kernel info:
; codeLenInByte = 0
; TotalNumSgprs: 6
; NumVgprs: 0
; NumAgprs: 0
; TotalNumVgprs: 0
; ScratchSize: 0
; MemoryBound: 0
; FloatMode: 240
; IeeeMode: 1
; LDSByteSize: 0 bytes/workgroup (compile time only)
; SGPRBlocks: 0
; VGPRBlocks: 0
; NumSGPRsForWavesPerEU: 6
; NumVGPRsForWavesPerEU: 1
; AccumOffset: 4
; Occupancy: 8
; WaveLimiterHint : 0
; COMPUTE_PGM_RSRC2:SCRATCH_EN: 0
; COMPUTE_PGM_RSRC2:USER_SGPR: 2
; COMPUTE_PGM_RSRC2:TRAP_HANDLER: 0
; COMPUTE_PGM_RSRC2:TGID_X_EN: 1
; COMPUTE_PGM_RSRC2:TGID_Y_EN: 0
; COMPUTE_PGM_RSRC2:TGID_Z_EN: 0
; COMPUTE_PGM_RSRC2:TIDIG_COMP_CNT: 0
; COMPUTE_PGM_RSRC3_GFX90A:ACCUM_OFFSET: 0
; COMPUTE_PGM_RSRC3_GFX90A:TG_SPLIT: 0
	.section	.text._ZN7rocprim17ROCPRIM_400000_NS6detail44device_merge_sort_compile_time_verifier_archINS1_11comp_targetILNS1_3genE0ELNS1_11target_archE4294967295ELNS1_3gpuE0ELNS1_3repE0EEES8_NS1_28merge_sort_block_sort_configILj256ELj4ELNS0_20block_sort_algorithmE0EEENS0_14default_configENS1_37merge_sort_block_sort_config_selectorIiNS0_10empty_typeEEENS1_38merge_sort_block_merge_config_selectorIiSE_EEEEvv,"axG",@progbits,_ZN7rocprim17ROCPRIM_400000_NS6detail44device_merge_sort_compile_time_verifier_archINS1_11comp_targetILNS1_3genE0ELNS1_11target_archE4294967295ELNS1_3gpuE0ELNS1_3repE0EEES8_NS1_28merge_sort_block_sort_configILj256ELj4ELNS0_20block_sort_algorithmE0EEENS0_14default_configENS1_37merge_sort_block_sort_config_selectorIiNS0_10empty_typeEEENS1_38merge_sort_block_merge_config_selectorIiSE_EEEEvv,comdat
	.protected	_ZN7rocprim17ROCPRIM_400000_NS6detail44device_merge_sort_compile_time_verifier_archINS1_11comp_targetILNS1_3genE0ELNS1_11target_archE4294967295ELNS1_3gpuE0ELNS1_3repE0EEES8_NS1_28merge_sort_block_sort_configILj256ELj4ELNS0_20block_sort_algorithmE0EEENS0_14default_configENS1_37merge_sort_block_sort_config_selectorIiNS0_10empty_typeEEENS1_38merge_sort_block_merge_config_selectorIiSE_EEEEvv ; -- Begin function _ZN7rocprim17ROCPRIM_400000_NS6detail44device_merge_sort_compile_time_verifier_archINS1_11comp_targetILNS1_3genE0ELNS1_11target_archE4294967295ELNS1_3gpuE0ELNS1_3repE0EEES8_NS1_28merge_sort_block_sort_configILj256ELj4ELNS0_20block_sort_algorithmE0EEENS0_14default_configENS1_37merge_sort_block_sort_config_selectorIiNS0_10empty_typeEEENS1_38merge_sort_block_merge_config_selectorIiSE_EEEEvv
	.globl	_ZN7rocprim17ROCPRIM_400000_NS6detail44device_merge_sort_compile_time_verifier_archINS1_11comp_targetILNS1_3genE0ELNS1_11target_archE4294967295ELNS1_3gpuE0ELNS1_3repE0EEES8_NS1_28merge_sort_block_sort_configILj256ELj4ELNS0_20block_sort_algorithmE0EEENS0_14default_configENS1_37merge_sort_block_sort_config_selectorIiNS0_10empty_typeEEENS1_38merge_sort_block_merge_config_selectorIiSE_EEEEvv
	.p2align	8
	.type	_ZN7rocprim17ROCPRIM_400000_NS6detail44device_merge_sort_compile_time_verifier_archINS1_11comp_targetILNS1_3genE0ELNS1_11target_archE4294967295ELNS1_3gpuE0ELNS1_3repE0EEES8_NS1_28merge_sort_block_sort_configILj256ELj4ELNS0_20block_sort_algorithmE0EEENS0_14default_configENS1_37merge_sort_block_sort_config_selectorIiNS0_10empty_typeEEENS1_38merge_sort_block_merge_config_selectorIiSE_EEEEvv,@function
_ZN7rocprim17ROCPRIM_400000_NS6detail44device_merge_sort_compile_time_verifier_archINS1_11comp_targetILNS1_3genE0ELNS1_11target_archE4294967295ELNS1_3gpuE0ELNS1_3repE0EEES8_NS1_28merge_sort_block_sort_configILj256ELj4ELNS0_20block_sort_algorithmE0EEENS0_14default_configENS1_37merge_sort_block_sort_config_selectorIiNS0_10empty_typeEEENS1_38merge_sort_block_merge_config_selectorIiSE_EEEEvv: ; @_ZN7rocprim17ROCPRIM_400000_NS6detail44device_merge_sort_compile_time_verifier_archINS1_11comp_targetILNS1_3genE0ELNS1_11target_archE4294967295ELNS1_3gpuE0ELNS1_3repE0EEES8_NS1_28merge_sort_block_sort_configILj256ELj4ELNS0_20block_sort_algorithmE0EEENS0_14default_configENS1_37merge_sort_block_sort_config_selectorIiNS0_10empty_typeEEENS1_38merge_sort_block_merge_config_selectorIiSE_EEEEvv
; %bb.0:
	s_endpgm
	.section	.rodata,"a",@progbits
	.p2align	6, 0x0
	.amdhsa_kernel _ZN7rocprim17ROCPRIM_400000_NS6detail44device_merge_sort_compile_time_verifier_archINS1_11comp_targetILNS1_3genE0ELNS1_11target_archE4294967295ELNS1_3gpuE0ELNS1_3repE0EEES8_NS1_28merge_sort_block_sort_configILj256ELj4ELNS0_20block_sort_algorithmE0EEENS0_14default_configENS1_37merge_sort_block_sort_config_selectorIiNS0_10empty_typeEEENS1_38merge_sort_block_merge_config_selectorIiSE_EEEEvv
		.amdhsa_group_segment_fixed_size 0
		.amdhsa_private_segment_fixed_size 0
		.amdhsa_kernarg_size 0
		.amdhsa_user_sgpr_count 0
		.amdhsa_user_sgpr_dispatch_ptr 0
		.amdhsa_user_sgpr_queue_ptr 0
		.amdhsa_user_sgpr_kernarg_segment_ptr 0
		.amdhsa_user_sgpr_dispatch_id 0
		.amdhsa_user_sgpr_kernarg_preload_length 0
		.amdhsa_user_sgpr_kernarg_preload_offset 0
		.amdhsa_user_sgpr_private_segment_size 0
		.amdhsa_uses_dynamic_stack 0
		.amdhsa_enable_private_segment 0
		.amdhsa_system_sgpr_workgroup_id_x 1
		.amdhsa_system_sgpr_workgroup_id_y 0
		.amdhsa_system_sgpr_workgroup_id_z 0
		.amdhsa_system_sgpr_workgroup_info 0
		.amdhsa_system_vgpr_workitem_id 0
		.amdhsa_next_free_vgpr 1
		.amdhsa_next_free_sgpr 0
		.amdhsa_accum_offset 4
		.amdhsa_reserve_vcc 0
		.amdhsa_float_round_mode_32 0
		.amdhsa_float_round_mode_16_64 0
		.amdhsa_float_denorm_mode_32 3
		.amdhsa_float_denorm_mode_16_64 3
		.amdhsa_dx10_clamp 1
		.amdhsa_ieee_mode 1
		.amdhsa_fp16_overflow 0
		.amdhsa_tg_split 0
		.amdhsa_exception_fp_ieee_invalid_op 0
		.amdhsa_exception_fp_denorm_src 0
		.amdhsa_exception_fp_ieee_div_zero 0
		.amdhsa_exception_fp_ieee_overflow 0
		.amdhsa_exception_fp_ieee_underflow 0
		.amdhsa_exception_fp_ieee_inexact 0
		.amdhsa_exception_int_div_zero 0
	.end_amdhsa_kernel
	.section	.text._ZN7rocprim17ROCPRIM_400000_NS6detail44device_merge_sort_compile_time_verifier_archINS1_11comp_targetILNS1_3genE0ELNS1_11target_archE4294967295ELNS1_3gpuE0ELNS1_3repE0EEES8_NS1_28merge_sort_block_sort_configILj256ELj4ELNS0_20block_sort_algorithmE0EEENS0_14default_configENS1_37merge_sort_block_sort_config_selectorIiNS0_10empty_typeEEENS1_38merge_sort_block_merge_config_selectorIiSE_EEEEvv,"axG",@progbits,_ZN7rocprim17ROCPRIM_400000_NS6detail44device_merge_sort_compile_time_verifier_archINS1_11comp_targetILNS1_3genE0ELNS1_11target_archE4294967295ELNS1_3gpuE0ELNS1_3repE0EEES8_NS1_28merge_sort_block_sort_configILj256ELj4ELNS0_20block_sort_algorithmE0EEENS0_14default_configENS1_37merge_sort_block_sort_config_selectorIiNS0_10empty_typeEEENS1_38merge_sort_block_merge_config_selectorIiSE_EEEEvv,comdat
.Lfunc_end10:
	.size	_ZN7rocprim17ROCPRIM_400000_NS6detail44device_merge_sort_compile_time_verifier_archINS1_11comp_targetILNS1_3genE0ELNS1_11target_archE4294967295ELNS1_3gpuE0ELNS1_3repE0EEES8_NS1_28merge_sort_block_sort_configILj256ELj4ELNS0_20block_sort_algorithmE0EEENS0_14default_configENS1_37merge_sort_block_sort_config_selectorIiNS0_10empty_typeEEENS1_38merge_sort_block_merge_config_selectorIiSE_EEEEvv, .Lfunc_end10-_ZN7rocprim17ROCPRIM_400000_NS6detail44device_merge_sort_compile_time_verifier_archINS1_11comp_targetILNS1_3genE0ELNS1_11target_archE4294967295ELNS1_3gpuE0ELNS1_3repE0EEES8_NS1_28merge_sort_block_sort_configILj256ELj4ELNS0_20block_sort_algorithmE0EEENS0_14default_configENS1_37merge_sort_block_sort_config_selectorIiNS0_10empty_typeEEENS1_38merge_sort_block_merge_config_selectorIiSE_EEEEvv
                                        ; -- End function
	.set _ZN7rocprim17ROCPRIM_400000_NS6detail44device_merge_sort_compile_time_verifier_archINS1_11comp_targetILNS1_3genE0ELNS1_11target_archE4294967295ELNS1_3gpuE0ELNS1_3repE0EEES8_NS1_28merge_sort_block_sort_configILj256ELj4ELNS0_20block_sort_algorithmE0EEENS0_14default_configENS1_37merge_sort_block_sort_config_selectorIiNS0_10empty_typeEEENS1_38merge_sort_block_merge_config_selectorIiSE_EEEEvv.num_vgpr, 0
	.set _ZN7rocprim17ROCPRIM_400000_NS6detail44device_merge_sort_compile_time_verifier_archINS1_11comp_targetILNS1_3genE0ELNS1_11target_archE4294967295ELNS1_3gpuE0ELNS1_3repE0EEES8_NS1_28merge_sort_block_sort_configILj256ELj4ELNS0_20block_sort_algorithmE0EEENS0_14default_configENS1_37merge_sort_block_sort_config_selectorIiNS0_10empty_typeEEENS1_38merge_sort_block_merge_config_selectorIiSE_EEEEvv.num_agpr, 0
	.set _ZN7rocprim17ROCPRIM_400000_NS6detail44device_merge_sort_compile_time_verifier_archINS1_11comp_targetILNS1_3genE0ELNS1_11target_archE4294967295ELNS1_3gpuE0ELNS1_3repE0EEES8_NS1_28merge_sort_block_sort_configILj256ELj4ELNS0_20block_sort_algorithmE0EEENS0_14default_configENS1_37merge_sort_block_sort_config_selectorIiNS0_10empty_typeEEENS1_38merge_sort_block_merge_config_selectorIiSE_EEEEvv.numbered_sgpr, 0
	.set _ZN7rocprim17ROCPRIM_400000_NS6detail44device_merge_sort_compile_time_verifier_archINS1_11comp_targetILNS1_3genE0ELNS1_11target_archE4294967295ELNS1_3gpuE0ELNS1_3repE0EEES8_NS1_28merge_sort_block_sort_configILj256ELj4ELNS0_20block_sort_algorithmE0EEENS0_14default_configENS1_37merge_sort_block_sort_config_selectorIiNS0_10empty_typeEEENS1_38merge_sort_block_merge_config_selectorIiSE_EEEEvv.num_named_barrier, 0
	.set _ZN7rocprim17ROCPRIM_400000_NS6detail44device_merge_sort_compile_time_verifier_archINS1_11comp_targetILNS1_3genE0ELNS1_11target_archE4294967295ELNS1_3gpuE0ELNS1_3repE0EEES8_NS1_28merge_sort_block_sort_configILj256ELj4ELNS0_20block_sort_algorithmE0EEENS0_14default_configENS1_37merge_sort_block_sort_config_selectorIiNS0_10empty_typeEEENS1_38merge_sort_block_merge_config_selectorIiSE_EEEEvv.private_seg_size, 0
	.set _ZN7rocprim17ROCPRIM_400000_NS6detail44device_merge_sort_compile_time_verifier_archINS1_11comp_targetILNS1_3genE0ELNS1_11target_archE4294967295ELNS1_3gpuE0ELNS1_3repE0EEES8_NS1_28merge_sort_block_sort_configILj256ELj4ELNS0_20block_sort_algorithmE0EEENS0_14default_configENS1_37merge_sort_block_sort_config_selectorIiNS0_10empty_typeEEENS1_38merge_sort_block_merge_config_selectorIiSE_EEEEvv.uses_vcc, 0
	.set _ZN7rocprim17ROCPRIM_400000_NS6detail44device_merge_sort_compile_time_verifier_archINS1_11comp_targetILNS1_3genE0ELNS1_11target_archE4294967295ELNS1_3gpuE0ELNS1_3repE0EEES8_NS1_28merge_sort_block_sort_configILj256ELj4ELNS0_20block_sort_algorithmE0EEENS0_14default_configENS1_37merge_sort_block_sort_config_selectorIiNS0_10empty_typeEEENS1_38merge_sort_block_merge_config_selectorIiSE_EEEEvv.uses_flat_scratch, 0
	.set _ZN7rocprim17ROCPRIM_400000_NS6detail44device_merge_sort_compile_time_verifier_archINS1_11comp_targetILNS1_3genE0ELNS1_11target_archE4294967295ELNS1_3gpuE0ELNS1_3repE0EEES8_NS1_28merge_sort_block_sort_configILj256ELj4ELNS0_20block_sort_algorithmE0EEENS0_14default_configENS1_37merge_sort_block_sort_config_selectorIiNS0_10empty_typeEEENS1_38merge_sort_block_merge_config_selectorIiSE_EEEEvv.has_dyn_sized_stack, 0
	.set _ZN7rocprim17ROCPRIM_400000_NS6detail44device_merge_sort_compile_time_verifier_archINS1_11comp_targetILNS1_3genE0ELNS1_11target_archE4294967295ELNS1_3gpuE0ELNS1_3repE0EEES8_NS1_28merge_sort_block_sort_configILj256ELj4ELNS0_20block_sort_algorithmE0EEENS0_14default_configENS1_37merge_sort_block_sort_config_selectorIiNS0_10empty_typeEEENS1_38merge_sort_block_merge_config_selectorIiSE_EEEEvv.has_recursion, 0
	.set _ZN7rocprim17ROCPRIM_400000_NS6detail44device_merge_sort_compile_time_verifier_archINS1_11comp_targetILNS1_3genE0ELNS1_11target_archE4294967295ELNS1_3gpuE0ELNS1_3repE0EEES8_NS1_28merge_sort_block_sort_configILj256ELj4ELNS0_20block_sort_algorithmE0EEENS0_14default_configENS1_37merge_sort_block_sort_config_selectorIiNS0_10empty_typeEEENS1_38merge_sort_block_merge_config_selectorIiSE_EEEEvv.has_indirect_call, 0
	.section	.AMDGPU.csdata,"",@progbits
; Kernel info:
; codeLenInByte = 4
; TotalNumSgprs: 6
; NumVgprs: 0
; NumAgprs: 0
; TotalNumVgprs: 0
; ScratchSize: 0
; MemoryBound: 0
; FloatMode: 240
; IeeeMode: 1
; LDSByteSize: 0 bytes/workgroup (compile time only)
; SGPRBlocks: 0
; VGPRBlocks: 0
; NumSGPRsForWavesPerEU: 6
; NumVGPRsForWavesPerEU: 1
; AccumOffset: 4
; Occupancy: 8
; WaveLimiterHint : 0
; COMPUTE_PGM_RSRC2:SCRATCH_EN: 0
; COMPUTE_PGM_RSRC2:USER_SGPR: 0
; COMPUTE_PGM_RSRC2:TRAP_HANDLER: 0
; COMPUTE_PGM_RSRC2:TGID_X_EN: 1
; COMPUTE_PGM_RSRC2:TGID_Y_EN: 0
; COMPUTE_PGM_RSRC2:TGID_Z_EN: 0
; COMPUTE_PGM_RSRC2:TIDIG_COMP_CNT: 0
; COMPUTE_PGM_RSRC3_GFX90A:ACCUM_OFFSET: 0
; COMPUTE_PGM_RSRC3_GFX90A:TG_SPLIT: 0
	.section	.text._ZN7rocprim17ROCPRIM_400000_NS6detail44device_merge_sort_compile_time_verifier_archINS1_11comp_targetILNS1_3genE5ELNS1_11target_archE942ELNS1_3gpuE9ELNS1_3repE0EEES8_NS1_28merge_sort_block_sort_configILj256ELj4ELNS0_20block_sort_algorithmE0EEENS0_14default_configENS1_37merge_sort_block_sort_config_selectorIiNS0_10empty_typeEEENS1_38merge_sort_block_merge_config_selectorIiSE_EEEEvv,"axG",@progbits,_ZN7rocprim17ROCPRIM_400000_NS6detail44device_merge_sort_compile_time_verifier_archINS1_11comp_targetILNS1_3genE5ELNS1_11target_archE942ELNS1_3gpuE9ELNS1_3repE0EEES8_NS1_28merge_sort_block_sort_configILj256ELj4ELNS0_20block_sort_algorithmE0EEENS0_14default_configENS1_37merge_sort_block_sort_config_selectorIiNS0_10empty_typeEEENS1_38merge_sort_block_merge_config_selectorIiSE_EEEEvv,comdat
	.protected	_ZN7rocprim17ROCPRIM_400000_NS6detail44device_merge_sort_compile_time_verifier_archINS1_11comp_targetILNS1_3genE5ELNS1_11target_archE942ELNS1_3gpuE9ELNS1_3repE0EEES8_NS1_28merge_sort_block_sort_configILj256ELj4ELNS0_20block_sort_algorithmE0EEENS0_14default_configENS1_37merge_sort_block_sort_config_selectorIiNS0_10empty_typeEEENS1_38merge_sort_block_merge_config_selectorIiSE_EEEEvv ; -- Begin function _ZN7rocprim17ROCPRIM_400000_NS6detail44device_merge_sort_compile_time_verifier_archINS1_11comp_targetILNS1_3genE5ELNS1_11target_archE942ELNS1_3gpuE9ELNS1_3repE0EEES8_NS1_28merge_sort_block_sort_configILj256ELj4ELNS0_20block_sort_algorithmE0EEENS0_14default_configENS1_37merge_sort_block_sort_config_selectorIiNS0_10empty_typeEEENS1_38merge_sort_block_merge_config_selectorIiSE_EEEEvv
	.globl	_ZN7rocprim17ROCPRIM_400000_NS6detail44device_merge_sort_compile_time_verifier_archINS1_11comp_targetILNS1_3genE5ELNS1_11target_archE942ELNS1_3gpuE9ELNS1_3repE0EEES8_NS1_28merge_sort_block_sort_configILj256ELj4ELNS0_20block_sort_algorithmE0EEENS0_14default_configENS1_37merge_sort_block_sort_config_selectorIiNS0_10empty_typeEEENS1_38merge_sort_block_merge_config_selectorIiSE_EEEEvv
	.p2align	8
	.type	_ZN7rocprim17ROCPRIM_400000_NS6detail44device_merge_sort_compile_time_verifier_archINS1_11comp_targetILNS1_3genE5ELNS1_11target_archE942ELNS1_3gpuE9ELNS1_3repE0EEES8_NS1_28merge_sort_block_sort_configILj256ELj4ELNS0_20block_sort_algorithmE0EEENS0_14default_configENS1_37merge_sort_block_sort_config_selectorIiNS0_10empty_typeEEENS1_38merge_sort_block_merge_config_selectorIiSE_EEEEvv,@function
_ZN7rocprim17ROCPRIM_400000_NS6detail44device_merge_sort_compile_time_verifier_archINS1_11comp_targetILNS1_3genE5ELNS1_11target_archE942ELNS1_3gpuE9ELNS1_3repE0EEES8_NS1_28merge_sort_block_sort_configILj256ELj4ELNS0_20block_sort_algorithmE0EEENS0_14default_configENS1_37merge_sort_block_sort_config_selectorIiNS0_10empty_typeEEENS1_38merge_sort_block_merge_config_selectorIiSE_EEEEvv: ; @_ZN7rocprim17ROCPRIM_400000_NS6detail44device_merge_sort_compile_time_verifier_archINS1_11comp_targetILNS1_3genE5ELNS1_11target_archE942ELNS1_3gpuE9ELNS1_3repE0EEES8_NS1_28merge_sort_block_sort_configILj256ELj4ELNS0_20block_sort_algorithmE0EEENS0_14default_configENS1_37merge_sort_block_sort_config_selectorIiNS0_10empty_typeEEENS1_38merge_sort_block_merge_config_selectorIiSE_EEEEvv
; %bb.0:
	s_endpgm
	.section	.rodata,"a",@progbits
	.p2align	6, 0x0
	.amdhsa_kernel _ZN7rocprim17ROCPRIM_400000_NS6detail44device_merge_sort_compile_time_verifier_archINS1_11comp_targetILNS1_3genE5ELNS1_11target_archE942ELNS1_3gpuE9ELNS1_3repE0EEES8_NS1_28merge_sort_block_sort_configILj256ELj4ELNS0_20block_sort_algorithmE0EEENS0_14default_configENS1_37merge_sort_block_sort_config_selectorIiNS0_10empty_typeEEENS1_38merge_sort_block_merge_config_selectorIiSE_EEEEvv
		.amdhsa_group_segment_fixed_size 0
		.amdhsa_private_segment_fixed_size 0
		.amdhsa_kernarg_size 0
		.amdhsa_user_sgpr_count 0
		.amdhsa_user_sgpr_dispatch_ptr 0
		.amdhsa_user_sgpr_queue_ptr 0
		.amdhsa_user_sgpr_kernarg_segment_ptr 0
		.amdhsa_user_sgpr_dispatch_id 0
		.amdhsa_user_sgpr_kernarg_preload_length 0
		.amdhsa_user_sgpr_kernarg_preload_offset 0
		.amdhsa_user_sgpr_private_segment_size 0
		.amdhsa_uses_dynamic_stack 0
		.amdhsa_enable_private_segment 0
		.amdhsa_system_sgpr_workgroup_id_x 1
		.amdhsa_system_sgpr_workgroup_id_y 0
		.amdhsa_system_sgpr_workgroup_id_z 0
		.amdhsa_system_sgpr_workgroup_info 0
		.amdhsa_system_vgpr_workitem_id 0
		.amdhsa_next_free_vgpr 1
		.amdhsa_next_free_sgpr 0
		.amdhsa_accum_offset 4
		.amdhsa_reserve_vcc 0
		.amdhsa_float_round_mode_32 0
		.amdhsa_float_round_mode_16_64 0
		.amdhsa_float_denorm_mode_32 3
		.amdhsa_float_denorm_mode_16_64 3
		.amdhsa_dx10_clamp 1
		.amdhsa_ieee_mode 1
		.amdhsa_fp16_overflow 0
		.amdhsa_tg_split 0
		.amdhsa_exception_fp_ieee_invalid_op 0
		.amdhsa_exception_fp_denorm_src 0
		.amdhsa_exception_fp_ieee_div_zero 0
		.amdhsa_exception_fp_ieee_overflow 0
		.amdhsa_exception_fp_ieee_underflow 0
		.amdhsa_exception_fp_ieee_inexact 0
		.amdhsa_exception_int_div_zero 0
	.end_amdhsa_kernel
	.section	.text._ZN7rocprim17ROCPRIM_400000_NS6detail44device_merge_sort_compile_time_verifier_archINS1_11comp_targetILNS1_3genE5ELNS1_11target_archE942ELNS1_3gpuE9ELNS1_3repE0EEES8_NS1_28merge_sort_block_sort_configILj256ELj4ELNS0_20block_sort_algorithmE0EEENS0_14default_configENS1_37merge_sort_block_sort_config_selectorIiNS0_10empty_typeEEENS1_38merge_sort_block_merge_config_selectorIiSE_EEEEvv,"axG",@progbits,_ZN7rocprim17ROCPRIM_400000_NS6detail44device_merge_sort_compile_time_verifier_archINS1_11comp_targetILNS1_3genE5ELNS1_11target_archE942ELNS1_3gpuE9ELNS1_3repE0EEES8_NS1_28merge_sort_block_sort_configILj256ELj4ELNS0_20block_sort_algorithmE0EEENS0_14default_configENS1_37merge_sort_block_sort_config_selectorIiNS0_10empty_typeEEENS1_38merge_sort_block_merge_config_selectorIiSE_EEEEvv,comdat
.Lfunc_end11:
	.size	_ZN7rocprim17ROCPRIM_400000_NS6detail44device_merge_sort_compile_time_verifier_archINS1_11comp_targetILNS1_3genE5ELNS1_11target_archE942ELNS1_3gpuE9ELNS1_3repE0EEES8_NS1_28merge_sort_block_sort_configILj256ELj4ELNS0_20block_sort_algorithmE0EEENS0_14default_configENS1_37merge_sort_block_sort_config_selectorIiNS0_10empty_typeEEENS1_38merge_sort_block_merge_config_selectorIiSE_EEEEvv, .Lfunc_end11-_ZN7rocprim17ROCPRIM_400000_NS6detail44device_merge_sort_compile_time_verifier_archINS1_11comp_targetILNS1_3genE5ELNS1_11target_archE942ELNS1_3gpuE9ELNS1_3repE0EEES8_NS1_28merge_sort_block_sort_configILj256ELj4ELNS0_20block_sort_algorithmE0EEENS0_14default_configENS1_37merge_sort_block_sort_config_selectorIiNS0_10empty_typeEEENS1_38merge_sort_block_merge_config_selectorIiSE_EEEEvv
                                        ; -- End function
	.set _ZN7rocprim17ROCPRIM_400000_NS6detail44device_merge_sort_compile_time_verifier_archINS1_11comp_targetILNS1_3genE5ELNS1_11target_archE942ELNS1_3gpuE9ELNS1_3repE0EEES8_NS1_28merge_sort_block_sort_configILj256ELj4ELNS0_20block_sort_algorithmE0EEENS0_14default_configENS1_37merge_sort_block_sort_config_selectorIiNS0_10empty_typeEEENS1_38merge_sort_block_merge_config_selectorIiSE_EEEEvv.num_vgpr, 0
	.set _ZN7rocprim17ROCPRIM_400000_NS6detail44device_merge_sort_compile_time_verifier_archINS1_11comp_targetILNS1_3genE5ELNS1_11target_archE942ELNS1_3gpuE9ELNS1_3repE0EEES8_NS1_28merge_sort_block_sort_configILj256ELj4ELNS0_20block_sort_algorithmE0EEENS0_14default_configENS1_37merge_sort_block_sort_config_selectorIiNS0_10empty_typeEEENS1_38merge_sort_block_merge_config_selectorIiSE_EEEEvv.num_agpr, 0
	.set _ZN7rocprim17ROCPRIM_400000_NS6detail44device_merge_sort_compile_time_verifier_archINS1_11comp_targetILNS1_3genE5ELNS1_11target_archE942ELNS1_3gpuE9ELNS1_3repE0EEES8_NS1_28merge_sort_block_sort_configILj256ELj4ELNS0_20block_sort_algorithmE0EEENS0_14default_configENS1_37merge_sort_block_sort_config_selectorIiNS0_10empty_typeEEENS1_38merge_sort_block_merge_config_selectorIiSE_EEEEvv.numbered_sgpr, 0
	.set _ZN7rocprim17ROCPRIM_400000_NS6detail44device_merge_sort_compile_time_verifier_archINS1_11comp_targetILNS1_3genE5ELNS1_11target_archE942ELNS1_3gpuE9ELNS1_3repE0EEES8_NS1_28merge_sort_block_sort_configILj256ELj4ELNS0_20block_sort_algorithmE0EEENS0_14default_configENS1_37merge_sort_block_sort_config_selectorIiNS0_10empty_typeEEENS1_38merge_sort_block_merge_config_selectorIiSE_EEEEvv.num_named_barrier, 0
	.set _ZN7rocprim17ROCPRIM_400000_NS6detail44device_merge_sort_compile_time_verifier_archINS1_11comp_targetILNS1_3genE5ELNS1_11target_archE942ELNS1_3gpuE9ELNS1_3repE0EEES8_NS1_28merge_sort_block_sort_configILj256ELj4ELNS0_20block_sort_algorithmE0EEENS0_14default_configENS1_37merge_sort_block_sort_config_selectorIiNS0_10empty_typeEEENS1_38merge_sort_block_merge_config_selectorIiSE_EEEEvv.private_seg_size, 0
	.set _ZN7rocprim17ROCPRIM_400000_NS6detail44device_merge_sort_compile_time_verifier_archINS1_11comp_targetILNS1_3genE5ELNS1_11target_archE942ELNS1_3gpuE9ELNS1_3repE0EEES8_NS1_28merge_sort_block_sort_configILj256ELj4ELNS0_20block_sort_algorithmE0EEENS0_14default_configENS1_37merge_sort_block_sort_config_selectorIiNS0_10empty_typeEEENS1_38merge_sort_block_merge_config_selectorIiSE_EEEEvv.uses_vcc, 0
	.set _ZN7rocprim17ROCPRIM_400000_NS6detail44device_merge_sort_compile_time_verifier_archINS1_11comp_targetILNS1_3genE5ELNS1_11target_archE942ELNS1_3gpuE9ELNS1_3repE0EEES8_NS1_28merge_sort_block_sort_configILj256ELj4ELNS0_20block_sort_algorithmE0EEENS0_14default_configENS1_37merge_sort_block_sort_config_selectorIiNS0_10empty_typeEEENS1_38merge_sort_block_merge_config_selectorIiSE_EEEEvv.uses_flat_scratch, 0
	.set _ZN7rocprim17ROCPRIM_400000_NS6detail44device_merge_sort_compile_time_verifier_archINS1_11comp_targetILNS1_3genE5ELNS1_11target_archE942ELNS1_3gpuE9ELNS1_3repE0EEES8_NS1_28merge_sort_block_sort_configILj256ELj4ELNS0_20block_sort_algorithmE0EEENS0_14default_configENS1_37merge_sort_block_sort_config_selectorIiNS0_10empty_typeEEENS1_38merge_sort_block_merge_config_selectorIiSE_EEEEvv.has_dyn_sized_stack, 0
	.set _ZN7rocprim17ROCPRIM_400000_NS6detail44device_merge_sort_compile_time_verifier_archINS1_11comp_targetILNS1_3genE5ELNS1_11target_archE942ELNS1_3gpuE9ELNS1_3repE0EEES8_NS1_28merge_sort_block_sort_configILj256ELj4ELNS0_20block_sort_algorithmE0EEENS0_14default_configENS1_37merge_sort_block_sort_config_selectorIiNS0_10empty_typeEEENS1_38merge_sort_block_merge_config_selectorIiSE_EEEEvv.has_recursion, 0
	.set _ZN7rocprim17ROCPRIM_400000_NS6detail44device_merge_sort_compile_time_verifier_archINS1_11comp_targetILNS1_3genE5ELNS1_11target_archE942ELNS1_3gpuE9ELNS1_3repE0EEES8_NS1_28merge_sort_block_sort_configILj256ELj4ELNS0_20block_sort_algorithmE0EEENS0_14default_configENS1_37merge_sort_block_sort_config_selectorIiNS0_10empty_typeEEENS1_38merge_sort_block_merge_config_selectorIiSE_EEEEvv.has_indirect_call, 0
	.section	.AMDGPU.csdata,"",@progbits
; Kernel info:
; codeLenInByte = 4
; TotalNumSgprs: 6
; NumVgprs: 0
; NumAgprs: 0
; TotalNumVgprs: 0
; ScratchSize: 0
; MemoryBound: 0
; FloatMode: 240
; IeeeMode: 1
; LDSByteSize: 0 bytes/workgroup (compile time only)
; SGPRBlocks: 0
; VGPRBlocks: 0
; NumSGPRsForWavesPerEU: 6
; NumVGPRsForWavesPerEU: 1
; AccumOffset: 4
; Occupancy: 8
; WaveLimiterHint : 0
; COMPUTE_PGM_RSRC2:SCRATCH_EN: 0
; COMPUTE_PGM_RSRC2:USER_SGPR: 0
; COMPUTE_PGM_RSRC2:TRAP_HANDLER: 0
; COMPUTE_PGM_RSRC2:TGID_X_EN: 1
; COMPUTE_PGM_RSRC2:TGID_Y_EN: 0
; COMPUTE_PGM_RSRC2:TGID_Z_EN: 0
; COMPUTE_PGM_RSRC2:TIDIG_COMP_CNT: 0
; COMPUTE_PGM_RSRC3_GFX90A:ACCUM_OFFSET: 0
; COMPUTE_PGM_RSRC3_GFX90A:TG_SPLIT: 0
	.section	.text._ZN7rocprim17ROCPRIM_400000_NS6detail44device_merge_sort_compile_time_verifier_archINS1_11comp_targetILNS1_3genE4ELNS1_11target_archE910ELNS1_3gpuE8ELNS1_3repE0EEES8_NS1_28merge_sort_block_sort_configILj256ELj4ELNS0_20block_sort_algorithmE0EEENS0_14default_configENS1_37merge_sort_block_sort_config_selectorIiNS0_10empty_typeEEENS1_38merge_sort_block_merge_config_selectorIiSE_EEEEvv,"axG",@progbits,_ZN7rocprim17ROCPRIM_400000_NS6detail44device_merge_sort_compile_time_verifier_archINS1_11comp_targetILNS1_3genE4ELNS1_11target_archE910ELNS1_3gpuE8ELNS1_3repE0EEES8_NS1_28merge_sort_block_sort_configILj256ELj4ELNS0_20block_sort_algorithmE0EEENS0_14default_configENS1_37merge_sort_block_sort_config_selectorIiNS0_10empty_typeEEENS1_38merge_sort_block_merge_config_selectorIiSE_EEEEvv,comdat
	.protected	_ZN7rocprim17ROCPRIM_400000_NS6detail44device_merge_sort_compile_time_verifier_archINS1_11comp_targetILNS1_3genE4ELNS1_11target_archE910ELNS1_3gpuE8ELNS1_3repE0EEES8_NS1_28merge_sort_block_sort_configILj256ELj4ELNS0_20block_sort_algorithmE0EEENS0_14default_configENS1_37merge_sort_block_sort_config_selectorIiNS0_10empty_typeEEENS1_38merge_sort_block_merge_config_selectorIiSE_EEEEvv ; -- Begin function _ZN7rocprim17ROCPRIM_400000_NS6detail44device_merge_sort_compile_time_verifier_archINS1_11comp_targetILNS1_3genE4ELNS1_11target_archE910ELNS1_3gpuE8ELNS1_3repE0EEES8_NS1_28merge_sort_block_sort_configILj256ELj4ELNS0_20block_sort_algorithmE0EEENS0_14default_configENS1_37merge_sort_block_sort_config_selectorIiNS0_10empty_typeEEENS1_38merge_sort_block_merge_config_selectorIiSE_EEEEvv
	.globl	_ZN7rocprim17ROCPRIM_400000_NS6detail44device_merge_sort_compile_time_verifier_archINS1_11comp_targetILNS1_3genE4ELNS1_11target_archE910ELNS1_3gpuE8ELNS1_3repE0EEES8_NS1_28merge_sort_block_sort_configILj256ELj4ELNS0_20block_sort_algorithmE0EEENS0_14default_configENS1_37merge_sort_block_sort_config_selectorIiNS0_10empty_typeEEENS1_38merge_sort_block_merge_config_selectorIiSE_EEEEvv
	.p2align	8
	.type	_ZN7rocprim17ROCPRIM_400000_NS6detail44device_merge_sort_compile_time_verifier_archINS1_11comp_targetILNS1_3genE4ELNS1_11target_archE910ELNS1_3gpuE8ELNS1_3repE0EEES8_NS1_28merge_sort_block_sort_configILj256ELj4ELNS0_20block_sort_algorithmE0EEENS0_14default_configENS1_37merge_sort_block_sort_config_selectorIiNS0_10empty_typeEEENS1_38merge_sort_block_merge_config_selectorIiSE_EEEEvv,@function
_ZN7rocprim17ROCPRIM_400000_NS6detail44device_merge_sort_compile_time_verifier_archINS1_11comp_targetILNS1_3genE4ELNS1_11target_archE910ELNS1_3gpuE8ELNS1_3repE0EEES8_NS1_28merge_sort_block_sort_configILj256ELj4ELNS0_20block_sort_algorithmE0EEENS0_14default_configENS1_37merge_sort_block_sort_config_selectorIiNS0_10empty_typeEEENS1_38merge_sort_block_merge_config_selectorIiSE_EEEEvv: ; @_ZN7rocprim17ROCPRIM_400000_NS6detail44device_merge_sort_compile_time_verifier_archINS1_11comp_targetILNS1_3genE4ELNS1_11target_archE910ELNS1_3gpuE8ELNS1_3repE0EEES8_NS1_28merge_sort_block_sort_configILj256ELj4ELNS0_20block_sort_algorithmE0EEENS0_14default_configENS1_37merge_sort_block_sort_config_selectorIiNS0_10empty_typeEEENS1_38merge_sort_block_merge_config_selectorIiSE_EEEEvv
; %bb.0:
	s_endpgm
	.section	.rodata,"a",@progbits
	.p2align	6, 0x0
	.amdhsa_kernel _ZN7rocprim17ROCPRIM_400000_NS6detail44device_merge_sort_compile_time_verifier_archINS1_11comp_targetILNS1_3genE4ELNS1_11target_archE910ELNS1_3gpuE8ELNS1_3repE0EEES8_NS1_28merge_sort_block_sort_configILj256ELj4ELNS0_20block_sort_algorithmE0EEENS0_14default_configENS1_37merge_sort_block_sort_config_selectorIiNS0_10empty_typeEEENS1_38merge_sort_block_merge_config_selectorIiSE_EEEEvv
		.amdhsa_group_segment_fixed_size 0
		.amdhsa_private_segment_fixed_size 0
		.amdhsa_kernarg_size 0
		.amdhsa_user_sgpr_count 0
		.amdhsa_user_sgpr_dispatch_ptr 0
		.amdhsa_user_sgpr_queue_ptr 0
		.amdhsa_user_sgpr_kernarg_segment_ptr 0
		.amdhsa_user_sgpr_dispatch_id 0
		.amdhsa_user_sgpr_kernarg_preload_length 0
		.amdhsa_user_sgpr_kernarg_preload_offset 0
		.amdhsa_user_sgpr_private_segment_size 0
		.amdhsa_uses_dynamic_stack 0
		.amdhsa_enable_private_segment 0
		.amdhsa_system_sgpr_workgroup_id_x 1
		.amdhsa_system_sgpr_workgroup_id_y 0
		.amdhsa_system_sgpr_workgroup_id_z 0
		.amdhsa_system_sgpr_workgroup_info 0
		.amdhsa_system_vgpr_workitem_id 0
		.amdhsa_next_free_vgpr 1
		.amdhsa_next_free_sgpr 0
		.amdhsa_accum_offset 4
		.amdhsa_reserve_vcc 0
		.amdhsa_float_round_mode_32 0
		.amdhsa_float_round_mode_16_64 0
		.amdhsa_float_denorm_mode_32 3
		.amdhsa_float_denorm_mode_16_64 3
		.amdhsa_dx10_clamp 1
		.amdhsa_ieee_mode 1
		.amdhsa_fp16_overflow 0
		.amdhsa_tg_split 0
		.amdhsa_exception_fp_ieee_invalid_op 0
		.amdhsa_exception_fp_denorm_src 0
		.amdhsa_exception_fp_ieee_div_zero 0
		.amdhsa_exception_fp_ieee_overflow 0
		.amdhsa_exception_fp_ieee_underflow 0
		.amdhsa_exception_fp_ieee_inexact 0
		.amdhsa_exception_int_div_zero 0
	.end_amdhsa_kernel
	.section	.text._ZN7rocprim17ROCPRIM_400000_NS6detail44device_merge_sort_compile_time_verifier_archINS1_11comp_targetILNS1_3genE4ELNS1_11target_archE910ELNS1_3gpuE8ELNS1_3repE0EEES8_NS1_28merge_sort_block_sort_configILj256ELj4ELNS0_20block_sort_algorithmE0EEENS0_14default_configENS1_37merge_sort_block_sort_config_selectorIiNS0_10empty_typeEEENS1_38merge_sort_block_merge_config_selectorIiSE_EEEEvv,"axG",@progbits,_ZN7rocprim17ROCPRIM_400000_NS6detail44device_merge_sort_compile_time_verifier_archINS1_11comp_targetILNS1_3genE4ELNS1_11target_archE910ELNS1_3gpuE8ELNS1_3repE0EEES8_NS1_28merge_sort_block_sort_configILj256ELj4ELNS0_20block_sort_algorithmE0EEENS0_14default_configENS1_37merge_sort_block_sort_config_selectorIiNS0_10empty_typeEEENS1_38merge_sort_block_merge_config_selectorIiSE_EEEEvv,comdat
.Lfunc_end12:
	.size	_ZN7rocprim17ROCPRIM_400000_NS6detail44device_merge_sort_compile_time_verifier_archINS1_11comp_targetILNS1_3genE4ELNS1_11target_archE910ELNS1_3gpuE8ELNS1_3repE0EEES8_NS1_28merge_sort_block_sort_configILj256ELj4ELNS0_20block_sort_algorithmE0EEENS0_14default_configENS1_37merge_sort_block_sort_config_selectorIiNS0_10empty_typeEEENS1_38merge_sort_block_merge_config_selectorIiSE_EEEEvv, .Lfunc_end12-_ZN7rocprim17ROCPRIM_400000_NS6detail44device_merge_sort_compile_time_verifier_archINS1_11comp_targetILNS1_3genE4ELNS1_11target_archE910ELNS1_3gpuE8ELNS1_3repE0EEES8_NS1_28merge_sort_block_sort_configILj256ELj4ELNS0_20block_sort_algorithmE0EEENS0_14default_configENS1_37merge_sort_block_sort_config_selectorIiNS0_10empty_typeEEENS1_38merge_sort_block_merge_config_selectorIiSE_EEEEvv
                                        ; -- End function
	.set _ZN7rocprim17ROCPRIM_400000_NS6detail44device_merge_sort_compile_time_verifier_archINS1_11comp_targetILNS1_3genE4ELNS1_11target_archE910ELNS1_3gpuE8ELNS1_3repE0EEES8_NS1_28merge_sort_block_sort_configILj256ELj4ELNS0_20block_sort_algorithmE0EEENS0_14default_configENS1_37merge_sort_block_sort_config_selectorIiNS0_10empty_typeEEENS1_38merge_sort_block_merge_config_selectorIiSE_EEEEvv.num_vgpr, 0
	.set _ZN7rocprim17ROCPRIM_400000_NS6detail44device_merge_sort_compile_time_verifier_archINS1_11comp_targetILNS1_3genE4ELNS1_11target_archE910ELNS1_3gpuE8ELNS1_3repE0EEES8_NS1_28merge_sort_block_sort_configILj256ELj4ELNS0_20block_sort_algorithmE0EEENS0_14default_configENS1_37merge_sort_block_sort_config_selectorIiNS0_10empty_typeEEENS1_38merge_sort_block_merge_config_selectorIiSE_EEEEvv.num_agpr, 0
	.set _ZN7rocprim17ROCPRIM_400000_NS6detail44device_merge_sort_compile_time_verifier_archINS1_11comp_targetILNS1_3genE4ELNS1_11target_archE910ELNS1_3gpuE8ELNS1_3repE0EEES8_NS1_28merge_sort_block_sort_configILj256ELj4ELNS0_20block_sort_algorithmE0EEENS0_14default_configENS1_37merge_sort_block_sort_config_selectorIiNS0_10empty_typeEEENS1_38merge_sort_block_merge_config_selectorIiSE_EEEEvv.numbered_sgpr, 0
	.set _ZN7rocprim17ROCPRIM_400000_NS6detail44device_merge_sort_compile_time_verifier_archINS1_11comp_targetILNS1_3genE4ELNS1_11target_archE910ELNS1_3gpuE8ELNS1_3repE0EEES8_NS1_28merge_sort_block_sort_configILj256ELj4ELNS0_20block_sort_algorithmE0EEENS0_14default_configENS1_37merge_sort_block_sort_config_selectorIiNS0_10empty_typeEEENS1_38merge_sort_block_merge_config_selectorIiSE_EEEEvv.num_named_barrier, 0
	.set _ZN7rocprim17ROCPRIM_400000_NS6detail44device_merge_sort_compile_time_verifier_archINS1_11comp_targetILNS1_3genE4ELNS1_11target_archE910ELNS1_3gpuE8ELNS1_3repE0EEES8_NS1_28merge_sort_block_sort_configILj256ELj4ELNS0_20block_sort_algorithmE0EEENS0_14default_configENS1_37merge_sort_block_sort_config_selectorIiNS0_10empty_typeEEENS1_38merge_sort_block_merge_config_selectorIiSE_EEEEvv.private_seg_size, 0
	.set _ZN7rocprim17ROCPRIM_400000_NS6detail44device_merge_sort_compile_time_verifier_archINS1_11comp_targetILNS1_3genE4ELNS1_11target_archE910ELNS1_3gpuE8ELNS1_3repE0EEES8_NS1_28merge_sort_block_sort_configILj256ELj4ELNS0_20block_sort_algorithmE0EEENS0_14default_configENS1_37merge_sort_block_sort_config_selectorIiNS0_10empty_typeEEENS1_38merge_sort_block_merge_config_selectorIiSE_EEEEvv.uses_vcc, 0
	.set _ZN7rocprim17ROCPRIM_400000_NS6detail44device_merge_sort_compile_time_verifier_archINS1_11comp_targetILNS1_3genE4ELNS1_11target_archE910ELNS1_3gpuE8ELNS1_3repE0EEES8_NS1_28merge_sort_block_sort_configILj256ELj4ELNS0_20block_sort_algorithmE0EEENS0_14default_configENS1_37merge_sort_block_sort_config_selectorIiNS0_10empty_typeEEENS1_38merge_sort_block_merge_config_selectorIiSE_EEEEvv.uses_flat_scratch, 0
	.set _ZN7rocprim17ROCPRIM_400000_NS6detail44device_merge_sort_compile_time_verifier_archINS1_11comp_targetILNS1_3genE4ELNS1_11target_archE910ELNS1_3gpuE8ELNS1_3repE0EEES8_NS1_28merge_sort_block_sort_configILj256ELj4ELNS0_20block_sort_algorithmE0EEENS0_14default_configENS1_37merge_sort_block_sort_config_selectorIiNS0_10empty_typeEEENS1_38merge_sort_block_merge_config_selectorIiSE_EEEEvv.has_dyn_sized_stack, 0
	.set _ZN7rocprim17ROCPRIM_400000_NS6detail44device_merge_sort_compile_time_verifier_archINS1_11comp_targetILNS1_3genE4ELNS1_11target_archE910ELNS1_3gpuE8ELNS1_3repE0EEES8_NS1_28merge_sort_block_sort_configILj256ELj4ELNS0_20block_sort_algorithmE0EEENS0_14default_configENS1_37merge_sort_block_sort_config_selectorIiNS0_10empty_typeEEENS1_38merge_sort_block_merge_config_selectorIiSE_EEEEvv.has_recursion, 0
	.set _ZN7rocprim17ROCPRIM_400000_NS6detail44device_merge_sort_compile_time_verifier_archINS1_11comp_targetILNS1_3genE4ELNS1_11target_archE910ELNS1_3gpuE8ELNS1_3repE0EEES8_NS1_28merge_sort_block_sort_configILj256ELj4ELNS0_20block_sort_algorithmE0EEENS0_14default_configENS1_37merge_sort_block_sort_config_selectorIiNS0_10empty_typeEEENS1_38merge_sort_block_merge_config_selectorIiSE_EEEEvv.has_indirect_call, 0
	.section	.AMDGPU.csdata,"",@progbits
; Kernel info:
; codeLenInByte = 4
; TotalNumSgprs: 6
; NumVgprs: 0
; NumAgprs: 0
; TotalNumVgprs: 0
; ScratchSize: 0
; MemoryBound: 0
; FloatMode: 240
; IeeeMode: 1
; LDSByteSize: 0 bytes/workgroup (compile time only)
; SGPRBlocks: 0
; VGPRBlocks: 0
; NumSGPRsForWavesPerEU: 6
; NumVGPRsForWavesPerEU: 1
; AccumOffset: 4
; Occupancy: 8
; WaveLimiterHint : 0
; COMPUTE_PGM_RSRC2:SCRATCH_EN: 0
; COMPUTE_PGM_RSRC2:USER_SGPR: 0
; COMPUTE_PGM_RSRC2:TRAP_HANDLER: 0
; COMPUTE_PGM_RSRC2:TGID_X_EN: 1
; COMPUTE_PGM_RSRC2:TGID_Y_EN: 0
; COMPUTE_PGM_RSRC2:TGID_Z_EN: 0
; COMPUTE_PGM_RSRC2:TIDIG_COMP_CNT: 0
; COMPUTE_PGM_RSRC3_GFX90A:ACCUM_OFFSET: 0
; COMPUTE_PGM_RSRC3_GFX90A:TG_SPLIT: 0
	.section	.text._ZN7rocprim17ROCPRIM_400000_NS6detail44device_merge_sort_compile_time_verifier_archINS1_11comp_targetILNS1_3genE3ELNS1_11target_archE908ELNS1_3gpuE7ELNS1_3repE0EEES8_NS1_28merge_sort_block_sort_configILj256ELj4ELNS0_20block_sort_algorithmE0EEENS0_14default_configENS1_37merge_sort_block_sort_config_selectorIiNS0_10empty_typeEEENS1_38merge_sort_block_merge_config_selectorIiSE_EEEEvv,"axG",@progbits,_ZN7rocprim17ROCPRIM_400000_NS6detail44device_merge_sort_compile_time_verifier_archINS1_11comp_targetILNS1_3genE3ELNS1_11target_archE908ELNS1_3gpuE7ELNS1_3repE0EEES8_NS1_28merge_sort_block_sort_configILj256ELj4ELNS0_20block_sort_algorithmE0EEENS0_14default_configENS1_37merge_sort_block_sort_config_selectorIiNS0_10empty_typeEEENS1_38merge_sort_block_merge_config_selectorIiSE_EEEEvv,comdat
	.protected	_ZN7rocprim17ROCPRIM_400000_NS6detail44device_merge_sort_compile_time_verifier_archINS1_11comp_targetILNS1_3genE3ELNS1_11target_archE908ELNS1_3gpuE7ELNS1_3repE0EEES8_NS1_28merge_sort_block_sort_configILj256ELj4ELNS0_20block_sort_algorithmE0EEENS0_14default_configENS1_37merge_sort_block_sort_config_selectorIiNS0_10empty_typeEEENS1_38merge_sort_block_merge_config_selectorIiSE_EEEEvv ; -- Begin function _ZN7rocprim17ROCPRIM_400000_NS6detail44device_merge_sort_compile_time_verifier_archINS1_11comp_targetILNS1_3genE3ELNS1_11target_archE908ELNS1_3gpuE7ELNS1_3repE0EEES8_NS1_28merge_sort_block_sort_configILj256ELj4ELNS0_20block_sort_algorithmE0EEENS0_14default_configENS1_37merge_sort_block_sort_config_selectorIiNS0_10empty_typeEEENS1_38merge_sort_block_merge_config_selectorIiSE_EEEEvv
	.globl	_ZN7rocprim17ROCPRIM_400000_NS6detail44device_merge_sort_compile_time_verifier_archINS1_11comp_targetILNS1_3genE3ELNS1_11target_archE908ELNS1_3gpuE7ELNS1_3repE0EEES8_NS1_28merge_sort_block_sort_configILj256ELj4ELNS0_20block_sort_algorithmE0EEENS0_14default_configENS1_37merge_sort_block_sort_config_selectorIiNS0_10empty_typeEEENS1_38merge_sort_block_merge_config_selectorIiSE_EEEEvv
	.p2align	8
	.type	_ZN7rocprim17ROCPRIM_400000_NS6detail44device_merge_sort_compile_time_verifier_archINS1_11comp_targetILNS1_3genE3ELNS1_11target_archE908ELNS1_3gpuE7ELNS1_3repE0EEES8_NS1_28merge_sort_block_sort_configILj256ELj4ELNS0_20block_sort_algorithmE0EEENS0_14default_configENS1_37merge_sort_block_sort_config_selectorIiNS0_10empty_typeEEENS1_38merge_sort_block_merge_config_selectorIiSE_EEEEvv,@function
_ZN7rocprim17ROCPRIM_400000_NS6detail44device_merge_sort_compile_time_verifier_archINS1_11comp_targetILNS1_3genE3ELNS1_11target_archE908ELNS1_3gpuE7ELNS1_3repE0EEES8_NS1_28merge_sort_block_sort_configILj256ELj4ELNS0_20block_sort_algorithmE0EEENS0_14default_configENS1_37merge_sort_block_sort_config_selectorIiNS0_10empty_typeEEENS1_38merge_sort_block_merge_config_selectorIiSE_EEEEvv: ; @_ZN7rocprim17ROCPRIM_400000_NS6detail44device_merge_sort_compile_time_verifier_archINS1_11comp_targetILNS1_3genE3ELNS1_11target_archE908ELNS1_3gpuE7ELNS1_3repE0EEES8_NS1_28merge_sort_block_sort_configILj256ELj4ELNS0_20block_sort_algorithmE0EEENS0_14default_configENS1_37merge_sort_block_sort_config_selectorIiNS0_10empty_typeEEENS1_38merge_sort_block_merge_config_selectorIiSE_EEEEvv
; %bb.0:
	s_endpgm
	.section	.rodata,"a",@progbits
	.p2align	6, 0x0
	.amdhsa_kernel _ZN7rocprim17ROCPRIM_400000_NS6detail44device_merge_sort_compile_time_verifier_archINS1_11comp_targetILNS1_3genE3ELNS1_11target_archE908ELNS1_3gpuE7ELNS1_3repE0EEES8_NS1_28merge_sort_block_sort_configILj256ELj4ELNS0_20block_sort_algorithmE0EEENS0_14default_configENS1_37merge_sort_block_sort_config_selectorIiNS0_10empty_typeEEENS1_38merge_sort_block_merge_config_selectorIiSE_EEEEvv
		.amdhsa_group_segment_fixed_size 0
		.amdhsa_private_segment_fixed_size 0
		.amdhsa_kernarg_size 0
		.amdhsa_user_sgpr_count 0
		.amdhsa_user_sgpr_dispatch_ptr 0
		.amdhsa_user_sgpr_queue_ptr 0
		.amdhsa_user_sgpr_kernarg_segment_ptr 0
		.amdhsa_user_sgpr_dispatch_id 0
		.amdhsa_user_sgpr_kernarg_preload_length 0
		.amdhsa_user_sgpr_kernarg_preload_offset 0
		.amdhsa_user_sgpr_private_segment_size 0
		.amdhsa_uses_dynamic_stack 0
		.amdhsa_enable_private_segment 0
		.amdhsa_system_sgpr_workgroup_id_x 1
		.amdhsa_system_sgpr_workgroup_id_y 0
		.amdhsa_system_sgpr_workgroup_id_z 0
		.amdhsa_system_sgpr_workgroup_info 0
		.amdhsa_system_vgpr_workitem_id 0
		.amdhsa_next_free_vgpr 1
		.amdhsa_next_free_sgpr 0
		.amdhsa_accum_offset 4
		.amdhsa_reserve_vcc 0
		.amdhsa_float_round_mode_32 0
		.amdhsa_float_round_mode_16_64 0
		.amdhsa_float_denorm_mode_32 3
		.amdhsa_float_denorm_mode_16_64 3
		.amdhsa_dx10_clamp 1
		.amdhsa_ieee_mode 1
		.amdhsa_fp16_overflow 0
		.amdhsa_tg_split 0
		.amdhsa_exception_fp_ieee_invalid_op 0
		.amdhsa_exception_fp_denorm_src 0
		.amdhsa_exception_fp_ieee_div_zero 0
		.amdhsa_exception_fp_ieee_overflow 0
		.amdhsa_exception_fp_ieee_underflow 0
		.amdhsa_exception_fp_ieee_inexact 0
		.amdhsa_exception_int_div_zero 0
	.end_amdhsa_kernel
	.section	.text._ZN7rocprim17ROCPRIM_400000_NS6detail44device_merge_sort_compile_time_verifier_archINS1_11comp_targetILNS1_3genE3ELNS1_11target_archE908ELNS1_3gpuE7ELNS1_3repE0EEES8_NS1_28merge_sort_block_sort_configILj256ELj4ELNS0_20block_sort_algorithmE0EEENS0_14default_configENS1_37merge_sort_block_sort_config_selectorIiNS0_10empty_typeEEENS1_38merge_sort_block_merge_config_selectorIiSE_EEEEvv,"axG",@progbits,_ZN7rocprim17ROCPRIM_400000_NS6detail44device_merge_sort_compile_time_verifier_archINS1_11comp_targetILNS1_3genE3ELNS1_11target_archE908ELNS1_3gpuE7ELNS1_3repE0EEES8_NS1_28merge_sort_block_sort_configILj256ELj4ELNS0_20block_sort_algorithmE0EEENS0_14default_configENS1_37merge_sort_block_sort_config_selectorIiNS0_10empty_typeEEENS1_38merge_sort_block_merge_config_selectorIiSE_EEEEvv,comdat
.Lfunc_end13:
	.size	_ZN7rocprim17ROCPRIM_400000_NS6detail44device_merge_sort_compile_time_verifier_archINS1_11comp_targetILNS1_3genE3ELNS1_11target_archE908ELNS1_3gpuE7ELNS1_3repE0EEES8_NS1_28merge_sort_block_sort_configILj256ELj4ELNS0_20block_sort_algorithmE0EEENS0_14default_configENS1_37merge_sort_block_sort_config_selectorIiNS0_10empty_typeEEENS1_38merge_sort_block_merge_config_selectorIiSE_EEEEvv, .Lfunc_end13-_ZN7rocprim17ROCPRIM_400000_NS6detail44device_merge_sort_compile_time_verifier_archINS1_11comp_targetILNS1_3genE3ELNS1_11target_archE908ELNS1_3gpuE7ELNS1_3repE0EEES8_NS1_28merge_sort_block_sort_configILj256ELj4ELNS0_20block_sort_algorithmE0EEENS0_14default_configENS1_37merge_sort_block_sort_config_selectorIiNS0_10empty_typeEEENS1_38merge_sort_block_merge_config_selectorIiSE_EEEEvv
                                        ; -- End function
	.set _ZN7rocprim17ROCPRIM_400000_NS6detail44device_merge_sort_compile_time_verifier_archINS1_11comp_targetILNS1_3genE3ELNS1_11target_archE908ELNS1_3gpuE7ELNS1_3repE0EEES8_NS1_28merge_sort_block_sort_configILj256ELj4ELNS0_20block_sort_algorithmE0EEENS0_14default_configENS1_37merge_sort_block_sort_config_selectorIiNS0_10empty_typeEEENS1_38merge_sort_block_merge_config_selectorIiSE_EEEEvv.num_vgpr, 0
	.set _ZN7rocprim17ROCPRIM_400000_NS6detail44device_merge_sort_compile_time_verifier_archINS1_11comp_targetILNS1_3genE3ELNS1_11target_archE908ELNS1_3gpuE7ELNS1_3repE0EEES8_NS1_28merge_sort_block_sort_configILj256ELj4ELNS0_20block_sort_algorithmE0EEENS0_14default_configENS1_37merge_sort_block_sort_config_selectorIiNS0_10empty_typeEEENS1_38merge_sort_block_merge_config_selectorIiSE_EEEEvv.num_agpr, 0
	.set _ZN7rocprim17ROCPRIM_400000_NS6detail44device_merge_sort_compile_time_verifier_archINS1_11comp_targetILNS1_3genE3ELNS1_11target_archE908ELNS1_3gpuE7ELNS1_3repE0EEES8_NS1_28merge_sort_block_sort_configILj256ELj4ELNS0_20block_sort_algorithmE0EEENS0_14default_configENS1_37merge_sort_block_sort_config_selectorIiNS0_10empty_typeEEENS1_38merge_sort_block_merge_config_selectorIiSE_EEEEvv.numbered_sgpr, 0
	.set _ZN7rocprim17ROCPRIM_400000_NS6detail44device_merge_sort_compile_time_verifier_archINS1_11comp_targetILNS1_3genE3ELNS1_11target_archE908ELNS1_3gpuE7ELNS1_3repE0EEES8_NS1_28merge_sort_block_sort_configILj256ELj4ELNS0_20block_sort_algorithmE0EEENS0_14default_configENS1_37merge_sort_block_sort_config_selectorIiNS0_10empty_typeEEENS1_38merge_sort_block_merge_config_selectorIiSE_EEEEvv.num_named_barrier, 0
	.set _ZN7rocprim17ROCPRIM_400000_NS6detail44device_merge_sort_compile_time_verifier_archINS1_11comp_targetILNS1_3genE3ELNS1_11target_archE908ELNS1_3gpuE7ELNS1_3repE0EEES8_NS1_28merge_sort_block_sort_configILj256ELj4ELNS0_20block_sort_algorithmE0EEENS0_14default_configENS1_37merge_sort_block_sort_config_selectorIiNS0_10empty_typeEEENS1_38merge_sort_block_merge_config_selectorIiSE_EEEEvv.private_seg_size, 0
	.set _ZN7rocprim17ROCPRIM_400000_NS6detail44device_merge_sort_compile_time_verifier_archINS1_11comp_targetILNS1_3genE3ELNS1_11target_archE908ELNS1_3gpuE7ELNS1_3repE0EEES8_NS1_28merge_sort_block_sort_configILj256ELj4ELNS0_20block_sort_algorithmE0EEENS0_14default_configENS1_37merge_sort_block_sort_config_selectorIiNS0_10empty_typeEEENS1_38merge_sort_block_merge_config_selectorIiSE_EEEEvv.uses_vcc, 0
	.set _ZN7rocprim17ROCPRIM_400000_NS6detail44device_merge_sort_compile_time_verifier_archINS1_11comp_targetILNS1_3genE3ELNS1_11target_archE908ELNS1_3gpuE7ELNS1_3repE0EEES8_NS1_28merge_sort_block_sort_configILj256ELj4ELNS0_20block_sort_algorithmE0EEENS0_14default_configENS1_37merge_sort_block_sort_config_selectorIiNS0_10empty_typeEEENS1_38merge_sort_block_merge_config_selectorIiSE_EEEEvv.uses_flat_scratch, 0
	.set _ZN7rocprim17ROCPRIM_400000_NS6detail44device_merge_sort_compile_time_verifier_archINS1_11comp_targetILNS1_3genE3ELNS1_11target_archE908ELNS1_3gpuE7ELNS1_3repE0EEES8_NS1_28merge_sort_block_sort_configILj256ELj4ELNS0_20block_sort_algorithmE0EEENS0_14default_configENS1_37merge_sort_block_sort_config_selectorIiNS0_10empty_typeEEENS1_38merge_sort_block_merge_config_selectorIiSE_EEEEvv.has_dyn_sized_stack, 0
	.set _ZN7rocprim17ROCPRIM_400000_NS6detail44device_merge_sort_compile_time_verifier_archINS1_11comp_targetILNS1_3genE3ELNS1_11target_archE908ELNS1_3gpuE7ELNS1_3repE0EEES8_NS1_28merge_sort_block_sort_configILj256ELj4ELNS0_20block_sort_algorithmE0EEENS0_14default_configENS1_37merge_sort_block_sort_config_selectorIiNS0_10empty_typeEEENS1_38merge_sort_block_merge_config_selectorIiSE_EEEEvv.has_recursion, 0
	.set _ZN7rocprim17ROCPRIM_400000_NS6detail44device_merge_sort_compile_time_verifier_archINS1_11comp_targetILNS1_3genE3ELNS1_11target_archE908ELNS1_3gpuE7ELNS1_3repE0EEES8_NS1_28merge_sort_block_sort_configILj256ELj4ELNS0_20block_sort_algorithmE0EEENS0_14default_configENS1_37merge_sort_block_sort_config_selectorIiNS0_10empty_typeEEENS1_38merge_sort_block_merge_config_selectorIiSE_EEEEvv.has_indirect_call, 0
	.section	.AMDGPU.csdata,"",@progbits
; Kernel info:
; codeLenInByte = 4
; TotalNumSgprs: 6
; NumVgprs: 0
; NumAgprs: 0
; TotalNumVgprs: 0
; ScratchSize: 0
; MemoryBound: 0
; FloatMode: 240
; IeeeMode: 1
; LDSByteSize: 0 bytes/workgroup (compile time only)
; SGPRBlocks: 0
; VGPRBlocks: 0
; NumSGPRsForWavesPerEU: 6
; NumVGPRsForWavesPerEU: 1
; AccumOffset: 4
; Occupancy: 8
; WaveLimiterHint : 0
; COMPUTE_PGM_RSRC2:SCRATCH_EN: 0
; COMPUTE_PGM_RSRC2:USER_SGPR: 0
; COMPUTE_PGM_RSRC2:TRAP_HANDLER: 0
; COMPUTE_PGM_RSRC2:TGID_X_EN: 1
; COMPUTE_PGM_RSRC2:TGID_Y_EN: 0
; COMPUTE_PGM_RSRC2:TGID_Z_EN: 0
; COMPUTE_PGM_RSRC2:TIDIG_COMP_CNT: 0
; COMPUTE_PGM_RSRC3_GFX90A:ACCUM_OFFSET: 0
; COMPUTE_PGM_RSRC3_GFX90A:TG_SPLIT: 0
	.section	.text._ZN7rocprim17ROCPRIM_400000_NS6detail44device_merge_sort_compile_time_verifier_archINS1_11comp_targetILNS1_3genE2ELNS1_11target_archE906ELNS1_3gpuE6ELNS1_3repE0EEES8_NS1_28merge_sort_block_sort_configILj256ELj4ELNS0_20block_sort_algorithmE0EEENS0_14default_configENS1_37merge_sort_block_sort_config_selectorIiNS0_10empty_typeEEENS1_38merge_sort_block_merge_config_selectorIiSE_EEEEvv,"axG",@progbits,_ZN7rocprim17ROCPRIM_400000_NS6detail44device_merge_sort_compile_time_verifier_archINS1_11comp_targetILNS1_3genE2ELNS1_11target_archE906ELNS1_3gpuE6ELNS1_3repE0EEES8_NS1_28merge_sort_block_sort_configILj256ELj4ELNS0_20block_sort_algorithmE0EEENS0_14default_configENS1_37merge_sort_block_sort_config_selectorIiNS0_10empty_typeEEENS1_38merge_sort_block_merge_config_selectorIiSE_EEEEvv,comdat
	.protected	_ZN7rocprim17ROCPRIM_400000_NS6detail44device_merge_sort_compile_time_verifier_archINS1_11comp_targetILNS1_3genE2ELNS1_11target_archE906ELNS1_3gpuE6ELNS1_3repE0EEES8_NS1_28merge_sort_block_sort_configILj256ELj4ELNS0_20block_sort_algorithmE0EEENS0_14default_configENS1_37merge_sort_block_sort_config_selectorIiNS0_10empty_typeEEENS1_38merge_sort_block_merge_config_selectorIiSE_EEEEvv ; -- Begin function _ZN7rocprim17ROCPRIM_400000_NS6detail44device_merge_sort_compile_time_verifier_archINS1_11comp_targetILNS1_3genE2ELNS1_11target_archE906ELNS1_3gpuE6ELNS1_3repE0EEES8_NS1_28merge_sort_block_sort_configILj256ELj4ELNS0_20block_sort_algorithmE0EEENS0_14default_configENS1_37merge_sort_block_sort_config_selectorIiNS0_10empty_typeEEENS1_38merge_sort_block_merge_config_selectorIiSE_EEEEvv
	.globl	_ZN7rocprim17ROCPRIM_400000_NS6detail44device_merge_sort_compile_time_verifier_archINS1_11comp_targetILNS1_3genE2ELNS1_11target_archE906ELNS1_3gpuE6ELNS1_3repE0EEES8_NS1_28merge_sort_block_sort_configILj256ELj4ELNS0_20block_sort_algorithmE0EEENS0_14default_configENS1_37merge_sort_block_sort_config_selectorIiNS0_10empty_typeEEENS1_38merge_sort_block_merge_config_selectorIiSE_EEEEvv
	.p2align	8
	.type	_ZN7rocprim17ROCPRIM_400000_NS6detail44device_merge_sort_compile_time_verifier_archINS1_11comp_targetILNS1_3genE2ELNS1_11target_archE906ELNS1_3gpuE6ELNS1_3repE0EEES8_NS1_28merge_sort_block_sort_configILj256ELj4ELNS0_20block_sort_algorithmE0EEENS0_14default_configENS1_37merge_sort_block_sort_config_selectorIiNS0_10empty_typeEEENS1_38merge_sort_block_merge_config_selectorIiSE_EEEEvv,@function
_ZN7rocprim17ROCPRIM_400000_NS6detail44device_merge_sort_compile_time_verifier_archINS1_11comp_targetILNS1_3genE2ELNS1_11target_archE906ELNS1_3gpuE6ELNS1_3repE0EEES8_NS1_28merge_sort_block_sort_configILj256ELj4ELNS0_20block_sort_algorithmE0EEENS0_14default_configENS1_37merge_sort_block_sort_config_selectorIiNS0_10empty_typeEEENS1_38merge_sort_block_merge_config_selectorIiSE_EEEEvv: ; @_ZN7rocprim17ROCPRIM_400000_NS6detail44device_merge_sort_compile_time_verifier_archINS1_11comp_targetILNS1_3genE2ELNS1_11target_archE906ELNS1_3gpuE6ELNS1_3repE0EEES8_NS1_28merge_sort_block_sort_configILj256ELj4ELNS0_20block_sort_algorithmE0EEENS0_14default_configENS1_37merge_sort_block_sort_config_selectorIiNS0_10empty_typeEEENS1_38merge_sort_block_merge_config_selectorIiSE_EEEEvv
; %bb.0:
	s_endpgm
	.section	.rodata,"a",@progbits
	.p2align	6, 0x0
	.amdhsa_kernel _ZN7rocprim17ROCPRIM_400000_NS6detail44device_merge_sort_compile_time_verifier_archINS1_11comp_targetILNS1_3genE2ELNS1_11target_archE906ELNS1_3gpuE6ELNS1_3repE0EEES8_NS1_28merge_sort_block_sort_configILj256ELj4ELNS0_20block_sort_algorithmE0EEENS0_14default_configENS1_37merge_sort_block_sort_config_selectorIiNS0_10empty_typeEEENS1_38merge_sort_block_merge_config_selectorIiSE_EEEEvv
		.amdhsa_group_segment_fixed_size 0
		.amdhsa_private_segment_fixed_size 0
		.amdhsa_kernarg_size 0
		.amdhsa_user_sgpr_count 0
		.amdhsa_user_sgpr_dispatch_ptr 0
		.amdhsa_user_sgpr_queue_ptr 0
		.amdhsa_user_sgpr_kernarg_segment_ptr 0
		.amdhsa_user_sgpr_dispatch_id 0
		.amdhsa_user_sgpr_kernarg_preload_length 0
		.amdhsa_user_sgpr_kernarg_preload_offset 0
		.amdhsa_user_sgpr_private_segment_size 0
		.amdhsa_uses_dynamic_stack 0
		.amdhsa_enable_private_segment 0
		.amdhsa_system_sgpr_workgroup_id_x 1
		.amdhsa_system_sgpr_workgroup_id_y 0
		.amdhsa_system_sgpr_workgroup_id_z 0
		.amdhsa_system_sgpr_workgroup_info 0
		.amdhsa_system_vgpr_workitem_id 0
		.amdhsa_next_free_vgpr 1
		.amdhsa_next_free_sgpr 0
		.amdhsa_accum_offset 4
		.amdhsa_reserve_vcc 0
		.amdhsa_float_round_mode_32 0
		.amdhsa_float_round_mode_16_64 0
		.amdhsa_float_denorm_mode_32 3
		.amdhsa_float_denorm_mode_16_64 3
		.amdhsa_dx10_clamp 1
		.amdhsa_ieee_mode 1
		.amdhsa_fp16_overflow 0
		.amdhsa_tg_split 0
		.amdhsa_exception_fp_ieee_invalid_op 0
		.amdhsa_exception_fp_denorm_src 0
		.amdhsa_exception_fp_ieee_div_zero 0
		.amdhsa_exception_fp_ieee_overflow 0
		.amdhsa_exception_fp_ieee_underflow 0
		.amdhsa_exception_fp_ieee_inexact 0
		.amdhsa_exception_int_div_zero 0
	.end_amdhsa_kernel
	.section	.text._ZN7rocprim17ROCPRIM_400000_NS6detail44device_merge_sort_compile_time_verifier_archINS1_11comp_targetILNS1_3genE2ELNS1_11target_archE906ELNS1_3gpuE6ELNS1_3repE0EEES8_NS1_28merge_sort_block_sort_configILj256ELj4ELNS0_20block_sort_algorithmE0EEENS0_14default_configENS1_37merge_sort_block_sort_config_selectorIiNS0_10empty_typeEEENS1_38merge_sort_block_merge_config_selectorIiSE_EEEEvv,"axG",@progbits,_ZN7rocprim17ROCPRIM_400000_NS6detail44device_merge_sort_compile_time_verifier_archINS1_11comp_targetILNS1_3genE2ELNS1_11target_archE906ELNS1_3gpuE6ELNS1_3repE0EEES8_NS1_28merge_sort_block_sort_configILj256ELj4ELNS0_20block_sort_algorithmE0EEENS0_14default_configENS1_37merge_sort_block_sort_config_selectorIiNS0_10empty_typeEEENS1_38merge_sort_block_merge_config_selectorIiSE_EEEEvv,comdat
.Lfunc_end14:
	.size	_ZN7rocprim17ROCPRIM_400000_NS6detail44device_merge_sort_compile_time_verifier_archINS1_11comp_targetILNS1_3genE2ELNS1_11target_archE906ELNS1_3gpuE6ELNS1_3repE0EEES8_NS1_28merge_sort_block_sort_configILj256ELj4ELNS0_20block_sort_algorithmE0EEENS0_14default_configENS1_37merge_sort_block_sort_config_selectorIiNS0_10empty_typeEEENS1_38merge_sort_block_merge_config_selectorIiSE_EEEEvv, .Lfunc_end14-_ZN7rocprim17ROCPRIM_400000_NS6detail44device_merge_sort_compile_time_verifier_archINS1_11comp_targetILNS1_3genE2ELNS1_11target_archE906ELNS1_3gpuE6ELNS1_3repE0EEES8_NS1_28merge_sort_block_sort_configILj256ELj4ELNS0_20block_sort_algorithmE0EEENS0_14default_configENS1_37merge_sort_block_sort_config_selectorIiNS0_10empty_typeEEENS1_38merge_sort_block_merge_config_selectorIiSE_EEEEvv
                                        ; -- End function
	.set _ZN7rocprim17ROCPRIM_400000_NS6detail44device_merge_sort_compile_time_verifier_archINS1_11comp_targetILNS1_3genE2ELNS1_11target_archE906ELNS1_3gpuE6ELNS1_3repE0EEES8_NS1_28merge_sort_block_sort_configILj256ELj4ELNS0_20block_sort_algorithmE0EEENS0_14default_configENS1_37merge_sort_block_sort_config_selectorIiNS0_10empty_typeEEENS1_38merge_sort_block_merge_config_selectorIiSE_EEEEvv.num_vgpr, 0
	.set _ZN7rocprim17ROCPRIM_400000_NS6detail44device_merge_sort_compile_time_verifier_archINS1_11comp_targetILNS1_3genE2ELNS1_11target_archE906ELNS1_3gpuE6ELNS1_3repE0EEES8_NS1_28merge_sort_block_sort_configILj256ELj4ELNS0_20block_sort_algorithmE0EEENS0_14default_configENS1_37merge_sort_block_sort_config_selectorIiNS0_10empty_typeEEENS1_38merge_sort_block_merge_config_selectorIiSE_EEEEvv.num_agpr, 0
	.set _ZN7rocprim17ROCPRIM_400000_NS6detail44device_merge_sort_compile_time_verifier_archINS1_11comp_targetILNS1_3genE2ELNS1_11target_archE906ELNS1_3gpuE6ELNS1_3repE0EEES8_NS1_28merge_sort_block_sort_configILj256ELj4ELNS0_20block_sort_algorithmE0EEENS0_14default_configENS1_37merge_sort_block_sort_config_selectorIiNS0_10empty_typeEEENS1_38merge_sort_block_merge_config_selectorIiSE_EEEEvv.numbered_sgpr, 0
	.set _ZN7rocprim17ROCPRIM_400000_NS6detail44device_merge_sort_compile_time_verifier_archINS1_11comp_targetILNS1_3genE2ELNS1_11target_archE906ELNS1_3gpuE6ELNS1_3repE0EEES8_NS1_28merge_sort_block_sort_configILj256ELj4ELNS0_20block_sort_algorithmE0EEENS0_14default_configENS1_37merge_sort_block_sort_config_selectorIiNS0_10empty_typeEEENS1_38merge_sort_block_merge_config_selectorIiSE_EEEEvv.num_named_barrier, 0
	.set _ZN7rocprim17ROCPRIM_400000_NS6detail44device_merge_sort_compile_time_verifier_archINS1_11comp_targetILNS1_3genE2ELNS1_11target_archE906ELNS1_3gpuE6ELNS1_3repE0EEES8_NS1_28merge_sort_block_sort_configILj256ELj4ELNS0_20block_sort_algorithmE0EEENS0_14default_configENS1_37merge_sort_block_sort_config_selectorIiNS0_10empty_typeEEENS1_38merge_sort_block_merge_config_selectorIiSE_EEEEvv.private_seg_size, 0
	.set _ZN7rocprim17ROCPRIM_400000_NS6detail44device_merge_sort_compile_time_verifier_archINS1_11comp_targetILNS1_3genE2ELNS1_11target_archE906ELNS1_3gpuE6ELNS1_3repE0EEES8_NS1_28merge_sort_block_sort_configILj256ELj4ELNS0_20block_sort_algorithmE0EEENS0_14default_configENS1_37merge_sort_block_sort_config_selectorIiNS0_10empty_typeEEENS1_38merge_sort_block_merge_config_selectorIiSE_EEEEvv.uses_vcc, 0
	.set _ZN7rocprim17ROCPRIM_400000_NS6detail44device_merge_sort_compile_time_verifier_archINS1_11comp_targetILNS1_3genE2ELNS1_11target_archE906ELNS1_3gpuE6ELNS1_3repE0EEES8_NS1_28merge_sort_block_sort_configILj256ELj4ELNS0_20block_sort_algorithmE0EEENS0_14default_configENS1_37merge_sort_block_sort_config_selectorIiNS0_10empty_typeEEENS1_38merge_sort_block_merge_config_selectorIiSE_EEEEvv.uses_flat_scratch, 0
	.set _ZN7rocprim17ROCPRIM_400000_NS6detail44device_merge_sort_compile_time_verifier_archINS1_11comp_targetILNS1_3genE2ELNS1_11target_archE906ELNS1_3gpuE6ELNS1_3repE0EEES8_NS1_28merge_sort_block_sort_configILj256ELj4ELNS0_20block_sort_algorithmE0EEENS0_14default_configENS1_37merge_sort_block_sort_config_selectorIiNS0_10empty_typeEEENS1_38merge_sort_block_merge_config_selectorIiSE_EEEEvv.has_dyn_sized_stack, 0
	.set _ZN7rocprim17ROCPRIM_400000_NS6detail44device_merge_sort_compile_time_verifier_archINS1_11comp_targetILNS1_3genE2ELNS1_11target_archE906ELNS1_3gpuE6ELNS1_3repE0EEES8_NS1_28merge_sort_block_sort_configILj256ELj4ELNS0_20block_sort_algorithmE0EEENS0_14default_configENS1_37merge_sort_block_sort_config_selectorIiNS0_10empty_typeEEENS1_38merge_sort_block_merge_config_selectorIiSE_EEEEvv.has_recursion, 0
	.set _ZN7rocprim17ROCPRIM_400000_NS6detail44device_merge_sort_compile_time_verifier_archINS1_11comp_targetILNS1_3genE2ELNS1_11target_archE906ELNS1_3gpuE6ELNS1_3repE0EEES8_NS1_28merge_sort_block_sort_configILj256ELj4ELNS0_20block_sort_algorithmE0EEENS0_14default_configENS1_37merge_sort_block_sort_config_selectorIiNS0_10empty_typeEEENS1_38merge_sort_block_merge_config_selectorIiSE_EEEEvv.has_indirect_call, 0
	.section	.AMDGPU.csdata,"",@progbits
; Kernel info:
; codeLenInByte = 4
; TotalNumSgprs: 6
; NumVgprs: 0
; NumAgprs: 0
; TotalNumVgprs: 0
; ScratchSize: 0
; MemoryBound: 0
; FloatMode: 240
; IeeeMode: 1
; LDSByteSize: 0 bytes/workgroup (compile time only)
; SGPRBlocks: 0
; VGPRBlocks: 0
; NumSGPRsForWavesPerEU: 6
; NumVGPRsForWavesPerEU: 1
; AccumOffset: 4
; Occupancy: 8
; WaveLimiterHint : 0
; COMPUTE_PGM_RSRC2:SCRATCH_EN: 0
; COMPUTE_PGM_RSRC2:USER_SGPR: 0
; COMPUTE_PGM_RSRC2:TRAP_HANDLER: 0
; COMPUTE_PGM_RSRC2:TGID_X_EN: 1
; COMPUTE_PGM_RSRC2:TGID_Y_EN: 0
; COMPUTE_PGM_RSRC2:TGID_Z_EN: 0
; COMPUTE_PGM_RSRC2:TIDIG_COMP_CNT: 0
; COMPUTE_PGM_RSRC3_GFX90A:ACCUM_OFFSET: 0
; COMPUTE_PGM_RSRC3_GFX90A:TG_SPLIT: 0
	.section	.text._ZN7rocprim17ROCPRIM_400000_NS6detail44device_merge_sort_compile_time_verifier_archINS1_11comp_targetILNS1_3genE10ELNS1_11target_archE1201ELNS1_3gpuE5ELNS1_3repE0EEES8_NS1_28merge_sort_block_sort_configILj256ELj4ELNS0_20block_sort_algorithmE0EEENS0_14default_configENS1_37merge_sort_block_sort_config_selectorIiNS0_10empty_typeEEENS1_38merge_sort_block_merge_config_selectorIiSE_EEEEvv,"axG",@progbits,_ZN7rocprim17ROCPRIM_400000_NS6detail44device_merge_sort_compile_time_verifier_archINS1_11comp_targetILNS1_3genE10ELNS1_11target_archE1201ELNS1_3gpuE5ELNS1_3repE0EEES8_NS1_28merge_sort_block_sort_configILj256ELj4ELNS0_20block_sort_algorithmE0EEENS0_14default_configENS1_37merge_sort_block_sort_config_selectorIiNS0_10empty_typeEEENS1_38merge_sort_block_merge_config_selectorIiSE_EEEEvv,comdat
	.protected	_ZN7rocprim17ROCPRIM_400000_NS6detail44device_merge_sort_compile_time_verifier_archINS1_11comp_targetILNS1_3genE10ELNS1_11target_archE1201ELNS1_3gpuE5ELNS1_3repE0EEES8_NS1_28merge_sort_block_sort_configILj256ELj4ELNS0_20block_sort_algorithmE0EEENS0_14default_configENS1_37merge_sort_block_sort_config_selectorIiNS0_10empty_typeEEENS1_38merge_sort_block_merge_config_selectorIiSE_EEEEvv ; -- Begin function _ZN7rocprim17ROCPRIM_400000_NS6detail44device_merge_sort_compile_time_verifier_archINS1_11comp_targetILNS1_3genE10ELNS1_11target_archE1201ELNS1_3gpuE5ELNS1_3repE0EEES8_NS1_28merge_sort_block_sort_configILj256ELj4ELNS0_20block_sort_algorithmE0EEENS0_14default_configENS1_37merge_sort_block_sort_config_selectorIiNS0_10empty_typeEEENS1_38merge_sort_block_merge_config_selectorIiSE_EEEEvv
	.globl	_ZN7rocprim17ROCPRIM_400000_NS6detail44device_merge_sort_compile_time_verifier_archINS1_11comp_targetILNS1_3genE10ELNS1_11target_archE1201ELNS1_3gpuE5ELNS1_3repE0EEES8_NS1_28merge_sort_block_sort_configILj256ELj4ELNS0_20block_sort_algorithmE0EEENS0_14default_configENS1_37merge_sort_block_sort_config_selectorIiNS0_10empty_typeEEENS1_38merge_sort_block_merge_config_selectorIiSE_EEEEvv
	.p2align	8
	.type	_ZN7rocprim17ROCPRIM_400000_NS6detail44device_merge_sort_compile_time_verifier_archINS1_11comp_targetILNS1_3genE10ELNS1_11target_archE1201ELNS1_3gpuE5ELNS1_3repE0EEES8_NS1_28merge_sort_block_sort_configILj256ELj4ELNS0_20block_sort_algorithmE0EEENS0_14default_configENS1_37merge_sort_block_sort_config_selectorIiNS0_10empty_typeEEENS1_38merge_sort_block_merge_config_selectorIiSE_EEEEvv,@function
_ZN7rocprim17ROCPRIM_400000_NS6detail44device_merge_sort_compile_time_verifier_archINS1_11comp_targetILNS1_3genE10ELNS1_11target_archE1201ELNS1_3gpuE5ELNS1_3repE0EEES8_NS1_28merge_sort_block_sort_configILj256ELj4ELNS0_20block_sort_algorithmE0EEENS0_14default_configENS1_37merge_sort_block_sort_config_selectorIiNS0_10empty_typeEEENS1_38merge_sort_block_merge_config_selectorIiSE_EEEEvv: ; @_ZN7rocprim17ROCPRIM_400000_NS6detail44device_merge_sort_compile_time_verifier_archINS1_11comp_targetILNS1_3genE10ELNS1_11target_archE1201ELNS1_3gpuE5ELNS1_3repE0EEES8_NS1_28merge_sort_block_sort_configILj256ELj4ELNS0_20block_sort_algorithmE0EEENS0_14default_configENS1_37merge_sort_block_sort_config_selectorIiNS0_10empty_typeEEENS1_38merge_sort_block_merge_config_selectorIiSE_EEEEvv
; %bb.0:
	s_endpgm
	.section	.rodata,"a",@progbits
	.p2align	6, 0x0
	.amdhsa_kernel _ZN7rocprim17ROCPRIM_400000_NS6detail44device_merge_sort_compile_time_verifier_archINS1_11comp_targetILNS1_3genE10ELNS1_11target_archE1201ELNS1_3gpuE5ELNS1_3repE0EEES8_NS1_28merge_sort_block_sort_configILj256ELj4ELNS0_20block_sort_algorithmE0EEENS0_14default_configENS1_37merge_sort_block_sort_config_selectorIiNS0_10empty_typeEEENS1_38merge_sort_block_merge_config_selectorIiSE_EEEEvv
		.amdhsa_group_segment_fixed_size 0
		.amdhsa_private_segment_fixed_size 0
		.amdhsa_kernarg_size 0
		.amdhsa_user_sgpr_count 0
		.amdhsa_user_sgpr_dispatch_ptr 0
		.amdhsa_user_sgpr_queue_ptr 0
		.amdhsa_user_sgpr_kernarg_segment_ptr 0
		.amdhsa_user_sgpr_dispatch_id 0
		.amdhsa_user_sgpr_kernarg_preload_length 0
		.amdhsa_user_sgpr_kernarg_preload_offset 0
		.amdhsa_user_sgpr_private_segment_size 0
		.amdhsa_uses_dynamic_stack 0
		.amdhsa_enable_private_segment 0
		.amdhsa_system_sgpr_workgroup_id_x 1
		.amdhsa_system_sgpr_workgroup_id_y 0
		.amdhsa_system_sgpr_workgroup_id_z 0
		.amdhsa_system_sgpr_workgroup_info 0
		.amdhsa_system_vgpr_workitem_id 0
		.amdhsa_next_free_vgpr 1
		.amdhsa_next_free_sgpr 0
		.amdhsa_accum_offset 4
		.amdhsa_reserve_vcc 0
		.amdhsa_float_round_mode_32 0
		.amdhsa_float_round_mode_16_64 0
		.amdhsa_float_denorm_mode_32 3
		.amdhsa_float_denorm_mode_16_64 3
		.amdhsa_dx10_clamp 1
		.amdhsa_ieee_mode 1
		.amdhsa_fp16_overflow 0
		.amdhsa_tg_split 0
		.amdhsa_exception_fp_ieee_invalid_op 0
		.amdhsa_exception_fp_denorm_src 0
		.amdhsa_exception_fp_ieee_div_zero 0
		.amdhsa_exception_fp_ieee_overflow 0
		.amdhsa_exception_fp_ieee_underflow 0
		.amdhsa_exception_fp_ieee_inexact 0
		.amdhsa_exception_int_div_zero 0
	.end_amdhsa_kernel
	.section	.text._ZN7rocprim17ROCPRIM_400000_NS6detail44device_merge_sort_compile_time_verifier_archINS1_11comp_targetILNS1_3genE10ELNS1_11target_archE1201ELNS1_3gpuE5ELNS1_3repE0EEES8_NS1_28merge_sort_block_sort_configILj256ELj4ELNS0_20block_sort_algorithmE0EEENS0_14default_configENS1_37merge_sort_block_sort_config_selectorIiNS0_10empty_typeEEENS1_38merge_sort_block_merge_config_selectorIiSE_EEEEvv,"axG",@progbits,_ZN7rocprim17ROCPRIM_400000_NS6detail44device_merge_sort_compile_time_verifier_archINS1_11comp_targetILNS1_3genE10ELNS1_11target_archE1201ELNS1_3gpuE5ELNS1_3repE0EEES8_NS1_28merge_sort_block_sort_configILj256ELj4ELNS0_20block_sort_algorithmE0EEENS0_14default_configENS1_37merge_sort_block_sort_config_selectorIiNS0_10empty_typeEEENS1_38merge_sort_block_merge_config_selectorIiSE_EEEEvv,comdat
.Lfunc_end15:
	.size	_ZN7rocprim17ROCPRIM_400000_NS6detail44device_merge_sort_compile_time_verifier_archINS1_11comp_targetILNS1_3genE10ELNS1_11target_archE1201ELNS1_3gpuE5ELNS1_3repE0EEES8_NS1_28merge_sort_block_sort_configILj256ELj4ELNS0_20block_sort_algorithmE0EEENS0_14default_configENS1_37merge_sort_block_sort_config_selectorIiNS0_10empty_typeEEENS1_38merge_sort_block_merge_config_selectorIiSE_EEEEvv, .Lfunc_end15-_ZN7rocprim17ROCPRIM_400000_NS6detail44device_merge_sort_compile_time_verifier_archINS1_11comp_targetILNS1_3genE10ELNS1_11target_archE1201ELNS1_3gpuE5ELNS1_3repE0EEES8_NS1_28merge_sort_block_sort_configILj256ELj4ELNS0_20block_sort_algorithmE0EEENS0_14default_configENS1_37merge_sort_block_sort_config_selectorIiNS0_10empty_typeEEENS1_38merge_sort_block_merge_config_selectorIiSE_EEEEvv
                                        ; -- End function
	.set _ZN7rocprim17ROCPRIM_400000_NS6detail44device_merge_sort_compile_time_verifier_archINS1_11comp_targetILNS1_3genE10ELNS1_11target_archE1201ELNS1_3gpuE5ELNS1_3repE0EEES8_NS1_28merge_sort_block_sort_configILj256ELj4ELNS0_20block_sort_algorithmE0EEENS0_14default_configENS1_37merge_sort_block_sort_config_selectorIiNS0_10empty_typeEEENS1_38merge_sort_block_merge_config_selectorIiSE_EEEEvv.num_vgpr, 0
	.set _ZN7rocprim17ROCPRIM_400000_NS6detail44device_merge_sort_compile_time_verifier_archINS1_11comp_targetILNS1_3genE10ELNS1_11target_archE1201ELNS1_3gpuE5ELNS1_3repE0EEES8_NS1_28merge_sort_block_sort_configILj256ELj4ELNS0_20block_sort_algorithmE0EEENS0_14default_configENS1_37merge_sort_block_sort_config_selectorIiNS0_10empty_typeEEENS1_38merge_sort_block_merge_config_selectorIiSE_EEEEvv.num_agpr, 0
	.set _ZN7rocprim17ROCPRIM_400000_NS6detail44device_merge_sort_compile_time_verifier_archINS1_11comp_targetILNS1_3genE10ELNS1_11target_archE1201ELNS1_3gpuE5ELNS1_3repE0EEES8_NS1_28merge_sort_block_sort_configILj256ELj4ELNS0_20block_sort_algorithmE0EEENS0_14default_configENS1_37merge_sort_block_sort_config_selectorIiNS0_10empty_typeEEENS1_38merge_sort_block_merge_config_selectorIiSE_EEEEvv.numbered_sgpr, 0
	.set _ZN7rocprim17ROCPRIM_400000_NS6detail44device_merge_sort_compile_time_verifier_archINS1_11comp_targetILNS1_3genE10ELNS1_11target_archE1201ELNS1_3gpuE5ELNS1_3repE0EEES8_NS1_28merge_sort_block_sort_configILj256ELj4ELNS0_20block_sort_algorithmE0EEENS0_14default_configENS1_37merge_sort_block_sort_config_selectorIiNS0_10empty_typeEEENS1_38merge_sort_block_merge_config_selectorIiSE_EEEEvv.num_named_barrier, 0
	.set _ZN7rocprim17ROCPRIM_400000_NS6detail44device_merge_sort_compile_time_verifier_archINS1_11comp_targetILNS1_3genE10ELNS1_11target_archE1201ELNS1_3gpuE5ELNS1_3repE0EEES8_NS1_28merge_sort_block_sort_configILj256ELj4ELNS0_20block_sort_algorithmE0EEENS0_14default_configENS1_37merge_sort_block_sort_config_selectorIiNS0_10empty_typeEEENS1_38merge_sort_block_merge_config_selectorIiSE_EEEEvv.private_seg_size, 0
	.set _ZN7rocprim17ROCPRIM_400000_NS6detail44device_merge_sort_compile_time_verifier_archINS1_11comp_targetILNS1_3genE10ELNS1_11target_archE1201ELNS1_3gpuE5ELNS1_3repE0EEES8_NS1_28merge_sort_block_sort_configILj256ELj4ELNS0_20block_sort_algorithmE0EEENS0_14default_configENS1_37merge_sort_block_sort_config_selectorIiNS0_10empty_typeEEENS1_38merge_sort_block_merge_config_selectorIiSE_EEEEvv.uses_vcc, 0
	.set _ZN7rocprim17ROCPRIM_400000_NS6detail44device_merge_sort_compile_time_verifier_archINS1_11comp_targetILNS1_3genE10ELNS1_11target_archE1201ELNS1_3gpuE5ELNS1_3repE0EEES8_NS1_28merge_sort_block_sort_configILj256ELj4ELNS0_20block_sort_algorithmE0EEENS0_14default_configENS1_37merge_sort_block_sort_config_selectorIiNS0_10empty_typeEEENS1_38merge_sort_block_merge_config_selectorIiSE_EEEEvv.uses_flat_scratch, 0
	.set _ZN7rocprim17ROCPRIM_400000_NS6detail44device_merge_sort_compile_time_verifier_archINS1_11comp_targetILNS1_3genE10ELNS1_11target_archE1201ELNS1_3gpuE5ELNS1_3repE0EEES8_NS1_28merge_sort_block_sort_configILj256ELj4ELNS0_20block_sort_algorithmE0EEENS0_14default_configENS1_37merge_sort_block_sort_config_selectorIiNS0_10empty_typeEEENS1_38merge_sort_block_merge_config_selectorIiSE_EEEEvv.has_dyn_sized_stack, 0
	.set _ZN7rocprim17ROCPRIM_400000_NS6detail44device_merge_sort_compile_time_verifier_archINS1_11comp_targetILNS1_3genE10ELNS1_11target_archE1201ELNS1_3gpuE5ELNS1_3repE0EEES8_NS1_28merge_sort_block_sort_configILj256ELj4ELNS0_20block_sort_algorithmE0EEENS0_14default_configENS1_37merge_sort_block_sort_config_selectorIiNS0_10empty_typeEEENS1_38merge_sort_block_merge_config_selectorIiSE_EEEEvv.has_recursion, 0
	.set _ZN7rocprim17ROCPRIM_400000_NS6detail44device_merge_sort_compile_time_verifier_archINS1_11comp_targetILNS1_3genE10ELNS1_11target_archE1201ELNS1_3gpuE5ELNS1_3repE0EEES8_NS1_28merge_sort_block_sort_configILj256ELj4ELNS0_20block_sort_algorithmE0EEENS0_14default_configENS1_37merge_sort_block_sort_config_selectorIiNS0_10empty_typeEEENS1_38merge_sort_block_merge_config_selectorIiSE_EEEEvv.has_indirect_call, 0
	.section	.AMDGPU.csdata,"",@progbits
; Kernel info:
; codeLenInByte = 4
; TotalNumSgprs: 6
; NumVgprs: 0
; NumAgprs: 0
; TotalNumVgprs: 0
; ScratchSize: 0
; MemoryBound: 0
; FloatMode: 240
; IeeeMode: 1
; LDSByteSize: 0 bytes/workgroup (compile time only)
; SGPRBlocks: 0
; VGPRBlocks: 0
; NumSGPRsForWavesPerEU: 6
; NumVGPRsForWavesPerEU: 1
; AccumOffset: 4
; Occupancy: 8
; WaveLimiterHint : 0
; COMPUTE_PGM_RSRC2:SCRATCH_EN: 0
; COMPUTE_PGM_RSRC2:USER_SGPR: 0
; COMPUTE_PGM_RSRC2:TRAP_HANDLER: 0
; COMPUTE_PGM_RSRC2:TGID_X_EN: 1
; COMPUTE_PGM_RSRC2:TGID_Y_EN: 0
; COMPUTE_PGM_RSRC2:TGID_Z_EN: 0
; COMPUTE_PGM_RSRC2:TIDIG_COMP_CNT: 0
; COMPUTE_PGM_RSRC3_GFX90A:ACCUM_OFFSET: 0
; COMPUTE_PGM_RSRC3_GFX90A:TG_SPLIT: 0
	.section	.text._ZN7rocprim17ROCPRIM_400000_NS6detail44device_merge_sort_compile_time_verifier_archINS1_11comp_targetILNS1_3genE10ELNS1_11target_archE1200ELNS1_3gpuE4ELNS1_3repE0EEENS3_ILS4_10ELS5_1201ELS6_5ELS7_0EEENS1_28merge_sort_block_sort_configILj256ELj4ELNS0_20block_sort_algorithmE0EEENS0_14default_configENS1_37merge_sort_block_sort_config_selectorIiNS0_10empty_typeEEENS1_38merge_sort_block_merge_config_selectorIiSF_EEEEvv,"axG",@progbits,_ZN7rocprim17ROCPRIM_400000_NS6detail44device_merge_sort_compile_time_verifier_archINS1_11comp_targetILNS1_3genE10ELNS1_11target_archE1200ELNS1_3gpuE4ELNS1_3repE0EEENS3_ILS4_10ELS5_1201ELS6_5ELS7_0EEENS1_28merge_sort_block_sort_configILj256ELj4ELNS0_20block_sort_algorithmE0EEENS0_14default_configENS1_37merge_sort_block_sort_config_selectorIiNS0_10empty_typeEEENS1_38merge_sort_block_merge_config_selectorIiSF_EEEEvv,comdat
	.protected	_ZN7rocprim17ROCPRIM_400000_NS6detail44device_merge_sort_compile_time_verifier_archINS1_11comp_targetILNS1_3genE10ELNS1_11target_archE1200ELNS1_3gpuE4ELNS1_3repE0EEENS3_ILS4_10ELS5_1201ELS6_5ELS7_0EEENS1_28merge_sort_block_sort_configILj256ELj4ELNS0_20block_sort_algorithmE0EEENS0_14default_configENS1_37merge_sort_block_sort_config_selectorIiNS0_10empty_typeEEENS1_38merge_sort_block_merge_config_selectorIiSF_EEEEvv ; -- Begin function _ZN7rocprim17ROCPRIM_400000_NS6detail44device_merge_sort_compile_time_verifier_archINS1_11comp_targetILNS1_3genE10ELNS1_11target_archE1200ELNS1_3gpuE4ELNS1_3repE0EEENS3_ILS4_10ELS5_1201ELS6_5ELS7_0EEENS1_28merge_sort_block_sort_configILj256ELj4ELNS0_20block_sort_algorithmE0EEENS0_14default_configENS1_37merge_sort_block_sort_config_selectorIiNS0_10empty_typeEEENS1_38merge_sort_block_merge_config_selectorIiSF_EEEEvv
	.globl	_ZN7rocprim17ROCPRIM_400000_NS6detail44device_merge_sort_compile_time_verifier_archINS1_11comp_targetILNS1_3genE10ELNS1_11target_archE1200ELNS1_3gpuE4ELNS1_3repE0EEENS3_ILS4_10ELS5_1201ELS6_5ELS7_0EEENS1_28merge_sort_block_sort_configILj256ELj4ELNS0_20block_sort_algorithmE0EEENS0_14default_configENS1_37merge_sort_block_sort_config_selectorIiNS0_10empty_typeEEENS1_38merge_sort_block_merge_config_selectorIiSF_EEEEvv
	.p2align	8
	.type	_ZN7rocprim17ROCPRIM_400000_NS6detail44device_merge_sort_compile_time_verifier_archINS1_11comp_targetILNS1_3genE10ELNS1_11target_archE1200ELNS1_3gpuE4ELNS1_3repE0EEENS3_ILS4_10ELS5_1201ELS6_5ELS7_0EEENS1_28merge_sort_block_sort_configILj256ELj4ELNS0_20block_sort_algorithmE0EEENS0_14default_configENS1_37merge_sort_block_sort_config_selectorIiNS0_10empty_typeEEENS1_38merge_sort_block_merge_config_selectorIiSF_EEEEvv,@function
_ZN7rocprim17ROCPRIM_400000_NS6detail44device_merge_sort_compile_time_verifier_archINS1_11comp_targetILNS1_3genE10ELNS1_11target_archE1200ELNS1_3gpuE4ELNS1_3repE0EEENS3_ILS4_10ELS5_1201ELS6_5ELS7_0EEENS1_28merge_sort_block_sort_configILj256ELj4ELNS0_20block_sort_algorithmE0EEENS0_14default_configENS1_37merge_sort_block_sort_config_selectorIiNS0_10empty_typeEEENS1_38merge_sort_block_merge_config_selectorIiSF_EEEEvv: ; @_ZN7rocprim17ROCPRIM_400000_NS6detail44device_merge_sort_compile_time_verifier_archINS1_11comp_targetILNS1_3genE10ELNS1_11target_archE1200ELNS1_3gpuE4ELNS1_3repE0EEENS3_ILS4_10ELS5_1201ELS6_5ELS7_0EEENS1_28merge_sort_block_sort_configILj256ELj4ELNS0_20block_sort_algorithmE0EEENS0_14default_configENS1_37merge_sort_block_sort_config_selectorIiNS0_10empty_typeEEENS1_38merge_sort_block_merge_config_selectorIiSF_EEEEvv
; %bb.0:
	s_endpgm
	.section	.rodata,"a",@progbits
	.p2align	6, 0x0
	.amdhsa_kernel _ZN7rocprim17ROCPRIM_400000_NS6detail44device_merge_sort_compile_time_verifier_archINS1_11comp_targetILNS1_3genE10ELNS1_11target_archE1200ELNS1_3gpuE4ELNS1_3repE0EEENS3_ILS4_10ELS5_1201ELS6_5ELS7_0EEENS1_28merge_sort_block_sort_configILj256ELj4ELNS0_20block_sort_algorithmE0EEENS0_14default_configENS1_37merge_sort_block_sort_config_selectorIiNS0_10empty_typeEEENS1_38merge_sort_block_merge_config_selectorIiSF_EEEEvv
		.amdhsa_group_segment_fixed_size 0
		.amdhsa_private_segment_fixed_size 0
		.amdhsa_kernarg_size 0
		.amdhsa_user_sgpr_count 0
		.amdhsa_user_sgpr_dispatch_ptr 0
		.amdhsa_user_sgpr_queue_ptr 0
		.amdhsa_user_sgpr_kernarg_segment_ptr 0
		.amdhsa_user_sgpr_dispatch_id 0
		.amdhsa_user_sgpr_kernarg_preload_length 0
		.amdhsa_user_sgpr_kernarg_preload_offset 0
		.amdhsa_user_sgpr_private_segment_size 0
		.amdhsa_uses_dynamic_stack 0
		.amdhsa_enable_private_segment 0
		.amdhsa_system_sgpr_workgroup_id_x 1
		.amdhsa_system_sgpr_workgroup_id_y 0
		.amdhsa_system_sgpr_workgroup_id_z 0
		.amdhsa_system_sgpr_workgroup_info 0
		.amdhsa_system_vgpr_workitem_id 0
		.amdhsa_next_free_vgpr 1
		.amdhsa_next_free_sgpr 0
		.amdhsa_accum_offset 4
		.amdhsa_reserve_vcc 0
		.amdhsa_float_round_mode_32 0
		.amdhsa_float_round_mode_16_64 0
		.amdhsa_float_denorm_mode_32 3
		.amdhsa_float_denorm_mode_16_64 3
		.amdhsa_dx10_clamp 1
		.amdhsa_ieee_mode 1
		.amdhsa_fp16_overflow 0
		.amdhsa_tg_split 0
		.amdhsa_exception_fp_ieee_invalid_op 0
		.amdhsa_exception_fp_denorm_src 0
		.amdhsa_exception_fp_ieee_div_zero 0
		.amdhsa_exception_fp_ieee_overflow 0
		.amdhsa_exception_fp_ieee_underflow 0
		.amdhsa_exception_fp_ieee_inexact 0
		.amdhsa_exception_int_div_zero 0
	.end_amdhsa_kernel
	.section	.text._ZN7rocprim17ROCPRIM_400000_NS6detail44device_merge_sort_compile_time_verifier_archINS1_11comp_targetILNS1_3genE10ELNS1_11target_archE1200ELNS1_3gpuE4ELNS1_3repE0EEENS3_ILS4_10ELS5_1201ELS6_5ELS7_0EEENS1_28merge_sort_block_sort_configILj256ELj4ELNS0_20block_sort_algorithmE0EEENS0_14default_configENS1_37merge_sort_block_sort_config_selectorIiNS0_10empty_typeEEENS1_38merge_sort_block_merge_config_selectorIiSF_EEEEvv,"axG",@progbits,_ZN7rocprim17ROCPRIM_400000_NS6detail44device_merge_sort_compile_time_verifier_archINS1_11comp_targetILNS1_3genE10ELNS1_11target_archE1200ELNS1_3gpuE4ELNS1_3repE0EEENS3_ILS4_10ELS5_1201ELS6_5ELS7_0EEENS1_28merge_sort_block_sort_configILj256ELj4ELNS0_20block_sort_algorithmE0EEENS0_14default_configENS1_37merge_sort_block_sort_config_selectorIiNS0_10empty_typeEEENS1_38merge_sort_block_merge_config_selectorIiSF_EEEEvv,comdat
.Lfunc_end16:
	.size	_ZN7rocprim17ROCPRIM_400000_NS6detail44device_merge_sort_compile_time_verifier_archINS1_11comp_targetILNS1_3genE10ELNS1_11target_archE1200ELNS1_3gpuE4ELNS1_3repE0EEENS3_ILS4_10ELS5_1201ELS6_5ELS7_0EEENS1_28merge_sort_block_sort_configILj256ELj4ELNS0_20block_sort_algorithmE0EEENS0_14default_configENS1_37merge_sort_block_sort_config_selectorIiNS0_10empty_typeEEENS1_38merge_sort_block_merge_config_selectorIiSF_EEEEvv, .Lfunc_end16-_ZN7rocprim17ROCPRIM_400000_NS6detail44device_merge_sort_compile_time_verifier_archINS1_11comp_targetILNS1_3genE10ELNS1_11target_archE1200ELNS1_3gpuE4ELNS1_3repE0EEENS3_ILS4_10ELS5_1201ELS6_5ELS7_0EEENS1_28merge_sort_block_sort_configILj256ELj4ELNS0_20block_sort_algorithmE0EEENS0_14default_configENS1_37merge_sort_block_sort_config_selectorIiNS0_10empty_typeEEENS1_38merge_sort_block_merge_config_selectorIiSF_EEEEvv
                                        ; -- End function
	.set _ZN7rocprim17ROCPRIM_400000_NS6detail44device_merge_sort_compile_time_verifier_archINS1_11comp_targetILNS1_3genE10ELNS1_11target_archE1200ELNS1_3gpuE4ELNS1_3repE0EEENS3_ILS4_10ELS5_1201ELS6_5ELS7_0EEENS1_28merge_sort_block_sort_configILj256ELj4ELNS0_20block_sort_algorithmE0EEENS0_14default_configENS1_37merge_sort_block_sort_config_selectorIiNS0_10empty_typeEEENS1_38merge_sort_block_merge_config_selectorIiSF_EEEEvv.num_vgpr, 0
	.set _ZN7rocprim17ROCPRIM_400000_NS6detail44device_merge_sort_compile_time_verifier_archINS1_11comp_targetILNS1_3genE10ELNS1_11target_archE1200ELNS1_3gpuE4ELNS1_3repE0EEENS3_ILS4_10ELS5_1201ELS6_5ELS7_0EEENS1_28merge_sort_block_sort_configILj256ELj4ELNS0_20block_sort_algorithmE0EEENS0_14default_configENS1_37merge_sort_block_sort_config_selectorIiNS0_10empty_typeEEENS1_38merge_sort_block_merge_config_selectorIiSF_EEEEvv.num_agpr, 0
	.set _ZN7rocprim17ROCPRIM_400000_NS6detail44device_merge_sort_compile_time_verifier_archINS1_11comp_targetILNS1_3genE10ELNS1_11target_archE1200ELNS1_3gpuE4ELNS1_3repE0EEENS3_ILS4_10ELS5_1201ELS6_5ELS7_0EEENS1_28merge_sort_block_sort_configILj256ELj4ELNS0_20block_sort_algorithmE0EEENS0_14default_configENS1_37merge_sort_block_sort_config_selectorIiNS0_10empty_typeEEENS1_38merge_sort_block_merge_config_selectorIiSF_EEEEvv.numbered_sgpr, 0
	.set _ZN7rocprim17ROCPRIM_400000_NS6detail44device_merge_sort_compile_time_verifier_archINS1_11comp_targetILNS1_3genE10ELNS1_11target_archE1200ELNS1_3gpuE4ELNS1_3repE0EEENS3_ILS4_10ELS5_1201ELS6_5ELS7_0EEENS1_28merge_sort_block_sort_configILj256ELj4ELNS0_20block_sort_algorithmE0EEENS0_14default_configENS1_37merge_sort_block_sort_config_selectorIiNS0_10empty_typeEEENS1_38merge_sort_block_merge_config_selectorIiSF_EEEEvv.num_named_barrier, 0
	.set _ZN7rocprim17ROCPRIM_400000_NS6detail44device_merge_sort_compile_time_verifier_archINS1_11comp_targetILNS1_3genE10ELNS1_11target_archE1200ELNS1_3gpuE4ELNS1_3repE0EEENS3_ILS4_10ELS5_1201ELS6_5ELS7_0EEENS1_28merge_sort_block_sort_configILj256ELj4ELNS0_20block_sort_algorithmE0EEENS0_14default_configENS1_37merge_sort_block_sort_config_selectorIiNS0_10empty_typeEEENS1_38merge_sort_block_merge_config_selectorIiSF_EEEEvv.private_seg_size, 0
	.set _ZN7rocprim17ROCPRIM_400000_NS6detail44device_merge_sort_compile_time_verifier_archINS1_11comp_targetILNS1_3genE10ELNS1_11target_archE1200ELNS1_3gpuE4ELNS1_3repE0EEENS3_ILS4_10ELS5_1201ELS6_5ELS7_0EEENS1_28merge_sort_block_sort_configILj256ELj4ELNS0_20block_sort_algorithmE0EEENS0_14default_configENS1_37merge_sort_block_sort_config_selectorIiNS0_10empty_typeEEENS1_38merge_sort_block_merge_config_selectorIiSF_EEEEvv.uses_vcc, 0
	.set _ZN7rocprim17ROCPRIM_400000_NS6detail44device_merge_sort_compile_time_verifier_archINS1_11comp_targetILNS1_3genE10ELNS1_11target_archE1200ELNS1_3gpuE4ELNS1_3repE0EEENS3_ILS4_10ELS5_1201ELS6_5ELS7_0EEENS1_28merge_sort_block_sort_configILj256ELj4ELNS0_20block_sort_algorithmE0EEENS0_14default_configENS1_37merge_sort_block_sort_config_selectorIiNS0_10empty_typeEEENS1_38merge_sort_block_merge_config_selectorIiSF_EEEEvv.uses_flat_scratch, 0
	.set _ZN7rocprim17ROCPRIM_400000_NS6detail44device_merge_sort_compile_time_verifier_archINS1_11comp_targetILNS1_3genE10ELNS1_11target_archE1200ELNS1_3gpuE4ELNS1_3repE0EEENS3_ILS4_10ELS5_1201ELS6_5ELS7_0EEENS1_28merge_sort_block_sort_configILj256ELj4ELNS0_20block_sort_algorithmE0EEENS0_14default_configENS1_37merge_sort_block_sort_config_selectorIiNS0_10empty_typeEEENS1_38merge_sort_block_merge_config_selectorIiSF_EEEEvv.has_dyn_sized_stack, 0
	.set _ZN7rocprim17ROCPRIM_400000_NS6detail44device_merge_sort_compile_time_verifier_archINS1_11comp_targetILNS1_3genE10ELNS1_11target_archE1200ELNS1_3gpuE4ELNS1_3repE0EEENS3_ILS4_10ELS5_1201ELS6_5ELS7_0EEENS1_28merge_sort_block_sort_configILj256ELj4ELNS0_20block_sort_algorithmE0EEENS0_14default_configENS1_37merge_sort_block_sort_config_selectorIiNS0_10empty_typeEEENS1_38merge_sort_block_merge_config_selectorIiSF_EEEEvv.has_recursion, 0
	.set _ZN7rocprim17ROCPRIM_400000_NS6detail44device_merge_sort_compile_time_verifier_archINS1_11comp_targetILNS1_3genE10ELNS1_11target_archE1200ELNS1_3gpuE4ELNS1_3repE0EEENS3_ILS4_10ELS5_1201ELS6_5ELS7_0EEENS1_28merge_sort_block_sort_configILj256ELj4ELNS0_20block_sort_algorithmE0EEENS0_14default_configENS1_37merge_sort_block_sort_config_selectorIiNS0_10empty_typeEEENS1_38merge_sort_block_merge_config_selectorIiSF_EEEEvv.has_indirect_call, 0
	.section	.AMDGPU.csdata,"",@progbits
; Kernel info:
; codeLenInByte = 4
; TotalNumSgprs: 6
; NumVgprs: 0
; NumAgprs: 0
; TotalNumVgprs: 0
; ScratchSize: 0
; MemoryBound: 0
; FloatMode: 240
; IeeeMode: 1
; LDSByteSize: 0 bytes/workgroup (compile time only)
; SGPRBlocks: 0
; VGPRBlocks: 0
; NumSGPRsForWavesPerEU: 6
; NumVGPRsForWavesPerEU: 1
; AccumOffset: 4
; Occupancy: 8
; WaveLimiterHint : 0
; COMPUTE_PGM_RSRC2:SCRATCH_EN: 0
; COMPUTE_PGM_RSRC2:USER_SGPR: 0
; COMPUTE_PGM_RSRC2:TRAP_HANDLER: 0
; COMPUTE_PGM_RSRC2:TGID_X_EN: 1
; COMPUTE_PGM_RSRC2:TGID_Y_EN: 0
; COMPUTE_PGM_RSRC2:TGID_Z_EN: 0
; COMPUTE_PGM_RSRC2:TIDIG_COMP_CNT: 0
; COMPUTE_PGM_RSRC3_GFX90A:ACCUM_OFFSET: 0
; COMPUTE_PGM_RSRC3_GFX90A:TG_SPLIT: 0
	.section	.text._ZN7rocprim17ROCPRIM_400000_NS6detail44device_merge_sort_compile_time_verifier_archINS1_11comp_targetILNS1_3genE9ELNS1_11target_archE1100ELNS1_3gpuE3ELNS1_3repE0EEES8_NS1_28merge_sort_block_sort_configILj256ELj4ELNS0_20block_sort_algorithmE0EEENS0_14default_configENS1_37merge_sort_block_sort_config_selectorIiNS0_10empty_typeEEENS1_38merge_sort_block_merge_config_selectorIiSE_EEEEvv,"axG",@progbits,_ZN7rocprim17ROCPRIM_400000_NS6detail44device_merge_sort_compile_time_verifier_archINS1_11comp_targetILNS1_3genE9ELNS1_11target_archE1100ELNS1_3gpuE3ELNS1_3repE0EEES8_NS1_28merge_sort_block_sort_configILj256ELj4ELNS0_20block_sort_algorithmE0EEENS0_14default_configENS1_37merge_sort_block_sort_config_selectorIiNS0_10empty_typeEEENS1_38merge_sort_block_merge_config_selectorIiSE_EEEEvv,comdat
	.protected	_ZN7rocprim17ROCPRIM_400000_NS6detail44device_merge_sort_compile_time_verifier_archINS1_11comp_targetILNS1_3genE9ELNS1_11target_archE1100ELNS1_3gpuE3ELNS1_3repE0EEES8_NS1_28merge_sort_block_sort_configILj256ELj4ELNS0_20block_sort_algorithmE0EEENS0_14default_configENS1_37merge_sort_block_sort_config_selectorIiNS0_10empty_typeEEENS1_38merge_sort_block_merge_config_selectorIiSE_EEEEvv ; -- Begin function _ZN7rocprim17ROCPRIM_400000_NS6detail44device_merge_sort_compile_time_verifier_archINS1_11comp_targetILNS1_3genE9ELNS1_11target_archE1100ELNS1_3gpuE3ELNS1_3repE0EEES8_NS1_28merge_sort_block_sort_configILj256ELj4ELNS0_20block_sort_algorithmE0EEENS0_14default_configENS1_37merge_sort_block_sort_config_selectorIiNS0_10empty_typeEEENS1_38merge_sort_block_merge_config_selectorIiSE_EEEEvv
	.globl	_ZN7rocprim17ROCPRIM_400000_NS6detail44device_merge_sort_compile_time_verifier_archINS1_11comp_targetILNS1_3genE9ELNS1_11target_archE1100ELNS1_3gpuE3ELNS1_3repE0EEES8_NS1_28merge_sort_block_sort_configILj256ELj4ELNS0_20block_sort_algorithmE0EEENS0_14default_configENS1_37merge_sort_block_sort_config_selectorIiNS0_10empty_typeEEENS1_38merge_sort_block_merge_config_selectorIiSE_EEEEvv
	.p2align	8
	.type	_ZN7rocprim17ROCPRIM_400000_NS6detail44device_merge_sort_compile_time_verifier_archINS1_11comp_targetILNS1_3genE9ELNS1_11target_archE1100ELNS1_3gpuE3ELNS1_3repE0EEES8_NS1_28merge_sort_block_sort_configILj256ELj4ELNS0_20block_sort_algorithmE0EEENS0_14default_configENS1_37merge_sort_block_sort_config_selectorIiNS0_10empty_typeEEENS1_38merge_sort_block_merge_config_selectorIiSE_EEEEvv,@function
_ZN7rocprim17ROCPRIM_400000_NS6detail44device_merge_sort_compile_time_verifier_archINS1_11comp_targetILNS1_3genE9ELNS1_11target_archE1100ELNS1_3gpuE3ELNS1_3repE0EEES8_NS1_28merge_sort_block_sort_configILj256ELj4ELNS0_20block_sort_algorithmE0EEENS0_14default_configENS1_37merge_sort_block_sort_config_selectorIiNS0_10empty_typeEEENS1_38merge_sort_block_merge_config_selectorIiSE_EEEEvv: ; @_ZN7rocprim17ROCPRIM_400000_NS6detail44device_merge_sort_compile_time_verifier_archINS1_11comp_targetILNS1_3genE9ELNS1_11target_archE1100ELNS1_3gpuE3ELNS1_3repE0EEES8_NS1_28merge_sort_block_sort_configILj256ELj4ELNS0_20block_sort_algorithmE0EEENS0_14default_configENS1_37merge_sort_block_sort_config_selectorIiNS0_10empty_typeEEENS1_38merge_sort_block_merge_config_selectorIiSE_EEEEvv
; %bb.0:
	s_endpgm
	.section	.rodata,"a",@progbits
	.p2align	6, 0x0
	.amdhsa_kernel _ZN7rocprim17ROCPRIM_400000_NS6detail44device_merge_sort_compile_time_verifier_archINS1_11comp_targetILNS1_3genE9ELNS1_11target_archE1100ELNS1_3gpuE3ELNS1_3repE0EEES8_NS1_28merge_sort_block_sort_configILj256ELj4ELNS0_20block_sort_algorithmE0EEENS0_14default_configENS1_37merge_sort_block_sort_config_selectorIiNS0_10empty_typeEEENS1_38merge_sort_block_merge_config_selectorIiSE_EEEEvv
		.amdhsa_group_segment_fixed_size 0
		.amdhsa_private_segment_fixed_size 0
		.amdhsa_kernarg_size 0
		.amdhsa_user_sgpr_count 0
		.amdhsa_user_sgpr_dispatch_ptr 0
		.amdhsa_user_sgpr_queue_ptr 0
		.amdhsa_user_sgpr_kernarg_segment_ptr 0
		.amdhsa_user_sgpr_dispatch_id 0
		.amdhsa_user_sgpr_kernarg_preload_length 0
		.amdhsa_user_sgpr_kernarg_preload_offset 0
		.amdhsa_user_sgpr_private_segment_size 0
		.amdhsa_uses_dynamic_stack 0
		.amdhsa_enable_private_segment 0
		.amdhsa_system_sgpr_workgroup_id_x 1
		.amdhsa_system_sgpr_workgroup_id_y 0
		.amdhsa_system_sgpr_workgroup_id_z 0
		.amdhsa_system_sgpr_workgroup_info 0
		.amdhsa_system_vgpr_workitem_id 0
		.amdhsa_next_free_vgpr 1
		.amdhsa_next_free_sgpr 0
		.amdhsa_accum_offset 4
		.amdhsa_reserve_vcc 0
		.amdhsa_float_round_mode_32 0
		.amdhsa_float_round_mode_16_64 0
		.amdhsa_float_denorm_mode_32 3
		.amdhsa_float_denorm_mode_16_64 3
		.amdhsa_dx10_clamp 1
		.amdhsa_ieee_mode 1
		.amdhsa_fp16_overflow 0
		.amdhsa_tg_split 0
		.amdhsa_exception_fp_ieee_invalid_op 0
		.amdhsa_exception_fp_denorm_src 0
		.amdhsa_exception_fp_ieee_div_zero 0
		.amdhsa_exception_fp_ieee_overflow 0
		.amdhsa_exception_fp_ieee_underflow 0
		.amdhsa_exception_fp_ieee_inexact 0
		.amdhsa_exception_int_div_zero 0
	.end_amdhsa_kernel
	.section	.text._ZN7rocprim17ROCPRIM_400000_NS6detail44device_merge_sort_compile_time_verifier_archINS1_11comp_targetILNS1_3genE9ELNS1_11target_archE1100ELNS1_3gpuE3ELNS1_3repE0EEES8_NS1_28merge_sort_block_sort_configILj256ELj4ELNS0_20block_sort_algorithmE0EEENS0_14default_configENS1_37merge_sort_block_sort_config_selectorIiNS0_10empty_typeEEENS1_38merge_sort_block_merge_config_selectorIiSE_EEEEvv,"axG",@progbits,_ZN7rocprim17ROCPRIM_400000_NS6detail44device_merge_sort_compile_time_verifier_archINS1_11comp_targetILNS1_3genE9ELNS1_11target_archE1100ELNS1_3gpuE3ELNS1_3repE0EEES8_NS1_28merge_sort_block_sort_configILj256ELj4ELNS0_20block_sort_algorithmE0EEENS0_14default_configENS1_37merge_sort_block_sort_config_selectorIiNS0_10empty_typeEEENS1_38merge_sort_block_merge_config_selectorIiSE_EEEEvv,comdat
.Lfunc_end17:
	.size	_ZN7rocprim17ROCPRIM_400000_NS6detail44device_merge_sort_compile_time_verifier_archINS1_11comp_targetILNS1_3genE9ELNS1_11target_archE1100ELNS1_3gpuE3ELNS1_3repE0EEES8_NS1_28merge_sort_block_sort_configILj256ELj4ELNS0_20block_sort_algorithmE0EEENS0_14default_configENS1_37merge_sort_block_sort_config_selectorIiNS0_10empty_typeEEENS1_38merge_sort_block_merge_config_selectorIiSE_EEEEvv, .Lfunc_end17-_ZN7rocprim17ROCPRIM_400000_NS6detail44device_merge_sort_compile_time_verifier_archINS1_11comp_targetILNS1_3genE9ELNS1_11target_archE1100ELNS1_3gpuE3ELNS1_3repE0EEES8_NS1_28merge_sort_block_sort_configILj256ELj4ELNS0_20block_sort_algorithmE0EEENS0_14default_configENS1_37merge_sort_block_sort_config_selectorIiNS0_10empty_typeEEENS1_38merge_sort_block_merge_config_selectorIiSE_EEEEvv
                                        ; -- End function
	.set _ZN7rocprim17ROCPRIM_400000_NS6detail44device_merge_sort_compile_time_verifier_archINS1_11comp_targetILNS1_3genE9ELNS1_11target_archE1100ELNS1_3gpuE3ELNS1_3repE0EEES8_NS1_28merge_sort_block_sort_configILj256ELj4ELNS0_20block_sort_algorithmE0EEENS0_14default_configENS1_37merge_sort_block_sort_config_selectorIiNS0_10empty_typeEEENS1_38merge_sort_block_merge_config_selectorIiSE_EEEEvv.num_vgpr, 0
	.set _ZN7rocprim17ROCPRIM_400000_NS6detail44device_merge_sort_compile_time_verifier_archINS1_11comp_targetILNS1_3genE9ELNS1_11target_archE1100ELNS1_3gpuE3ELNS1_3repE0EEES8_NS1_28merge_sort_block_sort_configILj256ELj4ELNS0_20block_sort_algorithmE0EEENS0_14default_configENS1_37merge_sort_block_sort_config_selectorIiNS0_10empty_typeEEENS1_38merge_sort_block_merge_config_selectorIiSE_EEEEvv.num_agpr, 0
	.set _ZN7rocprim17ROCPRIM_400000_NS6detail44device_merge_sort_compile_time_verifier_archINS1_11comp_targetILNS1_3genE9ELNS1_11target_archE1100ELNS1_3gpuE3ELNS1_3repE0EEES8_NS1_28merge_sort_block_sort_configILj256ELj4ELNS0_20block_sort_algorithmE0EEENS0_14default_configENS1_37merge_sort_block_sort_config_selectorIiNS0_10empty_typeEEENS1_38merge_sort_block_merge_config_selectorIiSE_EEEEvv.numbered_sgpr, 0
	.set _ZN7rocprim17ROCPRIM_400000_NS6detail44device_merge_sort_compile_time_verifier_archINS1_11comp_targetILNS1_3genE9ELNS1_11target_archE1100ELNS1_3gpuE3ELNS1_3repE0EEES8_NS1_28merge_sort_block_sort_configILj256ELj4ELNS0_20block_sort_algorithmE0EEENS0_14default_configENS1_37merge_sort_block_sort_config_selectorIiNS0_10empty_typeEEENS1_38merge_sort_block_merge_config_selectorIiSE_EEEEvv.num_named_barrier, 0
	.set _ZN7rocprim17ROCPRIM_400000_NS6detail44device_merge_sort_compile_time_verifier_archINS1_11comp_targetILNS1_3genE9ELNS1_11target_archE1100ELNS1_3gpuE3ELNS1_3repE0EEES8_NS1_28merge_sort_block_sort_configILj256ELj4ELNS0_20block_sort_algorithmE0EEENS0_14default_configENS1_37merge_sort_block_sort_config_selectorIiNS0_10empty_typeEEENS1_38merge_sort_block_merge_config_selectorIiSE_EEEEvv.private_seg_size, 0
	.set _ZN7rocprim17ROCPRIM_400000_NS6detail44device_merge_sort_compile_time_verifier_archINS1_11comp_targetILNS1_3genE9ELNS1_11target_archE1100ELNS1_3gpuE3ELNS1_3repE0EEES8_NS1_28merge_sort_block_sort_configILj256ELj4ELNS0_20block_sort_algorithmE0EEENS0_14default_configENS1_37merge_sort_block_sort_config_selectorIiNS0_10empty_typeEEENS1_38merge_sort_block_merge_config_selectorIiSE_EEEEvv.uses_vcc, 0
	.set _ZN7rocprim17ROCPRIM_400000_NS6detail44device_merge_sort_compile_time_verifier_archINS1_11comp_targetILNS1_3genE9ELNS1_11target_archE1100ELNS1_3gpuE3ELNS1_3repE0EEES8_NS1_28merge_sort_block_sort_configILj256ELj4ELNS0_20block_sort_algorithmE0EEENS0_14default_configENS1_37merge_sort_block_sort_config_selectorIiNS0_10empty_typeEEENS1_38merge_sort_block_merge_config_selectorIiSE_EEEEvv.uses_flat_scratch, 0
	.set _ZN7rocprim17ROCPRIM_400000_NS6detail44device_merge_sort_compile_time_verifier_archINS1_11comp_targetILNS1_3genE9ELNS1_11target_archE1100ELNS1_3gpuE3ELNS1_3repE0EEES8_NS1_28merge_sort_block_sort_configILj256ELj4ELNS0_20block_sort_algorithmE0EEENS0_14default_configENS1_37merge_sort_block_sort_config_selectorIiNS0_10empty_typeEEENS1_38merge_sort_block_merge_config_selectorIiSE_EEEEvv.has_dyn_sized_stack, 0
	.set _ZN7rocprim17ROCPRIM_400000_NS6detail44device_merge_sort_compile_time_verifier_archINS1_11comp_targetILNS1_3genE9ELNS1_11target_archE1100ELNS1_3gpuE3ELNS1_3repE0EEES8_NS1_28merge_sort_block_sort_configILj256ELj4ELNS0_20block_sort_algorithmE0EEENS0_14default_configENS1_37merge_sort_block_sort_config_selectorIiNS0_10empty_typeEEENS1_38merge_sort_block_merge_config_selectorIiSE_EEEEvv.has_recursion, 0
	.set _ZN7rocprim17ROCPRIM_400000_NS6detail44device_merge_sort_compile_time_verifier_archINS1_11comp_targetILNS1_3genE9ELNS1_11target_archE1100ELNS1_3gpuE3ELNS1_3repE0EEES8_NS1_28merge_sort_block_sort_configILj256ELj4ELNS0_20block_sort_algorithmE0EEENS0_14default_configENS1_37merge_sort_block_sort_config_selectorIiNS0_10empty_typeEEENS1_38merge_sort_block_merge_config_selectorIiSE_EEEEvv.has_indirect_call, 0
	.section	.AMDGPU.csdata,"",@progbits
; Kernel info:
; codeLenInByte = 4
; TotalNumSgprs: 6
; NumVgprs: 0
; NumAgprs: 0
; TotalNumVgprs: 0
; ScratchSize: 0
; MemoryBound: 0
; FloatMode: 240
; IeeeMode: 1
; LDSByteSize: 0 bytes/workgroup (compile time only)
; SGPRBlocks: 0
; VGPRBlocks: 0
; NumSGPRsForWavesPerEU: 6
; NumVGPRsForWavesPerEU: 1
; AccumOffset: 4
; Occupancy: 8
; WaveLimiterHint : 0
; COMPUTE_PGM_RSRC2:SCRATCH_EN: 0
; COMPUTE_PGM_RSRC2:USER_SGPR: 0
; COMPUTE_PGM_RSRC2:TRAP_HANDLER: 0
; COMPUTE_PGM_RSRC2:TGID_X_EN: 1
; COMPUTE_PGM_RSRC2:TGID_Y_EN: 0
; COMPUTE_PGM_RSRC2:TGID_Z_EN: 0
; COMPUTE_PGM_RSRC2:TIDIG_COMP_CNT: 0
; COMPUTE_PGM_RSRC3_GFX90A:ACCUM_OFFSET: 0
; COMPUTE_PGM_RSRC3_GFX90A:TG_SPLIT: 0
	.section	.text._ZN7rocprim17ROCPRIM_400000_NS6detail44device_merge_sort_compile_time_verifier_archINS1_11comp_targetILNS1_3genE8ELNS1_11target_archE1030ELNS1_3gpuE2ELNS1_3repE0EEES8_NS1_28merge_sort_block_sort_configILj256ELj4ELNS0_20block_sort_algorithmE0EEENS0_14default_configENS1_37merge_sort_block_sort_config_selectorIiNS0_10empty_typeEEENS1_38merge_sort_block_merge_config_selectorIiSE_EEEEvv,"axG",@progbits,_ZN7rocprim17ROCPRIM_400000_NS6detail44device_merge_sort_compile_time_verifier_archINS1_11comp_targetILNS1_3genE8ELNS1_11target_archE1030ELNS1_3gpuE2ELNS1_3repE0EEES8_NS1_28merge_sort_block_sort_configILj256ELj4ELNS0_20block_sort_algorithmE0EEENS0_14default_configENS1_37merge_sort_block_sort_config_selectorIiNS0_10empty_typeEEENS1_38merge_sort_block_merge_config_selectorIiSE_EEEEvv,comdat
	.protected	_ZN7rocprim17ROCPRIM_400000_NS6detail44device_merge_sort_compile_time_verifier_archINS1_11comp_targetILNS1_3genE8ELNS1_11target_archE1030ELNS1_3gpuE2ELNS1_3repE0EEES8_NS1_28merge_sort_block_sort_configILj256ELj4ELNS0_20block_sort_algorithmE0EEENS0_14default_configENS1_37merge_sort_block_sort_config_selectorIiNS0_10empty_typeEEENS1_38merge_sort_block_merge_config_selectorIiSE_EEEEvv ; -- Begin function _ZN7rocprim17ROCPRIM_400000_NS6detail44device_merge_sort_compile_time_verifier_archINS1_11comp_targetILNS1_3genE8ELNS1_11target_archE1030ELNS1_3gpuE2ELNS1_3repE0EEES8_NS1_28merge_sort_block_sort_configILj256ELj4ELNS0_20block_sort_algorithmE0EEENS0_14default_configENS1_37merge_sort_block_sort_config_selectorIiNS0_10empty_typeEEENS1_38merge_sort_block_merge_config_selectorIiSE_EEEEvv
	.globl	_ZN7rocprim17ROCPRIM_400000_NS6detail44device_merge_sort_compile_time_verifier_archINS1_11comp_targetILNS1_3genE8ELNS1_11target_archE1030ELNS1_3gpuE2ELNS1_3repE0EEES8_NS1_28merge_sort_block_sort_configILj256ELj4ELNS0_20block_sort_algorithmE0EEENS0_14default_configENS1_37merge_sort_block_sort_config_selectorIiNS0_10empty_typeEEENS1_38merge_sort_block_merge_config_selectorIiSE_EEEEvv
	.p2align	8
	.type	_ZN7rocprim17ROCPRIM_400000_NS6detail44device_merge_sort_compile_time_verifier_archINS1_11comp_targetILNS1_3genE8ELNS1_11target_archE1030ELNS1_3gpuE2ELNS1_3repE0EEES8_NS1_28merge_sort_block_sort_configILj256ELj4ELNS0_20block_sort_algorithmE0EEENS0_14default_configENS1_37merge_sort_block_sort_config_selectorIiNS0_10empty_typeEEENS1_38merge_sort_block_merge_config_selectorIiSE_EEEEvv,@function
_ZN7rocprim17ROCPRIM_400000_NS6detail44device_merge_sort_compile_time_verifier_archINS1_11comp_targetILNS1_3genE8ELNS1_11target_archE1030ELNS1_3gpuE2ELNS1_3repE0EEES8_NS1_28merge_sort_block_sort_configILj256ELj4ELNS0_20block_sort_algorithmE0EEENS0_14default_configENS1_37merge_sort_block_sort_config_selectorIiNS0_10empty_typeEEENS1_38merge_sort_block_merge_config_selectorIiSE_EEEEvv: ; @_ZN7rocprim17ROCPRIM_400000_NS6detail44device_merge_sort_compile_time_verifier_archINS1_11comp_targetILNS1_3genE8ELNS1_11target_archE1030ELNS1_3gpuE2ELNS1_3repE0EEES8_NS1_28merge_sort_block_sort_configILj256ELj4ELNS0_20block_sort_algorithmE0EEENS0_14default_configENS1_37merge_sort_block_sort_config_selectorIiNS0_10empty_typeEEENS1_38merge_sort_block_merge_config_selectorIiSE_EEEEvv
; %bb.0:
	s_endpgm
	.section	.rodata,"a",@progbits
	.p2align	6, 0x0
	.amdhsa_kernel _ZN7rocprim17ROCPRIM_400000_NS6detail44device_merge_sort_compile_time_verifier_archINS1_11comp_targetILNS1_3genE8ELNS1_11target_archE1030ELNS1_3gpuE2ELNS1_3repE0EEES8_NS1_28merge_sort_block_sort_configILj256ELj4ELNS0_20block_sort_algorithmE0EEENS0_14default_configENS1_37merge_sort_block_sort_config_selectorIiNS0_10empty_typeEEENS1_38merge_sort_block_merge_config_selectorIiSE_EEEEvv
		.amdhsa_group_segment_fixed_size 0
		.amdhsa_private_segment_fixed_size 0
		.amdhsa_kernarg_size 0
		.amdhsa_user_sgpr_count 0
		.amdhsa_user_sgpr_dispatch_ptr 0
		.amdhsa_user_sgpr_queue_ptr 0
		.amdhsa_user_sgpr_kernarg_segment_ptr 0
		.amdhsa_user_sgpr_dispatch_id 0
		.amdhsa_user_sgpr_kernarg_preload_length 0
		.amdhsa_user_sgpr_kernarg_preload_offset 0
		.amdhsa_user_sgpr_private_segment_size 0
		.amdhsa_uses_dynamic_stack 0
		.amdhsa_enable_private_segment 0
		.amdhsa_system_sgpr_workgroup_id_x 1
		.amdhsa_system_sgpr_workgroup_id_y 0
		.amdhsa_system_sgpr_workgroup_id_z 0
		.amdhsa_system_sgpr_workgroup_info 0
		.amdhsa_system_vgpr_workitem_id 0
		.amdhsa_next_free_vgpr 1
		.amdhsa_next_free_sgpr 0
		.amdhsa_accum_offset 4
		.amdhsa_reserve_vcc 0
		.amdhsa_float_round_mode_32 0
		.amdhsa_float_round_mode_16_64 0
		.amdhsa_float_denorm_mode_32 3
		.amdhsa_float_denorm_mode_16_64 3
		.amdhsa_dx10_clamp 1
		.amdhsa_ieee_mode 1
		.amdhsa_fp16_overflow 0
		.amdhsa_tg_split 0
		.amdhsa_exception_fp_ieee_invalid_op 0
		.amdhsa_exception_fp_denorm_src 0
		.amdhsa_exception_fp_ieee_div_zero 0
		.amdhsa_exception_fp_ieee_overflow 0
		.amdhsa_exception_fp_ieee_underflow 0
		.amdhsa_exception_fp_ieee_inexact 0
		.amdhsa_exception_int_div_zero 0
	.end_amdhsa_kernel
	.section	.text._ZN7rocprim17ROCPRIM_400000_NS6detail44device_merge_sort_compile_time_verifier_archINS1_11comp_targetILNS1_3genE8ELNS1_11target_archE1030ELNS1_3gpuE2ELNS1_3repE0EEES8_NS1_28merge_sort_block_sort_configILj256ELj4ELNS0_20block_sort_algorithmE0EEENS0_14default_configENS1_37merge_sort_block_sort_config_selectorIiNS0_10empty_typeEEENS1_38merge_sort_block_merge_config_selectorIiSE_EEEEvv,"axG",@progbits,_ZN7rocprim17ROCPRIM_400000_NS6detail44device_merge_sort_compile_time_verifier_archINS1_11comp_targetILNS1_3genE8ELNS1_11target_archE1030ELNS1_3gpuE2ELNS1_3repE0EEES8_NS1_28merge_sort_block_sort_configILj256ELj4ELNS0_20block_sort_algorithmE0EEENS0_14default_configENS1_37merge_sort_block_sort_config_selectorIiNS0_10empty_typeEEENS1_38merge_sort_block_merge_config_selectorIiSE_EEEEvv,comdat
.Lfunc_end18:
	.size	_ZN7rocprim17ROCPRIM_400000_NS6detail44device_merge_sort_compile_time_verifier_archINS1_11comp_targetILNS1_3genE8ELNS1_11target_archE1030ELNS1_3gpuE2ELNS1_3repE0EEES8_NS1_28merge_sort_block_sort_configILj256ELj4ELNS0_20block_sort_algorithmE0EEENS0_14default_configENS1_37merge_sort_block_sort_config_selectorIiNS0_10empty_typeEEENS1_38merge_sort_block_merge_config_selectorIiSE_EEEEvv, .Lfunc_end18-_ZN7rocprim17ROCPRIM_400000_NS6detail44device_merge_sort_compile_time_verifier_archINS1_11comp_targetILNS1_3genE8ELNS1_11target_archE1030ELNS1_3gpuE2ELNS1_3repE0EEES8_NS1_28merge_sort_block_sort_configILj256ELj4ELNS0_20block_sort_algorithmE0EEENS0_14default_configENS1_37merge_sort_block_sort_config_selectorIiNS0_10empty_typeEEENS1_38merge_sort_block_merge_config_selectorIiSE_EEEEvv
                                        ; -- End function
	.set _ZN7rocprim17ROCPRIM_400000_NS6detail44device_merge_sort_compile_time_verifier_archINS1_11comp_targetILNS1_3genE8ELNS1_11target_archE1030ELNS1_3gpuE2ELNS1_3repE0EEES8_NS1_28merge_sort_block_sort_configILj256ELj4ELNS0_20block_sort_algorithmE0EEENS0_14default_configENS1_37merge_sort_block_sort_config_selectorIiNS0_10empty_typeEEENS1_38merge_sort_block_merge_config_selectorIiSE_EEEEvv.num_vgpr, 0
	.set _ZN7rocprim17ROCPRIM_400000_NS6detail44device_merge_sort_compile_time_verifier_archINS1_11comp_targetILNS1_3genE8ELNS1_11target_archE1030ELNS1_3gpuE2ELNS1_3repE0EEES8_NS1_28merge_sort_block_sort_configILj256ELj4ELNS0_20block_sort_algorithmE0EEENS0_14default_configENS1_37merge_sort_block_sort_config_selectorIiNS0_10empty_typeEEENS1_38merge_sort_block_merge_config_selectorIiSE_EEEEvv.num_agpr, 0
	.set _ZN7rocprim17ROCPRIM_400000_NS6detail44device_merge_sort_compile_time_verifier_archINS1_11comp_targetILNS1_3genE8ELNS1_11target_archE1030ELNS1_3gpuE2ELNS1_3repE0EEES8_NS1_28merge_sort_block_sort_configILj256ELj4ELNS0_20block_sort_algorithmE0EEENS0_14default_configENS1_37merge_sort_block_sort_config_selectorIiNS0_10empty_typeEEENS1_38merge_sort_block_merge_config_selectorIiSE_EEEEvv.numbered_sgpr, 0
	.set _ZN7rocprim17ROCPRIM_400000_NS6detail44device_merge_sort_compile_time_verifier_archINS1_11comp_targetILNS1_3genE8ELNS1_11target_archE1030ELNS1_3gpuE2ELNS1_3repE0EEES8_NS1_28merge_sort_block_sort_configILj256ELj4ELNS0_20block_sort_algorithmE0EEENS0_14default_configENS1_37merge_sort_block_sort_config_selectorIiNS0_10empty_typeEEENS1_38merge_sort_block_merge_config_selectorIiSE_EEEEvv.num_named_barrier, 0
	.set _ZN7rocprim17ROCPRIM_400000_NS6detail44device_merge_sort_compile_time_verifier_archINS1_11comp_targetILNS1_3genE8ELNS1_11target_archE1030ELNS1_3gpuE2ELNS1_3repE0EEES8_NS1_28merge_sort_block_sort_configILj256ELj4ELNS0_20block_sort_algorithmE0EEENS0_14default_configENS1_37merge_sort_block_sort_config_selectorIiNS0_10empty_typeEEENS1_38merge_sort_block_merge_config_selectorIiSE_EEEEvv.private_seg_size, 0
	.set _ZN7rocprim17ROCPRIM_400000_NS6detail44device_merge_sort_compile_time_verifier_archINS1_11comp_targetILNS1_3genE8ELNS1_11target_archE1030ELNS1_3gpuE2ELNS1_3repE0EEES8_NS1_28merge_sort_block_sort_configILj256ELj4ELNS0_20block_sort_algorithmE0EEENS0_14default_configENS1_37merge_sort_block_sort_config_selectorIiNS0_10empty_typeEEENS1_38merge_sort_block_merge_config_selectorIiSE_EEEEvv.uses_vcc, 0
	.set _ZN7rocprim17ROCPRIM_400000_NS6detail44device_merge_sort_compile_time_verifier_archINS1_11comp_targetILNS1_3genE8ELNS1_11target_archE1030ELNS1_3gpuE2ELNS1_3repE0EEES8_NS1_28merge_sort_block_sort_configILj256ELj4ELNS0_20block_sort_algorithmE0EEENS0_14default_configENS1_37merge_sort_block_sort_config_selectorIiNS0_10empty_typeEEENS1_38merge_sort_block_merge_config_selectorIiSE_EEEEvv.uses_flat_scratch, 0
	.set _ZN7rocprim17ROCPRIM_400000_NS6detail44device_merge_sort_compile_time_verifier_archINS1_11comp_targetILNS1_3genE8ELNS1_11target_archE1030ELNS1_3gpuE2ELNS1_3repE0EEES8_NS1_28merge_sort_block_sort_configILj256ELj4ELNS0_20block_sort_algorithmE0EEENS0_14default_configENS1_37merge_sort_block_sort_config_selectorIiNS0_10empty_typeEEENS1_38merge_sort_block_merge_config_selectorIiSE_EEEEvv.has_dyn_sized_stack, 0
	.set _ZN7rocprim17ROCPRIM_400000_NS6detail44device_merge_sort_compile_time_verifier_archINS1_11comp_targetILNS1_3genE8ELNS1_11target_archE1030ELNS1_3gpuE2ELNS1_3repE0EEES8_NS1_28merge_sort_block_sort_configILj256ELj4ELNS0_20block_sort_algorithmE0EEENS0_14default_configENS1_37merge_sort_block_sort_config_selectorIiNS0_10empty_typeEEENS1_38merge_sort_block_merge_config_selectorIiSE_EEEEvv.has_recursion, 0
	.set _ZN7rocprim17ROCPRIM_400000_NS6detail44device_merge_sort_compile_time_verifier_archINS1_11comp_targetILNS1_3genE8ELNS1_11target_archE1030ELNS1_3gpuE2ELNS1_3repE0EEES8_NS1_28merge_sort_block_sort_configILj256ELj4ELNS0_20block_sort_algorithmE0EEENS0_14default_configENS1_37merge_sort_block_sort_config_selectorIiNS0_10empty_typeEEENS1_38merge_sort_block_merge_config_selectorIiSE_EEEEvv.has_indirect_call, 0
	.section	.AMDGPU.csdata,"",@progbits
; Kernel info:
; codeLenInByte = 4
; TotalNumSgprs: 6
; NumVgprs: 0
; NumAgprs: 0
; TotalNumVgprs: 0
; ScratchSize: 0
; MemoryBound: 0
; FloatMode: 240
; IeeeMode: 1
; LDSByteSize: 0 bytes/workgroup (compile time only)
; SGPRBlocks: 0
; VGPRBlocks: 0
; NumSGPRsForWavesPerEU: 6
; NumVGPRsForWavesPerEU: 1
; AccumOffset: 4
; Occupancy: 8
; WaveLimiterHint : 0
; COMPUTE_PGM_RSRC2:SCRATCH_EN: 0
; COMPUTE_PGM_RSRC2:USER_SGPR: 0
; COMPUTE_PGM_RSRC2:TRAP_HANDLER: 0
; COMPUTE_PGM_RSRC2:TGID_X_EN: 1
; COMPUTE_PGM_RSRC2:TGID_Y_EN: 0
; COMPUTE_PGM_RSRC2:TGID_Z_EN: 0
; COMPUTE_PGM_RSRC2:TIDIG_COMP_CNT: 0
; COMPUTE_PGM_RSRC3_GFX90A:ACCUM_OFFSET: 0
; COMPUTE_PGM_RSRC3_GFX90A:TG_SPLIT: 0
	.section	.text._ZN7rocprim17ROCPRIM_400000_NS6detail17trampoline_kernelINS0_14default_configENS1_38merge_sort_block_merge_config_selectorIiNS0_10empty_typeEEEZZNS1_27merge_sort_block_merge_implIS3_N6thrust23THRUST_200600_302600_NS6detail15normal_iteratorINS9_10device_ptrIiEEEEPS5_jNS1_19radix_merge_compareILb0ELb0EiNS0_19identity_decomposerEEEEE10hipError_tT0_T1_T2_jT3_P12ihipStream_tbPNSt15iterator_traitsISK_E10value_typeEPNSQ_ISL_E10value_typeEPSM_NS1_7vsmem_tEENKUlT_SK_SL_SM_E_clIPiSE_SF_SF_EESJ_SZ_SK_SL_SM_EUlSZ_E_NS1_11comp_targetILNS1_3genE0ELNS1_11target_archE4294967295ELNS1_3gpuE0ELNS1_3repE0EEENS1_48merge_mergepath_partition_config_static_selectorELNS0_4arch9wavefront6targetE1EEEvSL_,"axG",@progbits,_ZN7rocprim17ROCPRIM_400000_NS6detail17trampoline_kernelINS0_14default_configENS1_38merge_sort_block_merge_config_selectorIiNS0_10empty_typeEEEZZNS1_27merge_sort_block_merge_implIS3_N6thrust23THRUST_200600_302600_NS6detail15normal_iteratorINS9_10device_ptrIiEEEEPS5_jNS1_19radix_merge_compareILb0ELb0EiNS0_19identity_decomposerEEEEE10hipError_tT0_T1_T2_jT3_P12ihipStream_tbPNSt15iterator_traitsISK_E10value_typeEPNSQ_ISL_E10value_typeEPSM_NS1_7vsmem_tEENKUlT_SK_SL_SM_E_clIPiSE_SF_SF_EESJ_SZ_SK_SL_SM_EUlSZ_E_NS1_11comp_targetILNS1_3genE0ELNS1_11target_archE4294967295ELNS1_3gpuE0ELNS1_3repE0EEENS1_48merge_mergepath_partition_config_static_selectorELNS0_4arch9wavefront6targetE1EEEvSL_,comdat
	.protected	_ZN7rocprim17ROCPRIM_400000_NS6detail17trampoline_kernelINS0_14default_configENS1_38merge_sort_block_merge_config_selectorIiNS0_10empty_typeEEEZZNS1_27merge_sort_block_merge_implIS3_N6thrust23THRUST_200600_302600_NS6detail15normal_iteratorINS9_10device_ptrIiEEEEPS5_jNS1_19radix_merge_compareILb0ELb0EiNS0_19identity_decomposerEEEEE10hipError_tT0_T1_T2_jT3_P12ihipStream_tbPNSt15iterator_traitsISK_E10value_typeEPNSQ_ISL_E10value_typeEPSM_NS1_7vsmem_tEENKUlT_SK_SL_SM_E_clIPiSE_SF_SF_EESJ_SZ_SK_SL_SM_EUlSZ_E_NS1_11comp_targetILNS1_3genE0ELNS1_11target_archE4294967295ELNS1_3gpuE0ELNS1_3repE0EEENS1_48merge_mergepath_partition_config_static_selectorELNS0_4arch9wavefront6targetE1EEEvSL_ ; -- Begin function _ZN7rocprim17ROCPRIM_400000_NS6detail17trampoline_kernelINS0_14default_configENS1_38merge_sort_block_merge_config_selectorIiNS0_10empty_typeEEEZZNS1_27merge_sort_block_merge_implIS3_N6thrust23THRUST_200600_302600_NS6detail15normal_iteratorINS9_10device_ptrIiEEEEPS5_jNS1_19radix_merge_compareILb0ELb0EiNS0_19identity_decomposerEEEEE10hipError_tT0_T1_T2_jT3_P12ihipStream_tbPNSt15iterator_traitsISK_E10value_typeEPNSQ_ISL_E10value_typeEPSM_NS1_7vsmem_tEENKUlT_SK_SL_SM_E_clIPiSE_SF_SF_EESJ_SZ_SK_SL_SM_EUlSZ_E_NS1_11comp_targetILNS1_3genE0ELNS1_11target_archE4294967295ELNS1_3gpuE0ELNS1_3repE0EEENS1_48merge_mergepath_partition_config_static_selectorELNS0_4arch9wavefront6targetE1EEEvSL_
	.globl	_ZN7rocprim17ROCPRIM_400000_NS6detail17trampoline_kernelINS0_14default_configENS1_38merge_sort_block_merge_config_selectorIiNS0_10empty_typeEEEZZNS1_27merge_sort_block_merge_implIS3_N6thrust23THRUST_200600_302600_NS6detail15normal_iteratorINS9_10device_ptrIiEEEEPS5_jNS1_19radix_merge_compareILb0ELb0EiNS0_19identity_decomposerEEEEE10hipError_tT0_T1_T2_jT3_P12ihipStream_tbPNSt15iterator_traitsISK_E10value_typeEPNSQ_ISL_E10value_typeEPSM_NS1_7vsmem_tEENKUlT_SK_SL_SM_E_clIPiSE_SF_SF_EESJ_SZ_SK_SL_SM_EUlSZ_E_NS1_11comp_targetILNS1_3genE0ELNS1_11target_archE4294967295ELNS1_3gpuE0ELNS1_3repE0EEENS1_48merge_mergepath_partition_config_static_selectorELNS0_4arch9wavefront6targetE1EEEvSL_
	.p2align	8
	.type	_ZN7rocprim17ROCPRIM_400000_NS6detail17trampoline_kernelINS0_14default_configENS1_38merge_sort_block_merge_config_selectorIiNS0_10empty_typeEEEZZNS1_27merge_sort_block_merge_implIS3_N6thrust23THRUST_200600_302600_NS6detail15normal_iteratorINS9_10device_ptrIiEEEEPS5_jNS1_19radix_merge_compareILb0ELb0EiNS0_19identity_decomposerEEEEE10hipError_tT0_T1_T2_jT3_P12ihipStream_tbPNSt15iterator_traitsISK_E10value_typeEPNSQ_ISL_E10value_typeEPSM_NS1_7vsmem_tEENKUlT_SK_SL_SM_E_clIPiSE_SF_SF_EESJ_SZ_SK_SL_SM_EUlSZ_E_NS1_11comp_targetILNS1_3genE0ELNS1_11target_archE4294967295ELNS1_3gpuE0ELNS1_3repE0EEENS1_48merge_mergepath_partition_config_static_selectorELNS0_4arch9wavefront6targetE1EEEvSL_,@function
_ZN7rocprim17ROCPRIM_400000_NS6detail17trampoline_kernelINS0_14default_configENS1_38merge_sort_block_merge_config_selectorIiNS0_10empty_typeEEEZZNS1_27merge_sort_block_merge_implIS3_N6thrust23THRUST_200600_302600_NS6detail15normal_iteratorINS9_10device_ptrIiEEEEPS5_jNS1_19radix_merge_compareILb0ELb0EiNS0_19identity_decomposerEEEEE10hipError_tT0_T1_T2_jT3_P12ihipStream_tbPNSt15iterator_traitsISK_E10value_typeEPNSQ_ISL_E10value_typeEPSM_NS1_7vsmem_tEENKUlT_SK_SL_SM_E_clIPiSE_SF_SF_EESJ_SZ_SK_SL_SM_EUlSZ_E_NS1_11comp_targetILNS1_3genE0ELNS1_11target_archE4294967295ELNS1_3gpuE0ELNS1_3repE0EEENS1_48merge_mergepath_partition_config_static_selectorELNS0_4arch9wavefront6targetE1EEEvSL_: ; @_ZN7rocprim17ROCPRIM_400000_NS6detail17trampoline_kernelINS0_14default_configENS1_38merge_sort_block_merge_config_selectorIiNS0_10empty_typeEEEZZNS1_27merge_sort_block_merge_implIS3_N6thrust23THRUST_200600_302600_NS6detail15normal_iteratorINS9_10device_ptrIiEEEEPS5_jNS1_19radix_merge_compareILb0ELb0EiNS0_19identity_decomposerEEEEE10hipError_tT0_T1_T2_jT3_P12ihipStream_tbPNSt15iterator_traitsISK_E10value_typeEPNSQ_ISL_E10value_typeEPSM_NS1_7vsmem_tEENKUlT_SK_SL_SM_E_clIPiSE_SF_SF_EESJ_SZ_SK_SL_SM_EUlSZ_E_NS1_11comp_targetILNS1_3genE0ELNS1_11target_archE4294967295ELNS1_3gpuE0ELNS1_3repE0EEENS1_48merge_mergepath_partition_config_static_selectorELNS0_4arch9wavefront6targetE1EEEvSL_
; %bb.0:
	s_load_dword s3, s[0:1], 0x0
	v_lshl_or_b32 v0, s2, 7, v0
	s_waitcnt lgkmcnt(0)
	v_cmp_gt_u32_e32 vcc, s3, v0
	s_and_saveexec_b64 s[2:3], vcc
	s_cbranch_execz .LBB19_6
; %bb.1:
	s_load_dwordx2 s[4:5], s[0:1], 0x4
	s_load_dwordx2 s[2:3], s[0:1], 0x20
	s_waitcnt lgkmcnt(0)
	s_lshr_b32 s6, s4, 9
	s_and_b32 s6, s6, 0x7ffffe
	s_add_i32 s7, s6, -1
	s_sub_i32 s6, 0, s6
	v_and_b32_e32 v1, s6, v0
	v_lshlrev_b32_e32 v1, 10, v1
	v_min_u32_e32 v2, s5, v1
	v_add_u32_e32 v1, s4, v1
	v_min_u32_e32 v4, s5, v1
	v_add_u32_e32 v1, s4, v4
	v_and_b32_e32 v3, s7, v0
	v_min_u32_e32 v1, s5, v1
	v_sub_u32_e32 v5, v1, v2
	v_lshlrev_b32_e32 v3, 10, v3
	v_min_u32_e32 v10, v5, v3
	v_sub_u32_e32 v3, v4, v2
	v_sub_u32_e32 v1, v1, v4
	v_sub_u32_e64 v1, v10, v1 clamp
	v_min_u32_e32 v11, v10, v3
	v_cmp_lt_u32_e32 vcc, v1, v11
	s_and_saveexec_b64 s[4:5], vcc
	s_cbranch_execz .LBB19_5
; %bb.2:
	s_load_dwordx2 s[0:1], s[0:1], 0x10
	v_mov_b32_e32 v5, 0
	v_mov_b32_e32 v3, v5
	s_waitcnt lgkmcnt(0)
	v_lshl_add_u64 v[6:7], v[2:3], 2, s[0:1]
	v_lshl_add_u64 v[8:9], v[4:5], 2, s[0:1]
	s_mov_b64 s[0:1], 0
.LBB19_3:                               ; =>This Inner Loop Header: Depth=1
	v_add_u32_e32 v3, v11, v1
	v_lshrrev_b32_e32 v4, 1, v3
	v_mov_b32_e32 v13, v5
	v_xad_u32 v12, v4, -1, v10
	v_lshl_add_u64 v[14:15], v[4:5], 2, v[6:7]
	v_lshl_add_u64 v[12:13], v[12:13], 2, v[8:9]
	global_load_dword v3, v[14:15], off
	global_load_dword v16, v[12:13], off
	v_add_u32_e32 v12, 1, v4
	s_waitcnt vmcnt(0)
	v_cmp_gt_i32_e32 vcc, v3, v16
	s_nop 1
	v_cndmask_b32_e32 v11, v11, v4, vcc
	v_cndmask_b32_e32 v1, v12, v1, vcc
	v_cmp_ge_u32_e32 vcc, v1, v11
	s_or_b64 s[0:1], vcc, s[0:1]
	s_andn2_b64 exec, exec, s[0:1]
	s_cbranch_execnz .LBB19_3
; %bb.4:
	s_or_b64 exec, exec, s[0:1]
.LBB19_5:
	s_or_b64 exec, exec, s[4:5]
	v_add_u32_e32 v2, v1, v2
	v_mov_b32_e32 v1, 0
	v_lshl_add_u64 v[0:1], v[0:1], 2, s[2:3]
	global_store_dword v[0:1], v2, off
.LBB19_6:
	s_endpgm
	.section	.rodata,"a",@progbits
	.p2align	6, 0x0
	.amdhsa_kernel _ZN7rocprim17ROCPRIM_400000_NS6detail17trampoline_kernelINS0_14default_configENS1_38merge_sort_block_merge_config_selectorIiNS0_10empty_typeEEEZZNS1_27merge_sort_block_merge_implIS3_N6thrust23THRUST_200600_302600_NS6detail15normal_iteratorINS9_10device_ptrIiEEEEPS5_jNS1_19radix_merge_compareILb0ELb0EiNS0_19identity_decomposerEEEEE10hipError_tT0_T1_T2_jT3_P12ihipStream_tbPNSt15iterator_traitsISK_E10value_typeEPNSQ_ISL_E10value_typeEPSM_NS1_7vsmem_tEENKUlT_SK_SL_SM_E_clIPiSE_SF_SF_EESJ_SZ_SK_SL_SM_EUlSZ_E_NS1_11comp_targetILNS1_3genE0ELNS1_11target_archE4294967295ELNS1_3gpuE0ELNS1_3repE0EEENS1_48merge_mergepath_partition_config_static_selectorELNS0_4arch9wavefront6targetE1EEEvSL_
		.amdhsa_group_segment_fixed_size 0
		.amdhsa_private_segment_fixed_size 0
		.amdhsa_kernarg_size 40
		.amdhsa_user_sgpr_count 2
		.amdhsa_user_sgpr_dispatch_ptr 0
		.amdhsa_user_sgpr_queue_ptr 0
		.amdhsa_user_sgpr_kernarg_segment_ptr 1
		.amdhsa_user_sgpr_dispatch_id 0
		.amdhsa_user_sgpr_kernarg_preload_length 0
		.amdhsa_user_sgpr_kernarg_preload_offset 0
		.amdhsa_user_sgpr_private_segment_size 0
		.amdhsa_uses_dynamic_stack 0
		.amdhsa_enable_private_segment 0
		.amdhsa_system_sgpr_workgroup_id_x 1
		.amdhsa_system_sgpr_workgroup_id_y 0
		.amdhsa_system_sgpr_workgroup_id_z 0
		.amdhsa_system_sgpr_workgroup_info 0
		.amdhsa_system_vgpr_workitem_id 0
		.amdhsa_next_free_vgpr 17
		.amdhsa_next_free_sgpr 8
		.amdhsa_accum_offset 20
		.amdhsa_reserve_vcc 1
		.amdhsa_float_round_mode_32 0
		.amdhsa_float_round_mode_16_64 0
		.amdhsa_float_denorm_mode_32 3
		.amdhsa_float_denorm_mode_16_64 3
		.amdhsa_dx10_clamp 1
		.amdhsa_ieee_mode 1
		.amdhsa_fp16_overflow 0
		.amdhsa_tg_split 0
		.amdhsa_exception_fp_ieee_invalid_op 0
		.amdhsa_exception_fp_denorm_src 0
		.amdhsa_exception_fp_ieee_div_zero 0
		.amdhsa_exception_fp_ieee_overflow 0
		.amdhsa_exception_fp_ieee_underflow 0
		.amdhsa_exception_fp_ieee_inexact 0
		.amdhsa_exception_int_div_zero 0
	.end_amdhsa_kernel
	.section	.text._ZN7rocprim17ROCPRIM_400000_NS6detail17trampoline_kernelINS0_14default_configENS1_38merge_sort_block_merge_config_selectorIiNS0_10empty_typeEEEZZNS1_27merge_sort_block_merge_implIS3_N6thrust23THRUST_200600_302600_NS6detail15normal_iteratorINS9_10device_ptrIiEEEEPS5_jNS1_19radix_merge_compareILb0ELb0EiNS0_19identity_decomposerEEEEE10hipError_tT0_T1_T2_jT3_P12ihipStream_tbPNSt15iterator_traitsISK_E10value_typeEPNSQ_ISL_E10value_typeEPSM_NS1_7vsmem_tEENKUlT_SK_SL_SM_E_clIPiSE_SF_SF_EESJ_SZ_SK_SL_SM_EUlSZ_E_NS1_11comp_targetILNS1_3genE0ELNS1_11target_archE4294967295ELNS1_3gpuE0ELNS1_3repE0EEENS1_48merge_mergepath_partition_config_static_selectorELNS0_4arch9wavefront6targetE1EEEvSL_,"axG",@progbits,_ZN7rocprim17ROCPRIM_400000_NS6detail17trampoline_kernelINS0_14default_configENS1_38merge_sort_block_merge_config_selectorIiNS0_10empty_typeEEEZZNS1_27merge_sort_block_merge_implIS3_N6thrust23THRUST_200600_302600_NS6detail15normal_iteratorINS9_10device_ptrIiEEEEPS5_jNS1_19radix_merge_compareILb0ELb0EiNS0_19identity_decomposerEEEEE10hipError_tT0_T1_T2_jT3_P12ihipStream_tbPNSt15iterator_traitsISK_E10value_typeEPNSQ_ISL_E10value_typeEPSM_NS1_7vsmem_tEENKUlT_SK_SL_SM_E_clIPiSE_SF_SF_EESJ_SZ_SK_SL_SM_EUlSZ_E_NS1_11comp_targetILNS1_3genE0ELNS1_11target_archE4294967295ELNS1_3gpuE0ELNS1_3repE0EEENS1_48merge_mergepath_partition_config_static_selectorELNS0_4arch9wavefront6targetE1EEEvSL_,comdat
.Lfunc_end19:
	.size	_ZN7rocprim17ROCPRIM_400000_NS6detail17trampoline_kernelINS0_14default_configENS1_38merge_sort_block_merge_config_selectorIiNS0_10empty_typeEEEZZNS1_27merge_sort_block_merge_implIS3_N6thrust23THRUST_200600_302600_NS6detail15normal_iteratorINS9_10device_ptrIiEEEEPS5_jNS1_19radix_merge_compareILb0ELb0EiNS0_19identity_decomposerEEEEE10hipError_tT0_T1_T2_jT3_P12ihipStream_tbPNSt15iterator_traitsISK_E10value_typeEPNSQ_ISL_E10value_typeEPSM_NS1_7vsmem_tEENKUlT_SK_SL_SM_E_clIPiSE_SF_SF_EESJ_SZ_SK_SL_SM_EUlSZ_E_NS1_11comp_targetILNS1_3genE0ELNS1_11target_archE4294967295ELNS1_3gpuE0ELNS1_3repE0EEENS1_48merge_mergepath_partition_config_static_selectorELNS0_4arch9wavefront6targetE1EEEvSL_, .Lfunc_end19-_ZN7rocprim17ROCPRIM_400000_NS6detail17trampoline_kernelINS0_14default_configENS1_38merge_sort_block_merge_config_selectorIiNS0_10empty_typeEEEZZNS1_27merge_sort_block_merge_implIS3_N6thrust23THRUST_200600_302600_NS6detail15normal_iteratorINS9_10device_ptrIiEEEEPS5_jNS1_19radix_merge_compareILb0ELb0EiNS0_19identity_decomposerEEEEE10hipError_tT0_T1_T2_jT3_P12ihipStream_tbPNSt15iterator_traitsISK_E10value_typeEPNSQ_ISL_E10value_typeEPSM_NS1_7vsmem_tEENKUlT_SK_SL_SM_E_clIPiSE_SF_SF_EESJ_SZ_SK_SL_SM_EUlSZ_E_NS1_11comp_targetILNS1_3genE0ELNS1_11target_archE4294967295ELNS1_3gpuE0ELNS1_3repE0EEENS1_48merge_mergepath_partition_config_static_selectorELNS0_4arch9wavefront6targetE1EEEvSL_
                                        ; -- End function
	.set _ZN7rocprim17ROCPRIM_400000_NS6detail17trampoline_kernelINS0_14default_configENS1_38merge_sort_block_merge_config_selectorIiNS0_10empty_typeEEEZZNS1_27merge_sort_block_merge_implIS3_N6thrust23THRUST_200600_302600_NS6detail15normal_iteratorINS9_10device_ptrIiEEEEPS5_jNS1_19radix_merge_compareILb0ELb0EiNS0_19identity_decomposerEEEEE10hipError_tT0_T1_T2_jT3_P12ihipStream_tbPNSt15iterator_traitsISK_E10value_typeEPNSQ_ISL_E10value_typeEPSM_NS1_7vsmem_tEENKUlT_SK_SL_SM_E_clIPiSE_SF_SF_EESJ_SZ_SK_SL_SM_EUlSZ_E_NS1_11comp_targetILNS1_3genE0ELNS1_11target_archE4294967295ELNS1_3gpuE0ELNS1_3repE0EEENS1_48merge_mergepath_partition_config_static_selectorELNS0_4arch9wavefront6targetE1EEEvSL_.num_vgpr, 17
	.set _ZN7rocprim17ROCPRIM_400000_NS6detail17trampoline_kernelINS0_14default_configENS1_38merge_sort_block_merge_config_selectorIiNS0_10empty_typeEEEZZNS1_27merge_sort_block_merge_implIS3_N6thrust23THRUST_200600_302600_NS6detail15normal_iteratorINS9_10device_ptrIiEEEEPS5_jNS1_19radix_merge_compareILb0ELb0EiNS0_19identity_decomposerEEEEE10hipError_tT0_T1_T2_jT3_P12ihipStream_tbPNSt15iterator_traitsISK_E10value_typeEPNSQ_ISL_E10value_typeEPSM_NS1_7vsmem_tEENKUlT_SK_SL_SM_E_clIPiSE_SF_SF_EESJ_SZ_SK_SL_SM_EUlSZ_E_NS1_11comp_targetILNS1_3genE0ELNS1_11target_archE4294967295ELNS1_3gpuE0ELNS1_3repE0EEENS1_48merge_mergepath_partition_config_static_selectorELNS0_4arch9wavefront6targetE1EEEvSL_.num_agpr, 0
	.set _ZN7rocprim17ROCPRIM_400000_NS6detail17trampoline_kernelINS0_14default_configENS1_38merge_sort_block_merge_config_selectorIiNS0_10empty_typeEEEZZNS1_27merge_sort_block_merge_implIS3_N6thrust23THRUST_200600_302600_NS6detail15normal_iteratorINS9_10device_ptrIiEEEEPS5_jNS1_19radix_merge_compareILb0ELb0EiNS0_19identity_decomposerEEEEE10hipError_tT0_T1_T2_jT3_P12ihipStream_tbPNSt15iterator_traitsISK_E10value_typeEPNSQ_ISL_E10value_typeEPSM_NS1_7vsmem_tEENKUlT_SK_SL_SM_E_clIPiSE_SF_SF_EESJ_SZ_SK_SL_SM_EUlSZ_E_NS1_11comp_targetILNS1_3genE0ELNS1_11target_archE4294967295ELNS1_3gpuE0ELNS1_3repE0EEENS1_48merge_mergepath_partition_config_static_selectorELNS0_4arch9wavefront6targetE1EEEvSL_.numbered_sgpr, 8
	.set _ZN7rocprim17ROCPRIM_400000_NS6detail17trampoline_kernelINS0_14default_configENS1_38merge_sort_block_merge_config_selectorIiNS0_10empty_typeEEEZZNS1_27merge_sort_block_merge_implIS3_N6thrust23THRUST_200600_302600_NS6detail15normal_iteratorINS9_10device_ptrIiEEEEPS5_jNS1_19radix_merge_compareILb0ELb0EiNS0_19identity_decomposerEEEEE10hipError_tT0_T1_T2_jT3_P12ihipStream_tbPNSt15iterator_traitsISK_E10value_typeEPNSQ_ISL_E10value_typeEPSM_NS1_7vsmem_tEENKUlT_SK_SL_SM_E_clIPiSE_SF_SF_EESJ_SZ_SK_SL_SM_EUlSZ_E_NS1_11comp_targetILNS1_3genE0ELNS1_11target_archE4294967295ELNS1_3gpuE0ELNS1_3repE0EEENS1_48merge_mergepath_partition_config_static_selectorELNS0_4arch9wavefront6targetE1EEEvSL_.num_named_barrier, 0
	.set _ZN7rocprim17ROCPRIM_400000_NS6detail17trampoline_kernelINS0_14default_configENS1_38merge_sort_block_merge_config_selectorIiNS0_10empty_typeEEEZZNS1_27merge_sort_block_merge_implIS3_N6thrust23THRUST_200600_302600_NS6detail15normal_iteratorINS9_10device_ptrIiEEEEPS5_jNS1_19radix_merge_compareILb0ELb0EiNS0_19identity_decomposerEEEEE10hipError_tT0_T1_T2_jT3_P12ihipStream_tbPNSt15iterator_traitsISK_E10value_typeEPNSQ_ISL_E10value_typeEPSM_NS1_7vsmem_tEENKUlT_SK_SL_SM_E_clIPiSE_SF_SF_EESJ_SZ_SK_SL_SM_EUlSZ_E_NS1_11comp_targetILNS1_3genE0ELNS1_11target_archE4294967295ELNS1_3gpuE0ELNS1_3repE0EEENS1_48merge_mergepath_partition_config_static_selectorELNS0_4arch9wavefront6targetE1EEEvSL_.private_seg_size, 0
	.set _ZN7rocprim17ROCPRIM_400000_NS6detail17trampoline_kernelINS0_14default_configENS1_38merge_sort_block_merge_config_selectorIiNS0_10empty_typeEEEZZNS1_27merge_sort_block_merge_implIS3_N6thrust23THRUST_200600_302600_NS6detail15normal_iteratorINS9_10device_ptrIiEEEEPS5_jNS1_19radix_merge_compareILb0ELb0EiNS0_19identity_decomposerEEEEE10hipError_tT0_T1_T2_jT3_P12ihipStream_tbPNSt15iterator_traitsISK_E10value_typeEPNSQ_ISL_E10value_typeEPSM_NS1_7vsmem_tEENKUlT_SK_SL_SM_E_clIPiSE_SF_SF_EESJ_SZ_SK_SL_SM_EUlSZ_E_NS1_11comp_targetILNS1_3genE0ELNS1_11target_archE4294967295ELNS1_3gpuE0ELNS1_3repE0EEENS1_48merge_mergepath_partition_config_static_selectorELNS0_4arch9wavefront6targetE1EEEvSL_.uses_vcc, 1
	.set _ZN7rocprim17ROCPRIM_400000_NS6detail17trampoline_kernelINS0_14default_configENS1_38merge_sort_block_merge_config_selectorIiNS0_10empty_typeEEEZZNS1_27merge_sort_block_merge_implIS3_N6thrust23THRUST_200600_302600_NS6detail15normal_iteratorINS9_10device_ptrIiEEEEPS5_jNS1_19radix_merge_compareILb0ELb0EiNS0_19identity_decomposerEEEEE10hipError_tT0_T1_T2_jT3_P12ihipStream_tbPNSt15iterator_traitsISK_E10value_typeEPNSQ_ISL_E10value_typeEPSM_NS1_7vsmem_tEENKUlT_SK_SL_SM_E_clIPiSE_SF_SF_EESJ_SZ_SK_SL_SM_EUlSZ_E_NS1_11comp_targetILNS1_3genE0ELNS1_11target_archE4294967295ELNS1_3gpuE0ELNS1_3repE0EEENS1_48merge_mergepath_partition_config_static_selectorELNS0_4arch9wavefront6targetE1EEEvSL_.uses_flat_scratch, 0
	.set _ZN7rocprim17ROCPRIM_400000_NS6detail17trampoline_kernelINS0_14default_configENS1_38merge_sort_block_merge_config_selectorIiNS0_10empty_typeEEEZZNS1_27merge_sort_block_merge_implIS3_N6thrust23THRUST_200600_302600_NS6detail15normal_iteratorINS9_10device_ptrIiEEEEPS5_jNS1_19radix_merge_compareILb0ELb0EiNS0_19identity_decomposerEEEEE10hipError_tT0_T1_T2_jT3_P12ihipStream_tbPNSt15iterator_traitsISK_E10value_typeEPNSQ_ISL_E10value_typeEPSM_NS1_7vsmem_tEENKUlT_SK_SL_SM_E_clIPiSE_SF_SF_EESJ_SZ_SK_SL_SM_EUlSZ_E_NS1_11comp_targetILNS1_3genE0ELNS1_11target_archE4294967295ELNS1_3gpuE0ELNS1_3repE0EEENS1_48merge_mergepath_partition_config_static_selectorELNS0_4arch9wavefront6targetE1EEEvSL_.has_dyn_sized_stack, 0
	.set _ZN7rocprim17ROCPRIM_400000_NS6detail17trampoline_kernelINS0_14default_configENS1_38merge_sort_block_merge_config_selectorIiNS0_10empty_typeEEEZZNS1_27merge_sort_block_merge_implIS3_N6thrust23THRUST_200600_302600_NS6detail15normal_iteratorINS9_10device_ptrIiEEEEPS5_jNS1_19radix_merge_compareILb0ELb0EiNS0_19identity_decomposerEEEEE10hipError_tT0_T1_T2_jT3_P12ihipStream_tbPNSt15iterator_traitsISK_E10value_typeEPNSQ_ISL_E10value_typeEPSM_NS1_7vsmem_tEENKUlT_SK_SL_SM_E_clIPiSE_SF_SF_EESJ_SZ_SK_SL_SM_EUlSZ_E_NS1_11comp_targetILNS1_3genE0ELNS1_11target_archE4294967295ELNS1_3gpuE0ELNS1_3repE0EEENS1_48merge_mergepath_partition_config_static_selectorELNS0_4arch9wavefront6targetE1EEEvSL_.has_recursion, 0
	.set _ZN7rocprim17ROCPRIM_400000_NS6detail17trampoline_kernelINS0_14default_configENS1_38merge_sort_block_merge_config_selectorIiNS0_10empty_typeEEEZZNS1_27merge_sort_block_merge_implIS3_N6thrust23THRUST_200600_302600_NS6detail15normal_iteratorINS9_10device_ptrIiEEEEPS5_jNS1_19radix_merge_compareILb0ELb0EiNS0_19identity_decomposerEEEEE10hipError_tT0_T1_T2_jT3_P12ihipStream_tbPNSt15iterator_traitsISK_E10value_typeEPNSQ_ISL_E10value_typeEPSM_NS1_7vsmem_tEENKUlT_SK_SL_SM_E_clIPiSE_SF_SF_EESJ_SZ_SK_SL_SM_EUlSZ_E_NS1_11comp_targetILNS1_3genE0ELNS1_11target_archE4294967295ELNS1_3gpuE0ELNS1_3repE0EEENS1_48merge_mergepath_partition_config_static_selectorELNS0_4arch9wavefront6targetE1EEEvSL_.has_indirect_call, 0
	.section	.AMDGPU.csdata,"",@progbits
; Kernel info:
; codeLenInByte = 316
; TotalNumSgprs: 14
; NumVgprs: 17
; NumAgprs: 0
; TotalNumVgprs: 17
; ScratchSize: 0
; MemoryBound: 0
; FloatMode: 240
; IeeeMode: 1
; LDSByteSize: 0 bytes/workgroup (compile time only)
; SGPRBlocks: 1
; VGPRBlocks: 2
; NumSGPRsForWavesPerEU: 14
; NumVGPRsForWavesPerEU: 17
; AccumOffset: 20
; Occupancy: 8
; WaveLimiterHint : 0
; COMPUTE_PGM_RSRC2:SCRATCH_EN: 0
; COMPUTE_PGM_RSRC2:USER_SGPR: 2
; COMPUTE_PGM_RSRC2:TRAP_HANDLER: 0
; COMPUTE_PGM_RSRC2:TGID_X_EN: 1
; COMPUTE_PGM_RSRC2:TGID_Y_EN: 0
; COMPUTE_PGM_RSRC2:TGID_Z_EN: 0
; COMPUTE_PGM_RSRC2:TIDIG_COMP_CNT: 0
; COMPUTE_PGM_RSRC3_GFX90A:ACCUM_OFFSET: 4
; COMPUTE_PGM_RSRC3_GFX90A:TG_SPLIT: 0
	.section	.text._ZN7rocprim17ROCPRIM_400000_NS6detail17trampoline_kernelINS0_14default_configENS1_38merge_sort_block_merge_config_selectorIiNS0_10empty_typeEEEZZNS1_27merge_sort_block_merge_implIS3_N6thrust23THRUST_200600_302600_NS6detail15normal_iteratorINS9_10device_ptrIiEEEEPS5_jNS1_19radix_merge_compareILb0ELb0EiNS0_19identity_decomposerEEEEE10hipError_tT0_T1_T2_jT3_P12ihipStream_tbPNSt15iterator_traitsISK_E10value_typeEPNSQ_ISL_E10value_typeEPSM_NS1_7vsmem_tEENKUlT_SK_SL_SM_E_clIPiSE_SF_SF_EESJ_SZ_SK_SL_SM_EUlSZ_E_NS1_11comp_targetILNS1_3genE10ELNS1_11target_archE1201ELNS1_3gpuE5ELNS1_3repE0EEENS1_48merge_mergepath_partition_config_static_selectorELNS0_4arch9wavefront6targetE1EEEvSL_,"axG",@progbits,_ZN7rocprim17ROCPRIM_400000_NS6detail17trampoline_kernelINS0_14default_configENS1_38merge_sort_block_merge_config_selectorIiNS0_10empty_typeEEEZZNS1_27merge_sort_block_merge_implIS3_N6thrust23THRUST_200600_302600_NS6detail15normal_iteratorINS9_10device_ptrIiEEEEPS5_jNS1_19radix_merge_compareILb0ELb0EiNS0_19identity_decomposerEEEEE10hipError_tT0_T1_T2_jT3_P12ihipStream_tbPNSt15iterator_traitsISK_E10value_typeEPNSQ_ISL_E10value_typeEPSM_NS1_7vsmem_tEENKUlT_SK_SL_SM_E_clIPiSE_SF_SF_EESJ_SZ_SK_SL_SM_EUlSZ_E_NS1_11comp_targetILNS1_3genE10ELNS1_11target_archE1201ELNS1_3gpuE5ELNS1_3repE0EEENS1_48merge_mergepath_partition_config_static_selectorELNS0_4arch9wavefront6targetE1EEEvSL_,comdat
	.protected	_ZN7rocprim17ROCPRIM_400000_NS6detail17trampoline_kernelINS0_14default_configENS1_38merge_sort_block_merge_config_selectorIiNS0_10empty_typeEEEZZNS1_27merge_sort_block_merge_implIS3_N6thrust23THRUST_200600_302600_NS6detail15normal_iteratorINS9_10device_ptrIiEEEEPS5_jNS1_19radix_merge_compareILb0ELb0EiNS0_19identity_decomposerEEEEE10hipError_tT0_T1_T2_jT3_P12ihipStream_tbPNSt15iterator_traitsISK_E10value_typeEPNSQ_ISL_E10value_typeEPSM_NS1_7vsmem_tEENKUlT_SK_SL_SM_E_clIPiSE_SF_SF_EESJ_SZ_SK_SL_SM_EUlSZ_E_NS1_11comp_targetILNS1_3genE10ELNS1_11target_archE1201ELNS1_3gpuE5ELNS1_3repE0EEENS1_48merge_mergepath_partition_config_static_selectorELNS0_4arch9wavefront6targetE1EEEvSL_ ; -- Begin function _ZN7rocprim17ROCPRIM_400000_NS6detail17trampoline_kernelINS0_14default_configENS1_38merge_sort_block_merge_config_selectorIiNS0_10empty_typeEEEZZNS1_27merge_sort_block_merge_implIS3_N6thrust23THRUST_200600_302600_NS6detail15normal_iteratorINS9_10device_ptrIiEEEEPS5_jNS1_19radix_merge_compareILb0ELb0EiNS0_19identity_decomposerEEEEE10hipError_tT0_T1_T2_jT3_P12ihipStream_tbPNSt15iterator_traitsISK_E10value_typeEPNSQ_ISL_E10value_typeEPSM_NS1_7vsmem_tEENKUlT_SK_SL_SM_E_clIPiSE_SF_SF_EESJ_SZ_SK_SL_SM_EUlSZ_E_NS1_11comp_targetILNS1_3genE10ELNS1_11target_archE1201ELNS1_3gpuE5ELNS1_3repE0EEENS1_48merge_mergepath_partition_config_static_selectorELNS0_4arch9wavefront6targetE1EEEvSL_
	.globl	_ZN7rocprim17ROCPRIM_400000_NS6detail17trampoline_kernelINS0_14default_configENS1_38merge_sort_block_merge_config_selectorIiNS0_10empty_typeEEEZZNS1_27merge_sort_block_merge_implIS3_N6thrust23THRUST_200600_302600_NS6detail15normal_iteratorINS9_10device_ptrIiEEEEPS5_jNS1_19radix_merge_compareILb0ELb0EiNS0_19identity_decomposerEEEEE10hipError_tT0_T1_T2_jT3_P12ihipStream_tbPNSt15iterator_traitsISK_E10value_typeEPNSQ_ISL_E10value_typeEPSM_NS1_7vsmem_tEENKUlT_SK_SL_SM_E_clIPiSE_SF_SF_EESJ_SZ_SK_SL_SM_EUlSZ_E_NS1_11comp_targetILNS1_3genE10ELNS1_11target_archE1201ELNS1_3gpuE5ELNS1_3repE0EEENS1_48merge_mergepath_partition_config_static_selectorELNS0_4arch9wavefront6targetE1EEEvSL_
	.p2align	8
	.type	_ZN7rocprim17ROCPRIM_400000_NS6detail17trampoline_kernelINS0_14default_configENS1_38merge_sort_block_merge_config_selectorIiNS0_10empty_typeEEEZZNS1_27merge_sort_block_merge_implIS3_N6thrust23THRUST_200600_302600_NS6detail15normal_iteratorINS9_10device_ptrIiEEEEPS5_jNS1_19radix_merge_compareILb0ELb0EiNS0_19identity_decomposerEEEEE10hipError_tT0_T1_T2_jT3_P12ihipStream_tbPNSt15iterator_traitsISK_E10value_typeEPNSQ_ISL_E10value_typeEPSM_NS1_7vsmem_tEENKUlT_SK_SL_SM_E_clIPiSE_SF_SF_EESJ_SZ_SK_SL_SM_EUlSZ_E_NS1_11comp_targetILNS1_3genE10ELNS1_11target_archE1201ELNS1_3gpuE5ELNS1_3repE0EEENS1_48merge_mergepath_partition_config_static_selectorELNS0_4arch9wavefront6targetE1EEEvSL_,@function
_ZN7rocprim17ROCPRIM_400000_NS6detail17trampoline_kernelINS0_14default_configENS1_38merge_sort_block_merge_config_selectorIiNS0_10empty_typeEEEZZNS1_27merge_sort_block_merge_implIS3_N6thrust23THRUST_200600_302600_NS6detail15normal_iteratorINS9_10device_ptrIiEEEEPS5_jNS1_19radix_merge_compareILb0ELb0EiNS0_19identity_decomposerEEEEE10hipError_tT0_T1_T2_jT3_P12ihipStream_tbPNSt15iterator_traitsISK_E10value_typeEPNSQ_ISL_E10value_typeEPSM_NS1_7vsmem_tEENKUlT_SK_SL_SM_E_clIPiSE_SF_SF_EESJ_SZ_SK_SL_SM_EUlSZ_E_NS1_11comp_targetILNS1_3genE10ELNS1_11target_archE1201ELNS1_3gpuE5ELNS1_3repE0EEENS1_48merge_mergepath_partition_config_static_selectorELNS0_4arch9wavefront6targetE1EEEvSL_: ; @_ZN7rocprim17ROCPRIM_400000_NS6detail17trampoline_kernelINS0_14default_configENS1_38merge_sort_block_merge_config_selectorIiNS0_10empty_typeEEEZZNS1_27merge_sort_block_merge_implIS3_N6thrust23THRUST_200600_302600_NS6detail15normal_iteratorINS9_10device_ptrIiEEEEPS5_jNS1_19radix_merge_compareILb0ELb0EiNS0_19identity_decomposerEEEEE10hipError_tT0_T1_T2_jT3_P12ihipStream_tbPNSt15iterator_traitsISK_E10value_typeEPNSQ_ISL_E10value_typeEPSM_NS1_7vsmem_tEENKUlT_SK_SL_SM_E_clIPiSE_SF_SF_EESJ_SZ_SK_SL_SM_EUlSZ_E_NS1_11comp_targetILNS1_3genE10ELNS1_11target_archE1201ELNS1_3gpuE5ELNS1_3repE0EEENS1_48merge_mergepath_partition_config_static_selectorELNS0_4arch9wavefront6targetE1EEEvSL_
; %bb.0:
	.section	.rodata,"a",@progbits
	.p2align	6, 0x0
	.amdhsa_kernel _ZN7rocprim17ROCPRIM_400000_NS6detail17trampoline_kernelINS0_14default_configENS1_38merge_sort_block_merge_config_selectorIiNS0_10empty_typeEEEZZNS1_27merge_sort_block_merge_implIS3_N6thrust23THRUST_200600_302600_NS6detail15normal_iteratorINS9_10device_ptrIiEEEEPS5_jNS1_19radix_merge_compareILb0ELb0EiNS0_19identity_decomposerEEEEE10hipError_tT0_T1_T2_jT3_P12ihipStream_tbPNSt15iterator_traitsISK_E10value_typeEPNSQ_ISL_E10value_typeEPSM_NS1_7vsmem_tEENKUlT_SK_SL_SM_E_clIPiSE_SF_SF_EESJ_SZ_SK_SL_SM_EUlSZ_E_NS1_11comp_targetILNS1_3genE10ELNS1_11target_archE1201ELNS1_3gpuE5ELNS1_3repE0EEENS1_48merge_mergepath_partition_config_static_selectorELNS0_4arch9wavefront6targetE1EEEvSL_
		.amdhsa_group_segment_fixed_size 0
		.amdhsa_private_segment_fixed_size 0
		.amdhsa_kernarg_size 40
		.amdhsa_user_sgpr_count 2
		.amdhsa_user_sgpr_dispatch_ptr 0
		.amdhsa_user_sgpr_queue_ptr 0
		.amdhsa_user_sgpr_kernarg_segment_ptr 1
		.amdhsa_user_sgpr_dispatch_id 0
		.amdhsa_user_sgpr_kernarg_preload_length 0
		.amdhsa_user_sgpr_kernarg_preload_offset 0
		.amdhsa_user_sgpr_private_segment_size 0
		.amdhsa_uses_dynamic_stack 0
		.amdhsa_enable_private_segment 0
		.amdhsa_system_sgpr_workgroup_id_x 1
		.amdhsa_system_sgpr_workgroup_id_y 0
		.amdhsa_system_sgpr_workgroup_id_z 0
		.amdhsa_system_sgpr_workgroup_info 0
		.amdhsa_system_vgpr_workitem_id 0
		.amdhsa_next_free_vgpr 1
		.amdhsa_next_free_sgpr 0
		.amdhsa_accum_offset 4
		.amdhsa_reserve_vcc 0
		.amdhsa_float_round_mode_32 0
		.amdhsa_float_round_mode_16_64 0
		.amdhsa_float_denorm_mode_32 3
		.amdhsa_float_denorm_mode_16_64 3
		.amdhsa_dx10_clamp 1
		.amdhsa_ieee_mode 1
		.amdhsa_fp16_overflow 0
		.amdhsa_tg_split 0
		.amdhsa_exception_fp_ieee_invalid_op 0
		.amdhsa_exception_fp_denorm_src 0
		.amdhsa_exception_fp_ieee_div_zero 0
		.amdhsa_exception_fp_ieee_overflow 0
		.amdhsa_exception_fp_ieee_underflow 0
		.amdhsa_exception_fp_ieee_inexact 0
		.amdhsa_exception_int_div_zero 0
	.end_amdhsa_kernel
	.section	.text._ZN7rocprim17ROCPRIM_400000_NS6detail17trampoline_kernelINS0_14default_configENS1_38merge_sort_block_merge_config_selectorIiNS0_10empty_typeEEEZZNS1_27merge_sort_block_merge_implIS3_N6thrust23THRUST_200600_302600_NS6detail15normal_iteratorINS9_10device_ptrIiEEEEPS5_jNS1_19radix_merge_compareILb0ELb0EiNS0_19identity_decomposerEEEEE10hipError_tT0_T1_T2_jT3_P12ihipStream_tbPNSt15iterator_traitsISK_E10value_typeEPNSQ_ISL_E10value_typeEPSM_NS1_7vsmem_tEENKUlT_SK_SL_SM_E_clIPiSE_SF_SF_EESJ_SZ_SK_SL_SM_EUlSZ_E_NS1_11comp_targetILNS1_3genE10ELNS1_11target_archE1201ELNS1_3gpuE5ELNS1_3repE0EEENS1_48merge_mergepath_partition_config_static_selectorELNS0_4arch9wavefront6targetE1EEEvSL_,"axG",@progbits,_ZN7rocprim17ROCPRIM_400000_NS6detail17trampoline_kernelINS0_14default_configENS1_38merge_sort_block_merge_config_selectorIiNS0_10empty_typeEEEZZNS1_27merge_sort_block_merge_implIS3_N6thrust23THRUST_200600_302600_NS6detail15normal_iteratorINS9_10device_ptrIiEEEEPS5_jNS1_19radix_merge_compareILb0ELb0EiNS0_19identity_decomposerEEEEE10hipError_tT0_T1_T2_jT3_P12ihipStream_tbPNSt15iterator_traitsISK_E10value_typeEPNSQ_ISL_E10value_typeEPSM_NS1_7vsmem_tEENKUlT_SK_SL_SM_E_clIPiSE_SF_SF_EESJ_SZ_SK_SL_SM_EUlSZ_E_NS1_11comp_targetILNS1_3genE10ELNS1_11target_archE1201ELNS1_3gpuE5ELNS1_3repE0EEENS1_48merge_mergepath_partition_config_static_selectorELNS0_4arch9wavefront6targetE1EEEvSL_,comdat
.Lfunc_end20:
	.size	_ZN7rocprim17ROCPRIM_400000_NS6detail17trampoline_kernelINS0_14default_configENS1_38merge_sort_block_merge_config_selectorIiNS0_10empty_typeEEEZZNS1_27merge_sort_block_merge_implIS3_N6thrust23THRUST_200600_302600_NS6detail15normal_iteratorINS9_10device_ptrIiEEEEPS5_jNS1_19radix_merge_compareILb0ELb0EiNS0_19identity_decomposerEEEEE10hipError_tT0_T1_T2_jT3_P12ihipStream_tbPNSt15iterator_traitsISK_E10value_typeEPNSQ_ISL_E10value_typeEPSM_NS1_7vsmem_tEENKUlT_SK_SL_SM_E_clIPiSE_SF_SF_EESJ_SZ_SK_SL_SM_EUlSZ_E_NS1_11comp_targetILNS1_3genE10ELNS1_11target_archE1201ELNS1_3gpuE5ELNS1_3repE0EEENS1_48merge_mergepath_partition_config_static_selectorELNS0_4arch9wavefront6targetE1EEEvSL_, .Lfunc_end20-_ZN7rocprim17ROCPRIM_400000_NS6detail17trampoline_kernelINS0_14default_configENS1_38merge_sort_block_merge_config_selectorIiNS0_10empty_typeEEEZZNS1_27merge_sort_block_merge_implIS3_N6thrust23THRUST_200600_302600_NS6detail15normal_iteratorINS9_10device_ptrIiEEEEPS5_jNS1_19radix_merge_compareILb0ELb0EiNS0_19identity_decomposerEEEEE10hipError_tT0_T1_T2_jT3_P12ihipStream_tbPNSt15iterator_traitsISK_E10value_typeEPNSQ_ISL_E10value_typeEPSM_NS1_7vsmem_tEENKUlT_SK_SL_SM_E_clIPiSE_SF_SF_EESJ_SZ_SK_SL_SM_EUlSZ_E_NS1_11comp_targetILNS1_3genE10ELNS1_11target_archE1201ELNS1_3gpuE5ELNS1_3repE0EEENS1_48merge_mergepath_partition_config_static_selectorELNS0_4arch9wavefront6targetE1EEEvSL_
                                        ; -- End function
	.set _ZN7rocprim17ROCPRIM_400000_NS6detail17trampoline_kernelINS0_14default_configENS1_38merge_sort_block_merge_config_selectorIiNS0_10empty_typeEEEZZNS1_27merge_sort_block_merge_implIS3_N6thrust23THRUST_200600_302600_NS6detail15normal_iteratorINS9_10device_ptrIiEEEEPS5_jNS1_19radix_merge_compareILb0ELb0EiNS0_19identity_decomposerEEEEE10hipError_tT0_T1_T2_jT3_P12ihipStream_tbPNSt15iterator_traitsISK_E10value_typeEPNSQ_ISL_E10value_typeEPSM_NS1_7vsmem_tEENKUlT_SK_SL_SM_E_clIPiSE_SF_SF_EESJ_SZ_SK_SL_SM_EUlSZ_E_NS1_11comp_targetILNS1_3genE10ELNS1_11target_archE1201ELNS1_3gpuE5ELNS1_3repE0EEENS1_48merge_mergepath_partition_config_static_selectorELNS0_4arch9wavefront6targetE1EEEvSL_.num_vgpr, 0
	.set _ZN7rocprim17ROCPRIM_400000_NS6detail17trampoline_kernelINS0_14default_configENS1_38merge_sort_block_merge_config_selectorIiNS0_10empty_typeEEEZZNS1_27merge_sort_block_merge_implIS3_N6thrust23THRUST_200600_302600_NS6detail15normal_iteratorINS9_10device_ptrIiEEEEPS5_jNS1_19radix_merge_compareILb0ELb0EiNS0_19identity_decomposerEEEEE10hipError_tT0_T1_T2_jT3_P12ihipStream_tbPNSt15iterator_traitsISK_E10value_typeEPNSQ_ISL_E10value_typeEPSM_NS1_7vsmem_tEENKUlT_SK_SL_SM_E_clIPiSE_SF_SF_EESJ_SZ_SK_SL_SM_EUlSZ_E_NS1_11comp_targetILNS1_3genE10ELNS1_11target_archE1201ELNS1_3gpuE5ELNS1_3repE0EEENS1_48merge_mergepath_partition_config_static_selectorELNS0_4arch9wavefront6targetE1EEEvSL_.num_agpr, 0
	.set _ZN7rocprim17ROCPRIM_400000_NS6detail17trampoline_kernelINS0_14default_configENS1_38merge_sort_block_merge_config_selectorIiNS0_10empty_typeEEEZZNS1_27merge_sort_block_merge_implIS3_N6thrust23THRUST_200600_302600_NS6detail15normal_iteratorINS9_10device_ptrIiEEEEPS5_jNS1_19radix_merge_compareILb0ELb0EiNS0_19identity_decomposerEEEEE10hipError_tT0_T1_T2_jT3_P12ihipStream_tbPNSt15iterator_traitsISK_E10value_typeEPNSQ_ISL_E10value_typeEPSM_NS1_7vsmem_tEENKUlT_SK_SL_SM_E_clIPiSE_SF_SF_EESJ_SZ_SK_SL_SM_EUlSZ_E_NS1_11comp_targetILNS1_3genE10ELNS1_11target_archE1201ELNS1_3gpuE5ELNS1_3repE0EEENS1_48merge_mergepath_partition_config_static_selectorELNS0_4arch9wavefront6targetE1EEEvSL_.numbered_sgpr, 0
	.set _ZN7rocprim17ROCPRIM_400000_NS6detail17trampoline_kernelINS0_14default_configENS1_38merge_sort_block_merge_config_selectorIiNS0_10empty_typeEEEZZNS1_27merge_sort_block_merge_implIS3_N6thrust23THRUST_200600_302600_NS6detail15normal_iteratorINS9_10device_ptrIiEEEEPS5_jNS1_19radix_merge_compareILb0ELb0EiNS0_19identity_decomposerEEEEE10hipError_tT0_T1_T2_jT3_P12ihipStream_tbPNSt15iterator_traitsISK_E10value_typeEPNSQ_ISL_E10value_typeEPSM_NS1_7vsmem_tEENKUlT_SK_SL_SM_E_clIPiSE_SF_SF_EESJ_SZ_SK_SL_SM_EUlSZ_E_NS1_11comp_targetILNS1_3genE10ELNS1_11target_archE1201ELNS1_3gpuE5ELNS1_3repE0EEENS1_48merge_mergepath_partition_config_static_selectorELNS0_4arch9wavefront6targetE1EEEvSL_.num_named_barrier, 0
	.set _ZN7rocprim17ROCPRIM_400000_NS6detail17trampoline_kernelINS0_14default_configENS1_38merge_sort_block_merge_config_selectorIiNS0_10empty_typeEEEZZNS1_27merge_sort_block_merge_implIS3_N6thrust23THRUST_200600_302600_NS6detail15normal_iteratorINS9_10device_ptrIiEEEEPS5_jNS1_19radix_merge_compareILb0ELb0EiNS0_19identity_decomposerEEEEE10hipError_tT0_T1_T2_jT3_P12ihipStream_tbPNSt15iterator_traitsISK_E10value_typeEPNSQ_ISL_E10value_typeEPSM_NS1_7vsmem_tEENKUlT_SK_SL_SM_E_clIPiSE_SF_SF_EESJ_SZ_SK_SL_SM_EUlSZ_E_NS1_11comp_targetILNS1_3genE10ELNS1_11target_archE1201ELNS1_3gpuE5ELNS1_3repE0EEENS1_48merge_mergepath_partition_config_static_selectorELNS0_4arch9wavefront6targetE1EEEvSL_.private_seg_size, 0
	.set _ZN7rocprim17ROCPRIM_400000_NS6detail17trampoline_kernelINS0_14default_configENS1_38merge_sort_block_merge_config_selectorIiNS0_10empty_typeEEEZZNS1_27merge_sort_block_merge_implIS3_N6thrust23THRUST_200600_302600_NS6detail15normal_iteratorINS9_10device_ptrIiEEEEPS5_jNS1_19radix_merge_compareILb0ELb0EiNS0_19identity_decomposerEEEEE10hipError_tT0_T1_T2_jT3_P12ihipStream_tbPNSt15iterator_traitsISK_E10value_typeEPNSQ_ISL_E10value_typeEPSM_NS1_7vsmem_tEENKUlT_SK_SL_SM_E_clIPiSE_SF_SF_EESJ_SZ_SK_SL_SM_EUlSZ_E_NS1_11comp_targetILNS1_3genE10ELNS1_11target_archE1201ELNS1_3gpuE5ELNS1_3repE0EEENS1_48merge_mergepath_partition_config_static_selectorELNS0_4arch9wavefront6targetE1EEEvSL_.uses_vcc, 0
	.set _ZN7rocprim17ROCPRIM_400000_NS6detail17trampoline_kernelINS0_14default_configENS1_38merge_sort_block_merge_config_selectorIiNS0_10empty_typeEEEZZNS1_27merge_sort_block_merge_implIS3_N6thrust23THRUST_200600_302600_NS6detail15normal_iteratorINS9_10device_ptrIiEEEEPS5_jNS1_19radix_merge_compareILb0ELb0EiNS0_19identity_decomposerEEEEE10hipError_tT0_T1_T2_jT3_P12ihipStream_tbPNSt15iterator_traitsISK_E10value_typeEPNSQ_ISL_E10value_typeEPSM_NS1_7vsmem_tEENKUlT_SK_SL_SM_E_clIPiSE_SF_SF_EESJ_SZ_SK_SL_SM_EUlSZ_E_NS1_11comp_targetILNS1_3genE10ELNS1_11target_archE1201ELNS1_3gpuE5ELNS1_3repE0EEENS1_48merge_mergepath_partition_config_static_selectorELNS0_4arch9wavefront6targetE1EEEvSL_.uses_flat_scratch, 0
	.set _ZN7rocprim17ROCPRIM_400000_NS6detail17trampoline_kernelINS0_14default_configENS1_38merge_sort_block_merge_config_selectorIiNS0_10empty_typeEEEZZNS1_27merge_sort_block_merge_implIS3_N6thrust23THRUST_200600_302600_NS6detail15normal_iteratorINS9_10device_ptrIiEEEEPS5_jNS1_19radix_merge_compareILb0ELb0EiNS0_19identity_decomposerEEEEE10hipError_tT0_T1_T2_jT3_P12ihipStream_tbPNSt15iterator_traitsISK_E10value_typeEPNSQ_ISL_E10value_typeEPSM_NS1_7vsmem_tEENKUlT_SK_SL_SM_E_clIPiSE_SF_SF_EESJ_SZ_SK_SL_SM_EUlSZ_E_NS1_11comp_targetILNS1_3genE10ELNS1_11target_archE1201ELNS1_3gpuE5ELNS1_3repE0EEENS1_48merge_mergepath_partition_config_static_selectorELNS0_4arch9wavefront6targetE1EEEvSL_.has_dyn_sized_stack, 0
	.set _ZN7rocprim17ROCPRIM_400000_NS6detail17trampoline_kernelINS0_14default_configENS1_38merge_sort_block_merge_config_selectorIiNS0_10empty_typeEEEZZNS1_27merge_sort_block_merge_implIS3_N6thrust23THRUST_200600_302600_NS6detail15normal_iteratorINS9_10device_ptrIiEEEEPS5_jNS1_19radix_merge_compareILb0ELb0EiNS0_19identity_decomposerEEEEE10hipError_tT0_T1_T2_jT3_P12ihipStream_tbPNSt15iterator_traitsISK_E10value_typeEPNSQ_ISL_E10value_typeEPSM_NS1_7vsmem_tEENKUlT_SK_SL_SM_E_clIPiSE_SF_SF_EESJ_SZ_SK_SL_SM_EUlSZ_E_NS1_11comp_targetILNS1_3genE10ELNS1_11target_archE1201ELNS1_3gpuE5ELNS1_3repE0EEENS1_48merge_mergepath_partition_config_static_selectorELNS0_4arch9wavefront6targetE1EEEvSL_.has_recursion, 0
	.set _ZN7rocprim17ROCPRIM_400000_NS6detail17trampoline_kernelINS0_14default_configENS1_38merge_sort_block_merge_config_selectorIiNS0_10empty_typeEEEZZNS1_27merge_sort_block_merge_implIS3_N6thrust23THRUST_200600_302600_NS6detail15normal_iteratorINS9_10device_ptrIiEEEEPS5_jNS1_19radix_merge_compareILb0ELb0EiNS0_19identity_decomposerEEEEE10hipError_tT0_T1_T2_jT3_P12ihipStream_tbPNSt15iterator_traitsISK_E10value_typeEPNSQ_ISL_E10value_typeEPSM_NS1_7vsmem_tEENKUlT_SK_SL_SM_E_clIPiSE_SF_SF_EESJ_SZ_SK_SL_SM_EUlSZ_E_NS1_11comp_targetILNS1_3genE10ELNS1_11target_archE1201ELNS1_3gpuE5ELNS1_3repE0EEENS1_48merge_mergepath_partition_config_static_selectorELNS0_4arch9wavefront6targetE1EEEvSL_.has_indirect_call, 0
	.section	.AMDGPU.csdata,"",@progbits
; Kernel info:
; codeLenInByte = 0
; TotalNumSgprs: 6
; NumVgprs: 0
; NumAgprs: 0
; TotalNumVgprs: 0
; ScratchSize: 0
; MemoryBound: 0
; FloatMode: 240
; IeeeMode: 1
; LDSByteSize: 0 bytes/workgroup (compile time only)
; SGPRBlocks: 0
; VGPRBlocks: 0
; NumSGPRsForWavesPerEU: 6
; NumVGPRsForWavesPerEU: 1
; AccumOffset: 4
; Occupancy: 8
; WaveLimiterHint : 0
; COMPUTE_PGM_RSRC2:SCRATCH_EN: 0
; COMPUTE_PGM_RSRC2:USER_SGPR: 2
; COMPUTE_PGM_RSRC2:TRAP_HANDLER: 0
; COMPUTE_PGM_RSRC2:TGID_X_EN: 1
; COMPUTE_PGM_RSRC2:TGID_Y_EN: 0
; COMPUTE_PGM_RSRC2:TGID_Z_EN: 0
; COMPUTE_PGM_RSRC2:TIDIG_COMP_CNT: 0
; COMPUTE_PGM_RSRC3_GFX90A:ACCUM_OFFSET: 0
; COMPUTE_PGM_RSRC3_GFX90A:TG_SPLIT: 0
	.section	.text._ZN7rocprim17ROCPRIM_400000_NS6detail17trampoline_kernelINS0_14default_configENS1_38merge_sort_block_merge_config_selectorIiNS0_10empty_typeEEEZZNS1_27merge_sort_block_merge_implIS3_N6thrust23THRUST_200600_302600_NS6detail15normal_iteratorINS9_10device_ptrIiEEEEPS5_jNS1_19radix_merge_compareILb0ELb0EiNS0_19identity_decomposerEEEEE10hipError_tT0_T1_T2_jT3_P12ihipStream_tbPNSt15iterator_traitsISK_E10value_typeEPNSQ_ISL_E10value_typeEPSM_NS1_7vsmem_tEENKUlT_SK_SL_SM_E_clIPiSE_SF_SF_EESJ_SZ_SK_SL_SM_EUlSZ_E_NS1_11comp_targetILNS1_3genE5ELNS1_11target_archE942ELNS1_3gpuE9ELNS1_3repE0EEENS1_48merge_mergepath_partition_config_static_selectorELNS0_4arch9wavefront6targetE1EEEvSL_,"axG",@progbits,_ZN7rocprim17ROCPRIM_400000_NS6detail17trampoline_kernelINS0_14default_configENS1_38merge_sort_block_merge_config_selectorIiNS0_10empty_typeEEEZZNS1_27merge_sort_block_merge_implIS3_N6thrust23THRUST_200600_302600_NS6detail15normal_iteratorINS9_10device_ptrIiEEEEPS5_jNS1_19radix_merge_compareILb0ELb0EiNS0_19identity_decomposerEEEEE10hipError_tT0_T1_T2_jT3_P12ihipStream_tbPNSt15iterator_traitsISK_E10value_typeEPNSQ_ISL_E10value_typeEPSM_NS1_7vsmem_tEENKUlT_SK_SL_SM_E_clIPiSE_SF_SF_EESJ_SZ_SK_SL_SM_EUlSZ_E_NS1_11comp_targetILNS1_3genE5ELNS1_11target_archE942ELNS1_3gpuE9ELNS1_3repE0EEENS1_48merge_mergepath_partition_config_static_selectorELNS0_4arch9wavefront6targetE1EEEvSL_,comdat
	.protected	_ZN7rocprim17ROCPRIM_400000_NS6detail17trampoline_kernelINS0_14default_configENS1_38merge_sort_block_merge_config_selectorIiNS0_10empty_typeEEEZZNS1_27merge_sort_block_merge_implIS3_N6thrust23THRUST_200600_302600_NS6detail15normal_iteratorINS9_10device_ptrIiEEEEPS5_jNS1_19radix_merge_compareILb0ELb0EiNS0_19identity_decomposerEEEEE10hipError_tT0_T1_T2_jT3_P12ihipStream_tbPNSt15iterator_traitsISK_E10value_typeEPNSQ_ISL_E10value_typeEPSM_NS1_7vsmem_tEENKUlT_SK_SL_SM_E_clIPiSE_SF_SF_EESJ_SZ_SK_SL_SM_EUlSZ_E_NS1_11comp_targetILNS1_3genE5ELNS1_11target_archE942ELNS1_3gpuE9ELNS1_3repE0EEENS1_48merge_mergepath_partition_config_static_selectorELNS0_4arch9wavefront6targetE1EEEvSL_ ; -- Begin function _ZN7rocprim17ROCPRIM_400000_NS6detail17trampoline_kernelINS0_14default_configENS1_38merge_sort_block_merge_config_selectorIiNS0_10empty_typeEEEZZNS1_27merge_sort_block_merge_implIS3_N6thrust23THRUST_200600_302600_NS6detail15normal_iteratorINS9_10device_ptrIiEEEEPS5_jNS1_19radix_merge_compareILb0ELb0EiNS0_19identity_decomposerEEEEE10hipError_tT0_T1_T2_jT3_P12ihipStream_tbPNSt15iterator_traitsISK_E10value_typeEPNSQ_ISL_E10value_typeEPSM_NS1_7vsmem_tEENKUlT_SK_SL_SM_E_clIPiSE_SF_SF_EESJ_SZ_SK_SL_SM_EUlSZ_E_NS1_11comp_targetILNS1_3genE5ELNS1_11target_archE942ELNS1_3gpuE9ELNS1_3repE0EEENS1_48merge_mergepath_partition_config_static_selectorELNS0_4arch9wavefront6targetE1EEEvSL_
	.globl	_ZN7rocprim17ROCPRIM_400000_NS6detail17trampoline_kernelINS0_14default_configENS1_38merge_sort_block_merge_config_selectorIiNS0_10empty_typeEEEZZNS1_27merge_sort_block_merge_implIS3_N6thrust23THRUST_200600_302600_NS6detail15normal_iteratorINS9_10device_ptrIiEEEEPS5_jNS1_19radix_merge_compareILb0ELb0EiNS0_19identity_decomposerEEEEE10hipError_tT0_T1_T2_jT3_P12ihipStream_tbPNSt15iterator_traitsISK_E10value_typeEPNSQ_ISL_E10value_typeEPSM_NS1_7vsmem_tEENKUlT_SK_SL_SM_E_clIPiSE_SF_SF_EESJ_SZ_SK_SL_SM_EUlSZ_E_NS1_11comp_targetILNS1_3genE5ELNS1_11target_archE942ELNS1_3gpuE9ELNS1_3repE0EEENS1_48merge_mergepath_partition_config_static_selectorELNS0_4arch9wavefront6targetE1EEEvSL_
	.p2align	8
	.type	_ZN7rocprim17ROCPRIM_400000_NS6detail17trampoline_kernelINS0_14default_configENS1_38merge_sort_block_merge_config_selectorIiNS0_10empty_typeEEEZZNS1_27merge_sort_block_merge_implIS3_N6thrust23THRUST_200600_302600_NS6detail15normal_iteratorINS9_10device_ptrIiEEEEPS5_jNS1_19radix_merge_compareILb0ELb0EiNS0_19identity_decomposerEEEEE10hipError_tT0_T1_T2_jT3_P12ihipStream_tbPNSt15iterator_traitsISK_E10value_typeEPNSQ_ISL_E10value_typeEPSM_NS1_7vsmem_tEENKUlT_SK_SL_SM_E_clIPiSE_SF_SF_EESJ_SZ_SK_SL_SM_EUlSZ_E_NS1_11comp_targetILNS1_3genE5ELNS1_11target_archE942ELNS1_3gpuE9ELNS1_3repE0EEENS1_48merge_mergepath_partition_config_static_selectorELNS0_4arch9wavefront6targetE1EEEvSL_,@function
_ZN7rocprim17ROCPRIM_400000_NS6detail17trampoline_kernelINS0_14default_configENS1_38merge_sort_block_merge_config_selectorIiNS0_10empty_typeEEEZZNS1_27merge_sort_block_merge_implIS3_N6thrust23THRUST_200600_302600_NS6detail15normal_iteratorINS9_10device_ptrIiEEEEPS5_jNS1_19radix_merge_compareILb0ELb0EiNS0_19identity_decomposerEEEEE10hipError_tT0_T1_T2_jT3_P12ihipStream_tbPNSt15iterator_traitsISK_E10value_typeEPNSQ_ISL_E10value_typeEPSM_NS1_7vsmem_tEENKUlT_SK_SL_SM_E_clIPiSE_SF_SF_EESJ_SZ_SK_SL_SM_EUlSZ_E_NS1_11comp_targetILNS1_3genE5ELNS1_11target_archE942ELNS1_3gpuE9ELNS1_3repE0EEENS1_48merge_mergepath_partition_config_static_selectorELNS0_4arch9wavefront6targetE1EEEvSL_: ; @_ZN7rocprim17ROCPRIM_400000_NS6detail17trampoline_kernelINS0_14default_configENS1_38merge_sort_block_merge_config_selectorIiNS0_10empty_typeEEEZZNS1_27merge_sort_block_merge_implIS3_N6thrust23THRUST_200600_302600_NS6detail15normal_iteratorINS9_10device_ptrIiEEEEPS5_jNS1_19radix_merge_compareILb0ELb0EiNS0_19identity_decomposerEEEEE10hipError_tT0_T1_T2_jT3_P12ihipStream_tbPNSt15iterator_traitsISK_E10value_typeEPNSQ_ISL_E10value_typeEPSM_NS1_7vsmem_tEENKUlT_SK_SL_SM_E_clIPiSE_SF_SF_EESJ_SZ_SK_SL_SM_EUlSZ_E_NS1_11comp_targetILNS1_3genE5ELNS1_11target_archE942ELNS1_3gpuE9ELNS1_3repE0EEENS1_48merge_mergepath_partition_config_static_selectorELNS0_4arch9wavefront6targetE1EEEvSL_
; %bb.0:
	.section	.rodata,"a",@progbits
	.p2align	6, 0x0
	.amdhsa_kernel _ZN7rocprim17ROCPRIM_400000_NS6detail17trampoline_kernelINS0_14default_configENS1_38merge_sort_block_merge_config_selectorIiNS0_10empty_typeEEEZZNS1_27merge_sort_block_merge_implIS3_N6thrust23THRUST_200600_302600_NS6detail15normal_iteratorINS9_10device_ptrIiEEEEPS5_jNS1_19radix_merge_compareILb0ELb0EiNS0_19identity_decomposerEEEEE10hipError_tT0_T1_T2_jT3_P12ihipStream_tbPNSt15iterator_traitsISK_E10value_typeEPNSQ_ISL_E10value_typeEPSM_NS1_7vsmem_tEENKUlT_SK_SL_SM_E_clIPiSE_SF_SF_EESJ_SZ_SK_SL_SM_EUlSZ_E_NS1_11comp_targetILNS1_3genE5ELNS1_11target_archE942ELNS1_3gpuE9ELNS1_3repE0EEENS1_48merge_mergepath_partition_config_static_selectorELNS0_4arch9wavefront6targetE1EEEvSL_
		.amdhsa_group_segment_fixed_size 0
		.amdhsa_private_segment_fixed_size 0
		.amdhsa_kernarg_size 40
		.amdhsa_user_sgpr_count 2
		.amdhsa_user_sgpr_dispatch_ptr 0
		.amdhsa_user_sgpr_queue_ptr 0
		.amdhsa_user_sgpr_kernarg_segment_ptr 1
		.amdhsa_user_sgpr_dispatch_id 0
		.amdhsa_user_sgpr_kernarg_preload_length 0
		.amdhsa_user_sgpr_kernarg_preload_offset 0
		.amdhsa_user_sgpr_private_segment_size 0
		.amdhsa_uses_dynamic_stack 0
		.amdhsa_enable_private_segment 0
		.amdhsa_system_sgpr_workgroup_id_x 1
		.amdhsa_system_sgpr_workgroup_id_y 0
		.amdhsa_system_sgpr_workgroup_id_z 0
		.amdhsa_system_sgpr_workgroup_info 0
		.amdhsa_system_vgpr_workitem_id 0
		.amdhsa_next_free_vgpr 1
		.amdhsa_next_free_sgpr 0
		.amdhsa_accum_offset 4
		.amdhsa_reserve_vcc 0
		.amdhsa_float_round_mode_32 0
		.amdhsa_float_round_mode_16_64 0
		.amdhsa_float_denorm_mode_32 3
		.amdhsa_float_denorm_mode_16_64 3
		.amdhsa_dx10_clamp 1
		.amdhsa_ieee_mode 1
		.amdhsa_fp16_overflow 0
		.amdhsa_tg_split 0
		.amdhsa_exception_fp_ieee_invalid_op 0
		.amdhsa_exception_fp_denorm_src 0
		.amdhsa_exception_fp_ieee_div_zero 0
		.amdhsa_exception_fp_ieee_overflow 0
		.amdhsa_exception_fp_ieee_underflow 0
		.amdhsa_exception_fp_ieee_inexact 0
		.amdhsa_exception_int_div_zero 0
	.end_amdhsa_kernel
	.section	.text._ZN7rocprim17ROCPRIM_400000_NS6detail17trampoline_kernelINS0_14default_configENS1_38merge_sort_block_merge_config_selectorIiNS0_10empty_typeEEEZZNS1_27merge_sort_block_merge_implIS3_N6thrust23THRUST_200600_302600_NS6detail15normal_iteratorINS9_10device_ptrIiEEEEPS5_jNS1_19radix_merge_compareILb0ELb0EiNS0_19identity_decomposerEEEEE10hipError_tT0_T1_T2_jT3_P12ihipStream_tbPNSt15iterator_traitsISK_E10value_typeEPNSQ_ISL_E10value_typeEPSM_NS1_7vsmem_tEENKUlT_SK_SL_SM_E_clIPiSE_SF_SF_EESJ_SZ_SK_SL_SM_EUlSZ_E_NS1_11comp_targetILNS1_3genE5ELNS1_11target_archE942ELNS1_3gpuE9ELNS1_3repE0EEENS1_48merge_mergepath_partition_config_static_selectorELNS0_4arch9wavefront6targetE1EEEvSL_,"axG",@progbits,_ZN7rocprim17ROCPRIM_400000_NS6detail17trampoline_kernelINS0_14default_configENS1_38merge_sort_block_merge_config_selectorIiNS0_10empty_typeEEEZZNS1_27merge_sort_block_merge_implIS3_N6thrust23THRUST_200600_302600_NS6detail15normal_iteratorINS9_10device_ptrIiEEEEPS5_jNS1_19radix_merge_compareILb0ELb0EiNS0_19identity_decomposerEEEEE10hipError_tT0_T1_T2_jT3_P12ihipStream_tbPNSt15iterator_traitsISK_E10value_typeEPNSQ_ISL_E10value_typeEPSM_NS1_7vsmem_tEENKUlT_SK_SL_SM_E_clIPiSE_SF_SF_EESJ_SZ_SK_SL_SM_EUlSZ_E_NS1_11comp_targetILNS1_3genE5ELNS1_11target_archE942ELNS1_3gpuE9ELNS1_3repE0EEENS1_48merge_mergepath_partition_config_static_selectorELNS0_4arch9wavefront6targetE1EEEvSL_,comdat
.Lfunc_end21:
	.size	_ZN7rocprim17ROCPRIM_400000_NS6detail17trampoline_kernelINS0_14default_configENS1_38merge_sort_block_merge_config_selectorIiNS0_10empty_typeEEEZZNS1_27merge_sort_block_merge_implIS3_N6thrust23THRUST_200600_302600_NS6detail15normal_iteratorINS9_10device_ptrIiEEEEPS5_jNS1_19radix_merge_compareILb0ELb0EiNS0_19identity_decomposerEEEEE10hipError_tT0_T1_T2_jT3_P12ihipStream_tbPNSt15iterator_traitsISK_E10value_typeEPNSQ_ISL_E10value_typeEPSM_NS1_7vsmem_tEENKUlT_SK_SL_SM_E_clIPiSE_SF_SF_EESJ_SZ_SK_SL_SM_EUlSZ_E_NS1_11comp_targetILNS1_3genE5ELNS1_11target_archE942ELNS1_3gpuE9ELNS1_3repE0EEENS1_48merge_mergepath_partition_config_static_selectorELNS0_4arch9wavefront6targetE1EEEvSL_, .Lfunc_end21-_ZN7rocprim17ROCPRIM_400000_NS6detail17trampoline_kernelINS0_14default_configENS1_38merge_sort_block_merge_config_selectorIiNS0_10empty_typeEEEZZNS1_27merge_sort_block_merge_implIS3_N6thrust23THRUST_200600_302600_NS6detail15normal_iteratorINS9_10device_ptrIiEEEEPS5_jNS1_19radix_merge_compareILb0ELb0EiNS0_19identity_decomposerEEEEE10hipError_tT0_T1_T2_jT3_P12ihipStream_tbPNSt15iterator_traitsISK_E10value_typeEPNSQ_ISL_E10value_typeEPSM_NS1_7vsmem_tEENKUlT_SK_SL_SM_E_clIPiSE_SF_SF_EESJ_SZ_SK_SL_SM_EUlSZ_E_NS1_11comp_targetILNS1_3genE5ELNS1_11target_archE942ELNS1_3gpuE9ELNS1_3repE0EEENS1_48merge_mergepath_partition_config_static_selectorELNS0_4arch9wavefront6targetE1EEEvSL_
                                        ; -- End function
	.set _ZN7rocprim17ROCPRIM_400000_NS6detail17trampoline_kernelINS0_14default_configENS1_38merge_sort_block_merge_config_selectorIiNS0_10empty_typeEEEZZNS1_27merge_sort_block_merge_implIS3_N6thrust23THRUST_200600_302600_NS6detail15normal_iteratorINS9_10device_ptrIiEEEEPS5_jNS1_19radix_merge_compareILb0ELb0EiNS0_19identity_decomposerEEEEE10hipError_tT0_T1_T2_jT3_P12ihipStream_tbPNSt15iterator_traitsISK_E10value_typeEPNSQ_ISL_E10value_typeEPSM_NS1_7vsmem_tEENKUlT_SK_SL_SM_E_clIPiSE_SF_SF_EESJ_SZ_SK_SL_SM_EUlSZ_E_NS1_11comp_targetILNS1_3genE5ELNS1_11target_archE942ELNS1_3gpuE9ELNS1_3repE0EEENS1_48merge_mergepath_partition_config_static_selectorELNS0_4arch9wavefront6targetE1EEEvSL_.num_vgpr, 0
	.set _ZN7rocprim17ROCPRIM_400000_NS6detail17trampoline_kernelINS0_14default_configENS1_38merge_sort_block_merge_config_selectorIiNS0_10empty_typeEEEZZNS1_27merge_sort_block_merge_implIS3_N6thrust23THRUST_200600_302600_NS6detail15normal_iteratorINS9_10device_ptrIiEEEEPS5_jNS1_19radix_merge_compareILb0ELb0EiNS0_19identity_decomposerEEEEE10hipError_tT0_T1_T2_jT3_P12ihipStream_tbPNSt15iterator_traitsISK_E10value_typeEPNSQ_ISL_E10value_typeEPSM_NS1_7vsmem_tEENKUlT_SK_SL_SM_E_clIPiSE_SF_SF_EESJ_SZ_SK_SL_SM_EUlSZ_E_NS1_11comp_targetILNS1_3genE5ELNS1_11target_archE942ELNS1_3gpuE9ELNS1_3repE0EEENS1_48merge_mergepath_partition_config_static_selectorELNS0_4arch9wavefront6targetE1EEEvSL_.num_agpr, 0
	.set _ZN7rocprim17ROCPRIM_400000_NS6detail17trampoline_kernelINS0_14default_configENS1_38merge_sort_block_merge_config_selectorIiNS0_10empty_typeEEEZZNS1_27merge_sort_block_merge_implIS3_N6thrust23THRUST_200600_302600_NS6detail15normal_iteratorINS9_10device_ptrIiEEEEPS5_jNS1_19radix_merge_compareILb0ELb0EiNS0_19identity_decomposerEEEEE10hipError_tT0_T1_T2_jT3_P12ihipStream_tbPNSt15iterator_traitsISK_E10value_typeEPNSQ_ISL_E10value_typeEPSM_NS1_7vsmem_tEENKUlT_SK_SL_SM_E_clIPiSE_SF_SF_EESJ_SZ_SK_SL_SM_EUlSZ_E_NS1_11comp_targetILNS1_3genE5ELNS1_11target_archE942ELNS1_3gpuE9ELNS1_3repE0EEENS1_48merge_mergepath_partition_config_static_selectorELNS0_4arch9wavefront6targetE1EEEvSL_.numbered_sgpr, 0
	.set _ZN7rocprim17ROCPRIM_400000_NS6detail17trampoline_kernelINS0_14default_configENS1_38merge_sort_block_merge_config_selectorIiNS0_10empty_typeEEEZZNS1_27merge_sort_block_merge_implIS3_N6thrust23THRUST_200600_302600_NS6detail15normal_iteratorINS9_10device_ptrIiEEEEPS5_jNS1_19radix_merge_compareILb0ELb0EiNS0_19identity_decomposerEEEEE10hipError_tT0_T1_T2_jT3_P12ihipStream_tbPNSt15iterator_traitsISK_E10value_typeEPNSQ_ISL_E10value_typeEPSM_NS1_7vsmem_tEENKUlT_SK_SL_SM_E_clIPiSE_SF_SF_EESJ_SZ_SK_SL_SM_EUlSZ_E_NS1_11comp_targetILNS1_3genE5ELNS1_11target_archE942ELNS1_3gpuE9ELNS1_3repE0EEENS1_48merge_mergepath_partition_config_static_selectorELNS0_4arch9wavefront6targetE1EEEvSL_.num_named_barrier, 0
	.set _ZN7rocprim17ROCPRIM_400000_NS6detail17trampoline_kernelINS0_14default_configENS1_38merge_sort_block_merge_config_selectorIiNS0_10empty_typeEEEZZNS1_27merge_sort_block_merge_implIS3_N6thrust23THRUST_200600_302600_NS6detail15normal_iteratorINS9_10device_ptrIiEEEEPS5_jNS1_19radix_merge_compareILb0ELb0EiNS0_19identity_decomposerEEEEE10hipError_tT0_T1_T2_jT3_P12ihipStream_tbPNSt15iterator_traitsISK_E10value_typeEPNSQ_ISL_E10value_typeEPSM_NS1_7vsmem_tEENKUlT_SK_SL_SM_E_clIPiSE_SF_SF_EESJ_SZ_SK_SL_SM_EUlSZ_E_NS1_11comp_targetILNS1_3genE5ELNS1_11target_archE942ELNS1_3gpuE9ELNS1_3repE0EEENS1_48merge_mergepath_partition_config_static_selectorELNS0_4arch9wavefront6targetE1EEEvSL_.private_seg_size, 0
	.set _ZN7rocprim17ROCPRIM_400000_NS6detail17trampoline_kernelINS0_14default_configENS1_38merge_sort_block_merge_config_selectorIiNS0_10empty_typeEEEZZNS1_27merge_sort_block_merge_implIS3_N6thrust23THRUST_200600_302600_NS6detail15normal_iteratorINS9_10device_ptrIiEEEEPS5_jNS1_19radix_merge_compareILb0ELb0EiNS0_19identity_decomposerEEEEE10hipError_tT0_T1_T2_jT3_P12ihipStream_tbPNSt15iterator_traitsISK_E10value_typeEPNSQ_ISL_E10value_typeEPSM_NS1_7vsmem_tEENKUlT_SK_SL_SM_E_clIPiSE_SF_SF_EESJ_SZ_SK_SL_SM_EUlSZ_E_NS1_11comp_targetILNS1_3genE5ELNS1_11target_archE942ELNS1_3gpuE9ELNS1_3repE0EEENS1_48merge_mergepath_partition_config_static_selectorELNS0_4arch9wavefront6targetE1EEEvSL_.uses_vcc, 0
	.set _ZN7rocprim17ROCPRIM_400000_NS6detail17trampoline_kernelINS0_14default_configENS1_38merge_sort_block_merge_config_selectorIiNS0_10empty_typeEEEZZNS1_27merge_sort_block_merge_implIS3_N6thrust23THRUST_200600_302600_NS6detail15normal_iteratorINS9_10device_ptrIiEEEEPS5_jNS1_19radix_merge_compareILb0ELb0EiNS0_19identity_decomposerEEEEE10hipError_tT0_T1_T2_jT3_P12ihipStream_tbPNSt15iterator_traitsISK_E10value_typeEPNSQ_ISL_E10value_typeEPSM_NS1_7vsmem_tEENKUlT_SK_SL_SM_E_clIPiSE_SF_SF_EESJ_SZ_SK_SL_SM_EUlSZ_E_NS1_11comp_targetILNS1_3genE5ELNS1_11target_archE942ELNS1_3gpuE9ELNS1_3repE0EEENS1_48merge_mergepath_partition_config_static_selectorELNS0_4arch9wavefront6targetE1EEEvSL_.uses_flat_scratch, 0
	.set _ZN7rocprim17ROCPRIM_400000_NS6detail17trampoline_kernelINS0_14default_configENS1_38merge_sort_block_merge_config_selectorIiNS0_10empty_typeEEEZZNS1_27merge_sort_block_merge_implIS3_N6thrust23THRUST_200600_302600_NS6detail15normal_iteratorINS9_10device_ptrIiEEEEPS5_jNS1_19radix_merge_compareILb0ELb0EiNS0_19identity_decomposerEEEEE10hipError_tT0_T1_T2_jT3_P12ihipStream_tbPNSt15iterator_traitsISK_E10value_typeEPNSQ_ISL_E10value_typeEPSM_NS1_7vsmem_tEENKUlT_SK_SL_SM_E_clIPiSE_SF_SF_EESJ_SZ_SK_SL_SM_EUlSZ_E_NS1_11comp_targetILNS1_3genE5ELNS1_11target_archE942ELNS1_3gpuE9ELNS1_3repE0EEENS1_48merge_mergepath_partition_config_static_selectorELNS0_4arch9wavefront6targetE1EEEvSL_.has_dyn_sized_stack, 0
	.set _ZN7rocprim17ROCPRIM_400000_NS6detail17trampoline_kernelINS0_14default_configENS1_38merge_sort_block_merge_config_selectorIiNS0_10empty_typeEEEZZNS1_27merge_sort_block_merge_implIS3_N6thrust23THRUST_200600_302600_NS6detail15normal_iteratorINS9_10device_ptrIiEEEEPS5_jNS1_19radix_merge_compareILb0ELb0EiNS0_19identity_decomposerEEEEE10hipError_tT0_T1_T2_jT3_P12ihipStream_tbPNSt15iterator_traitsISK_E10value_typeEPNSQ_ISL_E10value_typeEPSM_NS1_7vsmem_tEENKUlT_SK_SL_SM_E_clIPiSE_SF_SF_EESJ_SZ_SK_SL_SM_EUlSZ_E_NS1_11comp_targetILNS1_3genE5ELNS1_11target_archE942ELNS1_3gpuE9ELNS1_3repE0EEENS1_48merge_mergepath_partition_config_static_selectorELNS0_4arch9wavefront6targetE1EEEvSL_.has_recursion, 0
	.set _ZN7rocprim17ROCPRIM_400000_NS6detail17trampoline_kernelINS0_14default_configENS1_38merge_sort_block_merge_config_selectorIiNS0_10empty_typeEEEZZNS1_27merge_sort_block_merge_implIS3_N6thrust23THRUST_200600_302600_NS6detail15normal_iteratorINS9_10device_ptrIiEEEEPS5_jNS1_19radix_merge_compareILb0ELb0EiNS0_19identity_decomposerEEEEE10hipError_tT0_T1_T2_jT3_P12ihipStream_tbPNSt15iterator_traitsISK_E10value_typeEPNSQ_ISL_E10value_typeEPSM_NS1_7vsmem_tEENKUlT_SK_SL_SM_E_clIPiSE_SF_SF_EESJ_SZ_SK_SL_SM_EUlSZ_E_NS1_11comp_targetILNS1_3genE5ELNS1_11target_archE942ELNS1_3gpuE9ELNS1_3repE0EEENS1_48merge_mergepath_partition_config_static_selectorELNS0_4arch9wavefront6targetE1EEEvSL_.has_indirect_call, 0
	.section	.AMDGPU.csdata,"",@progbits
; Kernel info:
; codeLenInByte = 0
; TotalNumSgprs: 6
; NumVgprs: 0
; NumAgprs: 0
; TotalNumVgprs: 0
; ScratchSize: 0
; MemoryBound: 0
; FloatMode: 240
; IeeeMode: 1
; LDSByteSize: 0 bytes/workgroup (compile time only)
; SGPRBlocks: 0
; VGPRBlocks: 0
; NumSGPRsForWavesPerEU: 6
; NumVGPRsForWavesPerEU: 1
; AccumOffset: 4
; Occupancy: 8
; WaveLimiterHint : 0
; COMPUTE_PGM_RSRC2:SCRATCH_EN: 0
; COMPUTE_PGM_RSRC2:USER_SGPR: 2
; COMPUTE_PGM_RSRC2:TRAP_HANDLER: 0
; COMPUTE_PGM_RSRC2:TGID_X_EN: 1
; COMPUTE_PGM_RSRC2:TGID_Y_EN: 0
; COMPUTE_PGM_RSRC2:TGID_Z_EN: 0
; COMPUTE_PGM_RSRC2:TIDIG_COMP_CNT: 0
; COMPUTE_PGM_RSRC3_GFX90A:ACCUM_OFFSET: 0
; COMPUTE_PGM_RSRC3_GFX90A:TG_SPLIT: 0
	.section	.text._ZN7rocprim17ROCPRIM_400000_NS6detail17trampoline_kernelINS0_14default_configENS1_38merge_sort_block_merge_config_selectorIiNS0_10empty_typeEEEZZNS1_27merge_sort_block_merge_implIS3_N6thrust23THRUST_200600_302600_NS6detail15normal_iteratorINS9_10device_ptrIiEEEEPS5_jNS1_19radix_merge_compareILb0ELb0EiNS0_19identity_decomposerEEEEE10hipError_tT0_T1_T2_jT3_P12ihipStream_tbPNSt15iterator_traitsISK_E10value_typeEPNSQ_ISL_E10value_typeEPSM_NS1_7vsmem_tEENKUlT_SK_SL_SM_E_clIPiSE_SF_SF_EESJ_SZ_SK_SL_SM_EUlSZ_E_NS1_11comp_targetILNS1_3genE4ELNS1_11target_archE910ELNS1_3gpuE8ELNS1_3repE0EEENS1_48merge_mergepath_partition_config_static_selectorELNS0_4arch9wavefront6targetE1EEEvSL_,"axG",@progbits,_ZN7rocprim17ROCPRIM_400000_NS6detail17trampoline_kernelINS0_14default_configENS1_38merge_sort_block_merge_config_selectorIiNS0_10empty_typeEEEZZNS1_27merge_sort_block_merge_implIS3_N6thrust23THRUST_200600_302600_NS6detail15normal_iteratorINS9_10device_ptrIiEEEEPS5_jNS1_19radix_merge_compareILb0ELb0EiNS0_19identity_decomposerEEEEE10hipError_tT0_T1_T2_jT3_P12ihipStream_tbPNSt15iterator_traitsISK_E10value_typeEPNSQ_ISL_E10value_typeEPSM_NS1_7vsmem_tEENKUlT_SK_SL_SM_E_clIPiSE_SF_SF_EESJ_SZ_SK_SL_SM_EUlSZ_E_NS1_11comp_targetILNS1_3genE4ELNS1_11target_archE910ELNS1_3gpuE8ELNS1_3repE0EEENS1_48merge_mergepath_partition_config_static_selectorELNS0_4arch9wavefront6targetE1EEEvSL_,comdat
	.protected	_ZN7rocprim17ROCPRIM_400000_NS6detail17trampoline_kernelINS0_14default_configENS1_38merge_sort_block_merge_config_selectorIiNS0_10empty_typeEEEZZNS1_27merge_sort_block_merge_implIS3_N6thrust23THRUST_200600_302600_NS6detail15normal_iteratorINS9_10device_ptrIiEEEEPS5_jNS1_19radix_merge_compareILb0ELb0EiNS0_19identity_decomposerEEEEE10hipError_tT0_T1_T2_jT3_P12ihipStream_tbPNSt15iterator_traitsISK_E10value_typeEPNSQ_ISL_E10value_typeEPSM_NS1_7vsmem_tEENKUlT_SK_SL_SM_E_clIPiSE_SF_SF_EESJ_SZ_SK_SL_SM_EUlSZ_E_NS1_11comp_targetILNS1_3genE4ELNS1_11target_archE910ELNS1_3gpuE8ELNS1_3repE0EEENS1_48merge_mergepath_partition_config_static_selectorELNS0_4arch9wavefront6targetE1EEEvSL_ ; -- Begin function _ZN7rocprim17ROCPRIM_400000_NS6detail17trampoline_kernelINS0_14default_configENS1_38merge_sort_block_merge_config_selectorIiNS0_10empty_typeEEEZZNS1_27merge_sort_block_merge_implIS3_N6thrust23THRUST_200600_302600_NS6detail15normal_iteratorINS9_10device_ptrIiEEEEPS5_jNS1_19radix_merge_compareILb0ELb0EiNS0_19identity_decomposerEEEEE10hipError_tT0_T1_T2_jT3_P12ihipStream_tbPNSt15iterator_traitsISK_E10value_typeEPNSQ_ISL_E10value_typeEPSM_NS1_7vsmem_tEENKUlT_SK_SL_SM_E_clIPiSE_SF_SF_EESJ_SZ_SK_SL_SM_EUlSZ_E_NS1_11comp_targetILNS1_3genE4ELNS1_11target_archE910ELNS1_3gpuE8ELNS1_3repE0EEENS1_48merge_mergepath_partition_config_static_selectorELNS0_4arch9wavefront6targetE1EEEvSL_
	.globl	_ZN7rocprim17ROCPRIM_400000_NS6detail17trampoline_kernelINS0_14default_configENS1_38merge_sort_block_merge_config_selectorIiNS0_10empty_typeEEEZZNS1_27merge_sort_block_merge_implIS3_N6thrust23THRUST_200600_302600_NS6detail15normal_iteratorINS9_10device_ptrIiEEEEPS5_jNS1_19radix_merge_compareILb0ELb0EiNS0_19identity_decomposerEEEEE10hipError_tT0_T1_T2_jT3_P12ihipStream_tbPNSt15iterator_traitsISK_E10value_typeEPNSQ_ISL_E10value_typeEPSM_NS1_7vsmem_tEENKUlT_SK_SL_SM_E_clIPiSE_SF_SF_EESJ_SZ_SK_SL_SM_EUlSZ_E_NS1_11comp_targetILNS1_3genE4ELNS1_11target_archE910ELNS1_3gpuE8ELNS1_3repE0EEENS1_48merge_mergepath_partition_config_static_selectorELNS0_4arch9wavefront6targetE1EEEvSL_
	.p2align	8
	.type	_ZN7rocprim17ROCPRIM_400000_NS6detail17trampoline_kernelINS0_14default_configENS1_38merge_sort_block_merge_config_selectorIiNS0_10empty_typeEEEZZNS1_27merge_sort_block_merge_implIS3_N6thrust23THRUST_200600_302600_NS6detail15normal_iteratorINS9_10device_ptrIiEEEEPS5_jNS1_19radix_merge_compareILb0ELb0EiNS0_19identity_decomposerEEEEE10hipError_tT0_T1_T2_jT3_P12ihipStream_tbPNSt15iterator_traitsISK_E10value_typeEPNSQ_ISL_E10value_typeEPSM_NS1_7vsmem_tEENKUlT_SK_SL_SM_E_clIPiSE_SF_SF_EESJ_SZ_SK_SL_SM_EUlSZ_E_NS1_11comp_targetILNS1_3genE4ELNS1_11target_archE910ELNS1_3gpuE8ELNS1_3repE0EEENS1_48merge_mergepath_partition_config_static_selectorELNS0_4arch9wavefront6targetE1EEEvSL_,@function
_ZN7rocprim17ROCPRIM_400000_NS6detail17trampoline_kernelINS0_14default_configENS1_38merge_sort_block_merge_config_selectorIiNS0_10empty_typeEEEZZNS1_27merge_sort_block_merge_implIS3_N6thrust23THRUST_200600_302600_NS6detail15normal_iteratorINS9_10device_ptrIiEEEEPS5_jNS1_19radix_merge_compareILb0ELb0EiNS0_19identity_decomposerEEEEE10hipError_tT0_T1_T2_jT3_P12ihipStream_tbPNSt15iterator_traitsISK_E10value_typeEPNSQ_ISL_E10value_typeEPSM_NS1_7vsmem_tEENKUlT_SK_SL_SM_E_clIPiSE_SF_SF_EESJ_SZ_SK_SL_SM_EUlSZ_E_NS1_11comp_targetILNS1_3genE4ELNS1_11target_archE910ELNS1_3gpuE8ELNS1_3repE0EEENS1_48merge_mergepath_partition_config_static_selectorELNS0_4arch9wavefront6targetE1EEEvSL_: ; @_ZN7rocprim17ROCPRIM_400000_NS6detail17trampoline_kernelINS0_14default_configENS1_38merge_sort_block_merge_config_selectorIiNS0_10empty_typeEEEZZNS1_27merge_sort_block_merge_implIS3_N6thrust23THRUST_200600_302600_NS6detail15normal_iteratorINS9_10device_ptrIiEEEEPS5_jNS1_19radix_merge_compareILb0ELb0EiNS0_19identity_decomposerEEEEE10hipError_tT0_T1_T2_jT3_P12ihipStream_tbPNSt15iterator_traitsISK_E10value_typeEPNSQ_ISL_E10value_typeEPSM_NS1_7vsmem_tEENKUlT_SK_SL_SM_E_clIPiSE_SF_SF_EESJ_SZ_SK_SL_SM_EUlSZ_E_NS1_11comp_targetILNS1_3genE4ELNS1_11target_archE910ELNS1_3gpuE8ELNS1_3repE0EEENS1_48merge_mergepath_partition_config_static_selectorELNS0_4arch9wavefront6targetE1EEEvSL_
; %bb.0:
	.section	.rodata,"a",@progbits
	.p2align	6, 0x0
	.amdhsa_kernel _ZN7rocprim17ROCPRIM_400000_NS6detail17trampoline_kernelINS0_14default_configENS1_38merge_sort_block_merge_config_selectorIiNS0_10empty_typeEEEZZNS1_27merge_sort_block_merge_implIS3_N6thrust23THRUST_200600_302600_NS6detail15normal_iteratorINS9_10device_ptrIiEEEEPS5_jNS1_19radix_merge_compareILb0ELb0EiNS0_19identity_decomposerEEEEE10hipError_tT0_T1_T2_jT3_P12ihipStream_tbPNSt15iterator_traitsISK_E10value_typeEPNSQ_ISL_E10value_typeEPSM_NS1_7vsmem_tEENKUlT_SK_SL_SM_E_clIPiSE_SF_SF_EESJ_SZ_SK_SL_SM_EUlSZ_E_NS1_11comp_targetILNS1_3genE4ELNS1_11target_archE910ELNS1_3gpuE8ELNS1_3repE0EEENS1_48merge_mergepath_partition_config_static_selectorELNS0_4arch9wavefront6targetE1EEEvSL_
		.amdhsa_group_segment_fixed_size 0
		.amdhsa_private_segment_fixed_size 0
		.amdhsa_kernarg_size 40
		.amdhsa_user_sgpr_count 2
		.amdhsa_user_sgpr_dispatch_ptr 0
		.amdhsa_user_sgpr_queue_ptr 0
		.amdhsa_user_sgpr_kernarg_segment_ptr 1
		.amdhsa_user_sgpr_dispatch_id 0
		.amdhsa_user_sgpr_kernarg_preload_length 0
		.amdhsa_user_sgpr_kernarg_preload_offset 0
		.amdhsa_user_sgpr_private_segment_size 0
		.amdhsa_uses_dynamic_stack 0
		.amdhsa_enable_private_segment 0
		.amdhsa_system_sgpr_workgroup_id_x 1
		.amdhsa_system_sgpr_workgroup_id_y 0
		.amdhsa_system_sgpr_workgroup_id_z 0
		.amdhsa_system_sgpr_workgroup_info 0
		.amdhsa_system_vgpr_workitem_id 0
		.amdhsa_next_free_vgpr 1
		.amdhsa_next_free_sgpr 0
		.amdhsa_accum_offset 4
		.amdhsa_reserve_vcc 0
		.amdhsa_float_round_mode_32 0
		.amdhsa_float_round_mode_16_64 0
		.amdhsa_float_denorm_mode_32 3
		.amdhsa_float_denorm_mode_16_64 3
		.amdhsa_dx10_clamp 1
		.amdhsa_ieee_mode 1
		.amdhsa_fp16_overflow 0
		.amdhsa_tg_split 0
		.amdhsa_exception_fp_ieee_invalid_op 0
		.amdhsa_exception_fp_denorm_src 0
		.amdhsa_exception_fp_ieee_div_zero 0
		.amdhsa_exception_fp_ieee_overflow 0
		.amdhsa_exception_fp_ieee_underflow 0
		.amdhsa_exception_fp_ieee_inexact 0
		.amdhsa_exception_int_div_zero 0
	.end_amdhsa_kernel
	.section	.text._ZN7rocprim17ROCPRIM_400000_NS6detail17trampoline_kernelINS0_14default_configENS1_38merge_sort_block_merge_config_selectorIiNS0_10empty_typeEEEZZNS1_27merge_sort_block_merge_implIS3_N6thrust23THRUST_200600_302600_NS6detail15normal_iteratorINS9_10device_ptrIiEEEEPS5_jNS1_19radix_merge_compareILb0ELb0EiNS0_19identity_decomposerEEEEE10hipError_tT0_T1_T2_jT3_P12ihipStream_tbPNSt15iterator_traitsISK_E10value_typeEPNSQ_ISL_E10value_typeEPSM_NS1_7vsmem_tEENKUlT_SK_SL_SM_E_clIPiSE_SF_SF_EESJ_SZ_SK_SL_SM_EUlSZ_E_NS1_11comp_targetILNS1_3genE4ELNS1_11target_archE910ELNS1_3gpuE8ELNS1_3repE0EEENS1_48merge_mergepath_partition_config_static_selectorELNS0_4arch9wavefront6targetE1EEEvSL_,"axG",@progbits,_ZN7rocprim17ROCPRIM_400000_NS6detail17trampoline_kernelINS0_14default_configENS1_38merge_sort_block_merge_config_selectorIiNS0_10empty_typeEEEZZNS1_27merge_sort_block_merge_implIS3_N6thrust23THRUST_200600_302600_NS6detail15normal_iteratorINS9_10device_ptrIiEEEEPS5_jNS1_19radix_merge_compareILb0ELb0EiNS0_19identity_decomposerEEEEE10hipError_tT0_T1_T2_jT3_P12ihipStream_tbPNSt15iterator_traitsISK_E10value_typeEPNSQ_ISL_E10value_typeEPSM_NS1_7vsmem_tEENKUlT_SK_SL_SM_E_clIPiSE_SF_SF_EESJ_SZ_SK_SL_SM_EUlSZ_E_NS1_11comp_targetILNS1_3genE4ELNS1_11target_archE910ELNS1_3gpuE8ELNS1_3repE0EEENS1_48merge_mergepath_partition_config_static_selectorELNS0_4arch9wavefront6targetE1EEEvSL_,comdat
.Lfunc_end22:
	.size	_ZN7rocprim17ROCPRIM_400000_NS6detail17trampoline_kernelINS0_14default_configENS1_38merge_sort_block_merge_config_selectorIiNS0_10empty_typeEEEZZNS1_27merge_sort_block_merge_implIS3_N6thrust23THRUST_200600_302600_NS6detail15normal_iteratorINS9_10device_ptrIiEEEEPS5_jNS1_19radix_merge_compareILb0ELb0EiNS0_19identity_decomposerEEEEE10hipError_tT0_T1_T2_jT3_P12ihipStream_tbPNSt15iterator_traitsISK_E10value_typeEPNSQ_ISL_E10value_typeEPSM_NS1_7vsmem_tEENKUlT_SK_SL_SM_E_clIPiSE_SF_SF_EESJ_SZ_SK_SL_SM_EUlSZ_E_NS1_11comp_targetILNS1_3genE4ELNS1_11target_archE910ELNS1_3gpuE8ELNS1_3repE0EEENS1_48merge_mergepath_partition_config_static_selectorELNS0_4arch9wavefront6targetE1EEEvSL_, .Lfunc_end22-_ZN7rocprim17ROCPRIM_400000_NS6detail17trampoline_kernelINS0_14default_configENS1_38merge_sort_block_merge_config_selectorIiNS0_10empty_typeEEEZZNS1_27merge_sort_block_merge_implIS3_N6thrust23THRUST_200600_302600_NS6detail15normal_iteratorINS9_10device_ptrIiEEEEPS5_jNS1_19radix_merge_compareILb0ELb0EiNS0_19identity_decomposerEEEEE10hipError_tT0_T1_T2_jT3_P12ihipStream_tbPNSt15iterator_traitsISK_E10value_typeEPNSQ_ISL_E10value_typeEPSM_NS1_7vsmem_tEENKUlT_SK_SL_SM_E_clIPiSE_SF_SF_EESJ_SZ_SK_SL_SM_EUlSZ_E_NS1_11comp_targetILNS1_3genE4ELNS1_11target_archE910ELNS1_3gpuE8ELNS1_3repE0EEENS1_48merge_mergepath_partition_config_static_selectorELNS0_4arch9wavefront6targetE1EEEvSL_
                                        ; -- End function
	.set _ZN7rocprim17ROCPRIM_400000_NS6detail17trampoline_kernelINS0_14default_configENS1_38merge_sort_block_merge_config_selectorIiNS0_10empty_typeEEEZZNS1_27merge_sort_block_merge_implIS3_N6thrust23THRUST_200600_302600_NS6detail15normal_iteratorINS9_10device_ptrIiEEEEPS5_jNS1_19radix_merge_compareILb0ELb0EiNS0_19identity_decomposerEEEEE10hipError_tT0_T1_T2_jT3_P12ihipStream_tbPNSt15iterator_traitsISK_E10value_typeEPNSQ_ISL_E10value_typeEPSM_NS1_7vsmem_tEENKUlT_SK_SL_SM_E_clIPiSE_SF_SF_EESJ_SZ_SK_SL_SM_EUlSZ_E_NS1_11comp_targetILNS1_3genE4ELNS1_11target_archE910ELNS1_3gpuE8ELNS1_3repE0EEENS1_48merge_mergepath_partition_config_static_selectorELNS0_4arch9wavefront6targetE1EEEvSL_.num_vgpr, 0
	.set _ZN7rocprim17ROCPRIM_400000_NS6detail17trampoline_kernelINS0_14default_configENS1_38merge_sort_block_merge_config_selectorIiNS0_10empty_typeEEEZZNS1_27merge_sort_block_merge_implIS3_N6thrust23THRUST_200600_302600_NS6detail15normal_iteratorINS9_10device_ptrIiEEEEPS5_jNS1_19radix_merge_compareILb0ELb0EiNS0_19identity_decomposerEEEEE10hipError_tT0_T1_T2_jT3_P12ihipStream_tbPNSt15iterator_traitsISK_E10value_typeEPNSQ_ISL_E10value_typeEPSM_NS1_7vsmem_tEENKUlT_SK_SL_SM_E_clIPiSE_SF_SF_EESJ_SZ_SK_SL_SM_EUlSZ_E_NS1_11comp_targetILNS1_3genE4ELNS1_11target_archE910ELNS1_3gpuE8ELNS1_3repE0EEENS1_48merge_mergepath_partition_config_static_selectorELNS0_4arch9wavefront6targetE1EEEvSL_.num_agpr, 0
	.set _ZN7rocprim17ROCPRIM_400000_NS6detail17trampoline_kernelINS0_14default_configENS1_38merge_sort_block_merge_config_selectorIiNS0_10empty_typeEEEZZNS1_27merge_sort_block_merge_implIS3_N6thrust23THRUST_200600_302600_NS6detail15normal_iteratorINS9_10device_ptrIiEEEEPS5_jNS1_19radix_merge_compareILb0ELb0EiNS0_19identity_decomposerEEEEE10hipError_tT0_T1_T2_jT3_P12ihipStream_tbPNSt15iterator_traitsISK_E10value_typeEPNSQ_ISL_E10value_typeEPSM_NS1_7vsmem_tEENKUlT_SK_SL_SM_E_clIPiSE_SF_SF_EESJ_SZ_SK_SL_SM_EUlSZ_E_NS1_11comp_targetILNS1_3genE4ELNS1_11target_archE910ELNS1_3gpuE8ELNS1_3repE0EEENS1_48merge_mergepath_partition_config_static_selectorELNS0_4arch9wavefront6targetE1EEEvSL_.numbered_sgpr, 0
	.set _ZN7rocprim17ROCPRIM_400000_NS6detail17trampoline_kernelINS0_14default_configENS1_38merge_sort_block_merge_config_selectorIiNS0_10empty_typeEEEZZNS1_27merge_sort_block_merge_implIS3_N6thrust23THRUST_200600_302600_NS6detail15normal_iteratorINS9_10device_ptrIiEEEEPS5_jNS1_19radix_merge_compareILb0ELb0EiNS0_19identity_decomposerEEEEE10hipError_tT0_T1_T2_jT3_P12ihipStream_tbPNSt15iterator_traitsISK_E10value_typeEPNSQ_ISL_E10value_typeEPSM_NS1_7vsmem_tEENKUlT_SK_SL_SM_E_clIPiSE_SF_SF_EESJ_SZ_SK_SL_SM_EUlSZ_E_NS1_11comp_targetILNS1_3genE4ELNS1_11target_archE910ELNS1_3gpuE8ELNS1_3repE0EEENS1_48merge_mergepath_partition_config_static_selectorELNS0_4arch9wavefront6targetE1EEEvSL_.num_named_barrier, 0
	.set _ZN7rocprim17ROCPRIM_400000_NS6detail17trampoline_kernelINS0_14default_configENS1_38merge_sort_block_merge_config_selectorIiNS0_10empty_typeEEEZZNS1_27merge_sort_block_merge_implIS3_N6thrust23THRUST_200600_302600_NS6detail15normal_iteratorINS9_10device_ptrIiEEEEPS5_jNS1_19radix_merge_compareILb0ELb0EiNS0_19identity_decomposerEEEEE10hipError_tT0_T1_T2_jT3_P12ihipStream_tbPNSt15iterator_traitsISK_E10value_typeEPNSQ_ISL_E10value_typeEPSM_NS1_7vsmem_tEENKUlT_SK_SL_SM_E_clIPiSE_SF_SF_EESJ_SZ_SK_SL_SM_EUlSZ_E_NS1_11comp_targetILNS1_3genE4ELNS1_11target_archE910ELNS1_3gpuE8ELNS1_3repE0EEENS1_48merge_mergepath_partition_config_static_selectorELNS0_4arch9wavefront6targetE1EEEvSL_.private_seg_size, 0
	.set _ZN7rocprim17ROCPRIM_400000_NS6detail17trampoline_kernelINS0_14default_configENS1_38merge_sort_block_merge_config_selectorIiNS0_10empty_typeEEEZZNS1_27merge_sort_block_merge_implIS3_N6thrust23THRUST_200600_302600_NS6detail15normal_iteratorINS9_10device_ptrIiEEEEPS5_jNS1_19radix_merge_compareILb0ELb0EiNS0_19identity_decomposerEEEEE10hipError_tT0_T1_T2_jT3_P12ihipStream_tbPNSt15iterator_traitsISK_E10value_typeEPNSQ_ISL_E10value_typeEPSM_NS1_7vsmem_tEENKUlT_SK_SL_SM_E_clIPiSE_SF_SF_EESJ_SZ_SK_SL_SM_EUlSZ_E_NS1_11comp_targetILNS1_3genE4ELNS1_11target_archE910ELNS1_3gpuE8ELNS1_3repE0EEENS1_48merge_mergepath_partition_config_static_selectorELNS0_4arch9wavefront6targetE1EEEvSL_.uses_vcc, 0
	.set _ZN7rocprim17ROCPRIM_400000_NS6detail17trampoline_kernelINS0_14default_configENS1_38merge_sort_block_merge_config_selectorIiNS0_10empty_typeEEEZZNS1_27merge_sort_block_merge_implIS3_N6thrust23THRUST_200600_302600_NS6detail15normal_iteratorINS9_10device_ptrIiEEEEPS5_jNS1_19radix_merge_compareILb0ELb0EiNS0_19identity_decomposerEEEEE10hipError_tT0_T1_T2_jT3_P12ihipStream_tbPNSt15iterator_traitsISK_E10value_typeEPNSQ_ISL_E10value_typeEPSM_NS1_7vsmem_tEENKUlT_SK_SL_SM_E_clIPiSE_SF_SF_EESJ_SZ_SK_SL_SM_EUlSZ_E_NS1_11comp_targetILNS1_3genE4ELNS1_11target_archE910ELNS1_3gpuE8ELNS1_3repE0EEENS1_48merge_mergepath_partition_config_static_selectorELNS0_4arch9wavefront6targetE1EEEvSL_.uses_flat_scratch, 0
	.set _ZN7rocprim17ROCPRIM_400000_NS6detail17trampoline_kernelINS0_14default_configENS1_38merge_sort_block_merge_config_selectorIiNS0_10empty_typeEEEZZNS1_27merge_sort_block_merge_implIS3_N6thrust23THRUST_200600_302600_NS6detail15normal_iteratorINS9_10device_ptrIiEEEEPS5_jNS1_19radix_merge_compareILb0ELb0EiNS0_19identity_decomposerEEEEE10hipError_tT0_T1_T2_jT3_P12ihipStream_tbPNSt15iterator_traitsISK_E10value_typeEPNSQ_ISL_E10value_typeEPSM_NS1_7vsmem_tEENKUlT_SK_SL_SM_E_clIPiSE_SF_SF_EESJ_SZ_SK_SL_SM_EUlSZ_E_NS1_11comp_targetILNS1_3genE4ELNS1_11target_archE910ELNS1_3gpuE8ELNS1_3repE0EEENS1_48merge_mergepath_partition_config_static_selectorELNS0_4arch9wavefront6targetE1EEEvSL_.has_dyn_sized_stack, 0
	.set _ZN7rocprim17ROCPRIM_400000_NS6detail17trampoline_kernelINS0_14default_configENS1_38merge_sort_block_merge_config_selectorIiNS0_10empty_typeEEEZZNS1_27merge_sort_block_merge_implIS3_N6thrust23THRUST_200600_302600_NS6detail15normal_iteratorINS9_10device_ptrIiEEEEPS5_jNS1_19radix_merge_compareILb0ELb0EiNS0_19identity_decomposerEEEEE10hipError_tT0_T1_T2_jT3_P12ihipStream_tbPNSt15iterator_traitsISK_E10value_typeEPNSQ_ISL_E10value_typeEPSM_NS1_7vsmem_tEENKUlT_SK_SL_SM_E_clIPiSE_SF_SF_EESJ_SZ_SK_SL_SM_EUlSZ_E_NS1_11comp_targetILNS1_3genE4ELNS1_11target_archE910ELNS1_3gpuE8ELNS1_3repE0EEENS1_48merge_mergepath_partition_config_static_selectorELNS0_4arch9wavefront6targetE1EEEvSL_.has_recursion, 0
	.set _ZN7rocprim17ROCPRIM_400000_NS6detail17trampoline_kernelINS0_14default_configENS1_38merge_sort_block_merge_config_selectorIiNS0_10empty_typeEEEZZNS1_27merge_sort_block_merge_implIS3_N6thrust23THRUST_200600_302600_NS6detail15normal_iteratorINS9_10device_ptrIiEEEEPS5_jNS1_19radix_merge_compareILb0ELb0EiNS0_19identity_decomposerEEEEE10hipError_tT0_T1_T2_jT3_P12ihipStream_tbPNSt15iterator_traitsISK_E10value_typeEPNSQ_ISL_E10value_typeEPSM_NS1_7vsmem_tEENKUlT_SK_SL_SM_E_clIPiSE_SF_SF_EESJ_SZ_SK_SL_SM_EUlSZ_E_NS1_11comp_targetILNS1_3genE4ELNS1_11target_archE910ELNS1_3gpuE8ELNS1_3repE0EEENS1_48merge_mergepath_partition_config_static_selectorELNS0_4arch9wavefront6targetE1EEEvSL_.has_indirect_call, 0
	.section	.AMDGPU.csdata,"",@progbits
; Kernel info:
; codeLenInByte = 0
; TotalNumSgprs: 6
; NumVgprs: 0
; NumAgprs: 0
; TotalNumVgprs: 0
; ScratchSize: 0
; MemoryBound: 0
; FloatMode: 240
; IeeeMode: 1
; LDSByteSize: 0 bytes/workgroup (compile time only)
; SGPRBlocks: 0
; VGPRBlocks: 0
; NumSGPRsForWavesPerEU: 6
; NumVGPRsForWavesPerEU: 1
; AccumOffset: 4
; Occupancy: 8
; WaveLimiterHint : 0
; COMPUTE_PGM_RSRC2:SCRATCH_EN: 0
; COMPUTE_PGM_RSRC2:USER_SGPR: 2
; COMPUTE_PGM_RSRC2:TRAP_HANDLER: 0
; COMPUTE_PGM_RSRC2:TGID_X_EN: 1
; COMPUTE_PGM_RSRC2:TGID_Y_EN: 0
; COMPUTE_PGM_RSRC2:TGID_Z_EN: 0
; COMPUTE_PGM_RSRC2:TIDIG_COMP_CNT: 0
; COMPUTE_PGM_RSRC3_GFX90A:ACCUM_OFFSET: 0
; COMPUTE_PGM_RSRC3_GFX90A:TG_SPLIT: 0
	.section	.text._ZN7rocprim17ROCPRIM_400000_NS6detail17trampoline_kernelINS0_14default_configENS1_38merge_sort_block_merge_config_selectorIiNS0_10empty_typeEEEZZNS1_27merge_sort_block_merge_implIS3_N6thrust23THRUST_200600_302600_NS6detail15normal_iteratorINS9_10device_ptrIiEEEEPS5_jNS1_19radix_merge_compareILb0ELb0EiNS0_19identity_decomposerEEEEE10hipError_tT0_T1_T2_jT3_P12ihipStream_tbPNSt15iterator_traitsISK_E10value_typeEPNSQ_ISL_E10value_typeEPSM_NS1_7vsmem_tEENKUlT_SK_SL_SM_E_clIPiSE_SF_SF_EESJ_SZ_SK_SL_SM_EUlSZ_E_NS1_11comp_targetILNS1_3genE3ELNS1_11target_archE908ELNS1_3gpuE7ELNS1_3repE0EEENS1_48merge_mergepath_partition_config_static_selectorELNS0_4arch9wavefront6targetE1EEEvSL_,"axG",@progbits,_ZN7rocprim17ROCPRIM_400000_NS6detail17trampoline_kernelINS0_14default_configENS1_38merge_sort_block_merge_config_selectorIiNS0_10empty_typeEEEZZNS1_27merge_sort_block_merge_implIS3_N6thrust23THRUST_200600_302600_NS6detail15normal_iteratorINS9_10device_ptrIiEEEEPS5_jNS1_19radix_merge_compareILb0ELb0EiNS0_19identity_decomposerEEEEE10hipError_tT0_T1_T2_jT3_P12ihipStream_tbPNSt15iterator_traitsISK_E10value_typeEPNSQ_ISL_E10value_typeEPSM_NS1_7vsmem_tEENKUlT_SK_SL_SM_E_clIPiSE_SF_SF_EESJ_SZ_SK_SL_SM_EUlSZ_E_NS1_11comp_targetILNS1_3genE3ELNS1_11target_archE908ELNS1_3gpuE7ELNS1_3repE0EEENS1_48merge_mergepath_partition_config_static_selectorELNS0_4arch9wavefront6targetE1EEEvSL_,comdat
	.protected	_ZN7rocprim17ROCPRIM_400000_NS6detail17trampoline_kernelINS0_14default_configENS1_38merge_sort_block_merge_config_selectorIiNS0_10empty_typeEEEZZNS1_27merge_sort_block_merge_implIS3_N6thrust23THRUST_200600_302600_NS6detail15normal_iteratorINS9_10device_ptrIiEEEEPS5_jNS1_19radix_merge_compareILb0ELb0EiNS0_19identity_decomposerEEEEE10hipError_tT0_T1_T2_jT3_P12ihipStream_tbPNSt15iterator_traitsISK_E10value_typeEPNSQ_ISL_E10value_typeEPSM_NS1_7vsmem_tEENKUlT_SK_SL_SM_E_clIPiSE_SF_SF_EESJ_SZ_SK_SL_SM_EUlSZ_E_NS1_11comp_targetILNS1_3genE3ELNS1_11target_archE908ELNS1_3gpuE7ELNS1_3repE0EEENS1_48merge_mergepath_partition_config_static_selectorELNS0_4arch9wavefront6targetE1EEEvSL_ ; -- Begin function _ZN7rocprim17ROCPRIM_400000_NS6detail17trampoline_kernelINS0_14default_configENS1_38merge_sort_block_merge_config_selectorIiNS0_10empty_typeEEEZZNS1_27merge_sort_block_merge_implIS3_N6thrust23THRUST_200600_302600_NS6detail15normal_iteratorINS9_10device_ptrIiEEEEPS5_jNS1_19radix_merge_compareILb0ELb0EiNS0_19identity_decomposerEEEEE10hipError_tT0_T1_T2_jT3_P12ihipStream_tbPNSt15iterator_traitsISK_E10value_typeEPNSQ_ISL_E10value_typeEPSM_NS1_7vsmem_tEENKUlT_SK_SL_SM_E_clIPiSE_SF_SF_EESJ_SZ_SK_SL_SM_EUlSZ_E_NS1_11comp_targetILNS1_3genE3ELNS1_11target_archE908ELNS1_3gpuE7ELNS1_3repE0EEENS1_48merge_mergepath_partition_config_static_selectorELNS0_4arch9wavefront6targetE1EEEvSL_
	.globl	_ZN7rocprim17ROCPRIM_400000_NS6detail17trampoline_kernelINS0_14default_configENS1_38merge_sort_block_merge_config_selectorIiNS0_10empty_typeEEEZZNS1_27merge_sort_block_merge_implIS3_N6thrust23THRUST_200600_302600_NS6detail15normal_iteratorINS9_10device_ptrIiEEEEPS5_jNS1_19radix_merge_compareILb0ELb0EiNS0_19identity_decomposerEEEEE10hipError_tT0_T1_T2_jT3_P12ihipStream_tbPNSt15iterator_traitsISK_E10value_typeEPNSQ_ISL_E10value_typeEPSM_NS1_7vsmem_tEENKUlT_SK_SL_SM_E_clIPiSE_SF_SF_EESJ_SZ_SK_SL_SM_EUlSZ_E_NS1_11comp_targetILNS1_3genE3ELNS1_11target_archE908ELNS1_3gpuE7ELNS1_3repE0EEENS1_48merge_mergepath_partition_config_static_selectorELNS0_4arch9wavefront6targetE1EEEvSL_
	.p2align	8
	.type	_ZN7rocprim17ROCPRIM_400000_NS6detail17trampoline_kernelINS0_14default_configENS1_38merge_sort_block_merge_config_selectorIiNS0_10empty_typeEEEZZNS1_27merge_sort_block_merge_implIS3_N6thrust23THRUST_200600_302600_NS6detail15normal_iteratorINS9_10device_ptrIiEEEEPS5_jNS1_19radix_merge_compareILb0ELb0EiNS0_19identity_decomposerEEEEE10hipError_tT0_T1_T2_jT3_P12ihipStream_tbPNSt15iterator_traitsISK_E10value_typeEPNSQ_ISL_E10value_typeEPSM_NS1_7vsmem_tEENKUlT_SK_SL_SM_E_clIPiSE_SF_SF_EESJ_SZ_SK_SL_SM_EUlSZ_E_NS1_11comp_targetILNS1_3genE3ELNS1_11target_archE908ELNS1_3gpuE7ELNS1_3repE0EEENS1_48merge_mergepath_partition_config_static_selectorELNS0_4arch9wavefront6targetE1EEEvSL_,@function
_ZN7rocprim17ROCPRIM_400000_NS6detail17trampoline_kernelINS0_14default_configENS1_38merge_sort_block_merge_config_selectorIiNS0_10empty_typeEEEZZNS1_27merge_sort_block_merge_implIS3_N6thrust23THRUST_200600_302600_NS6detail15normal_iteratorINS9_10device_ptrIiEEEEPS5_jNS1_19radix_merge_compareILb0ELb0EiNS0_19identity_decomposerEEEEE10hipError_tT0_T1_T2_jT3_P12ihipStream_tbPNSt15iterator_traitsISK_E10value_typeEPNSQ_ISL_E10value_typeEPSM_NS1_7vsmem_tEENKUlT_SK_SL_SM_E_clIPiSE_SF_SF_EESJ_SZ_SK_SL_SM_EUlSZ_E_NS1_11comp_targetILNS1_3genE3ELNS1_11target_archE908ELNS1_3gpuE7ELNS1_3repE0EEENS1_48merge_mergepath_partition_config_static_selectorELNS0_4arch9wavefront6targetE1EEEvSL_: ; @_ZN7rocprim17ROCPRIM_400000_NS6detail17trampoline_kernelINS0_14default_configENS1_38merge_sort_block_merge_config_selectorIiNS0_10empty_typeEEEZZNS1_27merge_sort_block_merge_implIS3_N6thrust23THRUST_200600_302600_NS6detail15normal_iteratorINS9_10device_ptrIiEEEEPS5_jNS1_19radix_merge_compareILb0ELb0EiNS0_19identity_decomposerEEEEE10hipError_tT0_T1_T2_jT3_P12ihipStream_tbPNSt15iterator_traitsISK_E10value_typeEPNSQ_ISL_E10value_typeEPSM_NS1_7vsmem_tEENKUlT_SK_SL_SM_E_clIPiSE_SF_SF_EESJ_SZ_SK_SL_SM_EUlSZ_E_NS1_11comp_targetILNS1_3genE3ELNS1_11target_archE908ELNS1_3gpuE7ELNS1_3repE0EEENS1_48merge_mergepath_partition_config_static_selectorELNS0_4arch9wavefront6targetE1EEEvSL_
; %bb.0:
	.section	.rodata,"a",@progbits
	.p2align	6, 0x0
	.amdhsa_kernel _ZN7rocprim17ROCPRIM_400000_NS6detail17trampoline_kernelINS0_14default_configENS1_38merge_sort_block_merge_config_selectorIiNS0_10empty_typeEEEZZNS1_27merge_sort_block_merge_implIS3_N6thrust23THRUST_200600_302600_NS6detail15normal_iteratorINS9_10device_ptrIiEEEEPS5_jNS1_19radix_merge_compareILb0ELb0EiNS0_19identity_decomposerEEEEE10hipError_tT0_T1_T2_jT3_P12ihipStream_tbPNSt15iterator_traitsISK_E10value_typeEPNSQ_ISL_E10value_typeEPSM_NS1_7vsmem_tEENKUlT_SK_SL_SM_E_clIPiSE_SF_SF_EESJ_SZ_SK_SL_SM_EUlSZ_E_NS1_11comp_targetILNS1_3genE3ELNS1_11target_archE908ELNS1_3gpuE7ELNS1_3repE0EEENS1_48merge_mergepath_partition_config_static_selectorELNS0_4arch9wavefront6targetE1EEEvSL_
		.amdhsa_group_segment_fixed_size 0
		.amdhsa_private_segment_fixed_size 0
		.amdhsa_kernarg_size 40
		.amdhsa_user_sgpr_count 2
		.amdhsa_user_sgpr_dispatch_ptr 0
		.amdhsa_user_sgpr_queue_ptr 0
		.amdhsa_user_sgpr_kernarg_segment_ptr 1
		.amdhsa_user_sgpr_dispatch_id 0
		.amdhsa_user_sgpr_kernarg_preload_length 0
		.amdhsa_user_sgpr_kernarg_preload_offset 0
		.amdhsa_user_sgpr_private_segment_size 0
		.amdhsa_uses_dynamic_stack 0
		.amdhsa_enable_private_segment 0
		.amdhsa_system_sgpr_workgroup_id_x 1
		.amdhsa_system_sgpr_workgroup_id_y 0
		.amdhsa_system_sgpr_workgroup_id_z 0
		.amdhsa_system_sgpr_workgroup_info 0
		.amdhsa_system_vgpr_workitem_id 0
		.amdhsa_next_free_vgpr 1
		.amdhsa_next_free_sgpr 0
		.amdhsa_accum_offset 4
		.amdhsa_reserve_vcc 0
		.amdhsa_float_round_mode_32 0
		.amdhsa_float_round_mode_16_64 0
		.amdhsa_float_denorm_mode_32 3
		.amdhsa_float_denorm_mode_16_64 3
		.amdhsa_dx10_clamp 1
		.amdhsa_ieee_mode 1
		.amdhsa_fp16_overflow 0
		.amdhsa_tg_split 0
		.amdhsa_exception_fp_ieee_invalid_op 0
		.amdhsa_exception_fp_denorm_src 0
		.amdhsa_exception_fp_ieee_div_zero 0
		.amdhsa_exception_fp_ieee_overflow 0
		.amdhsa_exception_fp_ieee_underflow 0
		.amdhsa_exception_fp_ieee_inexact 0
		.amdhsa_exception_int_div_zero 0
	.end_amdhsa_kernel
	.section	.text._ZN7rocprim17ROCPRIM_400000_NS6detail17trampoline_kernelINS0_14default_configENS1_38merge_sort_block_merge_config_selectorIiNS0_10empty_typeEEEZZNS1_27merge_sort_block_merge_implIS3_N6thrust23THRUST_200600_302600_NS6detail15normal_iteratorINS9_10device_ptrIiEEEEPS5_jNS1_19radix_merge_compareILb0ELb0EiNS0_19identity_decomposerEEEEE10hipError_tT0_T1_T2_jT3_P12ihipStream_tbPNSt15iterator_traitsISK_E10value_typeEPNSQ_ISL_E10value_typeEPSM_NS1_7vsmem_tEENKUlT_SK_SL_SM_E_clIPiSE_SF_SF_EESJ_SZ_SK_SL_SM_EUlSZ_E_NS1_11comp_targetILNS1_3genE3ELNS1_11target_archE908ELNS1_3gpuE7ELNS1_3repE0EEENS1_48merge_mergepath_partition_config_static_selectorELNS0_4arch9wavefront6targetE1EEEvSL_,"axG",@progbits,_ZN7rocprim17ROCPRIM_400000_NS6detail17trampoline_kernelINS0_14default_configENS1_38merge_sort_block_merge_config_selectorIiNS0_10empty_typeEEEZZNS1_27merge_sort_block_merge_implIS3_N6thrust23THRUST_200600_302600_NS6detail15normal_iteratorINS9_10device_ptrIiEEEEPS5_jNS1_19radix_merge_compareILb0ELb0EiNS0_19identity_decomposerEEEEE10hipError_tT0_T1_T2_jT3_P12ihipStream_tbPNSt15iterator_traitsISK_E10value_typeEPNSQ_ISL_E10value_typeEPSM_NS1_7vsmem_tEENKUlT_SK_SL_SM_E_clIPiSE_SF_SF_EESJ_SZ_SK_SL_SM_EUlSZ_E_NS1_11comp_targetILNS1_3genE3ELNS1_11target_archE908ELNS1_3gpuE7ELNS1_3repE0EEENS1_48merge_mergepath_partition_config_static_selectorELNS0_4arch9wavefront6targetE1EEEvSL_,comdat
.Lfunc_end23:
	.size	_ZN7rocprim17ROCPRIM_400000_NS6detail17trampoline_kernelINS0_14default_configENS1_38merge_sort_block_merge_config_selectorIiNS0_10empty_typeEEEZZNS1_27merge_sort_block_merge_implIS3_N6thrust23THRUST_200600_302600_NS6detail15normal_iteratorINS9_10device_ptrIiEEEEPS5_jNS1_19radix_merge_compareILb0ELb0EiNS0_19identity_decomposerEEEEE10hipError_tT0_T1_T2_jT3_P12ihipStream_tbPNSt15iterator_traitsISK_E10value_typeEPNSQ_ISL_E10value_typeEPSM_NS1_7vsmem_tEENKUlT_SK_SL_SM_E_clIPiSE_SF_SF_EESJ_SZ_SK_SL_SM_EUlSZ_E_NS1_11comp_targetILNS1_3genE3ELNS1_11target_archE908ELNS1_3gpuE7ELNS1_3repE0EEENS1_48merge_mergepath_partition_config_static_selectorELNS0_4arch9wavefront6targetE1EEEvSL_, .Lfunc_end23-_ZN7rocprim17ROCPRIM_400000_NS6detail17trampoline_kernelINS0_14default_configENS1_38merge_sort_block_merge_config_selectorIiNS0_10empty_typeEEEZZNS1_27merge_sort_block_merge_implIS3_N6thrust23THRUST_200600_302600_NS6detail15normal_iteratorINS9_10device_ptrIiEEEEPS5_jNS1_19radix_merge_compareILb0ELb0EiNS0_19identity_decomposerEEEEE10hipError_tT0_T1_T2_jT3_P12ihipStream_tbPNSt15iterator_traitsISK_E10value_typeEPNSQ_ISL_E10value_typeEPSM_NS1_7vsmem_tEENKUlT_SK_SL_SM_E_clIPiSE_SF_SF_EESJ_SZ_SK_SL_SM_EUlSZ_E_NS1_11comp_targetILNS1_3genE3ELNS1_11target_archE908ELNS1_3gpuE7ELNS1_3repE0EEENS1_48merge_mergepath_partition_config_static_selectorELNS0_4arch9wavefront6targetE1EEEvSL_
                                        ; -- End function
	.set _ZN7rocprim17ROCPRIM_400000_NS6detail17trampoline_kernelINS0_14default_configENS1_38merge_sort_block_merge_config_selectorIiNS0_10empty_typeEEEZZNS1_27merge_sort_block_merge_implIS3_N6thrust23THRUST_200600_302600_NS6detail15normal_iteratorINS9_10device_ptrIiEEEEPS5_jNS1_19radix_merge_compareILb0ELb0EiNS0_19identity_decomposerEEEEE10hipError_tT0_T1_T2_jT3_P12ihipStream_tbPNSt15iterator_traitsISK_E10value_typeEPNSQ_ISL_E10value_typeEPSM_NS1_7vsmem_tEENKUlT_SK_SL_SM_E_clIPiSE_SF_SF_EESJ_SZ_SK_SL_SM_EUlSZ_E_NS1_11comp_targetILNS1_3genE3ELNS1_11target_archE908ELNS1_3gpuE7ELNS1_3repE0EEENS1_48merge_mergepath_partition_config_static_selectorELNS0_4arch9wavefront6targetE1EEEvSL_.num_vgpr, 0
	.set _ZN7rocprim17ROCPRIM_400000_NS6detail17trampoline_kernelINS0_14default_configENS1_38merge_sort_block_merge_config_selectorIiNS0_10empty_typeEEEZZNS1_27merge_sort_block_merge_implIS3_N6thrust23THRUST_200600_302600_NS6detail15normal_iteratorINS9_10device_ptrIiEEEEPS5_jNS1_19radix_merge_compareILb0ELb0EiNS0_19identity_decomposerEEEEE10hipError_tT0_T1_T2_jT3_P12ihipStream_tbPNSt15iterator_traitsISK_E10value_typeEPNSQ_ISL_E10value_typeEPSM_NS1_7vsmem_tEENKUlT_SK_SL_SM_E_clIPiSE_SF_SF_EESJ_SZ_SK_SL_SM_EUlSZ_E_NS1_11comp_targetILNS1_3genE3ELNS1_11target_archE908ELNS1_3gpuE7ELNS1_3repE0EEENS1_48merge_mergepath_partition_config_static_selectorELNS0_4arch9wavefront6targetE1EEEvSL_.num_agpr, 0
	.set _ZN7rocprim17ROCPRIM_400000_NS6detail17trampoline_kernelINS0_14default_configENS1_38merge_sort_block_merge_config_selectorIiNS0_10empty_typeEEEZZNS1_27merge_sort_block_merge_implIS3_N6thrust23THRUST_200600_302600_NS6detail15normal_iteratorINS9_10device_ptrIiEEEEPS5_jNS1_19radix_merge_compareILb0ELb0EiNS0_19identity_decomposerEEEEE10hipError_tT0_T1_T2_jT3_P12ihipStream_tbPNSt15iterator_traitsISK_E10value_typeEPNSQ_ISL_E10value_typeEPSM_NS1_7vsmem_tEENKUlT_SK_SL_SM_E_clIPiSE_SF_SF_EESJ_SZ_SK_SL_SM_EUlSZ_E_NS1_11comp_targetILNS1_3genE3ELNS1_11target_archE908ELNS1_3gpuE7ELNS1_3repE0EEENS1_48merge_mergepath_partition_config_static_selectorELNS0_4arch9wavefront6targetE1EEEvSL_.numbered_sgpr, 0
	.set _ZN7rocprim17ROCPRIM_400000_NS6detail17trampoline_kernelINS0_14default_configENS1_38merge_sort_block_merge_config_selectorIiNS0_10empty_typeEEEZZNS1_27merge_sort_block_merge_implIS3_N6thrust23THRUST_200600_302600_NS6detail15normal_iteratorINS9_10device_ptrIiEEEEPS5_jNS1_19radix_merge_compareILb0ELb0EiNS0_19identity_decomposerEEEEE10hipError_tT0_T1_T2_jT3_P12ihipStream_tbPNSt15iterator_traitsISK_E10value_typeEPNSQ_ISL_E10value_typeEPSM_NS1_7vsmem_tEENKUlT_SK_SL_SM_E_clIPiSE_SF_SF_EESJ_SZ_SK_SL_SM_EUlSZ_E_NS1_11comp_targetILNS1_3genE3ELNS1_11target_archE908ELNS1_3gpuE7ELNS1_3repE0EEENS1_48merge_mergepath_partition_config_static_selectorELNS0_4arch9wavefront6targetE1EEEvSL_.num_named_barrier, 0
	.set _ZN7rocprim17ROCPRIM_400000_NS6detail17trampoline_kernelINS0_14default_configENS1_38merge_sort_block_merge_config_selectorIiNS0_10empty_typeEEEZZNS1_27merge_sort_block_merge_implIS3_N6thrust23THRUST_200600_302600_NS6detail15normal_iteratorINS9_10device_ptrIiEEEEPS5_jNS1_19radix_merge_compareILb0ELb0EiNS0_19identity_decomposerEEEEE10hipError_tT0_T1_T2_jT3_P12ihipStream_tbPNSt15iterator_traitsISK_E10value_typeEPNSQ_ISL_E10value_typeEPSM_NS1_7vsmem_tEENKUlT_SK_SL_SM_E_clIPiSE_SF_SF_EESJ_SZ_SK_SL_SM_EUlSZ_E_NS1_11comp_targetILNS1_3genE3ELNS1_11target_archE908ELNS1_3gpuE7ELNS1_3repE0EEENS1_48merge_mergepath_partition_config_static_selectorELNS0_4arch9wavefront6targetE1EEEvSL_.private_seg_size, 0
	.set _ZN7rocprim17ROCPRIM_400000_NS6detail17trampoline_kernelINS0_14default_configENS1_38merge_sort_block_merge_config_selectorIiNS0_10empty_typeEEEZZNS1_27merge_sort_block_merge_implIS3_N6thrust23THRUST_200600_302600_NS6detail15normal_iteratorINS9_10device_ptrIiEEEEPS5_jNS1_19radix_merge_compareILb0ELb0EiNS0_19identity_decomposerEEEEE10hipError_tT0_T1_T2_jT3_P12ihipStream_tbPNSt15iterator_traitsISK_E10value_typeEPNSQ_ISL_E10value_typeEPSM_NS1_7vsmem_tEENKUlT_SK_SL_SM_E_clIPiSE_SF_SF_EESJ_SZ_SK_SL_SM_EUlSZ_E_NS1_11comp_targetILNS1_3genE3ELNS1_11target_archE908ELNS1_3gpuE7ELNS1_3repE0EEENS1_48merge_mergepath_partition_config_static_selectorELNS0_4arch9wavefront6targetE1EEEvSL_.uses_vcc, 0
	.set _ZN7rocprim17ROCPRIM_400000_NS6detail17trampoline_kernelINS0_14default_configENS1_38merge_sort_block_merge_config_selectorIiNS0_10empty_typeEEEZZNS1_27merge_sort_block_merge_implIS3_N6thrust23THRUST_200600_302600_NS6detail15normal_iteratorINS9_10device_ptrIiEEEEPS5_jNS1_19radix_merge_compareILb0ELb0EiNS0_19identity_decomposerEEEEE10hipError_tT0_T1_T2_jT3_P12ihipStream_tbPNSt15iterator_traitsISK_E10value_typeEPNSQ_ISL_E10value_typeEPSM_NS1_7vsmem_tEENKUlT_SK_SL_SM_E_clIPiSE_SF_SF_EESJ_SZ_SK_SL_SM_EUlSZ_E_NS1_11comp_targetILNS1_3genE3ELNS1_11target_archE908ELNS1_3gpuE7ELNS1_3repE0EEENS1_48merge_mergepath_partition_config_static_selectorELNS0_4arch9wavefront6targetE1EEEvSL_.uses_flat_scratch, 0
	.set _ZN7rocprim17ROCPRIM_400000_NS6detail17trampoline_kernelINS0_14default_configENS1_38merge_sort_block_merge_config_selectorIiNS0_10empty_typeEEEZZNS1_27merge_sort_block_merge_implIS3_N6thrust23THRUST_200600_302600_NS6detail15normal_iteratorINS9_10device_ptrIiEEEEPS5_jNS1_19radix_merge_compareILb0ELb0EiNS0_19identity_decomposerEEEEE10hipError_tT0_T1_T2_jT3_P12ihipStream_tbPNSt15iterator_traitsISK_E10value_typeEPNSQ_ISL_E10value_typeEPSM_NS1_7vsmem_tEENKUlT_SK_SL_SM_E_clIPiSE_SF_SF_EESJ_SZ_SK_SL_SM_EUlSZ_E_NS1_11comp_targetILNS1_3genE3ELNS1_11target_archE908ELNS1_3gpuE7ELNS1_3repE0EEENS1_48merge_mergepath_partition_config_static_selectorELNS0_4arch9wavefront6targetE1EEEvSL_.has_dyn_sized_stack, 0
	.set _ZN7rocprim17ROCPRIM_400000_NS6detail17trampoline_kernelINS0_14default_configENS1_38merge_sort_block_merge_config_selectorIiNS0_10empty_typeEEEZZNS1_27merge_sort_block_merge_implIS3_N6thrust23THRUST_200600_302600_NS6detail15normal_iteratorINS9_10device_ptrIiEEEEPS5_jNS1_19radix_merge_compareILb0ELb0EiNS0_19identity_decomposerEEEEE10hipError_tT0_T1_T2_jT3_P12ihipStream_tbPNSt15iterator_traitsISK_E10value_typeEPNSQ_ISL_E10value_typeEPSM_NS1_7vsmem_tEENKUlT_SK_SL_SM_E_clIPiSE_SF_SF_EESJ_SZ_SK_SL_SM_EUlSZ_E_NS1_11comp_targetILNS1_3genE3ELNS1_11target_archE908ELNS1_3gpuE7ELNS1_3repE0EEENS1_48merge_mergepath_partition_config_static_selectorELNS0_4arch9wavefront6targetE1EEEvSL_.has_recursion, 0
	.set _ZN7rocprim17ROCPRIM_400000_NS6detail17trampoline_kernelINS0_14default_configENS1_38merge_sort_block_merge_config_selectorIiNS0_10empty_typeEEEZZNS1_27merge_sort_block_merge_implIS3_N6thrust23THRUST_200600_302600_NS6detail15normal_iteratorINS9_10device_ptrIiEEEEPS5_jNS1_19radix_merge_compareILb0ELb0EiNS0_19identity_decomposerEEEEE10hipError_tT0_T1_T2_jT3_P12ihipStream_tbPNSt15iterator_traitsISK_E10value_typeEPNSQ_ISL_E10value_typeEPSM_NS1_7vsmem_tEENKUlT_SK_SL_SM_E_clIPiSE_SF_SF_EESJ_SZ_SK_SL_SM_EUlSZ_E_NS1_11comp_targetILNS1_3genE3ELNS1_11target_archE908ELNS1_3gpuE7ELNS1_3repE0EEENS1_48merge_mergepath_partition_config_static_selectorELNS0_4arch9wavefront6targetE1EEEvSL_.has_indirect_call, 0
	.section	.AMDGPU.csdata,"",@progbits
; Kernel info:
; codeLenInByte = 0
; TotalNumSgprs: 6
; NumVgprs: 0
; NumAgprs: 0
; TotalNumVgprs: 0
; ScratchSize: 0
; MemoryBound: 0
; FloatMode: 240
; IeeeMode: 1
; LDSByteSize: 0 bytes/workgroup (compile time only)
; SGPRBlocks: 0
; VGPRBlocks: 0
; NumSGPRsForWavesPerEU: 6
; NumVGPRsForWavesPerEU: 1
; AccumOffset: 4
; Occupancy: 8
; WaveLimiterHint : 0
; COMPUTE_PGM_RSRC2:SCRATCH_EN: 0
; COMPUTE_PGM_RSRC2:USER_SGPR: 2
; COMPUTE_PGM_RSRC2:TRAP_HANDLER: 0
; COMPUTE_PGM_RSRC2:TGID_X_EN: 1
; COMPUTE_PGM_RSRC2:TGID_Y_EN: 0
; COMPUTE_PGM_RSRC2:TGID_Z_EN: 0
; COMPUTE_PGM_RSRC2:TIDIG_COMP_CNT: 0
; COMPUTE_PGM_RSRC3_GFX90A:ACCUM_OFFSET: 0
; COMPUTE_PGM_RSRC3_GFX90A:TG_SPLIT: 0
	.section	.text._ZN7rocprim17ROCPRIM_400000_NS6detail17trampoline_kernelINS0_14default_configENS1_38merge_sort_block_merge_config_selectorIiNS0_10empty_typeEEEZZNS1_27merge_sort_block_merge_implIS3_N6thrust23THRUST_200600_302600_NS6detail15normal_iteratorINS9_10device_ptrIiEEEEPS5_jNS1_19radix_merge_compareILb0ELb0EiNS0_19identity_decomposerEEEEE10hipError_tT0_T1_T2_jT3_P12ihipStream_tbPNSt15iterator_traitsISK_E10value_typeEPNSQ_ISL_E10value_typeEPSM_NS1_7vsmem_tEENKUlT_SK_SL_SM_E_clIPiSE_SF_SF_EESJ_SZ_SK_SL_SM_EUlSZ_E_NS1_11comp_targetILNS1_3genE2ELNS1_11target_archE906ELNS1_3gpuE6ELNS1_3repE0EEENS1_48merge_mergepath_partition_config_static_selectorELNS0_4arch9wavefront6targetE1EEEvSL_,"axG",@progbits,_ZN7rocprim17ROCPRIM_400000_NS6detail17trampoline_kernelINS0_14default_configENS1_38merge_sort_block_merge_config_selectorIiNS0_10empty_typeEEEZZNS1_27merge_sort_block_merge_implIS3_N6thrust23THRUST_200600_302600_NS6detail15normal_iteratorINS9_10device_ptrIiEEEEPS5_jNS1_19radix_merge_compareILb0ELb0EiNS0_19identity_decomposerEEEEE10hipError_tT0_T1_T2_jT3_P12ihipStream_tbPNSt15iterator_traitsISK_E10value_typeEPNSQ_ISL_E10value_typeEPSM_NS1_7vsmem_tEENKUlT_SK_SL_SM_E_clIPiSE_SF_SF_EESJ_SZ_SK_SL_SM_EUlSZ_E_NS1_11comp_targetILNS1_3genE2ELNS1_11target_archE906ELNS1_3gpuE6ELNS1_3repE0EEENS1_48merge_mergepath_partition_config_static_selectorELNS0_4arch9wavefront6targetE1EEEvSL_,comdat
	.protected	_ZN7rocprim17ROCPRIM_400000_NS6detail17trampoline_kernelINS0_14default_configENS1_38merge_sort_block_merge_config_selectorIiNS0_10empty_typeEEEZZNS1_27merge_sort_block_merge_implIS3_N6thrust23THRUST_200600_302600_NS6detail15normal_iteratorINS9_10device_ptrIiEEEEPS5_jNS1_19radix_merge_compareILb0ELb0EiNS0_19identity_decomposerEEEEE10hipError_tT0_T1_T2_jT3_P12ihipStream_tbPNSt15iterator_traitsISK_E10value_typeEPNSQ_ISL_E10value_typeEPSM_NS1_7vsmem_tEENKUlT_SK_SL_SM_E_clIPiSE_SF_SF_EESJ_SZ_SK_SL_SM_EUlSZ_E_NS1_11comp_targetILNS1_3genE2ELNS1_11target_archE906ELNS1_3gpuE6ELNS1_3repE0EEENS1_48merge_mergepath_partition_config_static_selectorELNS0_4arch9wavefront6targetE1EEEvSL_ ; -- Begin function _ZN7rocprim17ROCPRIM_400000_NS6detail17trampoline_kernelINS0_14default_configENS1_38merge_sort_block_merge_config_selectorIiNS0_10empty_typeEEEZZNS1_27merge_sort_block_merge_implIS3_N6thrust23THRUST_200600_302600_NS6detail15normal_iteratorINS9_10device_ptrIiEEEEPS5_jNS1_19radix_merge_compareILb0ELb0EiNS0_19identity_decomposerEEEEE10hipError_tT0_T1_T2_jT3_P12ihipStream_tbPNSt15iterator_traitsISK_E10value_typeEPNSQ_ISL_E10value_typeEPSM_NS1_7vsmem_tEENKUlT_SK_SL_SM_E_clIPiSE_SF_SF_EESJ_SZ_SK_SL_SM_EUlSZ_E_NS1_11comp_targetILNS1_3genE2ELNS1_11target_archE906ELNS1_3gpuE6ELNS1_3repE0EEENS1_48merge_mergepath_partition_config_static_selectorELNS0_4arch9wavefront6targetE1EEEvSL_
	.globl	_ZN7rocprim17ROCPRIM_400000_NS6detail17trampoline_kernelINS0_14default_configENS1_38merge_sort_block_merge_config_selectorIiNS0_10empty_typeEEEZZNS1_27merge_sort_block_merge_implIS3_N6thrust23THRUST_200600_302600_NS6detail15normal_iteratorINS9_10device_ptrIiEEEEPS5_jNS1_19radix_merge_compareILb0ELb0EiNS0_19identity_decomposerEEEEE10hipError_tT0_T1_T2_jT3_P12ihipStream_tbPNSt15iterator_traitsISK_E10value_typeEPNSQ_ISL_E10value_typeEPSM_NS1_7vsmem_tEENKUlT_SK_SL_SM_E_clIPiSE_SF_SF_EESJ_SZ_SK_SL_SM_EUlSZ_E_NS1_11comp_targetILNS1_3genE2ELNS1_11target_archE906ELNS1_3gpuE6ELNS1_3repE0EEENS1_48merge_mergepath_partition_config_static_selectorELNS0_4arch9wavefront6targetE1EEEvSL_
	.p2align	8
	.type	_ZN7rocprim17ROCPRIM_400000_NS6detail17trampoline_kernelINS0_14default_configENS1_38merge_sort_block_merge_config_selectorIiNS0_10empty_typeEEEZZNS1_27merge_sort_block_merge_implIS3_N6thrust23THRUST_200600_302600_NS6detail15normal_iteratorINS9_10device_ptrIiEEEEPS5_jNS1_19radix_merge_compareILb0ELb0EiNS0_19identity_decomposerEEEEE10hipError_tT0_T1_T2_jT3_P12ihipStream_tbPNSt15iterator_traitsISK_E10value_typeEPNSQ_ISL_E10value_typeEPSM_NS1_7vsmem_tEENKUlT_SK_SL_SM_E_clIPiSE_SF_SF_EESJ_SZ_SK_SL_SM_EUlSZ_E_NS1_11comp_targetILNS1_3genE2ELNS1_11target_archE906ELNS1_3gpuE6ELNS1_3repE0EEENS1_48merge_mergepath_partition_config_static_selectorELNS0_4arch9wavefront6targetE1EEEvSL_,@function
_ZN7rocprim17ROCPRIM_400000_NS6detail17trampoline_kernelINS0_14default_configENS1_38merge_sort_block_merge_config_selectorIiNS0_10empty_typeEEEZZNS1_27merge_sort_block_merge_implIS3_N6thrust23THRUST_200600_302600_NS6detail15normal_iteratorINS9_10device_ptrIiEEEEPS5_jNS1_19radix_merge_compareILb0ELb0EiNS0_19identity_decomposerEEEEE10hipError_tT0_T1_T2_jT3_P12ihipStream_tbPNSt15iterator_traitsISK_E10value_typeEPNSQ_ISL_E10value_typeEPSM_NS1_7vsmem_tEENKUlT_SK_SL_SM_E_clIPiSE_SF_SF_EESJ_SZ_SK_SL_SM_EUlSZ_E_NS1_11comp_targetILNS1_3genE2ELNS1_11target_archE906ELNS1_3gpuE6ELNS1_3repE0EEENS1_48merge_mergepath_partition_config_static_selectorELNS0_4arch9wavefront6targetE1EEEvSL_: ; @_ZN7rocprim17ROCPRIM_400000_NS6detail17trampoline_kernelINS0_14default_configENS1_38merge_sort_block_merge_config_selectorIiNS0_10empty_typeEEEZZNS1_27merge_sort_block_merge_implIS3_N6thrust23THRUST_200600_302600_NS6detail15normal_iteratorINS9_10device_ptrIiEEEEPS5_jNS1_19radix_merge_compareILb0ELb0EiNS0_19identity_decomposerEEEEE10hipError_tT0_T1_T2_jT3_P12ihipStream_tbPNSt15iterator_traitsISK_E10value_typeEPNSQ_ISL_E10value_typeEPSM_NS1_7vsmem_tEENKUlT_SK_SL_SM_E_clIPiSE_SF_SF_EESJ_SZ_SK_SL_SM_EUlSZ_E_NS1_11comp_targetILNS1_3genE2ELNS1_11target_archE906ELNS1_3gpuE6ELNS1_3repE0EEENS1_48merge_mergepath_partition_config_static_selectorELNS0_4arch9wavefront6targetE1EEEvSL_
; %bb.0:
	.section	.rodata,"a",@progbits
	.p2align	6, 0x0
	.amdhsa_kernel _ZN7rocprim17ROCPRIM_400000_NS6detail17trampoline_kernelINS0_14default_configENS1_38merge_sort_block_merge_config_selectorIiNS0_10empty_typeEEEZZNS1_27merge_sort_block_merge_implIS3_N6thrust23THRUST_200600_302600_NS6detail15normal_iteratorINS9_10device_ptrIiEEEEPS5_jNS1_19radix_merge_compareILb0ELb0EiNS0_19identity_decomposerEEEEE10hipError_tT0_T1_T2_jT3_P12ihipStream_tbPNSt15iterator_traitsISK_E10value_typeEPNSQ_ISL_E10value_typeEPSM_NS1_7vsmem_tEENKUlT_SK_SL_SM_E_clIPiSE_SF_SF_EESJ_SZ_SK_SL_SM_EUlSZ_E_NS1_11comp_targetILNS1_3genE2ELNS1_11target_archE906ELNS1_3gpuE6ELNS1_3repE0EEENS1_48merge_mergepath_partition_config_static_selectorELNS0_4arch9wavefront6targetE1EEEvSL_
		.amdhsa_group_segment_fixed_size 0
		.amdhsa_private_segment_fixed_size 0
		.amdhsa_kernarg_size 40
		.amdhsa_user_sgpr_count 2
		.amdhsa_user_sgpr_dispatch_ptr 0
		.amdhsa_user_sgpr_queue_ptr 0
		.amdhsa_user_sgpr_kernarg_segment_ptr 1
		.amdhsa_user_sgpr_dispatch_id 0
		.amdhsa_user_sgpr_kernarg_preload_length 0
		.amdhsa_user_sgpr_kernarg_preload_offset 0
		.amdhsa_user_sgpr_private_segment_size 0
		.amdhsa_uses_dynamic_stack 0
		.amdhsa_enable_private_segment 0
		.amdhsa_system_sgpr_workgroup_id_x 1
		.amdhsa_system_sgpr_workgroup_id_y 0
		.amdhsa_system_sgpr_workgroup_id_z 0
		.amdhsa_system_sgpr_workgroup_info 0
		.amdhsa_system_vgpr_workitem_id 0
		.amdhsa_next_free_vgpr 1
		.amdhsa_next_free_sgpr 0
		.amdhsa_accum_offset 4
		.amdhsa_reserve_vcc 0
		.amdhsa_float_round_mode_32 0
		.amdhsa_float_round_mode_16_64 0
		.amdhsa_float_denorm_mode_32 3
		.amdhsa_float_denorm_mode_16_64 3
		.amdhsa_dx10_clamp 1
		.amdhsa_ieee_mode 1
		.amdhsa_fp16_overflow 0
		.amdhsa_tg_split 0
		.amdhsa_exception_fp_ieee_invalid_op 0
		.amdhsa_exception_fp_denorm_src 0
		.amdhsa_exception_fp_ieee_div_zero 0
		.amdhsa_exception_fp_ieee_overflow 0
		.amdhsa_exception_fp_ieee_underflow 0
		.amdhsa_exception_fp_ieee_inexact 0
		.amdhsa_exception_int_div_zero 0
	.end_amdhsa_kernel
	.section	.text._ZN7rocprim17ROCPRIM_400000_NS6detail17trampoline_kernelINS0_14default_configENS1_38merge_sort_block_merge_config_selectorIiNS0_10empty_typeEEEZZNS1_27merge_sort_block_merge_implIS3_N6thrust23THRUST_200600_302600_NS6detail15normal_iteratorINS9_10device_ptrIiEEEEPS5_jNS1_19radix_merge_compareILb0ELb0EiNS0_19identity_decomposerEEEEE10hipError_tT0_T1_T2_jT3_P12ihipStream_tbPNSt15iterator_traitsISK_E10value_typeEPNSQ_ISL_E10value_typeEPSM_NS1_7vsmem_tEENKUlT_SK_SL_SM_E_clIPiSE_SF_SF_EESJ_SZ_SK_SL_SM_EUlSZ_E_NS1_11comp_targetILNS1_3genE2ELNS1_11target_archE906ELNS1_3gpuE6ELNS1_3repE0EEENS1_48merge_mergepath_partition_config_static_selectorELNS0_4arch9wavefront6targetE1EEEvSL_,"axG",@progbits,_ZN7rocprim17ROCPRIM_400000_NS6detail17trampoline_kernelINS0_14default_configENS1_38merge_sort_block_merge_config_selectorIiNS0_10empty_typeEEEZZNS1_27merge_sort_block_merge_implIS3_N6thrust23THRUST_200600_302600_NS6detail15normal_iteratorINS9_10device_ptrIiEEEEPS5_jNS1_19radix_merge_compareILb0ELb0EiNS0_19identity_decomposerEEEEE10hipError_tT0_T1_T2_jT3_P12ihipStream_tbPNSt15iterator_traitsISK_E10value_typeEPNSQ_ISL_E10value_typeEPSM_NS1_7vsmem_tEENKUlT_SK_SL_SM_E_clIPiSE_SF_SF_EESJ_SZ_SK_SL_SM_EUlSZ_E_NS1_11comp_targetILNS1_3genE2ELNS1_11target_archE906ELNS1_3gpuE6ELNS1_3repE0EEENS1_48merge_mergepath_partition_config_static_selectorELNS0_4arch9wavefront6targetE1EEEvSL_,comdat
.Lfunc_end24:
	.size	_ZN7rocprim17ROCPRIM_400000_NS6detail17trampoline_kernelINS0_14default_configENS1_38merge_sort_block_merge_config_selectorIiNS0_10empty_typeEEEZZNS1_27merge_sort_block_merge_implIS3_N6thrust23THRUST_200600_302600_NS6detail15normal_iteratorINS9_10device_ptrIiEEEEPS5_jNS1_19radix_merge_compareILb0ELb0EiNS0_19identity_decomposerEEEEE10hipError_tT0_T1_T2_jT3_P12ihipStream_tbPNSt15iterator_traitsISK_E10value_typeEPNSQ_ISL_E10value_typeEPSM_NS1_7vsmem_tEENKUlT_SK_SL_SM_E_clIPiSE_SF_SF_EESJ_SZ_SK_SL_SM_EUlSZ_E_NS1_11comp_targetILNS1_3genE2ELNS1_11target_archE906ELNS1_3gpuE6ELNS1_3repE0EEENS1_48merge_mergepath_partition_config_static_selectorELNS0_4arch9wavefront6targetE1EEEvSL_, .Lfunc_end24-_ZN7rocprim17ROCPRIM_400000_NS6detail17trampoline_kernelINS0_14default_configENS1_38merge_sort_block_merge_config_selectorIiNS0_10empty_typeEEEZZNS1_27merge_sort_block_merge_implIS3_N6thrust23THRUST_200600_302600_NS6detail15normal_iteratorINS9_10device_ptrIiEEEEPS5_jNS1_19radix_merge_compareILb0ELb0EiNS0_19identity_decomposerEEEEE10hipError_tT0_T1_T2_jT3_P12ihipStream_tbPNSt15iterator_traitsISK_E10value_typeEPNSQ_ISL_E10value_typeEPSM_NS1_7vsmem_tEENKUlT_SK_SL_SM_E_clIPiSE_SF_SF_EESJ_SZ_SK_SL_SM_EUlSZ_E_NS1_11comp_targetILNS1_3genE2ELNS1_11target_archE906ELNS1_3gpuE6ELNS1_3repE0EEENS1_48merge_mergepath_partition_config_static_selectorELNS0_4arch9wavefront6targetE1EEEvSL_
                                        ; -- End function
	.set _ZN7rocprim17ROCPRIM_400000_NS6detail17trampoline_kernelINS0_14default_configENS1_38merge_sort_block_merge_config_selectorIiNS0_10empty_typeEEEZZNS1_27merge_sort_block_merge_implIS3_N6thrust23THRUST_200600_302600_NS6detail15normal_iteratorINS9_10device_ptrIiEEEEPS5_jNS1_19radix_merge_compareILb0ELb0EiNS0_19identity_decomposerEEEEE10hipError_tT0_T1_T2_jT3_P12ihipStream_tbPNSt15iterator_traitsISK_E10value_typeEPNSQ_ISL_E10value_typeEPSM_NS1_7vsmem_tEENKUlT_SK_SL_SM_E_clIPiSE_SF_SF_EESJ_SZ_SK_SL_SM_EUlSZ_E_NS1_11comp_targetILNS1_3genE2ELNS1_11target_archE906ELNS1_3gpuE6ELNS1_3repE0EEENS1_48merge_mergepath_partition_config_static_selectorELNS0_4arch9wavefront6targetE1EEEvSL_.num_vgpr, 0
	.set _ZN7rocprim17ROCPRIM_400000_NS6detail17trampoline_kernelINS0_14default_configENS1_38merge_sort_block_merge_config_selectorIiNS0_10empty_typeEEEZZNS1_27merge_sort_block_merge_implIS3_N6thrust23THRUST_200600_302600_NS6detail15normal_iteratorINS9_10device_ptrIiEEEEPS5_jNS1_19radix_merge_compareILb0ELb0EiNS0_19identity_decomposerEEEEE10hipError_tT0_T1_T2_jT3_P12ihipStream_tbPNSt15iterator_traitsISK_E10value_typeEPNSQ_ISL_E10value_typeEPSM_NS1_7vsmem_tEENKUlT_SK_SL_SM_E_clIPiSE_SF_SF_EESJ_SZ_SK_SL_SM_EUlSZ_E_NS1_11comp_targetILNS1_3genE2ELNS1_11target_archE906ELNS1_3gpuE6ELNS1_3repE0EEENS1_48merge_mergepath_partition_config_static_selectorELNS0_4arch9wavefront6targetE1EEEvSL_.num_agpr, 0
	.set _ZN7rocprim17ROCPRIM_400000_NS6detail17trampoline_kernelINS0_14default_configENS1_38merge_sort_block_merge_config_selectorIiNS0_10empty_typeEEEZZNS1_27merge_sort_block_merge_implIS3_N6thrust23THRUST_200600_302600_NS6detail15normal_iteratorINS9_10device_ptrIiEEEEPS5_jNS1_19radix_merge_compareILb0ELb0EiNS0_19identity_decomposerEEEEE10hipError_tT0_T1_T2_jT3_P12ihipStream_tbPNSt15iterator_traitsISK_E10value_typeEPNSQ_ISL_E10value_typeEPSM_NS1_7vsmem_tEENKUlT_SK_SL_SM_E_clIPiSE_SF_SF_EESJ_SZ_SK_SL_SM_EUlSZ_E_NS1_11comp_targetILNS1_3genE2ELNS1_11target_archE906ELNS1_3gpuE6ELNS1_3repE0EEENS1_48merge_mergepath_partition_config_static_selectorELNS0_4arch9wavefront6targetE1EEEvSL_.numbered_sgpr, 0
	.set _ZN7rocprim17ROCPRIM_400000_NS6detail17trampoline_kernelINS0_14default_configENS1_38merge_sort_block_merge_config_selectorIiNS0_10empty_typeEEEZZNS1_27merge_sort_block_merge_implIS3_N6thrust23THRUST_200600_302600_NS6detail15normal_iteratorINS9_10device_ptrIiEEEEPS5_jNS1_19radix_merge_compareILb0ELb0EiNS0_19identity_decomposerEEEEE10hipError_tT0_T1_T2_jT3_P12ihipStream_tbPNSt15iterator_traitsISK_E10value_typeEPNSQ_ISL_E10value_typeEPSM_NS1_7vsmem_tEENKUlT_SK_SL_SM_E_clIPiSE_SF_SF_EESJ_SZ_SK_SL_SM_EUlSZ_E_NS1_11comp_targetILNS1_3genE2ELNS1_11target_archE906ELNS1_3gpuE6ELNS1_3repE0EEENS1_48merge_mergepath_partition_config_static_selectorELNS0_4arch9wavefront6targetE1EEEvSL_.num_named_barrier, 0
	.set _ZN7rocprim17ROCPRIM_400000_NS6detail17trampoline_kernelINS0_14default_configENS1_38merge_sort_block_merge_config_selectorIiNS0_10empty_typeEEEZZNS1_27merge_sort_block_merge_implIS3_N6thrust23THRUST_200600_302600_NS6detail15normal_iteratorINS9_10device_ptrIiEEEEPS5_jNS1_19radix_merge_compareILb0ELb0EiNS0_19identity_decomposerEEEEE10hipError_tT0_T1_T2_jT3_P12ihipStream_tbPNSt15iterator_traitsISK_E10value_typeEPNSQ_ISL_E10value_typeEPSM_NS1_7vsmem_tEENKUlT_SK_SL_SM_E_clIPiSE_SF_SF_EESJ_SZ_SK_SL_SM_EUlSZ_E_NS1_11comp_targetILNS1_3genE2ELNS1_11target_archE906ELNS1_3gpuE6ELNS1_3repE0EEENS1_48merge_mergepath_partition_config_static_selectorELNS0_4arch9wavefront6targetE1EEEvSL_.private_seg_size, 0
	.set _ZN7rocprim17ROCPRIM_400000_NS6detail17trampoline_kernelINS0_14default_configENS1_38merge_sort_block_merge_config_selectorIiNS0_10empty_typeEEEZZNS1_27merge_sort_block_merge_implIS3_N6thrust23THRUST_200600_302600_NS6detail15normal_iteratorINS9_10device_ptrIiEEEEPS5_jNS1_19radix_merge_compareILb0ELb0EiNS0_19identity_decomposerEEEEE10hipError_tT0_T1_T2_jT3_P12ihipStream_tbPNSt15iterator_traitsISK_E10value_typeEPNSQ_ISL_E10value_typeEPSM_NS1_7vsmem_tEENKUlT_SK_SL_SM_E_clIPiSE_SF_SF_EESJ_SZ_SK_SL_SM_EUlSZ_E_NS1_11comp_targetILNS1_3genE2ELNS1_11target_archE906ELNS1_3gpuE6ELNS1_3repE0EEENS1_48merge_mergepath_partition_config_static_selectorELNS0_4arch9wavefront6targetE1EEEvSL_.uses_vcc, 0
	.set _ZN7rocprim17ROCPRIM_400000_NS6detail17trampoline_kernelINS0_14default_configENS1_38merge_sort_block_merge_config_selectorIiNS0_10empty_typeEEEZZNS1_27merge_sort_block_merge_implIS3_N6thrust23THRUST_200600_302600_NS6detail15normal_iteratorINS9_10device_ptrIiEEEEPS5_jNS1_19radix_merge_compareILb0ELb0EiNS0_19identity_decomposerEEEEE10hipError_tT0_T1_T2_jT3_P12ihipStream_tbPNSt15iterator_traitsISK_E10value_typeEPNSQ_ISL_E10value_typeEPSM_NS1_7vsmem_tEENKUlT_SK_SL_SM_E_clIPiSE_SF_SF_EESJ_SZ_SK_SL_SM_EUlSZ_E_NS1_11comp_targetILNS1_3genE2ELNS1_11target_archE906ELNS1_3gpuE6ELNS1_3repE0EEENS1_48merge_mergepath_partition_config_static_selectorELNS0_4arch9wavefront6targetE1EEEvSL_.uses_flat_scratch, 0
	.set _ZN7rocprim17ROCPRIM_400000_NS6detail17trampoline_kernelINS0_14default_configENS1_38merge_sort_block_merge_config_selectorIiNS0_10empty_typeEEEZZNS1_27merge_sort_block_merge_implIS3_N6thrust23THRUST_200600_302600_NS6detail15normal_iteratorINS9_10device_ptrIiEEEEPS5_jNS1_19radix_merge_compareILb0ELb0EiNS0_19identity_decomposerEEEEE10hipError_tT0_T1_T2_jT3_P12ihipStream_tbPNSt15iterator_traitsISK_E10value_typeEPNSQ_ISL_E10value_typeEPSM_NS1_7vsmem_tEENKUlT_SK_SL_SM_E_clIPiSE_SF_SF_EESJ_SZ_SK_SL_SM_EUlSZ_E_NS1_11comp_targetILNS1_3genE2ELNS1_11target_archE906ELNS1_3gpuE6ELNS1_3repE0EEENS1_48merge_mergepath_partition_config_static_selectorELNS0_4arch9wavefront6targetE1EEEvSL_.has_dyn_sized_stack, 0
	.set _ZN7rocprim17ROCPRIM_400000_NS6detail17trampoline_kernelINS0_14default_configENS1_38merge_sort_block_merge_config_selectorIiNS0_10empty_typeEEEZZNS1_27merge_sort_block_merge_implIS3_N6thrust23THRUST_200600_302600_NS6detail15normal_iteratorINS9_10device_ptrIiEEEEPS5_jNS1_19radix_merge_compareILb0ELb0EiNS0_19identity_decomposerEEEEE10hipError_tT0_T1_T2_jT3_P12ihipStream_tbPNSt15iterator_traitsISK_E10value_typeEPNSQ_ISL_E10value_typeEPSM_NS1_7vsmem_tEENKUlT_SK_SL_SM_E_clIPiSE_SF_SF_EESJ_SZ_SK_SL_SM_EUlSZ_E_NS1_11comp_targetILNS1_3genE2ELNS1_11target_archE906ELNS1_3gpuE6ELNS1_3repE0EEENS1_48merge_mergepath_partition_config_static_selectorELNS0_4arch9wavefront6targetE1EEEvSL_.has_recursion, 0
	.set _ZN7rocprim17ROCPRIM_400000_NS6detail17trampoline_kernelINS0_14default_configENS1_38merge_sort_block_merge_config_selectorIiNS0_10empty_typeEEEZZNS1_27merge_sort_block_merge_implIS3_N6thrust23THRUST_200600_302600_NS6detail15normal_iteratorINS9_10device_ptrIiEEEEPS5_jNS1_19radix_merge_compareILb0ELb0EiNS0_19identity_decomposerEEEEE10hipError_tT0_T1_T2_jT3_P12ihipStream_tbPNSt15iterator_traitsISK_E10value_typeEPNSQ_ISL_E10value_typeEPSM_NS1_7vsmem_tEENKUlT_SK_SL_SM_E_clIPiSE_SF_SF_EESJ_SZ_SK_SL_SM_EUlSZ_E_NS1_11comp_targetILNS1_3genE2ELNS1_11target_archE906ELNS1_3gpuE6ELNS1_3repE0EEENS1_48merge_mergepath_partition_config_static_selectorELNS0_4arch9wavefront6targetE1EEEvSL_.has_indirect_call, 0
	.section	.AMDGPU.csdata,"",@progbits
; Kernel info:
; codeLenInByte = 0
; TotalNumSgprs: 6
; NumVgprs: 0
; NumAgprs: 0
; TotalNumVgprs: 0
; ScratchSize: 0
; MemoryBound: 0
; FloatMode: 240
; IeeeMode: 1
; LDSByteSize: 0 bytes/workgroup (compile time only)
; SGPRBlocks: 0
; VGPRBlocks: 0
; NumSGPRsForWavesPerEU: 6
; NumVGPRsForWavesPerEU: 1
; AccumOffset: 4
; Occupancy: 8
; WaveLimiterHint : 0
; COMPUTE_PGM_RSRC2:SCRATCH_EN: 0
; COMPUTE_PGM_RSRC2:USER_SGPR: 2
; COMPUTE_PGM_RSRC2:TRAP_HANDLER: 0
; COMPUTE_PGM_RSRC2:TGID_X_EN: 1
; COMPUTE_PGM_RSRC2:TGID_Y_EN: 0
; COMPUTE_PGM_RSRC2:TGID_Z_EN: 0
; COMPUTE_PGM_RSRC2:TIDIG_COMP_CNT: 0
; COMPUTE_PGM_RSRC3_GFX90A:ACCUM_OFFSET: 0
; COMPUTE_PGM_RSRC3_GFX90A:TG_SPLIT: 0
	.section	.text._ZN7rocprim17ROCPRIM_400000_NS6detail17trampoline_kernelINS0_14default_configENS1_38merge_sort_block_merge_config_selectorIiNS0_10empty_typeEEEZZNS1_27merge_sort_block_merge_implIS3_N6thrust23THRUST_200600_302600_NS6detail15normal_iteratorINS9_10device_ptrIiEEEEPS5_jNS1_19radix_merge_compareILb0ELb0EiNS0_19identity_decomposerEEEEE10hipError_tT0_T1_T2_jT3_P12ihipStream_tbPNSt15iterator_traitsISK_E10value_typeEPNSQ_ISL_E10value_typeEPSM_NS1_7vsmem_tEENKUlT_SK_SL_SM_E_clIPiSE_SF_SF_EESJ_SZ_SK_SL_SM_EUlSZ_E_NS1_11comp_targetILNS1_3genE9ELNS1_11target_archE1100ELNS1_3gpuE3ELNS1_3repE0EEENS1_48merge_mergepath_partition_config_static_selectorELNS0_4arch9wavefront6targetE1EEEvSL_,"axG",@progbits,_ZN7rocprim17ROCPRIM_400000_NS6detail17trampoline_kernelINS0_14default_configENS1_38merge_sort_block_merge_config_selectorIiNS0_10empty_typeEEEZZNS1_27merge_sort_block_merge_implIS3_N6thrust23THRUST_200600_302600_NS6detail15normal_iteratorINS9_10device_ptrIiEEEEPS5_jNS1_19radix_merge_compareILb0ELb0EiNS0_19identity_decomposerEEEEE10hipError_tT0_T1_T2_jT3_P12ihipStream_tbPNSt15iterator_traitsISK_E10value_typeEPNSQ_ISL_E10value_typeEPSM_NS1_7vsmem_tEENKUlT_SK_SL_SM_E_clIPiSE_SF_SF_EESJ_SZ_SK_SL_SM_EUlSZ_E_NS1_11comp_targetILNS1_3genE9ELNS1_11target_archE1100ELNS1_3gpuE3ELNS1_3repE0EEENS1_48merge_mergepath_partition_config_static_selectorELNS0_4arch9wavefront6targetE1EEEvSL_,comdat
	.protected	_ZN7rocprim17ROCPRIM_400000_NS6detail17trampoline_kernelINS0_14default_configENS1_38merge_sort_block_merge_config_selectorIiNS0_10empty_typeEEEZZNS1_27merge_sort_block_merge_implIS3_N6thrust23THRUST_200600_302600_NS6detail15normal_iteratorINS9_10device_ptrIiEEEEPS5_jNS1_19radix_merge_compareILb0ELb0EiNS0_19identity_decomposerEEEEE10hipError_tT0_T1_T2_jT3_P12ihipStream_tbPNSt15iterator_traitsISK_E10value_typeEPNSQ_ISL_E10value_typeEPSM_NS1_7vsmem_tEENKUlT_SK_SL_SM_E_clIPiSE_SF_SF_EESJ_SZ_SK_SL_SM_EUlSZ_E_NS1_11comp_targetILNS1_3genE9ELNS1_11target_archE1100ELNS1_3gpuE3ELNS1_3repE0EEENS1_48merge_mergepath_partition_config_static_selectorELNS0_4arch9wavefront6targetE1EEEvSL_ ; -- Begin function _ZN7rocprim17ROCPRIM_400000_NS6detail17trampoline_kernelINS0_14default_configENS1_38merge_sort_block_merge_config_selectorIiNS0_10empty_typeEEEZZNS1_27merge_sort_block_merge_implIS3_N6thrust23THRUST_200600_302600_NS6detail15normal_iteratorINS9_10device_ptrIiEEEEPS5_jNS1_19radix_merge_compareILb0ELb0EiNS0_19identity_decomposerEEEEE10hipError_tT0_T1_T2_jT3_P12ihipStream_tbPNSt15iterator_traitsISK_E10value_typeEPNSQ_ISL_E10value_typeEPSM_NS1_7vsmem_tEENKUlT_SK_SL_SM_E_clIPiSE_SF_SF_EESJ_SZ_SK_SL_SM_EUlSZ_E_NS1_11comp_targetILNS1_3genE9ELNS1_11target_archE1100ELNS1_3gpuE3ELNS1_3repE0EEENS1_48merge_mergepath_partition_config_static_selectorELNS0_4arch9wavefront6targetE1EEEvSL_
	.globl	_ZN7rocprim17ROCPRIM_400000_NS6detail17trampoline_kernelINS0_14default_configENS1_38merge_sort_block_merge_config_selectorIiNS0_10empty_typeEEEZZNS1_27merge_sort_block_merge_implIS3_N6thrust23THRUST_200600_302600_NS6detail15normal_iteratorINS9_10device_ptrIiEEEEPS5_jNS1_19radix_merge_compareILb0ELb0EiNS0_19identity_decomposerEEEEE10hipError_tT0_T1_T2_jT3_P12ihipStream_tbPNSt15iterator_traitsISK_E10value_typeEPNSQ_ISL_E10value_typeEPSM_NS1_7vsmem_tEENKUlT_SK_SL_SM_E_clIPiSE_SF_SF_EESJ_SZ_SK_SL_SM_EUlSZ_E_NS1_11comp_targetILNS1_3genE9ELNS1_11target_archE1100ELNS1_3gpuE3ELNS1_3repE0EEENS1_48merge_mergepath_partition_config_static_selectorELNS0_4arch9wavefront6targetE1EEEvSL_
	.p2align	8
	.type	_ZN7rocprim17ROCPRIM_400000_NS6detail17trampoline_kernelINS0_14default_configENS1_38merge_sort_block_merge_config_selectorIiNS0_10empty_typeEEEZZNS1_27merge_sort_block_merge_implIS3_N6thrust23THRUST_200600_302600_NS6detail15normal_iteratorINS9_10device_ptrIiEEEEPS5_jNS1_19radix_merge_compareILb0ELb0EiNS0_19identity_decomposerEEEEE10hipError_tT0_T1_T2_jT3_P12ihipStream_tbPNSt15iterator_traitsISK_E10value_typeEPNSQ_ISL_E10value_typeEPSM_NS1_7vsmem_tEENKUlT_SK_SL_SM_E_clIPiSE_SF_SF_EESJ_SZ_SK_SL_SM_EUlSZ_E_NS1_11comp_targetILNS1_3genE9ELNS1_11target_archE1100ELNS1_3gpuE3ELNS1_3repE0EEENS1_48merge_mergepath_partition_config_static_selectorELNS0_4arch9wavefront6targetE1EEEvSL_,@function
_ZN7rocprim17ROCPRIM_400000_NS6detail17trampoline_kernelINS0_14default_configENS1_38merge_sort_block_merge_config_selectorIiNS0_10empty_typeEEEZZNS1_27merge_sort_block_merge_implIS3_N6thrust23THRUST_200600_302600_NS6detail15normal_iteratorINS9_10device_ptrIiEEEEPS5_jNS1_19radix_merge_compareILb0ELb0EiNS0_19identity_decomposerEEEEE10hipError_tT0_T1_T2_jT3_P12ihipStream_tbPNSt15iterator_traitsISK_E10value_typeEPNSQ_ISL_E10value_typeEPSM_NS1_7vsmem_tEENKUlT_SK_SL_SM_E_clIPiSE_SF_SF_EESJ_SZ_SK_SL_SM_EUlSZ_E_NS1_11comp_targetILNS1_3genE9ELNS1_11target_archE1100ELNS1_3gpuE3ELNS1_3repE0EEENS1_48merge_mergepath_partition_config_static_selectorELNS0_4arch9wavefront6targetE1EEEvSL_: ; @_ZN7rocprim17ROCPRIM_400000_NS6detail17trampoline_kernelINS0_14default_configENS1_38merge_sort_block_merge_config_selectorIiNS0_10empty_typeEEEZZNS1_27merge_sort_block_merge_implIS3_N6thrust23THRUST_200600_302600_NS6detail15normal_iteratorINS9_10device_ptrIiEEEEPS5_jNS1_19radix_merge_compareILb0ELb0EiNS0_19identity_decomposerEEEEE10hipError_tT0_T1_T2_jT3_P12ihipStream_tbPNSt15iterator_traitsISK_E10value_typeEPNSQ_ISL_E10value_typeEPSM_NS1_7vsmem_tEENKUlT_SK_SL_SM_E_clIPiSE_SF_SF_EESJ_SZ_SK_SL_SM_EUlSZ_E_NS1_11comp_targetILNS1_3genE9ELNS1_11target_archE1100ELNS1_3gpuE3ELNS1_3repE0EEENS1_48merge_mergepath_partition_config_static_selectorELNS0_4arch9wavefront6targetE1EEEvSL_
; %bb.0:
	.section	.rodata,"a",@progbits
	.p2align	6, 0x0
	.amdhsa_kernel _ZN7rocprim17ROCPRIM_400000_NS6detail17trampoline_kernelINS0_14default_configENS1_38merge_sort_block_merge_config_selectorIiNS0_10empty_typeEEEZZNS1_27merge_sort_block_merge_implIS3_N6thrust23THRUST_200600_302600_NS6detail15normal_iteratorINS9_10device_ptrIiEEEEPS5_jNS1_19radix_merge_compareILb0ELb0EiNS0_19identity_decomposerEEEEE10hipError_tT0_T1_T2_jT3_P12ihipStream_tbPNSt15iterator_traitsISK_E10value_typeEPNSQ_ISL_E10value_typeEPSM_NS1_7vsmem_tEENKUlT_SK_SL_SM_E_clIPiSE_SF_SF_EESJ_SZ_SK_SL_SM_EUlSZ_E_NS1_11comp_targetILNS1_3genE9ELNS1_11target_archE1100ELNS1_3gpuE3ELNS1_3repE0EEENS1_48merge_mergepath_partition_config_static_selectorELNS0_4arch9wavefront6targetE1EEEvSL_
		.amdhsa_group_segment_fixed_size 0
		.amdhsa_private_segment_fixed_size 0
		.amdhsa_kernarg_size 40
		.amdhsa_user_sgpr_count 2
		.amdhsa_user_sgpr_dispatch_ptr 0
		.amdhsa_user_sgpr_queue_ptr 0
		.amdhsa_user_sgpr_kernarg_segment_ptr 1
		.amdhsa_user_sgpr_dispatch_id 0
		.amdhsa_user_sgpr_kernarg_preload_length 0
		.amdhsa_user_sgpr_kernarg_preload_offset 0
		.amdhsa_user_sgpr_private_segment_size 0
		.amdhsa_uses_dynamic_stack 0
		.amdhsa_enable_private_segment 0
		.amdhsa_system_sgpr_workgroup_id_x 1
		.amdhsa_system_sgpr_workgroup_id_y 0
		.amdhsa_system_sgpr_workgroup_id_z 0
		.amdhsa_system_sgpr_workgroup_info 0
		.amdhsa_system_vgpr_workitem_id 0
		.amdhsa_next_free_vgpr 1
		.amdhsa_next_free_sgpr 0
		.amdhsa_accum_offset 4
		.amdhsa_reserve_vcc 0
		.amdhsa_float_round_mode_32 0
		.amdhsa_float_round_mode_16_64 0
		.amdhsa_float_denorm_mode_32 3
		.amdhsa_float_denorm_mode_16_64 3
		.amdhsa_dx10_clamp 1
		.amdhsa_ieee_mode 1
		.amdhsa_fp16_overflow 0
		.amdhsa_tg_split 0
		.amdhsa_exception_fp_ieee_invalid_op 0
		.amdhsa_exception_fp_denorm_src 0
		.amdhsa_exception_fp_ieee_div_zero 0
		.amdhsa_exception_fp_ieee_overflow 0
		.amdhsa_exception_fp_ieee_underflow 0
		.amdhsa_exception_fp_ieee_inexact 0
		.amdhsa_exception_int_div_zero 0
	.end_amdhsa_kernel
	.section	.text._ZN7rocprim17ROCPRIM_400000_NS6detail17trampoline_kernelINS0_14default_configENS1_38merge_sort_block_merge_config_selectorIiNS0_10empty_typeEEEZZNS1_27merge_sort_block_merge_implIS3_N6thrust23THRUST_200600_302600_NS6detail15normal_iteratorINS9_10device_ptrIiEEEEPS5_jNS1_19radix_merge_compareILb0ELb0EiNS0_19identity_decomposerEEEEE10hipError_tT0_T1_T2_jT3_P12ihipStream_tbPNSt15iterator_traitsISK_E10value_typeEPNSQ_ISL_E10value_typeEPSM_NS1_7vsmem_tEENKUlT_SK_SL_SM_E_clIPiSE_SF_SF_EESJ_SZ_SK_SL_SM_EUlSZ_E_NS1_11comp_targetILNS1_3genE9ELNS1_11target_archE1100ELNS1_3gpuE3ELNS1_3repE0EEENS1_48merge_mergepath_partition_config_static_selectorELNS0_4arch9wavefront6targetE1EEEvSL_,"axG",@progbits,_ZN7rocprim17ROCPRIM_400000_NS6detail17trampoline_kernelINS0_14default_configENS1_38merge_sort_block_merge_config_selectorIiNS0_10empty_typeEEEZZNS1_27merge_sort_block_merge_implIS3_N6thrust23THRUST_200600_302600_NS6detail15normal_iteratorINS9_10device_ptrIiEEEEPS5_jNS1_19radix_merge_compareILb0ELb0EiNS0_19identity_decomposerEEEEE10hipError_tT0_T1_T2_jT3_P12ihipStream_tbPNSt15iterator_traitsISK_E10value_typeEPNSQ_ISL_E10value_typeEPSM_NS1_7vsmem_tEENKUlT_SK_SL_SM_E_clIPiSE_SF_SF_EESJ_SZ_SK_SL_SM_EUlSZ_E_NS1_11comp_targetILNS1_3genE9ELNS1_11target_archE1100ELNS1_3gpuE3ELNS1_3repE0EEENS1_48merge_mergepath_partition_config_static_selectorELNS0_4arch9wavefront6targetE1EEEvSL_,comdat
.Lfunc_end25:
	.size	_ZN7rocprim17ROCPRIM_400000_NS6detail17trampoline_kernelINS0_14default_configENS1_38merge_sort_block_merge_config_selectorIiNS0_10empty_typeEEEZZNS1_27merge_sort_block_merge_implIS3_N6thrust23THRUST_200600_302600_NS6detail15normal_iteratorINS9_10device_ptrIiEEEEPS5_jNS1_19radix_merge_compareILb0ELb0EiNS0_19identity_decomposerEEEEE10hipError_tT0_T1_T2_jT3_P12ihipStream_tbPNSt15iterator_traitsISK_E10value_typeEPNSQ_ISL_E10value_typeEPSM_NS1_7vsmem_tEENKUlT_SK_SL_SM_E_clIPiSE_SF_SF_EESJ_SZ_SK_SL_SM_EUlSZ_E_NS1_11comp_targetILNS1_3genE9ELNS1_11target_archE1100ELNS1_3gpuE3ELNS1_3repE0EEENS1_48merge_mergepath_partition_config_static_selectorELNS0_4arch9wavefront6targetE1EEEvSL_, .Lfunc_end25-_ZN7rocprim17ROCPRIM_400000_NS6detail17trampoline_kernelINS0_14default_configENS1_38merge_sort_block_merge_config_selectorIiNS0_10empty_typeEEEZZNS1_27merge_sort_block_merge_implIS3_N6thrust23THRUST_200600_302600_NS6detail15normal_iteratorINS9_10device_ptrIiEEEEPS5_jNS1_19radix_merge_compareILb0ELb0EiNS0_19identity_decomposerEEEEE10hipError_tT0_T1_T2_jT3_P12ihipStream_tbPNSt15iterator_traitsISK_E10value_typeEPNSQ_ISL_E10value_typeEPSM_NS1_7vsmem_tEENKUlT_SK_SL_SM_E_clIPiSE_SF_SF_EESJ_SZ_SK_SL_SM_EUlSZ_E_NS1_11comp_targetILNS1_3genE9ELNS1_11target_archE1100ELNS1_3gpuE3ELNS1_3repE0EEENS1_48merge_mergepath_partition_config_static_selectorELNS0_4arch9wavefront6targetE1EEEvSL_
                                        ; -- End function
	.set _ZN7rocprim17ROCPRIM_400000_NS6detail17trampoline_kernelINS0_14default_configENS1_38merge_sort_block_merge_config_selectorIiNS0_10empty_typeEEEZZNS1_27merge_sort_block_merge_implIS3_N6thrust23THRUST_200600_302600_NS6detail15normal_iteratorINS9_10device_ptrIiEEEEPS5_jNS1_19radix_merge_compareILb0ELb0EiNS0_19identity_decomposerEEEEE10hipError_tT0_T1_T2_jT3_P12ihipStream_tbPNSt15iterator_traitsISK_E10value_typeEPNSQ_ISL_E10value_typeEPSM_NS1_7vsmem_tEENKUlT_SK_SL_SM_E_clIPiSE_SF_SF_EESJ_SZ_SK_SL_SM_EUlSZ_E_NS1_11comp_targetILNS1_3genE9ELNS1_11target_archE1100ELNS1_3gpuE3ELNS1_3repE0EEENS1_48merge_mergepath_partition_config_static_selectorELNS0_4arch9wavefront6targetE1EEEvSL_.num_vgpr, 0
	.set _ZN7rocprim17ROCPRIM_400000_NS6detail17trampoline_kernelINS0_14default_configENS1_38merge_sort_block_merge_config_selectorIiNS0_10empty_typeEEEZZNS1_27merge_sort_block_merge_implIS3_N6thrust23THRUST_200600_302600_NS6detail15normal_iteratorINS9_10device_ptrIiEEEEPS5_jNS1_19radix_merge_compareILb0ELb0EiNS0_19identity_decomposerEEEEE10hipError_tT0_T1_T2_jT3_P12ihipStream_tbPNSt15iterator_traitsISK_E10value_typeEPNSQ_ISL_E10value_typeEPSM_NS1_7vsmem_tEENKUlT_SK_SL_SM_E_clIPiSE_SF_SF_EESJ_SZ_SK_SL_SM_EUlSZ_E_NS1_11comp_targetILNS1_3genE9ELNS1_11target_archE1100ELNS1_3gpuE3ELNS1_3repE0EEENS1_48merge_mergepath_partition_config_static_selectorELNS0_4arch9wavefront6targetE1EEEvSL_.num_agpr, 0
	.set _ZN7rocprim17ROCPRIM_400000_NS6detail17trampoline_kernelINS0_14default_configENS1_38merge_sort_block_merge_config_selectorIiNS0_10empty_typeEEEZZNS1_27merge_sort_block_merge_implIS3_N6thrust23THRUST_200600_302600_NS6detail15normal_iteratorINS9_10device_ptrIiEEEEPS5_jNS1_19radix_merge_compareILb0ELb0EiNS0_19identity_decomposerEEEEE10hipError_tT0_T1_T2_jT3_P12ihipStream_tbPNSt15iterator_traitsISK_E10value_typeEPNSQ_ISL_E10value_typeEPSM_NS1_7vsmem_tEENKUlT_SK_SL_SM_E_clIPiSE_SF_SF_EESJ_SZ_SK_SL_SM_EUlSZ_E_NS1_11comp_targetILNS1_3genE9ELNS1_11target_archE1100ELNS1_3gpuE3ELNS1_3repE0EEENS1_48merge_mergepath_partition_config_static_selectorELNS0_4arch9wavefront6targetE1EEEvSL_.numbered_sgpr, 0
	.set _ZN7rocprim17ROCPRIM_400000_NS6detail17trampoline_kernelINS0_14default_configENS1_38merge_sort_block_merge_config_selectorIiNS0_10empty_typeEEEZZNS1_27merge_sort_block_merge_implIS3_N6thrust23THRUST_200600_302600_NS6detail15normal_iteratorINS9_10device_ptrIiEEEEPS5_jNS1_19radix_merge_compareILb0ELb0EiNS0_19identity_decomposerEEEEE10hipError_tT0_T1_T2_jT3_P12ihipStream_tbPNSt15iterator_traitsISK_E10value_typeEPNSQ_ISL_E10value_typeEPSM_NS1_7vsmem_tEENKUlT_SK_SL_SM_E_clIPiSE_SF_SF_EESJ_SZ_SK_SL_SM_EUlSZ_E_NS1_11comp_targetILNS1_3genE9ELNS1_11target_archE1100ELNS1_3gpuE3ELNS1_3repE0EEENS1_48merge_mergepath_partition_config_static_selectorELNS0_4arch9wavefront6targetE1EEEvSL_.num_named_barrier, 0
	.set _ZN7rocprim17ROCPRIM_400000_NS6detail17trampoline_kernelINS0_14default_configENS1_38merge_sort_block_merge_config_selectorIiNS0_10empty_typeEEEZZNS1_27merge_sort_block_merge_implIS3_N6thrust23THRUST_200600_302600_NS6detail15normal_iteratorINS9_10device_ptrIiEEEEPS5_jNS1_19radix_merge_compareILb0ELb0EiNS0_19identity_decomposerEEEEE10hipError_tT0_T1_T2_jT3_P12ihipStream_tbPNSt15iterator_traitsISK_E10value_typeEPNSQ_ISL_E10value_typeEPSM_NS1_7vsmem_tEENKUlT_SK_SL_SM_E_clIPiSE_SF_SF_EESJ_SZ_SK_SL_SM_EUlSZ_E_NS1_11comp_targetILNS1_3genE9ELNS1_11target_archE1100ELNS1_3gpuE3ELNS1_3repE0EEENS1_48merge_mergepath_partition_config_static_selectorELNS0_4arch9wavefront6targetE1EEEvSL_.private_seg_size, 0
	.set _ZN7rocprim17ROCPRIM_400000_NS6detail17trampoline_kernelINS0_14default_configENS1_38merge_sort_block_merge_config_selectorIiNS0_10empty_typeEEEZZNS1_27merge_sort_block_merge_implIS3_N6thrust23THRUST_200600_302600_NS6detail15normal_iteratorINS9_10device_ptrIiEEEEPS5_jNS1_19radix_merge_compareILb0ELb0EiNS0_19identity_decomposerEEEEE10hipError_tT0_T1_T2_jT3_P12ihipStream_tbPNSt15iterator_traitsISK_E10value_typeEPNSQ_ISL_E10value_typeEPSM_NS1_7vsmem_tEENKUlT_SK_SL_SM_E_clIPiSE_SF_SF_EESJ_SZ_SK_SL_SM_EUlSZ_E_NS1_11comp_targetILNS1_3genE9ELNS1_11target_archE1100ELNS1_3gpuE3ELNS1_3repE0EEENS1_48merge_mergepath_partition_config_static_selectorELNS0_4arch9wavefront6targetE1EEEvSL_.uses_vcc, 0
	.set _ZN7rocprim17ROCPRIM_400000_NS6detail17trampoline_kernelINS0_14default_configENS1_38merge_sort_block_merge_config_selectorIiNS0_10empty_typeEEEZZNS1_27merge_sort_block_merge_implIS3_N6thrust23THRUST_200600_302600_NS6detail15normal_iteratorINS9_10device_ptrIiEEEEPS5_jNS1_19radix_merge_compareILb0ELb0EiNS0_19identity_decomposerEEEEE10hipError_tT0_T1_T2_jT3_P12ihipStream_tbPNSt15iterator_traitsISK_E10value_typeEPNSQ_ISL_E10value_typeEPSM_NS1_7vsmem_tEENKUlT_SK_SL_SM_E_clIPiSE_SF_SF_EESJ_SZ_SK_SL_SM_EUlSZ_E_NS1_11comp_targetILNS1_3genE9ELNS1_11target_archE1100ELNS1_3gpuE3ELNS1_3repE0EEENS1_48merge_mergepath_partition_config_static_selectorELNS0_4arch9wavefront6targetE1EEEvSL_.uses_flat_scratch, 0
	.set _ZN7rocprim17ROCPRIM_400000_NS6detail17trampoline_kernelINS0_14default_configENS1_38merge_sort_block_merge_config_selectorIiNS0_10empty_typeEEEZZNS1_27merge_sort_block_merge_implIS3_N6thrust23THRUST_200600_302600_NS6detail15normal_iteratorINS9_10device_ptrIiEEEEPS5_jNS1_19radix_merge_compareILb0ELb0EiNS0_19identity_decomposerEEEEE10hipError_tT0_T1_T2_jT3_P12ihipStream_tbPNSt15iterator_traitsISK_E10value_typeEPNSQ_ISL_E10value_typeEPSM_NS1_7vsmem_tEENKUlT_SK_SL_SM_E_clIPiSE_SF_SF_EESJ_SZ_SK_SL_SM_EUlSZ_E_NS1_11comp_targetILNS1_3genE9ELNS1_11target_archE1100ELNS1_3gpuE3ELNS1_3repE0EEENS1_48merge_mergepath_partition_config_static_selectorELNS0_4arch9wavefront6targetE1EEEvSL_.has_dyn_sized_stack, 0
	.set _ZN7rocprim17ROCPRIM_400000_NS6detail17trampoline_kernelINS0_14default_configENS1_38merge_sort_block_merge_config_selectorIiNS0_10empty_typeEEEZZNS1_27merge_sort_block_merge_implIS3_N6thrust23THRUST_200600_302600_NS6detail15normal_iteratorINS9_10device_ptrIiEEEEPS5_jNS1_19radix_merge_compareILb0ELb0EiNS0_19identity_decomposerEEEEE10hipError_tT0_T1_T2_jT3_P12ihipStream_tbPNSt15iterator_traitsISK_E10value_typeEPNSQ_ISL_E10value_typeEPSM_NS1_7vsmem_tEENKUlT_SK_SL_SM_E_clIPiSE_SF_SF_EESJ_SZ_SK_SL_SM_EUlSZ_E_NS1_11comp_targetILNS1_3genE9ELNS1_11target_archE1100ELNS1_3gpuE3ELNS1_3repE0EEENS1_48merge_mergepath_partition_config_static_selectorELNS0_4arch9wavefront6targetE1EEEvSL_.has_recursion, 0
	.set _ZN7rocprim17ROCPRIM_400000_NS6detail17trampoline_kernelINS0_14default_configENS1_38merge_sort_block_merge_config_selectorIiNS0_10empty_typeEEEZZNS1_27merge_sort_block_merge_implIS3_N6thrust23THRUST_200600_302600_NS6detail15normal_iteratorINS9_10device_ptrIiEEEEPS5_jNS1_19radix_merge_compareILb0ELb0EiNS0_19identity_decomposerEEEEE10hipError_tT0_T1_T2_jT3_P12ihipStream_tbPNSt15iterator_traitsISK_E10value_typeEPNSQ_ISL_E10value_typeEPSM_NS1_7vsmem_tEENKUlT_SK_SL_SM_E_clIPiSE_SF_SF_EESJ_SZ_SK_SL_SM_EUlSZ_E_NS1_11comp_targetILNS1_3genE9ELNS1_11target_archE1100ELNS1_3gpuE3ELNS1_3repE0EEENS1_48merge_mergepath_partition_config_static_selectorELNS0_4arch9wavefront6targetE1EEEvSL_.has_indirect_call, 0
	.section	.AMDGPU.csdata,"",@progbits
; Kernel info:
; codeLenInByte = 0
; TotalNumSgprs: 6
; NumVgprs: 0
; NumAgprs: 0
; TotalNumVgprs: 0
; ScratchSize: 0
; MemoryBound: 0
; FloatMode: 240
; IeeeMode: 1
; LDSByteSize: 0 bytes/workgroup (compile time only)
; SGPRBlocks: 0
; VGPRBlocks: 0
; NumSGPRsForWavesPerEU: 6
; NumVGPRsForWavesPerEU: 1
; AccumOffset: 4
; Occupancy: 8
; WaveLimiterHint : 0
; COMPUTE_PGM_RSRC2:SCRATCH_EN: 0
; COMPUTE_PGM_RSRC2:USER_SGPR: 2
; COMPUTE_PGM_RSRC2:TRAP_HANDLER: 0
; COMPUTE_PGM_RSRC2:TGID_X_EN: 1
; COMPUTE_PGM_RSRC2:TGID_Y_EN: 0
; COMPUTE_PGM_RSRC2:TGID_Z_EN: 0
; COMPUTE_PGM_RSRC2:TIDIG_COMP_CNT: 0
; COMPUTE_PGM_RSRC3_GFX90A:ACCUM_OFFSET: 0
; COMPUTE_PGM_RSRC3_GFX90A:TG_SPLIT: 0
	.section	.text._ZN7rocprim17ROCPRIM_400000_NS6detail17trampoline_kernelINS0_14default_configENS1_38merge_sort_block_merge_config_selectorIiNS0_10empty_typeEEEZZNS1_27merge_sort_block_merge_implIS3_N6thrust23THRUST_200600_302600_NS6detail15normal_iteratorINS9_10device_ptrIiEEEEPS5_jNS1_19radix_merge_compareILb0ELb0EiNS0_19identity_decomposerEEEEE10hipError_tT0_T1_T2_jT3_P12ihipStream_tbPNSt15iterator_traitsISK_E10value_typeEPNSQ_ISL_E10value_typeEPSM_NS1_7vsmem_tEENKUlT_SK_SL_SM_E_clIPiSE_SF_SF_EESJ_SZ_SK_SL_SM_EUlSZ_E_NS1_11comp_targetILNS1_3genE8ELNS1_11target_archE1030ELNS1_3gpuE2ELNS1_3repE0EEENS1_48merge_mergepath_partition_config_static_selectorELNS0_4arch9wavefront6targetE1EEEvSL_,"axG",@progbits,_ZN7rocprim17ROCPRIM_400000_NS6detail17trampoline_kernelINS0_14default_configENS1_38merge_sort_block_merge_config_selectorIiNS0_10empty_typeEEEZZNS1_27merge_sort_block_merge_implIS3_N6thrust23THRUST_200600_302600_NS6detail15normal_iteratorINS9_10device_ptrIiEEEEPS5_jNS1_19radix_merge_compareILb0ELb0EiNS0_19identity_decomposerEEEEE10hipError_tT0_T1_T2_jT3_P12ihipStream_tbPNSt15iterator_traitsISK_E10value_typeEPNSQ_ISL_E10value_typeEPSM_NS1_7vsmem_tEENKUlT_SK_SL_SM_E_clIPiSE_SF_SF_EESJ_SZ_SK_SL_SM_EUlSZ_E_NS1_11comp_targetILNS1_3genE8ELNS1_11target_archE1030ELNS1_3gpuE2ELNS1_3repE0EEENS1_48merge_mergepath_partition_config_static_selectorELNS0_4arch9wavefront6targetE1EEEvSL_,comdat
	.protected	_ZN7rocprim17ROCPRIM_400000_NS6detail17trampoline_kernelINS0_14default_configENS1_38merge_sort_block_merge_config_selectorIiNS0_10empty_typeEEEZZNS1_27merge_sort_block_merge_implIS3_N6thrust23THRUST_200600_302600_NS6detail15normal_iteratorINS9_10device_ptrIiEEEEPS5_jNS1_19radix_merge_compareILb0ELb0EiNS0_19identity_decomposerEEEEE10hipError_tT0_T1_T2_jT3_P12ihipStream_tbPNSt15iterator_traitsISK_E10value_typeEPNSQ_ISL_E10value_typeEPSM_NS1_7vsmem_tEENKUlT_SK_SL_SM_E_clIPiSE_SF_SF_EESJ_SZ_SK_SL_SM_EUlSZ_E_NS1_11comp_targetILNS1_3genE8ELNS1_11target_archE1030ELNS1_3gpuE2ELNS1_3repE0EEENS1_48merge_mergepath_partition_config_static_selectorELNS0_4arch9wavefront6targetE1EEEvSL_ ; -- Begin function _ZN7rocprim17ROCPRIM_400000_NS6detail17trampoline_kernelINS0_14default_configENS1_38merge_sort_block_merge_config_selectorIiNS0_10empty_typeEEEZZNS1_27merge_sort_block_merge_implIS3_N6thrust23THRUST_200600_302600_NS6detail15normal_iteratorINS9_10device_ptrIiEEEEPS5_jNS1_19radix_merge_compareILb0ELb0EiNS0_19identity_decomposerEEEEE10hipError_tT0_T1_T2_jT3_P12ihipStream_tbPNSt15iterator_traitsISK_E10value_typeEPNSQ_ISL_E10value_typeEPSM_NS1_7vsmem_tEENKUlT_SK_SL_SM_E_clIPiSE_SF_SF_EESJ_SZ_SK_SL_SM_EUlSZ_E_NS1_11comp_targetILNS1_3genE8ELNS1_11target_archE1030ELNS1_3gpuE2ELNS1_3repE0EEENS1_48merge_mergepath_partition_config_static_selectorELNS0_4arch9wavefront6targetE1EEEvSL_
	.globl	_ZN7rocprim17ROCPRIM_400000_NS6detail17trampoline_kernelINS0_14default_configENS1_38merge_sort_block_merge_config_selectorIiNS0_10empty_typeEEEZZNS1_27merge_sort_block_merge_implIS3_N6thrust23THRUST_200600_302600_NS6detail15normal_iteratorINS9_10device_ptrIiEEEEPS5_jNS1_19radix_merge_compareILb0ELb0EiNS0_19identity_decomposerEEEEE10hipError_tT0_T1_T2_jT3_P12ihipStream_tbPNSt15iterator_traitsISK_E10value_typeEPNSQ_ISL_E10value_typeEPSM_NS1_7vsmem_tEENKUlT_SK_SL_SM_E_clIPiSE_SF_SF_EESJ_SZ_SK_SL_SM_EUlSZ_E_NS1_11comp_targetILNS1_3genE8ELNS1_11target_archE1030ELNS1_3gpuE2ELNS1_3repE0EEENS1_48merge_mergepath_partition_config_static_selectorELNS0_4arch9wavefront6targetE1EEEvSL_
	.p2align	8
	.type	_ZN7rocprim17ROCPRIM_400000_NS6detail17trampoline_kernelINS0_14default_configENS1_38merge_sort_block_merge_config_selectorIiNS0_10empty_typeEEEZZNS1_27merge_sort_block_merge_implIS3_N6thrust23THRUST_200600_302600_NS6detail15normal_iteratorINS9_10device_ptrIiEEEEPS5_jNS1_19radix_merge_compareILb0ELb0EiNS0_19identity_decomposerEEEEE10hipError_tT0_T1_T2_jT3_P12ihipStream_tbPNSt15iterator_traitsISK_E10value_typeEPNSQ_ISL_E10value_typeEPSM_NS1_7vsmem_tEENKUlT_SK_SL_SM_E_clIPiSE_SF_SF_EESJ_SZ_SK_SL_SM_EUlSZ_E_NS1_11comp_targetILNS1_3genE8ELNS1_11target_archE1030ELNS1_3gpuE2ELNS1_3repE0EEENS1_48merge_mergepath_partition_config_static_selectorELNS0_4arch9wavefront6targetE1EEEvSL_,@function
_ZN7rocprim17ROCPRIM_400000_NS6detail17trampoline_kernelINS0_14default_configENS1_38merge_sort_block_merge_config_selectorIiNS0_10empty_typeEEEZZNS1_27merge_sort_block_merge_implIS3_N6thrust23THRUST_200600_302600_NS6detail15normal_iteratorINS9_10device_ptrIiEEEEPS5_jNS1_19radix_merge_compareILb0ELb0EiNS0_19identity_decomposerEEEEE10hipError_tT0_T1_T2_jT3_P12ihipStream_tbPNSt15iterator_traitsISK_E10value_typeEPNSQ_ISL_E10value_typeEPSM_NS1_7vsmem_tEENKUlT_SK_SL_SM_E_clIPiSE_SF_SF_EESJ_SZ_SK_SL_SM_EUlSZ_E_NS1_11comp_targetILNS1_3genE8ELNS1_11target_archE1030ELNS1_3gpuE2ELNS1_3repE0EEENS1_48merge_mergepath_partition_config_static_selectorELNS0_4arch9wavefront6targetE1EEEvSL_: ; @_ZN7rocprim17ROCPRIM_400000_NS6detail17trampoline_kernelINS0_14default_configENS1_38merge_sort_block_merge_config_selectorIiNS0_10empty_typeEEEZZNS1_27merge_sort_block_merge_implIS3_N6thrust23THRUST_200600_302600_NS6detail15normal_iteratorINS9_10device_ptrIiEEEEPS5_jNS1_19radix_merge_compareILb0ELb0EiNS0_19identity_decomposerEEEEE10hipError_tT0_T1_T2_jT3_P12ihipStream_tbPNSt15iterator_traitsISK_E10value_typeEPNSQ_ISL_E10value_typeEPSM_NS1_7vsmem_tEENKUlT_SK_SL_SM_E_clIPiSE_SF_SF_EESJ_SZ_SK_SL_SM_EUlSZ_E_NS1_11comp_targetILNS1_3genE8ELNS1_11target_archE1030ELNS1_3gpuE2ELNS1_3repE0EEENS1_48merge_mergepath_partition_config_static_selectorELNS0_4arch9wavefront6targetE1EEEvSL_
; %bb.0:
	.section	.rodata,"a",@progbits
	.p2align	6, 0x0
	.amdhsa_kernel _ZN7rocprim17ROCPRIM_400000_NS6detail17trampoline_kernelINS0_14default_configENS1_38merge_sort_block_merge_config_selectorIiNS0_10empty_typeEEEZZNS1_27merge_sort_block_merge_implIS3_N6thrust23THRUST_200600_302600_NS6detail15normal_iteratorINS9_10device_ptrIiEEEEPS5_jNS1_19radix_merge_compareILb0ELb0EiNS0_19identity_decomposerEEEEE10hipError_tT0_T1_T2_jT3_P12ihipStream_tbPNSt15iterator_traitsISK_E10value_typeEPNSQ_ISL_E10value_typeEPSM_NS1_7vsmem_tEENKUlT_SK_SL_SM_E_clIPiSE_SF_SF_EESJ_SZ_SK_SL_SM_EUlSZ_E_NS1_11comp_targetILNS1_3genE8ELNS1_11target_archE1030ELNS1_3gpuE2ELNS1_3repE0EEENS1_48merge_mergepath_partition_config_static_selectorELNS0_4arch9wavefront6targetE1EEEvSL_
		.amdhsa_group_segment_fixed_size 0
		.amdhsa_private_segment_fixed_size 0
		.amdhsa_kernarg_size 40
		.amdhsa_user_sgpr_count 2
		.amdhsa_user_sgpr_dispatch_ptr 0
		.amdhsa_user_sgpr_queue_ptr 0
		.amdhsa_user_sgpr_kernarg_segment_ptr 1
		.amdhsa_user_sgpr_dispatch_id 0
		.amdhsa_user_sgpr_kernarg_preload_length 0
		.amdhsa_user_sgpr_kernarg_preload_offset 0
		.amdhsa_user_sgpr_private_segment_size 0
		.amdhsa_uses_dynamic_stack 0
		.amdhsa_enable_private_segment 0
		.amdhsa_system_sgpr_workgroup_id_x 1
		.amdhsa_system_sgpr_workgroup_id_y 0
		.amdhsa_system_sgpr_workgroup_id_z 0
		.amdhsa_system_sgpr_workgroup_info 0
		.amdhsa_system_vgpr_workitem_id 0
		.amdhsa_next_free_vgpr 1
		.amdhsa_next_free_sgpr 0
		.amdhsa_accum_offset 4
		.amdhsa_reserve_vcc 0
		.amdhsa_float_round_mode_32 0
		.amdhsa_float_round_mode_16_64 0
		.amdhsa_float_denorm_mode_32 3
		.amdhsa_float_denorm_mode_16_64 3
		.amdhsa_dx10_clamp 1
		.amdhsa_ieee_mode 1
		.amdhsa_fp16_overflow 0
		.amdhsa_tg_split 0
		.amdhsa_exception_fp_ieee_invalid_op 0
		.amdhsa_exception_fp_denorm_src 0
		.amdhsa_exception_fp_ieee_div_zero 0
		.amdhsa_exception_fp_ieee_overflow 0
		.amdhsa_exception_fp_ieee_underflow 0
		.amdhsa_exception_fp_ieee_inexact 0
		.amdhsa_exception_int_div_zero 0
	.end_amdhsa_kernel
	.section	.text._ZN7rocprim17ROCPRIM_400000_NS6detail17trampoline_kernelINS0_14default_configENS1_38merge_sort_block_merge_config_selectorIiNS0_10empty_typeEEEZZNS1_27merge_sort_block_merge_implIS3_N6thrust23THRUST_200600_302600_NS6detail15normal_iteratorINS9_10device_ptrIiEEEEPS5_jNS1_19radix_merge_compareILb0ELb0EiNS0_19identity_decomposerEEEEE10hipError_tT0_T1_T2_jT3_P12ihipStream_tbPNSt15iterator_traitsISK_E10value_typeEPNSQ_ISL_E10value_typeEPSM_NS1_7vsmem_tEENKUlT_SK_SL_SM_E_clIPiSE_SF_SF_EESJ_SZ_SK_SL_SM_EUlSZ_E_NS1_11comp_targetILNS1_3genE8ELNS1_11target_archE1030ELNS1_3gpuE2ELNS1_3repE0EEENS1_48merge_mergepath_partition_config_static_selectorELNS0_4arch9wavefront6targetE1EEEvSL_,"axG",@progbits,_ZN7rocprim17ROCPRIM_400000_NS6detail17trampoline_kernelINS0_14default_configENS1_38merge_sort_block_merge_config_selectorIiNS0_10empty_typeEEEZZNS1_27merge_sort_block_merge_implIS3_N6thrust23THRUST_200600_302600_NS6detail15normal_iteratorINS9_10device_ptrIiEEEEPS5_jNS1_19radix_merge_compareILb0ELb0EiNS0_19identity_decomposerEEEEE10hipError_tT0_T1_T2_jT3_P12ihipStream_tbPNSt15iterator_traitsISK_E10value_typeEPNSQ_ISL_E10value_typeEPSM_NS1_7vsmem_tEENKUlT_SK_SL_SM_E_clIPiSE_SF_SF_EESJ_SZ_SK_SL_SM_EUlSZ_E_NS1_11comp_targetILNS1_3genE8ELNS1_11target_archE1030ELNS1_3gpuE2ELNS1_3repE0EEENS1_48merge_mergepath_partition_config_static_selectorELNS0_4arch9wavefront6targetE1EEEvSL_,comdat
.Lfunc_end26:
	.size	_ZN7rocprim17ROCPRIM_400000_NS6detail17trampoline_kernelINS0_14default_configENS1_38merge_sort_block_merge_config_selectorIiNS0_10empty_typeEEEZZNS1_27merge_sort_block_merge_implIS3_N6thrust23THRUST_200600_302600_NS6detail15normal_iteratorINS9_10device_ptrIiEEEEPS5_jNS1_19radix_merge_compareILb0ELb0EiNS0_19identity_decomposerEEEEE10hipError_tT0_T1_T2_jT3_P12ihipStream_tbPNSt15iterator_traitsISK_E10value_typeEPNSQ_ISL_E10value_typeEPSM_NS1_7vsmem_tEENKUlT_SK_SL_SM_E_clIPiSE_SF_SF_EESJ_SZ_SK_SL_SM_EUlSZ_E_NS1_11comp_targetILNS1_3genE8ELNS1_11target_archE1030ELNS1_3gpuE2ELNS1_3repE0EEENS1_48merge_mergepath_partition_config_static_selectorELNS0_4arch9wavefront6targetE1EEEvSL_, .Lfunc_end26-_ZN7rocprim17ROCPRIM_400000_NS6detail17trampoline_kernelINS0_14default_configENS1_38merge_sort_block_merge_config_selectorIiNS0_10empty_typeEEEZZNS1_27merge_sort_block_merge_implIS3_N6thrust23THRUST_200600_302600_NS6detail15normal_iteratorINS9_10device_ptrIiEEEEPS5_jNS1_19radix_merge_compareILb0ELb0EiNS0_19identity_decomposerEEEEE10hipError_tT0_T1_T2_jT3_P12ihipStream_tbPNSt15iterator_traitsISK_E10value_typeEPNSQ_ISL_E10value_typeEPSM_NS1_7vsmem_tEENKUlT_SK_SL_SM_E_clIPiSE_SF_SF_EESJ_SZ_SK_SL_SM_EUlSZ_E_NS1_11comp_targetILNS1_3genE8ELNS1_11target_archE1030ELNS1_3gpuE2ELNS1_3repE0EEENS1_48merge_mergepath_partition_config_static_selectorELNS0_4arch9wavefront6targetE1EEEvSL_
                                        ; -- End function
	.set _ZN7rocprim17ROCPRIM_400000_NS6detail17trampoline_kernelINS0_14default_configENS1_38merge_sort_block_merge_config_selectorIiNS0_10empty_typeEEEZZNS1_27merge_sort_block_merge_implIS3_N6thrust23THRUST_200600_302600_NS6detail15normal_iteratorINS9_10device_ptrIiEEEEPS5_jNS1_19radix_merge_compareILb0ELb0EiNS0_19identity_decomposerEEEEE10hipError_tT0_T1_T2_jT3_P12ihipStream_tbPNSt15iterator_traitsISK_E10value_typeEPNSQ_ISL_E10value_typeEPSM_NS1_7vsmem_tEENKUlT_SK_SL_SM_E_clIPiSE_SF_SF_EESJ_SZ_SK_SL_SM_EUlSZ_E_NS1_11comp_targetILNS1_3genE8ELNS1_11target_archE1030ELNS1_3gpuE2ELNS1_3repE0EEENS1_48merge_mergepath_partition_config_static_selectorELNS0_4arch9wavefront6targetE1EEEvSL_.num_vgpr, 0
	.set _ZN7rocprim17ROCPRIM_400000_NS6detail17trampoline_kernelINS0_14default_configENS1_38merge_sort_block_merge_config_selectorIiNS0_10empty_typeEEEZZNS1_27merge_sort_block_merge_implIS3_N6thrust23THRUST_200600_302600_NS6detail15normal_iteratorINS9_10device_ptrIiEEEEPS5_jNS1_19radix_merge_compareILb0ELb0EiNS0_19identity_decomposerEEEEE10hipError_tT0_T1_T2_jT3_P12ihipStream_tbPNSt15iterator_traitsISK_E10value_typeEPNSQ_ISL_E10value_typeEPSM_NS1_7vsmem_tEENKUlT_SK_SL_SM_E_clIPiSE_SF_SF_EESJ_SZ_SK_SL_SM_EUlSZ_E_NS1_11comp_targetILNS1_3genE8ELNS1_11target_archE1030ELNS1_3gpuE2ELNS1_3repE0EEENS1_48merge_mergepath_partition_config_static_selectorELNS0_4arch9wavefront6targetE1EEEvSL_.num_agpr, 0
	.set _ZN7rocprim17ROCPRIM_400000_NS6detail17trampoline_kernelINS0_14default_configENS1_38merge_sort_block_merge_config_selectorIiNS0_10empty_typeEEEZZNS1_27merge_sort_block_merge_implIS3_N6thrust23THRUST_200600_302600_NS6detail15normal_iteratorINS9_10device_ptrIiEEEEPS5_jNS1_19radix_merge_compareILb0ELb0EiNS0_19identity_decomposerEEEEE10hipError_tT0_T1_T2_jT3_P12ihipStream_tbPNSt15iterator_traitsISK_E10value_typeEPNSQ_ISL_E10value_typeEPSM_NS1_7vsmem_tEENKUlT_SK_SL_SM_E_clIPiSE_SF_SF_EESJ_SZ_SK_SL_SM_EUlSZ_E_NS1_11comp_targetILNS1_3genE8ELNS1_11target_archE1030ELNS1_3gpuE2ELNS1_3repE0EEENS1_48merge_mergepath_partition_config_static_selectorELNS0_4arch9wavefront6targetE1EEEvSL_.numbered_sgpr, 0
	.set _ZN7rocprim17ROCPRIM_400000_NS6detail17trampoline_kernelINS0_14default_configENS1_38merge_sort_block_merge_config_selectorIiNS0_10empty_typeEEEZZNS1_27merge_sort_block_merge_implIS3_N6thrust23THRUST_200600_302600_NS6detail15normal_iteratorINS9_10device_ptrIiEEEEPS5_jNS1_19radix_merge_compareILb0ELb0EiNS0_19identity_decomposerEEEEE10hipError_tT0_T1_T2_jT3_P12ihipStream_tbPNSt15iterator_traitsISK_E10value_typeEPNSQ_ISL_E10value_typeEPSM_NS1_7vsmem_tEENKUlT_SK_SL_SM_E_clIPiSE_SF_SF_EESJ_SZ_SK_SL_SM_EUlSZ_E_NS1_11comp_targetILNS1_3genE8ELNS1_11target_archE1030ELNS1_3gpuE2ELNS1_3repE0EEENS1_48merge_mergepath_partition_config_static_selectorELNS0_4arch9wavefront6targetE1EEEvSL_.num_named_barrier, 0
	.set _ZN7rocprim17ROCPRIM_400000_NS6detail17trampoline_kernelINS0_14default_configENS1_38merge_sort_block_merge_config_selectorIiNS0_10empty_typeEEEZZNS1_27merge_sort_block_merge_implIS3_N6thrust23THRUST_200600_302600_NS6detail15normal_iteratorINS9_10device_ptrIiEEEEPS5_jNS1_19radix_merge_compareILb0ELb0EiNS0_19identity_decomposerEEEEE10hipError_tT0_T1_T2_jT3_P12ihipStream_tbPNSt15iterator_traitsISK_E10value_typeEPNSQ_ISL_E10value_typeEPSM_NS1_7vsmem_tEENKUlT_SK_SL_SM_E_clIPiSE_SF_SF_EESJ_SZ_SK_SL_SM_EUlSZ_E_NS1_11comp_targetILNS1_3genE8ELNS1_11target_archE1030ELNS1_3gpuE2ELNS1_3repE0EEENS1_48merge_mergepath_partition_config_static_selectorELNS0_4arch9wavefront6targetE1EEEvSL_.private_seg_size, 0
	.set _ZN7rocprim17ROCPRIM_400000_NS6detail17trampoline_kernelINS0_14default_configENS1_38merge_sort_block_merge_config_selectorIiNS0_10empty_typeEEEZZNS1_27merge_sort_block_merge_implIS3_N6thrust23THRUST_200600_302600_NS6detail15normal_iteratorINS9_10device_ptrIiEEEEPS5_jNS1_19radix_merge_compareILb0ELb0EiNS0_19identity_decomposerEEEEE10hipError_tT0_T1_T2_jT3_P12ihipStream_tbPNSt15iterator_traitsISK_E10value_typeEPNSQ_ISL_E10value_typeEPSM_NS1_7vsmem_tEENKUlT_SK_SL_SM_E_clIPiSE_SF_SF_EESJ_SZ_SK_SL_SM_EUlSZ_E_NS1_11comp_targetILNS1_3genE8ELNS1_11target_archE1030ELNS1_3gpuE2ELNS1_3repE0EEENS1_48merge_mergepath_partition_config_static_selectorELNS0_4arch9wavefront6targetE1EEEvSL_.uses_vcc, 0
	.set _ZN7rocprim17ROCPRIM_400000_NS6detail17trampoline_kernelINS0_14default_configENS1_38merge_sort_block_merge_config_selectorIiNS0_10empty_typeEEEZZNS1_27merge_sort_block_merge_implIS3_N6thrust23THRUST_200600_302600_NS6detail15normal_iteratorINS9_10device_ptrIiEEEEPS5_jNS1_19radix_merge_compareILb0ELb0EiNS0_19identity_decomposerEEEEE10hipError_tT0_T1_T2_jT3_P12ihipStream_tbPNSt15iterator_traitsISK_E10value_typeEPNSQ_ISL_E10value_typeEPSM_NS1_7vsmem_tEENKUlT_SK_SL_SM_E_clIPiSE_SF_SF_EESJ_SZ_SK_SL_SM_EUlSZ_E_NS1_11comp_targetILNS1_3genE8ELNS1_11target_archE1030ELNS1_3gpuE2ELNS1_3repE0EEENS1_48merge_mergepath_partition_config_static_selectorELNS0_4arch9wavefront6targetE1EEEvSL_.uses_flat_scratch, 0
	.set _ZN7rocprim17ROCPRIM_400000_NS6detail17trampoline_kernelINS0_14default_configENS1_38merge_sort_block_merge_config_selectorIiNS0_10empty_typeEEEZZNS1_27merge_sort_block_merge_implIS3_N6thrust23THRUST_200600_302600_NS6detail15normal_iteratorINS9_10device_ptrIiEEEEPS5_jNS1_19radix_merge_compareILb0ELb0EiNS0_19identity_decomposerEEEEE10hipError_tT0_T1_T2_jT3_P12ihipStream_tbPNSt15iterator_traitsISK_E10value_typeEPNSQ_ISL_E10value_typeEPSM_NS1_7vsmem_tEENKUlT_SK_SL_SM_E_clIPiSE_SF_SF_EESJ_SZ_SK_SL_SM_EUlSZ_E_NS1_11comp_targetILNS1_3genE8ELNS1_11target_archE1030ELNS1_3gpuE2ELNS1_3repE0EEENS1_48merge_mergepath_partition_config_static_selectorELNS0_4arch9wavefront6targetE1EEEvSL_.has_dyn_sized_stack, 0
	.set _ZN7rocprim17ROCPRIM_400000_NS6detail17trampoline_kernelINS0_14default_configENS1_38merge_sort_block_merge_config_selectorIiNS0_10empty_typeEEEZZNS1_27merge_sort_block_merge_implIS3_N6thrust23THRUST_200600_302600_NS6detail15normal_iteratorINS9_10device_ptrIiEEEEPS5_jNS1_19radix_merge_compareILb0ELb0EiNS0_19identity_decomposerEEEEE10hipError_tT0_T1_T2_jT3_P12ihipStream_tbPNSt15iterator_traitsISK_E10value_typeEPNSQ_ISL_E10value_typeEPSM_NS1_7vsmem_tEENKUlT_SK_SL_SM_E_clIPiSE_SF_SF_EESJ_SZ_SK_SL_SM_EUlSZ_E_NS1_11comp_targetILNS1_3genE8ELNS1_11target_archE1030ELNS1_3gpuE2ELNS1_3repE0EEENS1_48merge_mergepath_partition_config_static_selectorELNS0_4arch9wavefront6targetE1EEEvSL_.has_recursion, 0
	.set _ZN7rocprim17ROCPRIM_400000_NS6detail17trampoline_kernelINS0_14default_configENS1_38merge_sort_block_merge_config_selectorIiNS0_10empty_typeEEEZZNS1_27merge_sort_block_merge_implIS3_N6thrust23THRUST_200600_302600_NS6detail15normal_iteratorINS9_10device_ptrIiEEEEPS5_jNS1_19radix_merge_compareILb0ELb0EiNS0_19identity_decomposerEEEEE10hipError_tT0_T1_T2_jT3_P12ihipStream_tbPNSt15iterator_traitsISK_E10value_typeEPNSQ_ISL_E10value_typeEPSM_NS1_7vsmem_tEENKUlT_SK_SL_SM_E_clIPiSE_SF_SF_EESJ_SZ_SK_SL_SM_EUlSZ_E_NS1_11comp_targetILNS1_3genE8ELNS1_11target_archE1030ELNS1_3gpuE2ELNS1_3repE0EEENS1_48merge_mergepath_partition_config_static_selectorELNS0_4arch9wavefront6targetE1EEEvSL_.has_indirect_call, 0
	.section	.AMDGPU.csdata,"",@progbits
; Kernel info:
; codeLenInByte = 0
; TotalNumSgprs: 6
; NumVgprs: 0
; NumAgprs: 0
; TotalNumVgprs: 0
; ScratchSize: 0
; MemoryBound: 0
; FloatMode: 240
; IeeeMode: 1
; LDSByteSize: 0 bytes/workgroup (compile time only)
; SGPRBlocks: 0
; VGPRBlocks: 0
; NumSGPRsForWavesPerEU: 6
; NumVGPRsForWavesPerEU: 1
; AccumOffset: 4
; Occupancy: 8
; WaveLimiterHint : 0
; COMPUTE_PGM_RSRC2:SCRATCH_EN: 0
; COMPUTE_PGM_RSRC2:USER_SGPR: 2
; COMPUTE_PGM_RSRC2:TRAP_HANDLER: 0
; COMPUTE_PGM_RSRC2:TGID_X_EN: 1
; COMPUTE_PGM_RSRC2:TGID_Y_EN: 0
; COMPUTE_PGM_RSRC2:TGID_Z_EN: 0
; COMPUTE_PGM_RSRC2:TIDIG_COMP_CNT: 0
; COMPUTE_PGM_RSRC3_GFX90A:ACCUM_OFFSET: 0
; COMPUTE_PGM_RSRC3_GFX90A:TG_SPLIT: 0
	.section	.text._ZN7rocprim17ROCPRIM_400000_NS6detail17trampoline_kernelINS0_14default_configENS1_38merge_sort_block_merge_config_selectorIiNS0_10empty_typeEEEZZNS1_27merge_sort_block_merge_implIS3_N6thrust23THRUST_200600_302600_NS6detail15normal_iteratorINS9_10device_ptrIiEEEEPS5_jNS1_19radix_merge_compareILb0ELb0EiNS0_19identity_decomposerEEEEE10hipError_tT0_T1_T2_jT3_P12ihipStream_tbPNSt15iterator_traitsISK_E10value_typeEPNSQ_ISL_E10value_typeEPSM_NS1_7vsmem_tEENKUlT_SK_SL_SM_E_clIPiSE_SF_SF_EESJ_SZ_SK_SL_SM_EUlSZ_E0_NS1_11comp_targetILNS1_3genE0ELNS1_11target_archE4294967295ELNS1_3gpuE0ELNS1_3repE0EEENS1_38merge_mergepath_config_static_selectorELNS0_4arch9wavefront6targetE1EEEvSL_,"axG",@progbits,_ZN7rocprim17ROCPRIM_400000_NS6detail17trampoline_kernelINS0_14default_configENS1_38merge_sort_block_merge_config_selectorIiNS0_10empty_typeEEEZZNS1_27merge_sort_block_merge_implIS3_N6thrust23THRUST_200600_302600_NS6detail15normal_iteratorINS9_10device_ptrIiEEEEPS5_jNS1_19radix_merge_compareILb0ELb0EiNS0_19identity_decomposerEEEEE10hipError_tT0_T1_T2_jT3_P12ihipStream_tbPNSt15iterator_traitsISK_E10value_typeEPNSQ_ISL_E10value_typeEPSM_NS1_7vsmem_tEENKUlT_SK_SL_SM_E_clIPiSE_SF_SF_EESJ_SZ_SK_SL_SM_EUlSZ_E0_NS1_11comp_targetILNS1_3genE0ELNS1_11target_archE4294967295ELNS1_3gpuE0ELNS1_3repE0EEENS1_38merge_mergepath_config_static_selectorELNS0_4arch9wavefront6targetE1EEEvSL_,comdat
	.protected	_ZN7rocprim17ROCPRIM_400000_NS6detail17trampoline_kernelINS0_14default_configENS1_38merge_sort_block_merge_config_selectorIiNS0_10empty_typeEEEZZNS1_27merge_sort_block_merge_implIS3_N6thrust23THRUST_200600_302600_NS6detail15normal_iteratorINS9_10device_ptrIiEEEEPS5_jNS1_19radix_merge_compareILb0ELb0EiNS0_19identity_decomposerEEEEE10hipError_tT0_T1_T2_jT3_P12ihipStream_tbPNSt15iterator_traitsISK_E10value_typeEPNSQ_ISL_E10value_typeEPSM_NS1_7vsmem_tEENKUlT_SK_SL_SM_E_clIPiSE_SF_SF_EESJ_SZ_SK_SL_SM_EUlSZ_E0_NS1_11comp_targetILNS1_3genE0ELNS1_11target_archE4294967295ELNS1_3gpuE0ELNS1_3repE0EEENS1_38merge_mergepath_config_static_selectorELNS0_4arch9wavefront6targetE1EEEvSL_ ; -- Begin function _ZN7rocprim17ROCPRIM_400000_NS6detail17trampoline_kernelINS0_14default_configENS1_38merge_sort_block_merge_config_selectorIiNS0_10empty_typeEEEZZNS1_27merge_sort_block_merge_implIS3_N6thrust23THRUST_200600_302600_NS6detail15normal_iteratorINS9_10device_ptrIiEEEEPS5_jNS1_19radix_merge_compareILb0ELb0EiNS0_19identity_decomposerEEEEE10hipError_tT0_T1_T2_jT3_P12ihipStream_tbPNSt15iterator_traitsISK_E10value_typeEPNSQ_ISL_E10value_typeEPSM_NS1_7vsmem_tEENKUlT_SK_SL_SM_E_clIPiSE_SF_SF_EESJ_SZ_SK_SL_SM_EUlSZ_E0_NS1_11comp_targetILNS1_3genE0ELNS1_11target_archE4294967295ELNS1_3gpuE0ELNS1_3repE0EEENS1_38merge_mergepath_config_static_selectorELNS0_4arch9wavefront6targetE1EEEvSL_
	.globl	_ZN7rocprim17ROCPRIM_400000_NS6detail17trampoline_kernelINS0_14default_configENS1_38merge_sort_block_merge_config_selectorIiNS0_10empty_typeEEEZZNS1_27merge_sort_block_merge_implIS3_N6thrust23THRUST_200600_302600_NS6detail15normal_iteratorINS9_10device_ptrIiEEEEPS5_jNS1_19radix_merge_compareILb0ELb0EiNS0_19identity_decomposerEEEEE10hipError_tT0_T1_T2_jT3_P12ihipStream_tbPNSt15iterator_traitsISK_E10value_typeEPNSQ_ISL_E10value_typeEPSM_NS1_7vsmem_tEENKUlT_SK_SL_SM_E_clIPiSE_SF_SF_EESJ_SZ_SK_SL_SM_EUlSZ_E0_NS1_11comp_targetILNS1_3genE0ELNS1_11target_archE4294967295ELNS1_3gpuE0ELNS1_3repE0EEENS1_38merge_mergepath_config_static_selectorELNS0_4arch9wavefront6targetE1EEEvSL_
	.p2align	8
	.type	_ZN7rocprim17ROCPRIM_400000_NS6detail17trampoline_kernelINS0_14default_configENS1_38merge_sort_block_merge_config_selectorIiNS0_10empty_typeEEEZZNS1_27merge_sort_block_merge_implIS3_N6thrust23THRUST_200600_302600_NS6detail15normal_iteratorINS9_10device_ptrIiEEEEPS5_jNS1_19radix_merge_compareILb0ELb0EiNS0_19identity_decomposerEEEEE10hipError_tT0_T1_T2_jT3_P12ihipStream_tbPNSt15iterator_traitsISK_E10value_typeEPNSQ_ISL_E10value_typeEPSM_NS1_7vsmem_tEENKUlT_SK_SL_SM_E_clIPiSE_SF_SF_EESJ_SZ_SK_SL_SM_EUlSZ_E0_NS1_11comp_targetILNS1_3genE0ELNS1_11target_archE4294967295ELNS1_3gpuE0ELNS1_3repE0EEENS1_38merge_mergepath_config_static_selectorELNS0_4arch9wavefront6targetE1EEEvSL_,@function
_ZN7rocprim17ROCPRIM_400000_NS6detail17trampoline_kernelINS0_14default_configENS1_38merge_sort_block_merge_config_selectorIiNS0_10empty_typeEEEZZNS1_27merge_sort_block_merge_implIS3_N6thrust23THRUST_200600_302600_NS6detail15normal_iteratorINS9_10device_ptrIiEEEEPS5_jNS1_19radix_merge_compareILb0ELb0EiNS0_19identity_decomposerEEEEE10hipError_tT0_T1_T2_jT3_P12ihipStream_tbPNSt15iterator_traitsISK_E10value_typeEPNSQ_ISL_E10value_typeEPSM_NS1_7vsmem_tEENKUlT_SK_SL_SM_E_clIPiSE_SF_SF_EESJ_SZ_SK_SL_SM_EUlSZ_E0_NS1_11comp_targetILNS1_3genE0ELNS1_11target_archE4294967295ELNS1_3gpuE0ELNS1_3repE0EEENS1_38merge_mergepath_config_static_selectorELNS0_4arch9wavefront6targetE1EEEvSL_: ; @_ZN7rocprim17ROCPRIM_400000_NS6detail17trampoline_kernelINS0_14default_configENS1_38merge_sort_block_merge_config_selectorIiNS0_10empty_typeEEEZZNS1_27merge_sort_block_merge_implIS3_N6thrust23THRUST_200600_302600_NS6detail15normal_iteratorINS9_10device_ptrIiEEEEPS5_jNS1_19radix_merge_compareILb0ELb0EiNS0_19identity_decomposerEEEEE10hipError_tT0_T1_T2_jT3_P12ihipStream_tbPNSt15iterator_traitsISK_E10value_typeEPNSQ_ISL_E10value_typeEPSM_NS1_7vsmem_tEENKUlT_SK_SL_SM_E_clIPiSE_SF_SF_EESJ_SZ_SK_SL_SM_EUlSZ_E0_NS1_11comp_targetILNS1_3genE0ELNS1_11target_archE4294967295ELNS1_3gpuE0ELNS1_3repE0EEENS1_38merge_mergepath_config_static_selectorELNS0_4arch9wavefront6targetE1EEEvSL_
; %bb.0:
	s_load_dwordx2 s[12:13], s[0:1], 0x40
	s_load_dword s5, s[0:1], 0x30
	s_add_u32 s8, s0, 64
	s_addc_u32 s9, s1, 0
	s_waitcnt lgkmcnt(0)
	s_mul_i32 s4, s13, s4
	s_add_i32 s3, s4, s3
	s_mul_i32 s3, s3, s12
	s_add_i32 s10, s3, s2
	s_cmp_ge_u32 s10, s5
	s_cbranch_scc1 .LBB27_43
; %bb.1:
	s_load_dwordx2 s[14:15], s[0:1], 0x28
	s_load_dwordx2 s[4:5], s[0:1], 0x38
	s_load_dwordx2 s[6:7], s[0:1], 0x8
	s_mov_b32 s11, 0
	s_mov_b32 s23, s11
	s_waitcnt lgkmcnt(0)
	s_lshr_b32 s24, s14, 10
	s_cmp_lg_u32 s10, s24
	s_cselect_b64 s[18:19], -1, 0
	s_lshl_b64 s[16:17], s[10:11], 2
	s_add_u32 s4, s4, s16
	s_addc_u32 s5, s5, s17
	s_lshr_b32 s3, s15, 9
	s_and_b32 s3, s3, 0x7ffffe
	s_load_dwordx2 s[20:21], s[4:5], 0x0
	s_sub_i32 s3, 0, s3
	s_and_b32 s4, s10, s3
	s_lshl_b32 s5, s4, 10
	s_lshl_b32 s16, s10, 10
	;; [unrolled: 1-line block ×3, first 2 shown]
	s_sub_i32 s13, s16, s5
	s_add_i32 s4, s4, s15
	s_add_i32 s13, s4, s13
	s_waitcnt lgkmcnt(0)
	s_sub_i32 s17, s13, s20
	s_sub_i32 s13, s13, s21
	;; [unrolled: 1-line block ×3, first 2 shown]
	s_min_u32 s22, s14, s17
	s_addk_i32 s13, 0x400
	s_or_b32 s3, s10, s3
	s_min_u32 s5, s14, s4
	s_add_i32 s4, s4, s15
	s_cmp_eq_u32 s3, -1
	s_cselect_b32 s3, s4, s13
	s_cselect_b32 s4, s5, s21
	s_min_u32 s3, s3, s14
	s_mov_b32 s21, s11
	s_sub_i32 s15, s4, s20
	s_sub_i32 s13, s3, s22
	s_lshl_b64 s[4:5], s[20:21], 2
	s_add_u32 s4, s6, s4
	s_addc_u32 s5, s7, s5
	s_lshl_b64 s[20:21], s[22:23], 2
	s_add_u32 s6, s6, s20
	s_addc_u32 s7, s7, s21
	s_cmp_lt_u32 s2, s12
	v_mov_b32_e32 v11, 0
	s_cselect_b32 s2, 12, 18
	global_load_dword v1, v11, s[8:9] offset:14
	s_add_u32 s2, s8, s2
	s_addc_u32 s3, s9, 0
	global_load_ushort v2, v11, s[2:3]
	s_cmp_eq_u32 s10, s24
	v_lshlrev_b32_e32 v10, 2, v0
	s_waitcnt vmcnt(1)
	v_lshrrev_b32_e32 v3, 16, v1
	v_and_b32_e32 v1, 0xffff, v1
	v_mul_lo_u32 v1, v1, v3
	s_waitcnt vmcnt(0)
	v_mul_lo_u32 v1, v1, v2
	v_add_u32_e32 v14, v1, v0
	v_add_u32_e32 v12, v14, v1
	s_cbranch_scc1 .LBB27_3
; %bb.2:
	v_subrev_co_u32_e32 v4, vcc, s15, v0
	v_mov_b32_e32 v5, v11
	v_lshl_add_u64 v[2:3], s[4:5], 0, v[10:11]
	v_lshl_add_u64 v[4:5], v[4:5], 2, s[6:7]
	v_cndmask_b32_e32 v3, v5, v3, vcc
	v_cndmask_b32_e32 v2, v4, v2, vcc
	v_mov_b32_e32 v15, v11
	v_subrev_co_u32_e32 v6, vcc, s15, v14
	v_mov_b32_e32 v7, v11
	v_lshl_add_u64 v[4:5], v[14:15], 2, s[4:5]
	v_lshl_add_u64 v[6:7], v[6:7], 2, s[6:7]
	v_cndmask_b32_e32 v5, v7, v5, vcc
	v_cndmask_b32_e32 v4, v6, v4, vcc
	v_mov_b32_e32 v13, v11
	v_subrev_co_u32_e32 v6, vcc, s15, v12
	v_mov_b32_e32 v7, v11
	global_load_dword v2, v[2:3], off
	v_lshl_add_u64 v[6:7], v[6:7], 2, s[6:7]
	global_load_dword v3, v[4:5], off
	v_lshl_add_u64 v[4:5], v[12:13], 2, s[4:5]
	v_cndmask_b32_e32 v4, v6, v4, vcc
	v_add_u32_e32 v6, v12, v1
	v_cndmask_b32_e32 v5, v7, v5, vcc
	v_mov_b32_e32 v7, v11
	v_subrev_co_u32_e32 v16, vcc, s15, v6
	v_mov_b32_e32 v17, v11
	v_lshl_add_u64 v[8:9], v[6:7], 2, s[4:5]
	v_lshl_add_u64 v[16:17], v[16:17], 2, s[6:7]
	v_cndmask_b32_e32 v9, v17, v9, vcc
	v_cndmask_b32_e32 v8, v16, v8, vcc
	global_load_dword v4, v[4:5], off
	v_mov_b32_e32 v17, v11
	global_load_dword v5, v[8:9], off
	v_add_u32_e32 v8, v6, v1
	v_mov_b32_e32 v9, v11
	v_subrev_co_u32_e32 v16, vcc, s15, v8
	v_lshl_add_u64 v[6:7], v[8:9], 2, s[4:5]
	v_lshl_add_u64 v[16:17], v[16:17], 2, s[6:7]
	v_add_u32_e32 v8, v8, v1
	v_cndmask_b32_e32 v7, v17, v7, vcc
	v_cndmask_b32_e32 v6, v16, v6, vcc
	v_subrev_co_u32_e32 v18, vcc, s15, v8
	v_mov_b32_e32 v19, v11
	v_lshl_add_u64 v[16:17], v[8:9], 2, s[4:5]
	v_lshl_add_u64 v[18:19], v[18:19], 2, s[6:7]
	v_cndmask_b32_e32 v17, v19, v17, vcc
	v_cndmask_b32_e32 v16, v18, v16, vcc
	global_load_dword v6, v[6:7], off
	v_mov_b32_e32 v19, v11
	global_load_dword v7, v[16:17], off
	v_add_u32_e32 v16, v8, v1
	v_mov_b32_e32 v17, v11
	v_subrev_co_u32_e32 v18, vcc, s15, v16
	v_lshl_add_u64 v[8:9], v[16:17], 2, s[4:5]
	v_lshl_add_u64 v[18:19], v[18:19], 2, s[6:7]
	v_add_u32_e32 v16, v16, v1
	v_cndmask_b32_e32 v9, v19, v9, vcc
	v_cndmask_b32_e32 v8, v18, v8, vcc
	v_lshl_add_u64 v[18:19], v[16:17], 2, s[4:5]
	v_subrev_co_u32_e32 v16, vcc, s15, v16
	v_lshl_add_u64 v[16:17], v[16:17], 2, s[6:7]
	s_nop 0
	v_cndmask_b32_e32 v17, v17, v19, vcc
	v_cndmask_b32_e32 v16, v16, v18, vcc
	global_load_dword v8, v[8:9], off
	s_add_i32 s17, s13, s15
	global_load_dword v9, v[16:17], off
	s_load_dwordx2 s[20:21], s[0:1], 0x10
	s_cbranch_execz .LBB27_4
	s_branch .LBB27_19
.LBB27_3:
                                        ; implicit-def: $vgpr2_vgpr3_vgpr4_vgpr5_vgpr6_vgpr7_vgpr8_vgpr9
                                        ; implicit-def: $sgpr17
	s_load_dwordx2 s[20:21], s[0:1], 0x10
.LBB27_4:
	s_add_i32 s17, s13, s15
	s_waitcnt vmcnt(7)
	v_mov_b32_e32 v2, 0
	v_cmp_gt_u32_e32 vcc, s17, v0
	s_waitcnt vmcnt(6)
	v_mov_b32_e32 v3, v2
	s_waitcnt vmcnt(5)
	v_mov_b32_e32 v4, v2
	s_waitcnt vmcnt(4)
	v_mov_b32_e32 v5, v2
	s_waitcnt vmcnt(3)
	v_mov_b32_e32 v6, v2
	s_waitcnt vmcnt(2)
	v_mov_b32_e32 v7, v2
	s_waitcnt vmcnt(1)
	v_mov_b32_e32 v8, v2
	s_waitcnt vmcnt(0)
	v_mov_b32_e32 v9, v2
	s_and_saveexec_b64 s[0:1], vcc
	s_cbranch_execnz .LBB27_44
; %bb.5:
	s_or_b64 exec, exec, s[0:1]
	v_cmp_gt_u32_e32 vcc, s17, v14
	s_and_saveexec_b64 s[0:1], vcc
	s_cbranch_execnz .LBB27_45
.LBB27_6:
	s_or_b64 exec, exec, s[0:1]
	v_cmp_gt_u32_e32 vcc, s17, v12
	s_and_saveexec_b64 s[0:1], vcc
	s_cbranch_execz .LBB27_8
.LBB27_7:
	v_mov_b32_e32 v13, 0
	v_subrev_co_u32_e32 v16, vcc, s15, v12
	v_mov_b32_e32 v17, v13
	v_lshl_add_u64 v[14:15], v[12:13], 2, s[4:5]
	v_lshl_add_u64 v[16:17], v[16:17], 2, s[6:7]
	v_cndmask_b32_e32 v15, v17, v15, vcc
	v_cndmask_b32_e32 v14, v16, v14, vcc
	global_load_dword v4, v[14:15], off
.LBB27_8:
	s_or_b64 exec, exec, s[0:1]
	v_add_u32_e32 v12, v12, v1
	v_cmp_gt_u32_e32 vcc, s17, v12
	s_and_saveexec_b64 s[0:1], vcc
	s_cbranch_execz .LBB27_10
; %bb.9:
	v_mov_b32_e32 v13, 0
	v_subrev_co_u32_e32 v16, vcc, s15, v12
	v_mov_b32_e32 v17, v13
	v_lshl_add_u64 v[14:15], v[12:13], 2, s[4:5]
	v_lshl_add_u64 v[16:17], v[16:17], 2, s[6:7]
	v_cndmask_b32_e32 v15, v17, v15, vcc
	v_cndmask_b32_e32 v14, v16, v14, vcc
	global_load_dword v5, v[14:15], off
.LBB27_10:
	s_or_b64 exec, exec, s[0:1]
	v_add_u32_e32 v12, v12, v1
	v_cmp_gt_u32_e32 vcc, s17, v12
	s_and_saveexec_b64 s[0:1], vcc
	s_cbranch_execz .LBB27_12
; %bb.11:
	v_mov_b32_e32 v13, 0
	v_subrev_co_u32_e32 v16, vcc, s15, v12
	v_mov_b32_e32 v17, v13
	v_lshl_add_u64 v[14:15], v[12:13], 2, s[4:5]
	v_lshl_add_u64 v[16:17], v[16:17], 2, s[6:7]
	v_cndmask_b32_e32 v15, v17, v15, vcc
	v_cndmask_b32_e32 v14, v16, v14, vcc
	global_load_dword v6, v[14:15], off
.LBB27_12:
	;; [unrolled: 15-line block ×4, first 2 shown]
	s_or_b64 exec, exec, s[0:1]
	v_add_u32_e32 v12, v12, v1
	v_cmp_gt_u32_e32 vcc, s17, v12
	s_and_saveexec_b64 s[0:1], vcc
	s_cbranch_execz .LBB27_18
; %bb.17:
	v_mov_b32_e32 v13, 0
	v_lshl_add_u64 v[14:15], v[12:13], 2, s[4:5]
	v_subrev_co_u32_e32 v12, vcc, s15, v12
	v_lshl_add_u64 v[12:13], v[12:13], 2, s[6:7]
	s_nop 0
	v_cndmask_b32_e32 v13, v13, v15, vcc
	v_cndmask_b32_e32 v12, v12, v14, vcc
	global_load_dword v9, v[12:13], off
.LBB27_18:
	s_or_b64 exec, exec, s[0:1]
.LBB27_19:
	v_lshlrev_b32_e32 v1, 3, v0
	v_min_u32_e32 v12, s17, v1
	v_sub_u32_e64 v11, v12, s13 clamp
	v_min_u32_e32 v13, s15, v12
	v_cmp_lt_u32_e32 vcc, v11, v13
	s_waitcnt vmcnt(0)
	ds_write2st64_b32 v10, v2, v3 offset1:2
	ds_write2st64_b32 v10, v4, v5 offset0:4 offset1:6
	ds_write2st64_b32 v10, v6, v7 offset0:8 offset1:10
	ds_write2st64_b32 v10, v8, v9 offset0:12 offset1:14
	s_waitcnt lgkmcnt(0)
	s_barrier
	s_and_saveexec_b64 s[0:1], vcc
	s_cbranch_execz .LBB27_23
; %bb.20:
	v_lshlrev_b32_e32 v14, 2, v12
	v_lshl_add_u32 v14, s15, 2, v14
	s_mov_b64 s[2:3], 0
.LBB27_21:                              ; =>This Inner Loop Header: Depth=1
	v_add_u32_e32 v15, v13, v11
	v_lshrrev_b32_e32 v15, 1, v15
	v_not_b32_e32 v16, v15
	v_lshlrev_b32_e32 v17, 2, v15
	v_lshl_add_u32 v16, v16, 2, v14
	ds_read_b32 v17, v17
	ds_read_b32 v16, v16
	v_add_u32_e32 v18, 1, v15
	s_waitcnt lgkmcnt(0)
	v_cmp_gt_i32_e32 vcc, v17, v16
	s_nop 1
	v_cndmask_b32_e32 v13, v13, v15, vcc
	v_cndmask_b32_e32 v11, v18, v11, vcc
	v_cmp_ge_u32_e32 vcc, v11, v13
	s_or_b64 s[2:3], vcc, s[2:3]
	s_andn2_b64 exec, exec, s[2:3]
	s_cbranch_execnz .LBB27_21
; %bb.22:
	s_or_b64 exec, exec, s[2:3]
.LBB27_23:
	s_or_b64 exec, exec, s[0:1]
	v_sub_u32_e32 v12, v12, v11
	v_add_u32_e32 v12, s15, v12
	v_cmp_ge_u32_e32 vcc, s15, v11
	v_cmp_ge_u32_e64 s[0:1], s17, v12
	s_or_b64 s[0:1], vcc, s[0:1]
	s_and_saveexec_b64 s[22:23], s[0:1]
	s_cbranch_execz .LBB27_29
; %bb.24:
	v_cmp_gt_u32_e32 vcc, s15, v11
                                        ; implicit-def: $vgpr2
	s_and_saveexec_b64 s[0:1], vcc
; %bb.25:
	v_lshlrev_b32_e32 v2, 2, v11
	ds_read_b32 v2, v2
; %bb.26:
	s_or_b64 exec, exec, s[0:1]
	v_cmp_le_u32_e64 s[0:1], s17, v12
	v_cmp_gt_u32_e64 s[2:3], s17, v12
                                        ; implicit-def: $vgpr3
	s_and_saveexec_b64 s[4:5], s[2:3]
; %bb.27:
	v_lshlrev_b32_e32 v3, 2, v12
	ds_read_b32 v3, v3
; %bb.28:
	s_or_b64 exec, exec, s[4:5]
	s_waitcnt lgkmcnt(0)
	v_cmp_le_i32_e64 s[2:3], v2, v3
	s_and_b64 s[2:3], vcc, s[2:3]
	s_or_b64 vcc, s[0:1], s[2:3]
	v_mov_b32_e32 v5, s17
	v_mov_b32_e32 v6, s15
	v_cndmask_b32_e32 v4, v12, v11, vcc
	v_cndmask_b32_e32 v7, v5, v6, vcc
	v_add_u32_e32 v4, 1, v4
	v_add_u32_e32 v7, -1, v7
	v_min_u32_e32 v7, v4, v7
	v_lshlrev_b32_e32 v7, 2, v7
	ds_read_b32 v7, v7
	v_cndmask_b32_e32 v9, v4, v12, vcc
	v_cndmask_b32_e32 v4, v11, v4, vcc
	v_cmp_gt_u32_e64 s[2:3], s15, v4
	v_cmp_le_u32_e64 s[0:1], s17, v9
	s_waitcnt lgkmcnt(0)
	v_cndmask_b32_e32 v8, v7, v3, vcc
	v_cndmask_b32_e32 v7, v2, v7, vcc
	v_cmp_le_i32_e64 s[4:5], v7, v8
	s_and_b64 s[2:3], s[2:3], s[4:5]
	s_or_b64 s[0:1], s[0:1], s[2:3]
	v_cndmask_b32_e64 v11, v9, v4, s[0:1]
	v_cndmask_b32_e64 v12, v5, v6, s[0:1]
	v_add_u32_e32 v11, 1, v11
	v_add_u32_e32 v12, -1, v12
	v_min_u32_e32 v12, v11, v12
	v_lshlrev_b32_e32 v12, 2, v12
	ds_read_b32 v12, v12
	v_cndmask_b32_e64 v4, v4, v11, s[0:1]
	v_cndmask_b32_e64 v9, v11, v9, s[0:1]
	v_cmp_gt_u32_e64 s[4:5], s15, v4
	v_cmp_le_u32_e64 s[2:3], s17, v9
	s_waitcnt lgkmcnt(0)
	v_cndmask_b32_e64 v13, v12, v8, s[0:1]
	v_cndmask_b32_e64 v12, v7, v12, s[0:1]
	v_cmp_le_i32_e64 s[6:7], v12, v13
	s_and_b64 s[4:5], s[4:5], s[6:7]
	s_or_b64 s[2:3], s[2:3], s[4:5]
	v_cndmask_b32_e64 v11, v9, v4, s[2:3]
	v_cndmask_b32_e64 v14, v5, v6, s[2:3]
	v_add_u32_e32 v11, 1, v11
	v_add_u32_e32 v14, -1, v14
	v_min_u32_e32 v14, v11, v14
	v_lshlrev_b32_e32 v14, 2, v14
	ds_read_b32 v14, v14
	v_cndmask_b32_e64 v4, v4, v11, s[2:3]
	v_cndmask_b32_e64 v9, v11, v9, s[2:3]
	v_cmp_gt_u32_e64 s[6:7], s15, v4
	v_cmp_le_u32_e64 s[4:5], s17, v9
	s_waitcnt lgkmcnt(0)
	v_cndmask_b32_e64 v15, v14, v13, s[2:3]
	v_cndmask_b32_e64 v14, v12, v14, s[2:3]
	;; [unrolled: 17-line block ×4, first 2 shown]
	v_cmp_le_i32_e64 s[12:13], v18, v19
	s_and_b64 s[10:11], s[10:11], s[12:13]
	s_or_b64 s[8:9], s[8:9], s[10:11]
	v_cndmask_b32_e64 v4, v9, v11, s[8:9]
	v_cndmask_b32_e64 v20, v5, v6, s[8:9]
	v_add_u32_e32 v21, 1, v4
	v_add_u32_e32 v4, -1, v20
	v_min_u32_e32 v4, v21, v4
	v_lshlrev_b32_e32 v4, 2, v4
	ds_read_b32 v20, v4
	v_cndmask_b32_e64 v4, v13, v12, s[2:3]
	v_cndmask_b32_e64 v11, v11, v21, s[8:9]
	v_cndmask_b32_e32 v2, v3, v2, vcc
	v_cndmask_b32_e64 v3, v8, v7, s[0:1]
	s_waitcnt lgkmcnt(0)
	v_cndmask_b32_e64 v12, v20, v19, s[8:9]
	v_cndmask_b32_e64 v13, v18, v20, s[8:9]
	;; [unrolled: 1-line block ×3, first 2 shown]
	v_cmp_gt_u32_e64 s[0:1], s15, v11
	v_cmp_le_i32_e64 s[2:3], v13, v12
	v_cmp_le_u32_e32 vcc, s17, v9
	s_and_b64 s[0:1], s[0:1], s[2:3]
	s_or_b64 vcc, vcc, s[0:1]
	v_cndmask_b32_e32 v7, v9, v11, vcc
	v_cndmask_b32_e32 v5, v5, v6, vcc
	v_add_u32_e32 v20, 1, v7
	v_add_u32_e32 v5, -1, v5
	v_min_u32_e32 v5, v20, v5
	v_lshlrev_b32_e32 v5, 2, v5
	ds_read_b32 v21, v5
	v_cndmask_b32_e32 v8, v12, v13, vcc
	v_cndmask_b32_e32 v11, v11, v20, vcc
	v_cndmask_b32_e32 v9, v20, v9, vcc
	v_cmp_gt_u32_e64 s[0:1], s15, v11
	s_waitcnt lgkmcnt(0)
	v_cndmask_b32_e32 v12, v21, v12, vcc
	v_cndmask_b32_e32 v13, v13, v21, vcc
	v_cmp_le_i32_e64 s[2:3], v13, v12
	v_cmp_le_u32_e32 vcc, s17, v9
	s_and_b64 s[0:1], s[0:1], s[2:3]
	s_or_b64 vcc, vcc, s[0:1]
	v_cndmask_b32_e64 v5, v15, v14, s[4:5]
	v_cndmask_b32_e64 v6, v17, v16, s[6:7]
	;; [unrolled: 1-line block ×3, first 2 shown]
	v_cndmask_b32_e32 v9, v12, v13, vcc
.LBB27_29:
	s_or_b64 exec, exec, s[22:23]
	v_and_b32_e32 v11, 0x7c, v0
	v_lshl_add_u32 v1, v1, 2, v11
	s_barrier
	s_barrier
	ds_write2_b32 v1, v2, v3 offset1:1
	ds_write2_b32 v1, v4, v5 offset0:2 offset1:3
	ds_write2_b32 v1, v6, v7 offset0:4 offset1:5
	ds_write2_b32 v1, v8, v9 offset0:6 offset1:7
	v_lshrrev_b32_e32 v1, 3, v0
	v_and_b32_e32 v1, 12, v1
	v_or_b32_e32 v9, 0x80, v0
	v_add_u32_e32 v12, v1, v10
	v_lshrrev_b32_e32 v1, 3, v9
	v_and_b32_e32 v1, 28, v1
	v_or_b32_e32 v8, 0x100, v0
	v_add_u32_e32 v13, v1, v10
	;; [unrolled: 4-line block ×6, first 2 shown]
	v_lshrrev_b32_e32 v1, 3, v4
	s_mov_b32 s17, 0
	v_and_b32_e32 v1, 0x6c, v1
	s_lshl_b64 s[0:1], s[16:17], 2
	v_add_u32_e32 v18, v1, v10
	v_or_b32_e32 v1, 0x380, v0
	s_add_u32 s0, s20, s0
	v_lshrrev_b32_e32 v2, 3, v1
	s_addc_u32 s1, s21, s1
	v_and_b32_e32 v2, 0x7c, v2
	v_mov_b32_e32 v11, 0
	v_add_u32_e32 v19, v2, v10
	v_lshl_add_u64 v[2:3], s[0:1], 0, v[10:11]
	s_and_b64 vcc, exec, s[18:19]
	s_waitcnt lgkmcnt(0)
	s_cbranch_vccz .LBB27_31
; %bb.30:
	s_barrier
	ds_read_b32 v10, v12
	ds_read_b32 v11, v13 offset:512
	ds_read_b32 v20, v14 offset:1024
	;; [unrolled: 1-line block ×7, first 2 shown]
	s_waitcnt lgkmcnt(7)
	global_store_dword v[2:3], v10, off
	s_waitcnt lgkmcnt(6)
	global_store_dword v[2:3], v11, off offset:512
	s_waitcnt lgkmcnt(5)
	global_store_dword v[2:3], v20, off offset:1024
	;; [unrolled: 2-line block ×6, first 2 shown]
	s_mov_b64 s[0:1], -1
	s_cbranch_execz .LBB27_32
	s_branch .LBB27_41
.LBB27_31:
	s_mov_b64 s[0:1], 0
                                        ; implicit-def: $vgpr22
.LBB27_32:
	s_barrier
	s_waitcnt lgkmcnt(0)
	ds_read_b32 v21, v13 offset:512
	ds_read_b32 v20, v14 offset:1024
	;; [unrolled: 1-line block ×7, first 2 shown]
	s_sub_i32 s2, s14, s16
	v_cmp_gt_u32_e32 vcc, s2, v0
	s_and_saveexec_b64 s[0:1], vcc
	s_cbranch_execnz .LBB27_46
; %bb.33:
	s_or_b64 exec, exec, s[0:1]
	v_cmp_gt_u32_e32 vcc, s2, v9
	s_and_saveexec_b64 s[0:1], vcc
	s_cbranch_execnz .LBB27_47
.LBB27_34:
	s_or_b64 exec, exec, s[0:1]
	v_cmp_gt_u32_e32 vcc, s2, v8
	s_and_saveexec_b64 s[0:1], vcc
	s_cbranch_execnz .LBB27_48
.LBB27_35:
	s_or_b64 exec, exec, s[0:1]
	v_cmp_gt_u32_e32 vcc, s2, v7
	s_and_saveexec_b64 s[0:1], vcc
	s_cbranch_execnz .LBB27_49
.LBB27_36:
	s_or_b64 exec, exec, s[0:1]
	v_cmp_gt_u32_e32 vcc, s2, v6
	s_and_saveexec_b64 s[0:1], vcc
	s_cbranch_execnz .LBB27_50
.LBB27_37:
	s_or_b64 exec, exec, s[0:1]
	v_cmp_gt_u32_e32 vcc, s2, v5
	s_and_saveexec_b64 s[0:1], vcc
	s_cbranch_execnz .LBB27_51
.LBB27_38:
	s_or_b64 exec, exec, s[0:1]
	v_cmp_gt_u32_e32 vcc, s2, v4
	s_and_saveexec_b64 s[0:1], vcc
	s_cbranch_execz .LBB27_40
.LBB27_39:
	s_waitcnt lgkmcnt(1)
	global_store_dword v[2:3], v10, off offset:3072
.LBB27_40:
	s_or_b64 exec, exec, s[0:1]
	v_cmp_gt_u32_e64 s[0:1], s2, v1
.LBB27_41:
	s_and_saveexec_b64 s[2:3], s[0:1]
	s_cbranch_execz .LBB27_43
; %bb.42:
	s_waitcnt lgkmcnt(0)
	global_store_dword v[2:3], v22, off offset:3584
.LBB27_43:
	s_endpgm
.LBB27_44:
	v_mov_b32_e32 v11, v2
	v_subrev_co_u32_e32 v6, vcc, s15, v0
	v_mov_b32_e32 v7, v2
	v_lshl_add_u64 v[4:5], s[4:5], 0, v[10:11]
	v_lshl_add_u64 v[6:7], v[6:7], 2, s[6:7]
	v_cndmask_b32_e32 v5, v7, v5, vcc
	v_cndmask_b32_e32 v4, v6, v4, vcc
	global_load_dword v16, v[4:5], off
	v_mov_b32_e32 v17, v2
	v_mov_b32_e32 v18, v2
	;; [unrolled: 1-line block ×7, first 2 shown]
	s_waitcnt vmcnt(0)
	v_mov_b64_e32 v[2:3], v[16:17]
	v_mov_b64_e32 v[4:5], v[18:19]
	;; [unrolled: 1-line block ×4, first 2 shown]
	s_or_b64 exec, exec, s[0:1]
	v_cmp_gt_u32_e32 vcc, s17, v14
	s_and_saveexec_b64 s[0:1], vcc
	s_cbranch_execz .LBB27_6
.LBB27_45:
	v_mov_b32_e32 v15, 0
	v_lshl_add_u64 v[16:17], v[14:15], 2, s[4:5]
	v_subrev_co_u32_e32 v14, vcc, s15, v14
	v_lshl_add_u64 v[14:15], v[14:15], 2, s[6:7]
	s_nop 0
	v_cndmask_b32_e32 v15, v15, v17, vcc
	v_cndmask_b32_e32 v14, v14, v16, vcc
	global_load_dword v3, v[14:15], off
	s_or_b64 exec, exec, s[0:1]
	v_cmp_gt_u32_e32 vcc, s17, v12
	s_and_saveexec_b64 s[0:1], vcc
	s_cbranch_execnz .LBB27_7
	s_branch .LBB27_8
.LBB27_46:
	ds_read_b32 v0, v12
	s_waitcnt lgkmcnt(0)
	global_store_dword v[2:3], v0, off
	s_or_b64 exec, exec, s[0:1]
	v_cmp_gt_u32_e32 vcc, s2, v9
	s_and_saveexec_b64 s[0:1], vcc
	s_cbranch_execz .LBB27_34
.LBB27_47:
	s_waitcnt lgkmcnt(6)
	global_store_dword v[2:3], v21, off offset:512
	s_or_b64 exec, exec, s[0:1]
	v_cmp_gt_u32_e32 vcc, s2, v8
	s_and_saveexec_b64 s[0:1], vcc
	s_cbranch_execz .LBB27_35
.LBB27_48:
	s_waitcnt lgkmcnt(5)
	global_store_dword v[2:3], v20, off offset:1024
	s_or_b64 exec, exec, s[0:1]
	v_cmp_gt_u32_e32 vcc, s2, v7
	s_and_saveexec_b64 s[0:1], vcc
	s_cbranch_execz .LBB27_36
.LBB27_49:
	s_waitcnt lgkmcnt(4)
	global_store_dword v[2:3], v14, off offset:1536
	s_or_b64 exec, exec, s[0:1]
	v_cmp_gt_u32_e32 vcc, s2, v6
	s_and_saveexec_b64 s[0:1], vcc
	s_cbranch_execz .LBB27_37
.LBB27_50:
	s_waitcnt lgkmcnt(3)
	global_store_dword v[2:3], v13, off offset:2048
	s_or_b64 exec, exec, s[0:1]
	v_cmp_gt_u32_e32 vcc, s2, v5
	s_and_saveexec_b64 s[0:1], vcc
	s_cbranch_execz .LBB27_38
.LBB27_51:
	s_waitcnt lgkmcnt(2)
	global_store_dword v[2:3], v11, off offset:2560
	s_or_b64 exec, exec, s[0:1]
	v_cmp_gt_u32_e32 vcc, s2, v4
	s_and_saveexec_b64 s[0:1], vcc
	s_cbranch_execnz .LBB27_39
	s_branch .LBB27_40
	.section	.rodata,"a",@progbits
	.p2align	6, 0x0
	.amdhsa_kernel _ZN7rocprim17ROCPRIM_400000_NS6detail17trampoline_kernelINS0_14default_configENS1_38merge_sort_block_merge_config_selectorIiNS0_10empty_typeEEEZZNS1_27merge_sort_block_merge_implIS3_N6thrust23THRUST_200600_302600_NS6detail15normal_iteratorINS9_10device_ptrIiEEEEPS5_jNS1_19radix_merge_compareILb0ELb0EiNS0_19identity_decomposerEEEEE10hipError_tT0_T1_T2_jT3_P12ihipStream_tbPNSt15iterator_traitsISK_E10value_typeEPNSQ_ISL_E10value_typeEPSM_NS1_7vsmem_tEENKUlT_SK_SL_SM_E_clIPiSE_SF_SF_EESJ_SZ_SK_SL_SM_EUlSZ_E0_NS1_11comp_targetILNS1_3genE0ELNS1_11target_archE4294967295ELNS1_3gpuE0ELNS1_3repE0EEENS1_38merge_mergepath_config_static_selectorELNS0_4arch9wavefront6targetE1EEEvSL_
		.amdhsa_group_segment_fixed_size 4224
		.amdhsa_private_segment_fixed_size 0
		.amdhsa_kernarg_size 320
		.amdhsa_user_sgpr_count 2
		.amdhsa_user_sgpr_dispatch_ptr 0
		.amdhsa_user_sgpr_queue_ptr 0
		.amdhsa_user_sgpr_kernarg_segment_ptr 1
		.amdhsa_user_sgpr_dispatch_id 0
		.amdhsa_user_sgpr_kernarg_preload_length 0
		.amdhsa_user_sgpr_kernarg_preload_offset 0
		.amdhsa_user_sgpr_private_segment_size 0
		.amdhsa_uses_dynamic_stack 0
		.amdhsa_enable_private_segment 0
		.amdhsa_system_sgpr_workgroup_id_x 1
		.amdhsa_system_sgpr_workgroup_id_y 1
		.amdhsa_system_sgpr_workgroup_id_z 1
		.amdhsa_system_sgpr_workgroup_info 0
		.amdhsa_system_vgpr_workitem_id 0
		.amdhsa_next_free_vgpr 26
		.amdhsa_next_free_sgpr 25
		.amdhsa_accum_offset 28
		.amdhsa_reserve_vcc 1
		.amdhsa_float_round_mode_32 0
		.amdhsa_float_round_mode_16_64 0
		.amdhsa_float_denorm_mode_32 3
		.amdhsa_float_denorm_mode_16_64 3
		.amdhsa_dx10_clamp 1
		.amdhsa_ieee_mode 1
		.amdhsa_fp16_overflow 0
		.amdhsa_tg_split 0
		.amdhsa_exception_fp_ieee_invalid_op 0
		.amdhsa_exception_fp_denorm_src 0
		.amdhsa_exception_fp_ieee_div_zero 0
		.amdhsa_exception_fp_ieee_overflow 0
		.amdhsa_exception_fp_ieee_underflow 0
		.amdhsa_exception_fp_ieee_inexact 0
		.amdhsa_exception_int_div_zero 0
	.end_amdhsa_kernel
	.section	.text._ZN7rocprim17ROCPRIM_400000_NS6detail17trampoline_kernelINS0_14default_configENS1_38merge_sort_block_merge_config_selectorIiNS0_10empty_typeEEEZZNS1_27merge_sort_block_merge_implIS3_N6thrust23THRUST_200600_302600_NS6detail15normal_iteratorINS9_10device_ptrIiEEEEPS5_jNS1_19radix_merge_compareILb0ELb0EiNS0_19identity_decomposerEEEEE10hipError_tT0_T1_T2_jT3_P12ihipStream_tbPNSt15iterator_traitsISK_E10value_typeEPNSQ_ISL_E10value_typeEPSM_NS1_7vsmem_tEENKUlT_SK_SL_SM_E_clIPiSE_SF_SF_EESJ_SZ_SK_SL_SM_EUlSZ_E0_NS1_11comp_targetILNS1_3genE0ELNS1_11target_archE4294967295ELNS1_3gpuE0ELNS1_3repE0EEENS1_38merge_mergepath_config_static_selectorELNS0_4arch9wavefront6targetE1EEEvSL_,"axG",@progbits,_ZN7rocprim17ROCPRIM_400000_NS6detail17trampoline_kernelINS0_14default_configENS1_38merge_sort_block_merge_config_selectorIiNS0_10empty_typeEEEZZNS1_27merge_sort_block_merge_implIS3_N6thrust23THRUST_200600_302600_NS6detail15normal_iteratorINS9_10device_ptrIiEEEEPS5_jNS1_19radix_merge_compareILb0ELb0EiNS0_19identity_decomposerEEEEE10hipError_tT0_T1_T2_jT3_P12ihipStream_tbPNSt15iterator_traitsISK_E10value_typeEPNSQ_ISL_E10value_typeEPSM_NS1_7vsmem_tEENKUlT_SK_SL_SM_E_clIPiSE_SF_SF_EESJ_SZ_SK_SL_SM_EUlSZ_E0_NS1_11comp_targetILNS1_3genE0ELNS1_11target_archE4294967295ELNS1_3gpuE0ELNS1_3repE0EEENS1_38merge_mergepath_config_static_selectorELNS0_4arch9wavefront6targetE1EEEvSL_,comdat
.Lfunc_end27:
	.size	_ZN7rocprim17ROCPRIM_400000_NS6detail17trampoline_kernelINS0_14default_configENS1_38merge_sort_block_merge_config_selectorIiNS0_10empty_typeEEEZZNS1_27merge_sort_block_merge_implIS3_N6thrust23THRUST_200600_302600_NS6detail15normal_iteratorINS9_10device_ptrIiEEEEPS5_jNS1_19radix_merge_compareILb0ELb0EiNS0_19identity_decomposerEEEEE10hipError_tT0_T1_T2_jT3_P12ihipStream_tbPNSt15iterator_traitsISK_E10value_typeEPNSQ_ISL_E10value_typeEPSM_NS1_7vsmem_tEENKUlT_SK_SL_SM_E_clIPiSE_SF_SF_EESJ_SZ_SK_SL_SM_EUlSZ_E0_NS1_11comp_targetILNS1_3genE0ELNS1_11target_archE4294967295ELNS1_3gpuE0ELNS1_3repE0EEENS1_38merge_mergepath_config_static_selectorELNS0_4arch9wavefront6targetE1EEEvSL_, .Lfunc_end27-_ZN7rocprim17ROCPRIM_400000_NS6detail17trampoline_kernelINS0_14default_configENS1_38merge_sort_block_merge_config_selectorIiNS0_10empty_typeEEEZZNS1_27merge_sort_block_merge_implIS3_N6thrust23THRUST_200600_302600_NS6detail15normal_iteratorINS9_10device_ptrIiEEEEPS5_jNS1_19radix_merge_compareILb0ELb0EiNS0_19identity_decomposerEEEEE10hipError_tT0_T1_T2_jT3_P12ihipStream_tbPNSt15iterator_traitsISK_E10value_typeEPNSQ_ISL_E10value_typeEPSM_NS1_7vsmem_tEENKUlT_SK_SL_SM_E_clIPiSE_SF_SF_EESJ_SZ_SK_SL_SM_EUlSZ_E0_NS1_11comp_targetILNS1_3genE0ELNS1_11target_archE4294967295ELNS1_3gpuE0ELNS1_3repE0EEENS1_38merge_mergepath_config_static_selectorELNS0_4arch9wavefront6targetE1EEEvSL_
                                        ; -- End function
	.set _ZN7rocprim17ROCPRIM_400000_NS6detail17trampoline_kernelINS0_14default_configENS1_38merge_sort_block_merge_config_selectorIiNS0_10empty_typeEEEZZNS1_27merge_sort_block_merge_implIS3_N6thrust23THRUST_200600_302600_NS6detail15normal_iteratorINS9_10device_ptrIiEEEEPS5_jNS1_19radix_merge_compareILb0ELb0EiNS0_19identity_decomposerEEEEE10hipError_tT0_T1_T2_jT3_P12ihipStream_tbPNSt15iterator_traitsISK_E10value_typeEPNSQ_ISL_E10value_typeEPSM_NS1_7vsmem_tEENKUlT_SK_SL_SM_E_clIPiSE_SF_SF_EESJ_SZ_SK_SL_SM_EUlSZ_E0_NS1_11comp_targetILNS1_3genE0ELNS1_11target_archE4294967295ELNS1_3gpuE0ELNS1_3repE0EEENS1_38merge_mergepath_config_static_selectorELNS0_4arch9wavefront6targetE1EEEvSL_.num_vgpr, 26
	.set _ZN7rocprim17ROCPRIM_400000_NS6detail17trampoline_kernelINS0_14default_configENS1_38merge_sort_block_merge_config_selectorIiNS0_10empty_typeEEEZZNS1_27merge_sort_block_merge_implIS3_N6thrust23THRUST_200600_302600_NS6detail15normal_iteratorINS9_10device_ptrIiEEEEPS5_jNS1_19radix_merge_compareILb0ELb0EiNS0_19identity_decomposerEEEEE10hipError_tT0_T1_T2_jT3_P12ihipStream_tbPNSt15iterator_traitsISK_E10value_typeEPNSQ_ISL_E10value_typeEPSM_NS1_7vsmem_tEENKUlT_SK_SL_SM_E_clIPiSE_SF_SF_EESJ_SZ_SK_SL_SM_EUlSZ_E0_NS1_11comp_targetILNS1_3genE0ELNS1_11target_archE4294967295ELNS1_3gpuE0ELNS1_3repE0EEENS1_38merge_mergepath_config_static_selectorELNS0_4arch9wavefront6targetE1EEEvSL_.num_agpr, 0
	.set _ZN7rocprim17ROCPRIM_400000_NS6detail17trampoline_kernelINS0_14default_configENS1_38merge_sort_block_merge_config_selectorIiNS0_10empty_typeEEEZZNS1_27merge_sort_block_merge_implIS3_N6thrust23THRUST_200600_302600_NS6detail15normal_iteratorINS9_10device_ptrIiEEEEPS5_jNS1_19radix_merge_compareILb0ELb0EiNS0_19identity_decomposerEEEEE10hipError_tT0_T1_T2_jT3_P12ihipStream_tbPNSt15iterator_traitsISK_E10value_typeEPNSQ_ISL_E10value_typeEPSM_NS1_7vsmem_tEENKUlT_SK_SL_SM_E_clIPiSE_SF_SF_EESJ_SZ_SK_SL_SM_EUlSZ_E0_NS1_11comp_targetILNS1_3genE0ELNS1_11target_archE4294967295ELNS1_3gpuE0ELNS1_3repE0EEENS1_38merge_mergepath_config_static_selectorELNS0_4arch9wavefront6targetE1EEEvSL_.numbered_sgpr, 25
	.set _ZN7rocprim17ROCPRIM_400000_NS6detail17trampoline_kernelINS0_14default_configENS1_38merge_sort_block_merge_config_selectorIiNS0_10empty_typeEEEZZNS1_27merge_sort_block_merge_implIS3_N6thrust23THRUST_200600_302600_NS6detail15normal_iteratorINS9_10device_ptrIiEEEEPS5_jNS1_19radix_merge_compareILb0ELb0EiNS0_19identity_decomposerEEEEE10hipError_tT0_T1_T2_jT3_P12ihipStream_tbPNSt15iterator_traitsISK_E10value_typeEPNSQ_ISL_E10value_typeEPSM_NS1_7vsmem_tEENKUlT_SK_SL_SM_E_clIPiSE_SF_SF_EESJ_SZ_SK_SL_SM_EUlSZ_E0_NS1_11comp_targetILNS1_3genE0ELNS1_11target_archE4294967295ELNS1_3gpuE0ELNS1_3repE0EEENS1_38merge_mergepath_config_static_selectorELNS0_4arch9wavefront6targetE1EEEvSL_.num_named_barrier, 0
	.set _ZN7rocprim17ROCPRIM_400000_NS6detail17trampoline_kernelINS0_14default_configENS1_38merge_sort_block_merge_config_selectorIiNS0_10empty_typeEEEZZNS1_27merge_sort_block_merge_implIS3_N6thrust23THRUST_200600_302600_NS6detail15normal_iteratorINS9_10device_ptrIiEEEEPS5_jNS1_19radix_merge_compareILb0ELb0EiNS0_19identity_decomposerEEEEE10hipError_tT0_T1_T2_jT3_P12ihipStream_tbPNSt15iterator_traitsISK_E10value_typeEPNSQ_ISL_E10value_typeEPSM_NS1_7vsmem_tEENKUlT_SK_SL_SM_E_clIPiSE_SF_SF_EESJ_SZ_SK_SL_SM_EUlSZ_E0_NS1_11comp_targetILNS1_3genE0ELNS1_11target_archE4294967295ELNS1_3gpuE0ELNS1_3repE0EEENS1_38merge_mergepath_config_static_selectorELNS0_4arch9wavefront6targetE1EEEvSL_.private_seg_size, 0
	.set _ZN7rocprim17ROCPRIM_400000_NS6detail17trampoline_kernelINS0_14default_configENS1_38merge_sort_block_merge_config_selectorIiNS0_10empty_typeEEEZZNS1_27merge_sort_block_merge_implIS3_N6thrust23THRUST_200600_302600_NS6detail15normal_iteratorINS9_10device_ptrIiEEEEPS5_jNS1_19radix_merge_compareILb0ELb0EiNS0_19identity_decomposerEEEEE10hipError_tT0_T1_T2_jT3_P12ihipStream_tbPNSt15iterator_traitsISK_E10value_typeEPNSQ_ISL_E10value_typeEPSM_NS1_7vsmem_tEENKUlT_SK_SL_SM_E_clIPiSE_SF_SF_EESJ_SZ_SK_SL_SM_EUlSZ_E0_NS1_11comp_targetILNS1_3genE0ELNS1_11target_archE4294967295ELNS1_3gpuE0ELNS1_3repE0EEENS1_38merge_mergepath_config_static_selectorELNS0_4arch9wavefront6targetE1EEEvSL_.uses_vcc, 1
	.set _ZN7rocprim17ROCPRIM_400000_NS6detail17trampoline_kernelINS0_14default_configENS1_38merge_sort_block_merge_config_selectorIiNS0_10empty_typeEEEZZNS1_27merge_sort_block_merge_implIS3_N6thrust23THRUST_200600_302600_NS6detail15normal_iteratorINS9_10device_ptrIiEEEEPS5_jNS1_19radix_merge_compareILb0ELb0EiNS0_19identity_decomposerEEEEE10hipError_tT0_T1_T2_jT3_P12ihipStream_tbPNSt15iterator_traitsISK_E10value_typeEPNSQ_ISL_E10value_typeEPSM_NS1_7vsmem_tEENKUlT_SK_SL_SM_E_clIPiSE_SF_SF_EESJ_SZ_SK_SL_SM_EUlSZ_E0_NS1_11comp_targetILNS1_3genE0ELNS1_11target_archE4294967295ELNS1_3gpuE0ELNS1_3repE0EEENS1_38merge_mergepath_config_static_selectorELNS0_4arch9wavefront6targetE1EEEvSL_.uses_flat_scratch, 0
	.set _ZN7rocprim17ROCPRIM_400000_NS6detail17trampoline_kernelINS0_14default_configENS1_38merge_sort_block_merge_config_selectorIiNS0_10empty_typeEEEZZNS1_27merge_sort_block_merge_implIS3_N6thrust23THRUST_200600_302600_NS6detail15normal_iteratorINS9_10device_ptrIiEEEEPS5_jNS1_19radix_merge_compareILb0ELb0EiNS0_19identity_decomposerEEEEE10hipError_tT0_T1_T2_jT3_P12ihipStream_tbPNSt15iterator_traitsISK_E10value_typeEPNSQ_ISL_E10value_typeEPSM_NS1_7vsmem_tEENKUlT_SK_SL_SM_E_clIPiSE_SF_SF_EESJ_SZ_SK_SL_SM_EUlSZ_E0_NS1_11comp_targetILNS1_3genE0ELNS1_11target_archE4294967295ELNS1_3gpuE0ELNS1_3repE0EEENS1_38merge_mergepath_config_static_selectorELNS0_4arch9wavefront6targetE1EEEvSL_.has_dyn_sized_stack, 0
	.set _ZN7rocprim17ROCPRIM_400000_NS6detail17trampoline_kernelINS0_14default_configENS1_38merge_sort_block_merge_config_selectorIiNS0_10empty_typeEEEZZNS1_27merge_sort_block_merge_implIS3_N6thrust23THRUST_200600_302600_NS6detail15normal_iteratorINS9_10device_ptrIiEEEEPS5_jNS1_19radix_merge_compareILb0ELb0EiNS0_19identity_decomposerEEEEE10hipError_tT0_T1_T2_jT3_P12ihipStream_tbPNSt15iterator_traitsISK_E10value_typeEPNSQ_ISL_E10value_typeEPSM_NS1_7vsmem_tEENKUlT_SK_SL_SM_E_clIPiSE_SF_SF_EESJ_SZ_SK_SL_SM_EUlSZ_E0_NS1_11comp_targetILNS1_3genE0ELNS1_11target_archE4294967295ELNS1_3gpuE0ELNS1_3repE0EEENS1_38merge_mergepath_config_static_selectorELNS0_4arch9wavefront6targetE1EEEvSL_.has_recursion, 0
	.set _ZN7rocprim17ROCPRIM_400000_NS6detail17trampoline_kernelINS0_14default_configENS1_38merge_sort_block_merge_config_selectorIiNS0_10empty_typeEEEZZNS1_27merge_sort_block_merge_implIS3_N6thrust23THRUST_200600_302600_NS6detail15normal_iteratorINS9_10device_ptrIiEEEEPS5_jNS1_19radix_merge_compareILb0ELb0EiNS0_19identity_decomposerEEEEE10hipError_tT0_T1_T2_jT3_P12ihipStream_tbPNSt15iterator_traitsISK_E10value_typeEPNSQ_ISL_E10value_typeEPSM_NS1_7vsmem_tEENKUlT_SK_SL_SM_E_clIPiSE_SF_SF_EESJ_SZ_SK_SL_SM_EUlSZ_E0_NS1_11comp_targetILNS1_3genE0ELNS1_11target_archE4294967295ELNS1_3gpuE0ELNS1_3repE0EEENS1_38merge_mergepath_config_static_selectorELNS0_4arch9wavefront6targetE1EEEvSL_.has_indirect_call, 0
	.section	.AMDGPU.csdata,"",@progbits
; Kernel info:
; codeLenInByte = 3276
; TotalNumSgprs: 31
; NumVgprs: 26
; NumAgprs: 0
; TotalNumVgprs: 26
; ScratchSize: 0
; MemoryBound: 0
; FloatMode: 240
; IeeeMode: 1
; LDSByteSize: 4224 bytes/workgroup (compile time only)
; SGPRBlocks: 3
; VGPRBlocks: 3
; NumSGPRsForWavesPerEU: 31
; NumVGPRsForWavesPerEU: 26
; AccumOffset: 28
; Occupancy: 8
; WaveLimiterHint : 1
; COMPUTE_PGM_RSRC2:SCRATCH_EN: 0
; COMPUTE_PGM_RSRC2:USER_SGPR: 2
; COMPUTE_PGM_RSRC2:TRAP_HANDLER: 0
; COMPUTE_PGM_RSRC2:TGID_X_EN: 1
; COMPUTE_PGM_RSRC2:TGID_Y_EN: 1
; COMPUTE_PGM_RSRC2:TGID_Z_EN: 1
; COMPUTE_PGM_RSRC2:TIDIG_COMP_CNT: 0
; COMPUTE_PGM_RSRC3_GFX90A:ACCUM_OFFSET: 6
; COMPUTE_PGM_RSRC3_GFX90A:TG_SPLIT: 0
	.section	.text._ZN7rocprim17ROCPRIM_400000_NS6detail17trampoline_kernelINS0_14default_configENS1_38merge_sort_block_merge_config_selectorIiNS0_10empty_typeEEEZZNS1_27merge_sort_block_merge_implIS3_N6thrust23THRUST_200600_302600_NS6detail15normal_iteratorINS9_10device_ptrIiEEEEPS5_jNS1_19radix_merge_compareILb0ELb0EiNS0_19identity_decomposerEEEEE10hipError_tT0_T1_T2_jT3_P12ihipStream_tbPNSt15iterator_traitsISK_E10value_typeEPNSQ_ISL_E10value_typeEPSM_NS1_7vsmem_tEENKUlT_SK_SL_SM_E_clIPiSE_SF_SF_EESJ_SZ_SK_SL_SM_EUlSZ_E0_NS1_11comp_targetILNS1_3genE10ELNS1_11target_archE1201ELNS1_3gpuE5ELNS1_3repE0EEENS1_38merge_mergepath_config_static_selectorELNS0_4arch9wavefront6targetE1EEEvSL_,"axG",@progbits,_ZN7rocprim17ROCPRIM_400000_NS6detail17trampoline_kernelINS0_14default_configENS1_38merge_sort_block_merge_config_selectorIiNS0_10empty_typeEEEZZNS1_27merge_sort_block_merge_implIS3_N6thrust23THRUST_200600_302600_NS6detail15normal_iteratorINS9_10device_ptrIiEEEEPS5_jNS1_19radix_merge_compareILb0ELb0EiNS0_19identity_decomposerEEEEE10hipError_tT0_T1_T2_jT3_P12ihipStream_tbPNSt15iterator_traitsISK_E10value_typeEPNSQ_ISL_E10value_typeEPSM_NS1_7vsmem_tEENKUlT_SK_SL_SM_E_clIPiSE_SF_SF_EESJ_SZ_SK_SL_SM_EUlSZ_E0_NS1_11comp_targetILNS1_3genE10ELNS1_11target_archE1201ELNS1_3gpuE5ELNS1_3repE0EEENS1_38merge_mergepath_config_static_selectorELNS0_4arch9wavefront6targetE1EEEvSL_,comdat
	.protected	_ZN7rocprim17ROCPRIM_400000_NS6detail17trampoline_kernelINS0_14default_configENS1_38merge_sort_block_merge_config_selectorIiNS0_10empty_typeEEEZZNS1_27merge_sort_block_merge_implIS3_N6thrust23THRUST_200600_302600_NS6detail15normal_iteratorINS9_10device_ptrIiEEEEPS5_jNS1_19radix_merge_compareILb0ELb0EiNS0_19identity_decomposerEEEEE10hipError_tT0_T1_T2_jT3_P12ihipStream_tbPNSt15iterator_traitsISK_E10value_typeEPNSQ_ISL_E10value_typeEPSM_NS1_7vsmem_tEENKUlT_SK_SL_SM_E_clIPiSE_SF_SF_EESJ_SZ_SK_SL_SM_EUlSZ_E0_NS1_11comp_targetILNS1_3genE10ELNS1_11target_archE1201ELNS1_3gpuE5ELNS1_3repE0EEENS1_38merge_mergepath_config_static_selectorELNS0_4arch9wavefront6targetE1EEEvSL_ ; -- Begin function _ZN7rocprim17ROCPRIM_400000_NS6detail17trampoline_kernelINS0_14default_configENS1_38merge_sort_block_merge_config_selectorIiNS0_10empty_typeEEEZZNS1_27merge_sort_block_merge_implIS3_N6thrust23THRUST_200600_302600_NS6detail15normal_iteratorINS9_10device_ptrIiEEEEPS5_jNS1_19radix_merge_compareILb0ELb0EiNS0_19identity_decomposerEEEEE10hipError_tT0_T1_T2_jT3_P12ihipStream_tbPNSt15iterator_traitsISK_E10value_typeEPNSQ_ISL_E10value_typeEPSM_NS1_7vsmem_tEENKUlT_SK_SL_SM_E_clIPiSE_SF_SF_EESJ_SZ_SK_SL_SM_EUlSZ_E0_NS1_11comp_targetILNS1_3genE10ELNS1_11target_archE1201ELNS1_3gpuE5ELNS1_3repE0EEENS1_38merge_mergepath_config_static_selectorELNS0_4arch9wavefront6targetE1EEEvSL_
	.globl	_ZN7rocprim17ROCPRIM_400000_NS6detail17trampoline_kernelINS0_14default_configENS1_38merge_sort_block_merge_config_selectorIiNS0_10empty_typeEEEZZNS1_27merge_sort_block_merge_implIS3_N6thrust23THRUST_200600_302600_NS6detail15normal_iteratorINS9_10device_ptrIiEEEEPS5_jNS1_19radix_merge_compareILb0ELb0EiNS0_19identity_decomposerEEEEE10hipError_tT0_T1_T2_jT3_P12ihipStream_tbPNSt15iterator_traitsISK_E10value_typeEPNSQ_ISL_E10value_typeEPSM_NS1_7vsmem_tEENKUlT_SK_SL_SM_E_clIPiSE_SF_SF_EESJ_SZ_SK_SL_SM_EUlSZ_E0_NS1_11comp_targetILNS1_3genE10ELNS1_11target_archE1201ELNS1_3gpuE5ELNS1_3repE0EEENS1_38merge_mergepath_config_static_selectorELNS0_4arch9wavefront6targetE1EEEvSL_
	.p2align	8
	.type	_ZN7rocprim17ROCPRIM_400000_NS6detail17trampoline_kernelINS0_14default_configENS1_38merge_sort_block_merge_config_selectorIiNS0_10empty_typeEEEZZNS1_27merge_sort_block_merge_implIS3_N6thrust23THRUST_200600_302600_NS6detail15normal_iteratorINS9_10device_ptrIiEEEEPS5_jNS1_19radix_merge_compareILb0ELb0EiNS0_19identity_decomposerEEEEE10hipError_tT0_T1_T2_jT3_P12ihipStream_tbPNSt15iterator_traitsISK_E10value_typeEPNSQ_ISL_E10value_typeEPSM_NS1_7vsmem_tEENKUlT_SK_SL_SM_E_clIPiSE_SF_SF_EESJ_SZ_SK_SL_SM_EUlSZ_E0_NS1_11comp_targetILNS1_3genE10ELNS1_11target_archE1201ELNS1_3gpuE5ELNS1_3repE0EEENS1_38merge_mergepath_config_static_selectorELNS0_4arch9wavefront6targetE1EEEvSL_,@function
_ZN7rocprim17ROCPRIM_400000_NS6detail17trampoline_kernelINS0_14default_configENS1_38merge_sort_block_merge_config_selectorIiNS0_10empty_typeEEEZZNS1_27merge_sort_block_merge_implIS3_N6thrust23THRUST_200600_302600_NS6detail15normal_iteratorINS9_10device_ptrIiEEEEPS5_jNS1_19radix_merge_compareILb0ELb0EiNS0_19identity_decomposerEEEEE10hipError_tT0_T1_T2_jT3_P12ihipStream_tbPNSt15iterator_traitsISK_E10value_typeEPNSQ_ISL_E10value_typeEPSM_NS1_7vsmem_tEENKUlT_SK_SL_SM_E_clIPiSE_SF_SF_EESJ_SZ_SK_SL_SM_EUlSZ_E0_NS1_11comp_targetILNS1_3genE10ELNS1_11target_archE1201ELNS1_3gpuE5ELNS1_3repE0EEENS1_38merge_mergepath_config_static_selectorELNS0_4arch9wavefront6targetE1EEEvSL_: ; @_ZN7rocprim17ROCPRIM_400000_NS6detail17trampoline_kernelINS0_14default_configENS1_38merge_sort_block_merge_config_selectorIiNS0_10empty_typeEEEZZNS1_27merge_sort_block_merge_implIS3_N6thrust23THRUST_200600_302600_NS6detail15normal_iteratorINS9_10device_ptrIiEEEEPS5_jNS1_19radix_merge_compareILb0ELb0EiNS0_19identity_decomposerEEEEE10hipError_tT0_T1_T2_jT3_P12ihipStream_tbPNSt15iterator_traitsISK_E10value_typeEPNSQ_ISL_E10value_typeEPSM_NS1_7vsmem_tEENKUlT_SK_SL_SM_E_clIPiSE_SF_SF_EESJ_SZ_SK_SL_SM_EUlSZ_E0_NS1_11comp_targetILNS1_3genE10ELNS1_11target_archE1201ELNS1_3gpuE5ELNS1_3repE0EEENS1_38merge_mergepath_config_static_selectorELNS0_4arch9wavefront6targetE1EEEvSL_
; %bb.0:
	.section	.rodata,"a",@progbits
	.p2align	6, 0x0
	.amdhsa_kernel _ZN7rocprim17ROCPRIM_400000_NS6detail17trampoline_kernelINS0_14default_configENS1_38merge_sort_block_merge_config_selectorIiNS0_10empty_typeEEEZZNS1_27merge_sort_block_merge_implIS3_N6thrust23THRUST_200600_302600_NS6detail15normal_iteratorINS9_10device_ptrIiEEEEPS5_jNS1_19radix_merge_compareILb0ELb0EiNS0_19identity_decomposerEEEEE10hipError_tT0_T1_T2_jT3_P12ihipStream_tbPNSt15iterator_traitsISK_E10value_typeEPNSQ_ISL_E10value_typeEPSM_NS1_7vsmem_tEENKUlT_SK_SL_SM_E_clIPiSE_SF_SF_EESJ_SZ_SK_SL_SM_EUlSZ_E0_NS1_11comp_targetILNS1_3genE10ELNS1_11target_archE1201ELNS1_3gpuE5ELNS1_3repE0EEENS1_38merge_mergepath_config_static_selectorELNS0_4arch9wavefront6targetE1EEEvSL_
		.amdhsa_group_segment_fixed_size 0
		.amdhsa_private_segment_fixed_size 0
		.amdhsa_kernarg_size 64
		.amdhsa_user_sgpr_count 2
		.amdhsa_user_sgpr_dispatch_ptr 0
		.amdhsa_user_sgpr_queue_ptr 0
		.amdhsa_user_sgpr_kernarg_segment_ptr 1
		.amdhsa_user_sgpr_dispatch_id 0
		.amdhsa_user_sgpr_kernarg_preload_length 0
		.amdhsa_user_sgpr_kernarg_preload_offset 0
		.amdhsa_user_sgpr_private_segment_size 0
		.amdhsa_uses_dynamic_stack 0
		.amdhsa_enable_private_segment 0
		.amdhsa_system_sgpr_workgroup_id_x 1
		.amdhsa_system_sgpr_workgroup_id_y 0
		.amdhsa_system_sgpr_workgroup_id_z 0
		.amdhsa_system_sgpr_workgroup_info 0
		.amdhsa_system_vgpr_workitem_id 0
		.amdhsa_next_free_vgpr 1
		.amdhsa_next_free_sgpr 0
		.amdhsa_accum_offset 4
		.amdhsa_reserve_vcc 0
		.amdhsa_float_round_mode_32 0
		.amdhsa_float_round_mode_16_64 0
		.amdhsa_float_denorm_mode_32 3
		.amdhsa_float_denorm_mode_16_64 3
		.amdhsa_dx10_clamp 1
		.amdhsa_ieee_mode 1
		.amdhsa_fp16_overflow 0
		.amdhsa_tg_split 0
		.amdhsa_exception_fp_ieee_invalid_op 0
		.amdhsa_exception_fp_denorm_src 0
		.amdhsa_exception_fp_ieee_div_zero 0
		.amdhsa_exception_fp_ieee_overflow 0
		.amdhsa_exception_fp_ieee_underflow 0
		.amdhsa_exception_fp_ieee_inexact 0
		.amdhsa_exception_int_div_zero 0
	.end_amdhsa_kernel
	.section	.text._ZN7rocprim17ROCPRIM_400000_NS6detail17trampoline_kernelINS0_14default_configENS1_38merge_sort_block_merge_config_selectorIiNS0_10empty_typeEEEZZNS1_27merge_sort_block_merge_implIS3_N6thrust23THRUST_200600_302600_NS6detail15normal_iteratorINS9_10device_ptrIiEEEEPS5_jNS1_19radix_merge_compareILb0ELb0EiNS0_19identity_decomposerEEEEE10hipError_tT0_T1_T2_jT3_P12ihipStream_tbPNSt15iterator_traitsISK_E10value_typeEPNSQ_ISL_E10value_typeEPSM_NS1_7vsmem_tEENKUlT_SK_SL_SM_E_clIPiSE_SF_SF_EESJ_SZ_SK_SL_SM_EUlSZ_E0_NS1_11comp_targetILNS1_3genE10ELNS1_11target_archE1201ELNS1_3gpuE5ELNS1_3repE0EEENS1_38merge_mergepath_config_static_selectorELNS0_4arch9wavefront6targetE1EEEvSL_,"axG",@progbits,_ZN7rocprim17ROCPRIM_400000_NS6detail17trampoline_kernelINS0_14default_configENS1_38merge_sort_block_merge_config_selectorIiNS0_10empty_typeEEEZZNS1_27merge_sort_block_merge_implIS3_N6thrust23THRUST_200600_302600_NS6detail15normal_iteratorINS9_10device_ptrIiEEEEPS5_jNS1_19radix_merge_compareILb0ELb0EiNS0_19identity_decomposerEEEEE10hipError_tT0_T1_T2_jT3_P12ihipStream_tbPNSt15iterator_traitsISK_E10value_typeEPNSQ_ISL_E10value_typeEPSM_NS1_7vsmem_tEENKUlT_SK_SL_SM_E_clIPiSE_SF_SF_EESJ_SZ_SK_SL_SM_EUlSZ_E0_NS1_11comp_targetILNS1_3genE10ELNS1_11target_archE1201ELNS1_3gpuE5ELNS1_3repE0EEENS1_38merge_mergepath_config_static_selectorELNS0_4arch9wavefront6targetE1EEEvSL_,comdat
.Lfunc_end28:
	.size	_ZN7rocprim17ROCPRIM_400000_NS6detail17trampoline_kernelINS0_14default_configENS1_38merge_sort_block_merge_config_selectorIiNS0_10empty_typeEEEZZNS1_27merge_sort_block_merge_implIS3_N6thrust23THRUST_200600_302600_NS6detail15normal_iteratorINS9_10device_ptrIiEEEEPS5_jNS1_19radix_merge_compareILb0ELb0EiNS0_19identity_decomposerEEEEE10hipError_tT0_T1_T2_jT3_P12ihipStream_tbPNSt15iterator_traitsISK_E10value_typeEPNSQ_ISL_E10value_typeEPSM_NS1_7vsmem_tEENKUlT_SK_SL_SM_E_clIPiSE_SF_SF_EESJ_SZ_SK_SL_SM_EUlSZ_E0_NS1_11comp_targetILNS1_3genE10ELNS1_11target_archE1201ELNS1_3gpuE5ELNS1_3repE0EEENS1_38merge_mergepath_config_static_selectorELNS0_4arch9wavefront6targetE1EEEvSL_, .Lfunc_end28-_ZN7rocprim17ROCPRIM_400000_NS6detail17trampoline_kernelINS0_14default_configENS1_38merge_sort_block_merge_config_selectorIiNS0_10empty_typeEEEZZNS1_27merge_sort_block_merge_implIS3_N6thrust23THRUST_200600_302600_NS6detail15normal_iteratorINS9_10device_ptrIiEEEEPS5_jNS1_19radix_merge_compareILb0ELb0EiNS0_19identity_decomposerEEEEE10hipError_tT0_T1_T2_jT3_P12ihipStream_tbPNSt15iterator_traitsISK_E10value_typeEPNSQ_ISL_E10value_typeEPSM_NS1_7vsmem_tEENKUlT_SK_SL_SM_E_clIPiSE_SF_SF_EESJ_SZ_SK_SL_SM_EUlSZ_E0_NS1_11comp_targetILNS1_3genE10ELNS1_11target_archE1201ELNS1_3gpuE5ELNS1_3repE0EEENS1_38merge_mergepath_config_static_selectorELNS0_4arch9wavefront6targetE1EEEvSL_
                                        ; -- End function
	.set _ZN7rocprim17ROCPRIM_400000_NS6detail17trampoline_kernelINS0_14default_configENS1_38merge_sort_block_merge_config_selectorIiNS0_10empty_typeEEEZZNS1_27merge_sort_block_merge_implIS3_N6thrust23THRUST_200600_302600_NS6detail15normal_iteratorINS9_10device_ptrIiEEEEPS5_jNS1_19radix_merge_compareILb0ELb0EiNS0_19identity_decomposerEEEEE10hipError_tT0_T1_T2_jT3_P12ihipStream_tbPNSt15iterator_traitsISK_E10value_typeEPNSQ_ISL_E10value_typeEPSM_NS1_7vsmem_tEENKUlT_SK_SL_SM_E_clIPiSE_SF_SF_EESJ_SZ_SK_SL_SM_EUlSZ_E0_NS1_11comp_targetILNS1_3genE10ELNS1_11target_archE1201ELNS1_3gpuE5ELNS1_3repE0EEENS1_38merge_mergepath_config_static_selectorELNS0_4arch9wavefront6targetE1EEEvSL_.num_vgpr, 0
	.set _ZN7rocprim17ROCPRIM_400000_NS6detail17trampoline_kernelINS0_14default_configENS1_38merge_sort_block_merge_config_selectorIiNS0_10empty_typeEEEZZNS1_27merge_sort_block_merge_implIS3_N6thrust23THRUST_200600_302600_NS6detail15normal_iteratorINS9_10device_ptrIiEEEEPS5_jNS1_19radix_merge_compareILb0ELb0EiNS0_19identity_decomposerEEEEE10hipError_tT0_T1_T2_jT3_P12ihipStream_tbPNSt15iterator_traitsISK_E10value_typeEPNSQ_ISL_E10value_typeEPSM_NS1_7vsmem_tEENKUlT_SK_SL_SM_E_clIPiSE_SF_SF_EESJ_SZ_SK_SL_SM_EUlSZ_E0_NS1_11comp_targetILNS1_3genE10ELNS1_11target_archE1201ELNS1_3gpuE5ELNS1_3repE0EEENS1_38merge_mergepath_config_static_selectorELNS0_4arch9wavefront6targetE1EEEvSL_.num_agpr, 0
	.set _ZN7rocprim17ROCPRIM_400000_NS6detail17trampoline_kernelINS0_14default_configENS1_38merge_sort_block_merge_config_selectorIiNS0_10empty_typeEEEZZNS1_27merge_sort_block_merge_implIS3_N6thrust23THRUST_200600_302600_NS6detail15normal_iteratorINS9_10device_ptrIiEEEEPS5_jNS1_19radix_merge_compareILb0ELb0EiNS0_19identity_decomposerEEEEE10hipError_tT0_T1_T2_jT3_P12ihipStream_tbPNSt15iterator_traitsISK_E10value_typeEPNSQ_ISL_E10value_typeEPSM_NS1_7vsmem_tEENKUlT_SK_SL_SM_E_clIPiSE_SF_SF_EESJ_SZ_SK_SL_SM_EUlSZ_E0_NS1_11comp_targetILNS1_3genE10ELNS1_11target_archE1201ELNS1_3gpuE5ELNS1_3repE0EEENS1_38merge_mergepath_config_static_selectorELNS0_4arch9wavefront6targetE1EEEvSL_.numbered_sgpr, 0
	.set _ZN7rocprim17ROCPRIM_400000_NS6detail17trampoline_kernelINS0_14default_configENS1_38merge_sort_block_merge_config_selectorIiNS0_10empty_typeEEEZZNS1_27merge_sort_block_merge_implIS3_N6thrust23THRUST_200600_302600_NS6detail15normal_iteratorINS9_10device_ptrIiEEEEPS5_jNS1_19radix_merge_compareILb0ELb0EiNS0_19identity_decomposerEEEEE10hipError_tT0_T1_T2_jT3_P12ihipStream_tbPNSt15iterator_traitsISK_E10value_typeEPNSQ_ISL_E10value_typeEPSM_NS1_7vsmem_tEENKUlT_SK_SL_SM_E_clIPiSE_SF_SF_EESJ_SZ_SK_SL_SM_EUlSZ_E0_NS1_11comp_targetILNS1_3genE10ELNS1_11target_archE1201ELNS1_3gpuE5ELNS1_3repE0EEENS1_38merge_mergepath_config_static_selectorELNS0_4arch9wavefront6targetE1EEEvSL_.num_named_barrier, 0
	.set _ZN7rocprim17ROCPRIM_400000_NS6detail17trampoline_kernelINS0_14default_configENS1_38merge_sort_block_merge_config_selectorIiNS0_10empty_typeEEEZZNS1_27merge_sort_block_merge_implIS3_N6thrust23THRUST_200600_302600_NS6detail15normal_iteratorINS9_10device_ptrIiEEEEPS5_jNS1_19radix_merge_compareILb0ELb0EiNS0_19identity_decomposerEEEEE10hipError_tT0_T1_T2_jT3_P12ihipStream_tbPNSt15iterator_traitsISK_E10value_typeEPNSQ_ISL_E10value_typeEPSM_NS1_7vsmem_tEENKUlT_SK_SL_SM_E_clIPiSE_SF_SF_EESJ_SZ_SK_SL_SM_EUlSZ_E0_NS1_11comp_targetILNS1_3genE10ELNS1_11target_archE1201ELNS1_3gpuE5ELNS1_3repE0EEENS1_38merge_mergepath_config_static_selectorELNS0_4arch9wavefront6targetE1EEEvSL_.private_seg_size, 0
	.set _ZN7rocprim17ROCPRIM_400000_NS6detail17trampoline_kernelINS0_14default_configENS1_38merge_sort_block_merge_config_selectorIiNS0_10empty_typeEEEZZNS1_27merge_sort_block_merge_implIS3_N6thrust23THRUST_200600_302600_NS6detail15normal_iteratorINS9_10device_ptrIiEEEEPS5_jNS1_19radix_merge_compareILb0ELb0EiNS0_19identity_decomposerEEEEE10hipError_tT0_T1_T2_jT3_P12ihipStream_tbPNSt15iterator_traitsISK_E10value_typeEPNSQ_ISL_E10value_typeEPSM_NS1_7vsmem_tEENKUlT_SK_SL_SM_E_clIPiSE_SF_SF_EESJ_SZ_SK_SL_SM_EUlSZ_E0_NS1_11comp_targetILNS1_3genE10ELNS1_11target_archE1201ELNS1_3gpuE5ELNS1_3repE0EEENS1_38merge_mergepath_config_static_selectorELNS0_4arch9wavefront6targetE1EEEvSL_.uses_vcc, 0
	.set _ZN7rocprim17ROCPRIM_400000_NS6detail17trampoline_kernelINS0_14default_configENS1_38merge_sort_block_merge_config_selectorIiNS0_10empty_typeEEEZZNS1_27merge_sort_block_merge_implIS3_N6thrust23THRUST_200600_302600_NS6detail15normal_iteratorINS9_10device_ptrIiEEEEPS5_jNS1_19radix_merge_compareILb0ELb0EiNS0_19identity_decomposerEEEEE10hipError_tT0_T1_T2_jT3_P12ihipStream_tbPNSt15iterator_traitsISK_E10value_typeEPNSQ_ISL_E10value_typeEPSM_NS1_7vsmem_tEENKUlT_SK_SL_SM_E_clIPiSE_SF_SF_EESJ_SZ_SK_SL_SM_EUlSZ_E0_NS1_11comp_targetILNS1_3genE10ELNS1_11target_archE1201ELNS1_3gpuE5ELNS1_3repE0EEENS1_38merge_mergepath_config_static_selectorELNS0_4arch9wavefront6targetE1EEEvSL_.uses_flat_scratch, 0
	.set _ZN7rocprim17ROCPRIM_400000_NS6detail17trampoline_kernelINS0_14default_configENS1_38merge_sort_block_merge_config_selectorIiNS0_10empty_typeEEEZZNS1_27merge_sort_block_merge_implIS3_N6thrust23THRUST_200600_302600_NS6detail15normal_iteratorINS9_10device_ptrIiEEEEPS5_jNS1_19radix_merge_compareILb0ELb0EiNS0_19identity_decomposerEEEEE10hipError_tT0_T1_T2_jT3_P12ihipStream_tbPNSt15iterator_traitsISK_E10value_typeEPNSQ_ISL_E10value_typeEPSM_NS1_7vsmem_tEENKUlT_SK_SL_SM_E_clIPiSE_SF_SF_EESJ_SZ_SK_SL_SM_EUlSZ_E0_NS1_11comp_targetILNS1_3genE10ELNS1_11target_archE1201ELNS1_3gpuE5ELNS1_3repE0EEENS1_38merge_mergepath_config_static_selectorELNS0_4arch9wavefront6targetE1EEEvSL_.has_dyn_sized_stack, 0
	.set _ZN7rocprim17ROCPRIM_400000_NS6detail17trampoline_kernelINS0_14default_configENS1_38merge_sort_block_merge_config_selectorIiNS0_10empty_typeEEEZZNS1_27merge_sort_block_merge_implIS3_N6thrust23THRUST_200600_302600_NS6detail15normal_iteratorINS9_10device_ptrIiEEEEPS5_jNS1_19radix_merge_compareILb0ELb0EiNS0_19identity_decomposerEEEEE10hipError_tT0_T1_T2_jT3_P12ihipStream_tbPNSt15iterator_traitsISK_E10value_typeEPNSQ_ISL_E10value_typeEPSM_NS1_7vsmem_tEENKUlT_SK_SL_SM_E_clIPiSE_SF_SF_EESJ_SZ_SK_SL_SM_EUlSZ_E0_NS1_11comp_targetILNS1_3genE10ELNS1_11target_archE1201ELNS1_3gpuE5ELNS1_3repE0EEENS1_38merge_mergepath_config_static_selectorELNS0_4arch9wavefront6targetE1EEEvSL_.has_recursion, 0
	.set _ZN7rocprim17ROCPRIM_400000_NS6detail17trampoline_kernelINS0_14default_configENS1_38merge_sort_block_merge_config_selectorIiNS0_10empty_typeEEEZZNS1_27merge_sort_block_merge_implIS3_N6thrust23THRUST_200600_302600_NS6detail15normal_iteratorINS9_10device_ptrIiEEEEPS5_jNS1_19radix_merge_compareILb0ELb0EiNS0_19identity_decomposerEEEEE10hipError_tT0_T1_T2_jT3_P12ihipStream_tbPNSt15iterator_traitsISK_E10value_typeEPNSQ_ISL_E10value_typeEPSM_NS1_7vsmem_tEENKUlT_SK_SL_SM_E_clIPiSE_SF_SF_EESJ_SZ_SK_SL_SM_EUlSZ_E0_NS1_11comp_targetILNS1_3genE10ELNS1_11target_archE1201ELNS1_3gpuE5ELNS1_3repE0EEENS1_38merge_mergepath_config_static_selectorELNS0_4arch9wavefront6targetE1EEEvSL_.has_indirect_call, 0
	.section	.AMDGPU.csdata,"",@progbits
; Kernel info:
; codeLenInByte = 0
; TotalNumSgprs: 6
; NumVgprs: 0
; NumAgprs: 0
; TotalNumVgprs: 0
; ScratchSize: 0
; MemoryBound: 0
; FloatMode: 240
; IeeeMode: 1
; LDSByteSize: 0 bytes/workgroup (compile time only)
; SGPRBlocks: 0
; VGPRBlocks: 0
; NumSGPRsForWavesPerEU: 6
; NumVGPRsForWavesPerEU: 1
; AccumOffset: 4
; Occupancy: 8
; WaveLimiterHint : 0
; COMPUTE_PGM_RSRC2:SCRATCH_EN: 0
; COMPUTE_PGM_RSRC2:USER_SGPR: 2
; COMPUTE_PGM_RSRC2:TRAP_HANDLER: 0
; COMPUTE_PGM_RSRC2:TGID_X_EN: 1
; COMPUTE_PGM_RSRC2:TGID_Y_EN: 0
; COMPUTE_PGM_RSRC2:TGID_Z_EN: 0
; COMPUTE_PGM_RSRC2:TIDIG_COMP_CNT: 0
; COMPUTE_PGM_RSRC3_GFX90A:ACCUM_OFFSET: 0
; COMPUTE_PGM_RSRC3_GFX90A:TG_SPLIT: 0
	.section	.text._ZN7rocprim17ROCPRIM_400000_NS6detail17trampoline_kernelINS0_14default_configENS1_38merge_sort_block_merge_config_selectorIiNS0_10empty_typeEEEZZNS1_27merge_sort_block_merge_implIS3_N6thrust23THRUST_200600_302600_NS6detail15normal_iteratorINS9_10device_ptrIiEEEEPS5_jNS1_19radix_merge_compareILb0ELb0EiNS0_19identity_decomposerEEEEE10hipError_tT0_T1_T2_jT3_P12ihipStream_tbPNSt15iterator_traitsISK_E10value_typeEPNSQ_ISL_E10value_typeEPSM_NS1_7vsmem_tEENKUlT_SK_SL_SM_E_clIPiSE_SF_SF_EESJ_SZ_SK_SL_SM_EUlSZ_E0_NS1_11comp_targetILNS1_3genE5ELNS1_11target_archE942ELNS1_3gpuE9ELNS1_3repE0EEENS1_38merge_mergepath_config_static_selectorELNS0_4arch9wavefront6targetE1EEEvSL_,"axG",@progbits,_ZN7rocprim17ROCPRIM_400000_NS6detail17trampoline_kernelINS0_14default_configENS1_38merge_sort_block_merge_config_selectorIiNS0_10empty_typeEEEZZNS1_27merge_sort_block_merge_implIS3_N6thrust23THRUST_200600_302600_NS6detail15normal_iteratorINS9_10device_ptrIiEEEEPS5_jNS1_19radix_merge_compareILb0ELb0EiNS0_19identity_decomposerEEEEE10hipError_tT0_T1_T2_jT3_P12ihipStream_tbPNSt15iterator_traitsISK_E10value_typeEPNSQ_ISL_E10value_typeEPSM_NS1_7vsmem_tEENKUlT_SK_SL_SM_E_clIPiSE_SF_SF_EESJ_SZ_SK_SL_SM_EUlSZ_E0_NS1_11comp_targetILNS1_3genE5ELNS1_11target_archE942ELNS1_3gpuE9ELNS1_3repE0EEENS1_38merge_mergepath_config_static_selectorELNS0_4arch9wavefront6targetE1EEEvSL_,comdat
	.protected	_ZN7rocprim17ROCPRIM_400000_NS6detail17trampoline_kernelINS0_14default_configENS1_38merge_sort_block_merge_config_selectorIiNS0_10empty_typeEEEZZNS1_27merge_sort_block_merge_implIS3_N6thrust23THRUST_200600_302600_NS6detail15normal_iteratorINS9_10device_ptrIiEEEEPS5_jNS1_19radix_merge_compareILb0ELb0EiNS0_19identity_decomposerEEEEE10hipError_tT0_T1_T2_jT3_P12ihipStream_tbPNSt15iterator_traitsISK_E10value_typeEPNSQ_ISL_E10value_typeEPSM_NS1_7vsmem_tEENKUlT_SK_SL_SM_E_clIPiSE_SF_SF_EESJ_SZ_SK_SL_SM_EUlSZ_E0_NS1_11comp_targetILNS1_3genE5ELNS1_11target_archE942ELNS1_3gpuE9ELNS1_3repE0EEENS1_38merge_mergepath_config_static_selectorELNS0_4arch9wavefront6targetE1EEEvSL_ ; -- Begin function _ZN7rocprim17ROCPRIM_400000_NS6detail17trampoline_kernelINS0_14default_configENS1_38merge_sort_block_merge_config_selectorIiNS0_10empty_typeEEEZZNS1_27merge_sort_block_merge_implIS3_N6thrust23THRUST_200600_302600_NS6detail15normal_iteratorINS9_10device_ptrIiEEEEPS5_jNS1_19radix_merge_compareILb0ELb0EiNS0_19identity_decomposerEEEEE10hipError_tT0_T1_T2_jT3_P12ihipStream_tbPNSt15iterator_traitsISK_E10value_typeEPNSQ_ISL_E10value_typeEPSM_NS1_7vsmem_tEENKUlT_SK_SL_SM_E_clIPiSE_SF_SF_EESJ_SZ_SK_SL_SM_EUlSZ_E0_NS1_11comp_targetILNS1_3genE5ELNS1_11target_archE942ELNS1_3gpuE9ELNS1_3repE0EEENS1_38merge_mergepath_config_static_selectorELNS0_4arch9wavefront6targetE1EEEvSL_
	.globl	_ZN7rocprim17ROCPRIM_400000_NS6detail17trampoline_kernelINS0_14default_configENS1_38merge_sort_block_merge_config_selectorIiNS0_10empty_typeEEEZZNS1_27merge_sort_block_merge_implIS3_N6thrust23THRUST_200600_302600_NS6detail15normal_iteratorINS9_10device_ptrIiEEEEPS5_jNS1_19radix_merge_compareILb0ELb0EiNS0_19identity_decomposerEEEEE10hipError_tT0_T1_T2_jT3_P12ihipStream_tbPNSt15iterator_traitsISK_E10value_typeEPNSQ_ISL_E10value_typeEPSM_NS1_7vsmem_tEENKUlT_SK_SL_SM_E_clIPiSE_SF_SF_EESJ_SZ_SK_SL_SM_EUlSZ_E0_NS1_11comp_targetILNS1_3genE5ELNS1_11target_archE942ELNS1_3gpuE9ELNS1_3repE0EEENS1_38merge_mergepath_config_static_selectorELNS0_4arch9wavefront6targetE1EEEvSL_
	.p2align	8
	.type	_ZN7rocprim17ROCPRIM_400000_NS6detail17trampoline_kernelINS0_14default_configENS1_38merge_sort_block_merge_config_selectorIiNS0_10empty_typeEEEZZNS1_27merge_sort_block_merge_implIS3_N6thrust23THRUST_200600_302600_NS6detail15normal_iteratorINS9_10device_ptrIiEEEEPS5_jNS1_19radix_merge_compareILb0ELb0EiNS0_19identity_decomposerEEEEE10hipError_tT0_T1_T2_jT3_P12ihipStream_tbPNSt15iterator_traitsISK_E10value_typeEPNSQ_ISL_E10value_typeEPSM_NS1_7vsmem_tEENKUlT_SK_SL_SM_E_clIPiSE_SF_SF_EESJ_SZ_SK_SL_SM_EUlSZ_E0_NS1_11comp_targetILNS1_3genE5ELNS1_11target_archE942ELNS1_3gpuE9ELNS1_3repE0EEENS1_38merge_mergepath_config_static_selectorELNS0_4arch9wavefront6targetE1EEEvSL_,@function
_ZN7rocprim17ROCPRIM_400000_NS6detail17trampoline_kernelINS0_14default_configENS1_38merge_sort_block_merge_config_selectorIiNS0_10empty_typeEEEZZNS1_27merge_sort_block_merge_implIS3_N6thrust23THRUST_200600_302600_NS6detail15normal_iteratorINS9_10device_ptrIiEEEEPS5_jNS1_19radix_merge_compareILb0ELb0EiNS0_19identity_decomposerEEEEE10hipError_tT0_T1_T2_jT3_P12ihipStream_tbPNSt15iterator_traitsISK_E10value_typeEPNSQ_ISL_E10value_typeEPSM_NS1_7vsmem_tEENKUlT_SK_SL_SM_E_clIPiSE_SF_SF_EESJ_SZ_SK_SL_SM_EUlSZ_E0_NS1_11comp_targetILNS1_3genE5ELNS1_11target_archE942ELNS1_3gpuE9ELNS1_3repE0EEENS1_38merge_mergepath_config_static_selectorELNS0_4arch9wavefront6targetE1EEEvSL_: ; @_ZN7rocprim17ROCPRIM_400000_NS6detail17trampoline_kernelINS0_14default_configENS1_38merge_sort_block_merge_config_selectorIiNS0_10empty_typeEEEZZNS1_27merge_sort_block_merge_implIS3_N6thrust23THRUST_200600_302600_NS6detail15normal_iteratorINS9_10device_ptrIiEEEEPS5_jNS1_19radix_merge_compareILb0ELb0EiNS0_19identity_decomposerEEEEE10hipError_tT0_T1_T2_jT3_P12ihipStream_tbPNSt15iterator_traitsISK_E10value_typeEPNSQ_ISL_E10value_typeEPSM_NS1_7vsmem_tEENKUlT_SK_SL_SM_E_clIPiSE_SF_SF_EESJ_SZ_SK_SL_SM_EUlSZ_E0_NS1_11comp_targetILNS1_3genE5ELNS1_11target_archE942ELNS1_3gpuE9ELNS1_3repE0EEENS1_38merge_mergepath_config_static_selectorELNS0_4arch9wavefront6targetE1EEEvSL_
; %bb.0:
	.section	.rodata,"a",@progbits
	.p2align	6, 0x0
	.amdhsa_kernel _ZN7rocprim17ROCPRIM_400000_NS6detail17trampoline_kernelINS0_14default_configENS1_38merge_sort_block_merge_config_selectorIiNS0_10empty_typeEEEZZNS1_27merge_sort_block_merge_implIS3_N6thrust23THRUST_200600_302600_NS6detail15normal_iteratorINS9_10device_ptrIiEEEEPS5_jNS1_19radix_merge_compareILb0ELb0EiNS0_19identity_decomposerEEEEE10hipError_tT0_T1_T2_jT3_P12ihipStream_tbPNSt15iterator_traitsISK_E10value_typeEPNSQ_ISL_E10value_typeEPSM_NS1_7vsmem_tEENKUlT_SK_SL_SM_E_clIPiSE_SF_SF_EESJ_SZ_SK_SL_SM_EUlSZ_E0_NS1_11comp_targetILNS1_3genE5ELNS1_11target_archE942ELNS1_3gpuE9ELNS1_3repE0EEENS1_38merge_mergepath_config_static_selectorELNS0_4arch9wavefront6targetE1EEEvSL_
		.amdhsa_group_segment_fixed_size 0
		.amdhsa_private_segment_fixed_size 0
		.amdhsa_kernarg_size 64
		.amdhsa_user_sgpr_count 2
		.amdhsa_user_sgpr_dispatch_ptr 0
		.amdhsa_user_sgpr_queue_ptr 0
		.amdhsa_user_sgpr_kernarg_segment_ptr 1
		.amdhsa_user_sgpr_dispatch_id 0
		.amdhsa_user_sgpr_kernarg_preload_length 0
		.amdhsa_user_sgpr_kernarg_preload_offset 0
		.amdhsa_user_sgpr_private_segment_size 0
		.amdhsa_uses_dynamic_stack 0
		.amdhsa_enable_private_segment 0
		.amdhsa_system_sgpr_workgroup_id_x 1
		.amdhsa_system_sgpr_workgroup_id_y 0
		.amdhsa_system_sgpr_workgroup_id_z 0
		.amdhsa_system_sgpr_workgroup_info 0
		.amdhsa_system_vgpr_workitem_id 0
		.amdhsa_next_free_vgpr 1
		.amdhsa_next_free_sgpr 0
		.amdhsa_accum_offset 4
		.amdhsa_reserve_vcc 0
		.amdhsa_float_round_mode_32 0
		.amdhsa_float_round_mode_16_64 0
		.amdhsa_float_denorm_mode_32 3
		.amdhsa_float_denorm_mode_16_64 3
		.amdhsa_dx10_clamp 1
		.amdhsa_ieee_mode 1
		.amdhsa_fp16_overflow 0
		.amdhsa_tg_split 0
		.amdhsa_exception_fp_ieee_invalid_op 0
		.amdhsa_exception_fp_denorm_src 0
		.amdhsa_exception_fp_ieee_div_zero 0
		.amdhsa_exception_fp_ieee_overflow 0
		.amdhsa_exception_fp_ieee_underflow 0
		.amdhsa_exception_fp_ieee_inexact 0
		.amdhsa_exception_int_div_zero 0
	.end_amdhsa_kernel
	.section	.text._ZN7rocprim17ROCPRIM_400000_NS6detail17trampoline_kernelINS0_14default_configENS1_38merge_sort_block_merge_config_selectorIiNS0_10empty_typeEEEZZNS1_27merge_sort_block_merge_implIS3_N6thrust23THRUST_200600_302600_NS6detail15normal_iteratorINS9_10device_ptrIiEEEEPS5_jNS1_19radix_merge_compareILb0ELb0EiNS0_19identity_decomposerEEEEE10hipError_tT0_T1_T2_jT3_P12ihipStream_tbPNSt15iterator_traitsISK_E10value_typeEPNSQ_ISL_E10value_typeEPSM_NS1_7vsmem_tEENKUlT_SK_SL_SM_E_clIPiSE_SF_SF_EESJ_SZ_SK_SL_SM_EUlSZ_E0_NS1_11comp_targetILNS1_3genE5ELNS1_11target_archE942ELNS1_3gpuE9ELNS1_3repE0EEENS1_38merge_mergepath_config_static_selectorELNS0_4arch9wavefront6targetE1EEEvSL_,"axG",@progbits,_ZN7rocprim17ROCPRIM_400000_NS6detail17trampoline_kernelINS0_14default_configENS1_38merge_sort_block_merge_config_selectorIiNS0_10empty_typeEEEZZNS1_27merge_sort_block_merge_implIS3_N6thrust23THRUST_200600_302600_NS6detail15normal_iteratorINS9_10device_ptrIiEEEEPS5_jNS1_19radix_merge_compareILb0ELb0EiNS0_19identity_decomposerEEEEE10hipError_tT0_T1_T2_jT3_P12ihipStream_tbPNSt15iterator_traitsISK_E10value_typeEPNSQ_ISL_E10value_typeEPSM_NS1_7vsmem_tEENKUlT_SK_SL_SM_E_clIPiSE_SF_SF_EESJ_SZ_SK_SL_SM_EUlSZ_E0_NS1_11comp_targetILNS1_3genE5ELNS1_11target_archE942ELNS1_3gpuE9ELNS1_3repE0EEENS1_38merge_mergepath_config_static_selectorELNS0_4arch9wavefront6targetE1EEEvSL_,comdat
.Lfunc_end29:
	.size	_ZN7rocprim17ROCPRIM_400000_NS6detail17trampoline_kernelINS0_14default_configENS1_38merge_sort_block_merge_config_selectorIiNS0_10empty_typeEEEZZNS1_27merge_sort_block_merge_implIS3_N6thrust23THRUST_200600_302600_NS6detail15normal_iteratorINS9_10device_ptrIiEEEEPS5_jNS1_19radix_merge_compareILb0ELb0EiNS0_19identity_decomposerEEEEE10hipError_tT0_T1_T2_jT3_P12ihipStream_tbPNSt15iterator_traitsISK_E10value_typeEPNSQ_ISL_E10value_typeEPSM_NS1_7vsmem_tEENKUlT_SK_SL_SM_E_clIPiSE_SF_SF_EESJ_SZ_SK_SL_SM_EUlSZ_E0_NS1_11comp_targetILNS1_3genE5ELNS1_11target_archE942ELNS1_3gpuE9ELNS1_3repE0EEENS1_38merge_mergepath_config_static_selectorELNS0_4arch9wavefront6targetE1EEEvSL_, .Lfunc_end29-_ZN7rocprim17ROCPRIM_400000_NS6detail17trampoline_kernelINS0_14default_configENS1_38merge_sort_block_merge_config_selectorIiNS0_10empty_typeEEEZZNS1_27merge_sort_block_merge_implIS3_N6thrust23THRUST_200600_302600_NS6detail15normal_iteratorINS9_10device_ptrIiEEEEPS5_jNS1_19radix_merge_compareILb0ELb0EiNS0_19identity_decomposerEEEEE10hipError_tT0_T1_T2_jT3_P12ihipStream_tbPNSt15iterator_traitsISK_E10value_typeEPNSQ_ISL_E10value_typeEPSM_NS1_7vsmem_tEENKUlT_SK_SL_SM_E_clIPiSE_SF_SF_EESJ_SZ_SK_SL_SM_EUlSZ_E0_NS1_11comp_targetILNS1_3genE5ELNS1_11target_archE942ELNS1_3gpuE9ELNS1_3repE0EEENS1_38merge_mergepath_config_static_selectorELNS0_4arch9wavefront6targetE1EEEvSL_
                                        ; -- End function
	.set _ZN7rocprim17ROCPRIM_400000_NS6detail17trampoline_kernelINS0_14default_configENS1_38merge_sort_block_merge_config_selectorIiNS0_10empty_typeEEEZZNS1_27merge_sort_block_merge_implIS3_N6thrust23THRUST_200600_302600_NS6detail15normal_iteratorINS9_10device_ptrIiEEEEPS5_jNS1_19radix_merge_compareILb0ELb0EiNS0_19identity_decomposerEEEEE10hipError_tT0_T1_T2_jT3_P12ihipStream_tbPNSt15iterator_traitsISK_E10value_typeEPNSQ_ISL_E10value_typeEPSM_NS1_7vsmem_tEENKUlT_SK_SL_SM_E_clIPiSE_SF_SF_EESJ_SZ_SK_SL_SM_EUlSZ_E0_NS1_11comp_targetILNS1_3genE5ELNS1_11target_archE942ELNS1_3gpuE9ELNS1_3repE0EEENS1_38merge_mergepath_config_static_selectorELNS0_4arch9wavefront6targetE1EEEvSL_.num_vgpr, 0
	.set _ZN7rocprim17ROCPRIM_400000_NS6detail17trampoline_kernelINS0_14default_configENS1_38merge_sort_block_merge_config_selectorIiNS0_10empty_typeEEEZZNS1_27merge_sort_block_merge_implIS3_N6thrust23THRUST_200600_302600_NS6detail15normal_iteratorINS9_10device_ptrIiEEEEPS5_jNS1_19radix_merge_compareILb0ELb0EiNS0_19identity_decomposerEEEEE10hipError_tT0_T1_T2_jT3_P12ihipStream_tbPNSt15iterator_traitsISK_E10value_typeEPNSQ_ISL_E10value_typeEPSM_NS1_7vsmem_tEENKUlT_SK_SL_SM_E_clIPiSE_SF_SF_EESJ_SZ_SK_SL_SM_EUlSZ_E0_NS1_11comp_targetILNS1_3genE5ELNS1_11target_archE942ELNS1_3gpuE9ELNS1_3repE0EEENS1_38merge_mergepath_config_static_selectorELNS0_4arch9wavefront6targetE1EEEvSL_.num_agpr, 0
	.set _ZN7rocprim17ROCPRIM_400000_NS6detail17trampoline_kernelINS0_14default_configENS1_38merge_sort_block_merge_config_selectorIiNS0_10empty_typeEEEZZNS1_27merge_sort_block_merge_implIS3_N6thrust23THRUST_200600_302600_NS6detail15normal_iteratorINS9_10device_ptrIiEEEEPS5_jNS1_19radix_merge_compareILb0ELb0EiNS0_19identity_decomposerEEEEE10hipError_tT0_T1_T2_jT3_P12ihipStream_tbPNSt15iterator_traitsISK_E10value_typeEPNSQ_ISL_E10value_typeEPSM_NS1_7vsmem_tEENKUlT_SK_SL_SM_E_clIPiSE_SF_SF_EESJ_SZ_SK_SL_SM_EUlSZ_E0_NS1_11comp_targetILNS1_3genE5ELNS1_11target_archE942ELNS1_3gpuE9ELNS1_3repE0EEENS1_38merge_mergepath_config_static_selectorELNS0_4arch9wavefront6targetE1EEEvSL_.numbered_sgpr, 0
	.set _ZN7rocprim17ROCPRIM_400000_NS6detail17trampoline_kernelINS0_14default_configENS1_38merge_sort_block_merge_config_selectorIiNS0_10empty_typeEEEZZNS1_27merge_sort_block_merge_implIS3_N6thrust23THRUST_200600_302600_NS6detail15normal_iteratorINS9_10device_ptrIiEEEEPS5_jNS1_19radix_merge_compareILb0ELb0EiNS0_19identity_decomposerEEEEE10hipError_tT0_T1_T2_jT3_P12ihipStream_tbPNSt15iterator_traitsISK_E10value_typeEPNSQ_ISL_E10value_typeEPSM_NS1_7vsmem_tEENKUlT_SK_SL_SM_E_clIPiSE_SF_SF_EESJ_SZ_SK_SL_SM_EUlSZ_E0_NS1_11comp_targetILNS1_3genE5ELNS1_11target_archE942ELNS1_3gpuE9ELNS1_3repE0EEENS1_38merge_mergepath_config_static_selectorELNS0_4arch9wavefront6targetE1EEEvSL_.num_named_barrier, 0
	.set _ZN7rocprim17ROCPRIM_400000_NS6detail17trampoline_kernelINS0_14default_configENS1_38merge_sort_block_merge_config_selectorIiNS0_10empty_typeEEEZZNS1_27merge_sort_block_merge_implIS3_N6thrust23THRUST_200600_302600_NS6detail15normal_iteratorINS9_10device_ptrIiEEEEPS5_jNS1_19radix_merge_compareILb0ELb0EiNS0_19identity_decomposerEEEEE10hipError_tT0_T1_T2_jT3_P12ihipStream_tbPNSt15iterator_traitsISK_E10value_typeEPNSQ_ISL_E10value_typeEPSM_NS1_7vsmem_tEENKUlT_SK_SL_SM_E_clIPiSE_SF_SF_EESJ_SZ_SK_SL_SM_EUlSZ_E0_NS1_11comp_targetILNS1_3genE5ELNS1_11target_archE942ELNS1_3gpuE9ELNS1_3repE0EEENS1_38merge_mergepath_config_static_selectorELNS0_4arch9wavefront6targetE1EEEvSL_.private_seg_size, 0
	.set _ZN7rocprim17ROCPRIM_400000_NS6detail17trampoline_kernelINS0_14default_configENS1_38merge_sort_block_merge_config_selectorIiNS0_10empty_typeEEEZZNS1_27merge_sort_block_merge_implIS3_N6thrust23THRUST_200600_302600_NS6detail15normal_iteratorINS9_10device_ptrIiEEEEPS5_jNS1_19radix_merge_compareILb0ELb0EiNS0_19identity_decomposerEEEEE10hipError_tT0_T1_T2_jT3_P12ihipStream_tbPNSt15iterator_traitsISK_E10value_typeEPNSQ_ISL_E10value_typeEPSM_NS1_7vsmem_tEENKUlT_SK_SL_SM_E_clIPiSE_SF_SF_EESJ_SZ_SK_SL_SM_EUlSZ_E0_NS1_11comp_targetILNS1_3genE5ELNS1_11target_archE942ELNS1_3gpuE9ELNS1_3repE0EEENS1_38merge_mergepath_config_static_selectorELNS0_4arch9wavefront6targetE1EEEvSL_.uses_vcc, 0
	.set _ZN7rocprim17ROCPRIM_400000_NS6detail17trampoline_kernelINS0_14default_configENS1_38merge_sort_block_merge_config_selectorIiNS0_10empty_typeEEEZZNS1_27merge_sort_block_merge_implIS3_N6thrust23THRUST_200600_302600_NS6detail15normal_iteratorINS9_10device_ptrIiEEEEPS5_jNS1_19radix_merge_compareILb0ELb0EiNS0_19identity_decomposerEEEEE10hipError_tT0_T1_T2_jT3_P12ihipStream_tbPNSt15iterator_traitsISK_E10value_typeEPNSQ_ISL_E10value_typeEPSM_NS1_7vsmem_tEENKUlT_SK_SL_SM_E_clIPiSE_SF_SF_EESJ_SZ_SK_SL_SM_EUlSZ_E0_NS1_11comp_targetILNS1_3genE5ELNS1_11target_archE942ELNS1_3gpuE9ELNS1_3repE0EEENS1_38merge_mergepath_config_static_selectorELNS0_4arch9wavefront6targetE1EEEvSL_.uses_flat_scratch, 0
	.set _ZN7rocprim17ROCPRIM_400000_NS6detail17trampoline_kernelINS0_14default_configENS1_38merge_sort_block_merge_config_selectorIiNS0_10empty_typeEEEZZNS1_27merge_sort_block_merge_implIS3_N6thrust23THRUST_200600_302600_NS6detail15normal_iteratorINS9_10device_ptrIiEEEEPS5_jNS1_19radix_merge_compareILb0ELb0EiNS0_19identity_decomposerEEEEE10hipError_tT0_T1_T2_jT3_P12ihipStream_tbPNSt15iterator_traitsISK_E10value_typeEPNSQ_ISL_E10value_typeEPSM_NS1_7vsmem_tEENKUlT_SK_SL_SM_E_clIPiSE_SF_SF_EESJ_SZ_SK_SL_SM_EUlSZ_E0_NS1_11comp_targetILNS1_3genE5ELNS1_11target_archE942ELNS1_3gpuE9ELNS1_3repE0EEENS1_38merge_mergepath_config_static_selectorELNS0_4arch9wavefront6targetE1EEEvSL_.has_dyn_sized_stack, 0
	.set _ZN7rocprim17ROCPRIM_400000_NS6detail17trampoline_kernelINS0_14default_configENS1_38merge_sort_block_merge_config_selectorIiNS0_10empty_typeEEEZZNS1_27merge_sort_block_merge_implIS3_N6thrust23THRUST_200600_302600_NS6detail15normal_iteratorINS9_10device_ptrIiEEEEPS5_jNS1_19radix_merge_compareILb0ELb0EiNS0_19identity_decomposerEEEEE10hipError_tT0_T1_T2_jT3_P12ihipStream_tbPNSt15iterator_traitsISK_E10value_typeEPNSQ_ISL_E10value_typeEPSM_NS1_7vsmem_tEENKUlT_SK_SL_SM_E_clIPiSE_SF_SF_EESJ_SZ_SK_SL_SM_EUlSZ_E0_NS1_11comp_targetILNS1_3genE5ELNS1_11target_archE942ELNS1_3gpuE9ELNS1_3repE0EEENS1_38merge_mergepath_config_static_selectorELNS0_4arch9wavefront6targetE1EEEvSL_.has_recursion, 0
	.set _ZN7rocprim17ROCPRIM_400000_NS6detail17trampoline_kernelINS0_14default_configENS1_38merge_sort_block_merge_config_selectorIiNS0_10empty_typeEEEZZNS1_27merge_sort_block_merge_implIS3_N6thrust23THRUST_200600_302600_NS6detail15normal_iteratorINS9_10device_ptrIiEEEEPS5_jNS1_19radix_merge_compareILb0ELb0EiNS0_19identity_decomposerEEEEE10hipError_tT0_T1_T2_jT3_P12ihipStream_tbPNSt15iterator_traitsISK_E10value_typeEPNSQ_ISL_E10value_typeEPSM_NS1_7vsmem_tEENKUlT_SK_SL_SM_E_clIPiSE_SF_SF_EESJ_SZ_SK_SL_SM_EUlSZ_E0_NS1_11comp_targetILNS1_3genE5ELNS1_11target_archE942ELNS1_3gpuE9ELNS1_3repE0EEENS1_38merge_mergepath_config_static_selectorELNS0_4arch9wavefront6targetE1EEEvSL_.has_indirect_call, 0
	.section	.AMDGPU.csdata,"",@progbits
; Kernel info:
; codeLenInByte = 0
; TotalNumSgprs: 6
; NumVgprs: 0
; NumAgprs: 0
; TotalNumVgprs: 0
; ScratchSize: 0
; MemoryBound: 0
; FloatMode: 240
; IeeeMode: 1
; LDSByteSize: 0 bytes/workgroup (compile time only)
; SGPRBlocks: 0
; VGPRBlocks: 0
; NumSGPRsForWavesPerEU: 6
; NumVGPRsForWavesPerEU: 1
; AccumOffset: 4
; Occupancy: 8
; WaveLimiterHint : 0
; COMPUTE_PGM_RSRC2:SCRATCH_EN: 0
; COMPUTE_PGM_RSRC2:USER_SGPR: 2
; COMPUTE_PGM_RSRC2:TRAP_HANDLER: 0
; COMPUTE_PGM_RSRC2:TGID_X_EN: 1
; COMPUTE_PGM_RSRC2:TGID_Y_EN: 0
; COMPUTE_PGM_RSRC2:TGID_Z_EN: 0
; COMPUTE_PGM_RSRC2:TIDIG_COMP_CNT: 0
; COMPUTE_PGM_RSRC3_GFX90A:ACCUM_OFFSET: 0
; COMPUTE_PGM_RSRC3_GFX90A:TG_SPLIT: 0
	.section	.text._ZN7rocprim17ROCPRIM_400000_NS6detail17trampoline_kernelINS0_14default_configENS1_38merge_sort_block_merge_config_selectorIiNS0_10empty_typeEEEZZNS1_27merge_sort_block_merge_implIS3_N6thrust23THRUST_200600_302600_NS6detail15normal_iteratorINS9_10device_ptrIiEEEEPS5_jNS1_19radix_merge_compareILb0ELb0EiNS0_19identity_decomposerEEEEE10hipError_tT0_T1_T2_jT3_P12ihipStream_tbPNSt15iterator_traitsISK_E10value_typeEPNSQ_ISL_E10value_typeEPSM_NS1_7vsmem_tEENKUlT_SK_SL_SM_E_clIPiSE_SF_SF_EESJ_SZ_SK_SL_SM_EUlSZ_E0_NS1_11comp_targetILNS1_3genE4ELNS1_11target_archE910ELNS1_3gpuE8ELNS1_3repE0EEENS1_38merge_mergepath_config_static_selectorELNS0_4arch9wavefront6targetE1EEEvSL_,"axG",@progbits,_ZN7rocprim17ROCPRIM_400000_NS6detail17trampoline_kernelINS0_14default_configENS1_38merge_sort_block_merge_config_selectorIiNS0_10empty_typeEEEZZNS1_27merge_sort_block_merge_implIS3_N6thrust23THRUST_200600_302600_NS6detail15normal_iteratorINS9_10device_ptrIiEEEEPS5_jNS1_19radix_merge_compareILb0ELb0EiNS0_19identity_decomposerEEEEE10hipError_tT0_T1_T2_jT3_P12ihipStream_tbPNSt15iterator_traitsISK_E10value_typeEPNSQ_ISL_E10value_typeEPSM_NS1_7vsmem_tEENKUlT_SK_SL_SM_E_clIPiSE_SF_SF_EESJ_SZ_SK_SL_SM_EUlSZ_E0_NS1_11comp_targetILNS1_3genE4ELNS1_11target_archE910ELNS1_3gpuE8ELNS1_3repE0EEENS1_38merge_mergepath_config_static_selectorELNS0_4arch9wavefront6targetE1EEEvSL_,comdat
	.protected	_ZN7rocprim17ROCPRIM_400000_NS6detail17trampoline_kernelINS0_14default_configENS1_38merge_sort_block_merge_config_selectorIiNS0_10empty_typeEEEZZNS1_27merge_sort_block_merge_implIS3_N6thrust23THRUST_200600_302600_NS6detail15normal_iteratorINS9_10device_ptrIiEEEEPS5_jNS1_19radix_merge_compareILb0ELb0EiNS0_19identity_decomposerEEEEE10hipError_tT0_T1_T2_jT3_P12ihipStream_tbPNSt15iterator_traitsISK_E10value_typeEPNSQ_ISL_E10value_typeEPSM_NS1_7vsmem_tEENKUlT_SK_SL_SM_E_clIPiSE_SF_SF_EESJ_SZ_SK_SL_SM_EUlSZ_E0_NS1_11comp_targetILNS1_3genE4ELNS1_11target_archE910ELNS1_3gpuE8ELNS1_3repE0EEENS1_38merge_mergepath_config_static_selectorELNS0_4arch9wavefront6targetE1EEEvSL_ ; -- Begin function _ZN7rocprim17ROCPRIM_400000_NS6detail17trampoline_kernelINS0_14default_configENS1_38merge_sort_block_merge_config_selectorIiNS0_10empty_typeEEEZZNS1_27merge_sort_block_merge_implIS3_N6thrust23THRUST_200600_302600_NS6detail15normal_iteratorINS9_10device_ptrIiEEEEPS5_jNS1_19radix_merge_compareILb0ELb0EiNS0_19identity_decomposerEEEEE10hipError_tT0_T1_T2_jT3_P12ihipStream_tbPNSt15iterator_traitsISK_E10value_typeEPNSQ_ISL_E10value_typeEPSM_NS1_7vsmem_tEENKUlT_SK_SL_SM_E_clIPiSE_SF_SF_EESJ_SZ_SK_SL_SM_EUlSZ_E0_NS1_11comp_targetILNS1_3genE4ELNS1_11target_archE910ELNS1_3gpuE8ELNS1_3repE0EEENS1_38merge_mergepath_config_static_selectorELNS0_4arch9wavefront6targetE1EEEvSL_
	.globl	_ZN7rocprim17ROCPRIM_400000_NS6detail17trampoline_kernelINS0_14default_configENS1_38merge_sort_block_merge_config_selectorIiNS0_10empty_typeEEEZZNS1_27merge_sort_block_merge_implIS3_N6thrust23THRUST_200600_302600_NS6detail15normal_iteratorINS9_10device_ptrIiEEEEPS5_jNS1_19radix_merge_compareILb0ELb0EiNS0_19identity_decomposerEEEEE10hipError_tT0_T1_T2_jT3_P12ihipStream_tbPNSt15iterator_traitsISK_E10value_typeEPNSQ_ISL_E10value_typeEPSM_NS1_7vsmem_tEENKUlT_SK_SL_SM_E_clIPiSE_SF_SF_EESJ_SZ_SK_SL_SM_EUlSZ_E0_NS1_11comp_targetILNS1_3genE4ELNS1_11target_archE910ELNS1_3gpuE8ELNS1_3repE0EEENS1_38merge_mergepath_config_static_selectorELNS0_4arch9wavefront6targetE1EEEvSL_
	.p2align	8
	.type	_ZN7rocprim17ROCPRIM_400000_NS6detail17trampoline_kernelINS0_14default_configENS1_38merge_sort_block_merge_config_selectorIiNS0_10empty_typeEEEZZNS1_27merge_sort_block_merge_implIS3_N6thrust23THRUST_200600_302600_NS6detail15normal_iteratorINS9_10device_ptrIiEEEEPS5_jNS1_19radix_merge_compareILb0ELb0EiNS0_19identity_decomposerEEEEE10hipError_tT0_T1_T2_jT3_P12ihipStream_tbPNSt15iterator_traitsISK_E10value_typeEPNSQ_ISL_E10value_typeEPSM_NS1_7vsmem_tEENKUlT_SK_SL_SM_E_clIPiSE_SF_SF_EESJ_SZ_SK_SL_SM_EUlSZ_E0_NS1_11comp_targetILNS1_3genE4ELNS1_11target_archE910ELNS1_3gpuE8ELNS1_3repE0EEENS1_38merge_mergepath_config_static_selectorELNS0_4arch9wavefront6targetE1EEEvSL_,@function
_ZN7rocprim17ROCPRIM_400000_NS6detail17trampoline_kernelINS0_14default_configENS1_38merge_sort_block_merge_config_selectorIiNS0_10empty_typeEEEZZNS1_27merge_sort_block_merge_implIS3_N6thrust23THRUST_200600_302600_NS6detail15normal_iteratorINS9_10device_ptrIiEEEEPS5_jNS1_19radix_merge_compareILb0ELb0EiNS0_19identity_decomposerEEEEE10hipError_tT0_T1_T2_jT3_P12ihipStream_tbPNSt15iterator_traitsISK_E10value_typeEPNSQ_ISL_E10value_typeEPSM_NS1_7vsmem_tEENKUlT_SK_SL_SM_E_clIPiSE_SF_SF_EESJ_SZ_SK_SL_SM_EUlSZ_E0_NS1_11comp_targetILNS1_3genE4ELNS1_11target_archE910ELNS1_3gpuE8ELNS1_3repE0EEENS1_38merge_mergepath_config_static_selectorELNS0_4arch9wavefront6targetE1EEEvSL_: ; @_ZN7rocprim17ROCPRIM_400000_NS6detail17trampoline_kernelINS0_14default_configENS1_38merge_sort_block_merge_config_selectorIiNS0_10empty_typeEEEZZNS1_27merge_sort_block_merge_implIS3_N6thrust23THRUST_200600_302600_NS6detail15normal_iteratorINS9_10device_ptrIiEEEEPS5_jNS1_19radix_merge_compareILb0ELb0EiNS0_19identity_decomposerEEEEE10hipError_tT0_T1_T2_jT3_P12ihipStream_tbPNSt15iterator_traitsISK_E10value_typeEPNSQ_ISL_E10value_typeEPSM_NS1_7vsmem_tEENKUlT_SK_SL_SM_E_clIPiSE_SF_SF_EESJ_SZ_SK_SL_SM_EUlSZ_E0_NS1_11comp_targetILNS1_3genE4ELNS1_11target_archE910ELNS1_3gpuE8ELNS1_3repE0EEENS1_38merge_mergepath_config_static_selectorELNS0_4arch9wavefront6targetE1EEEvSL_
; %bb.0:
	.section	.rodata,"a",@progbits
	.p2align	6, 0x0
	.amdhsa_kernel _ZN7rocprim17ROCPRIM_400000_NS6detail17trampoline_kernelINS0_14default_configENS1_38merge_sort_block_merge_config_selectorIiNS0_10empty_typeEEEZZNS1_27merge_sort_block_merge_implIS3_N6thrust23THRUST_200600_302600_NS6detail15normal_iteratorINS9_10device_ptrIiEEEEPS5_jNS1_19radix_merge_compareILb0ELb0EiNS0_19identity_decomposerEEEEE10hipError_tT0_T1_T2_jT3_P12ihipStream_tbPNSt15iterator_traitsISK_E10value_typeEPNSQ_ISL_E10value_typeEPSM_NS1_7vsmem_tEENKUlT_SK_SL_SM_E_clIPiSE_SF_SF_EESJ_SZ_SK_SL_SM_EUlSZ_E0_NS1_11comp_targetILNS1_3genE4ELNS1_11target_archE910ELNS1_3gpuE8ELNS1_3repE0EEENS1_38merge_mergepath_config_static_selectorELNS0_4arch9wavefront6targetE1EEEvSL_
		.amdhsa_group_segment_fixed_size 0
		.amdhsa_private_segment_fixed_size 0
		.amdhsa_kernarg_size 64
		.amdhsa_user_sgpr_count 2
		.amdhsa_user_sgpr_dispatch_ptr 0
		.amdhsa_user_sgpr_queue_ptr 0
		.amdhsa_user_sgpr_kernarg_segment_ptr 1
		.amdhsa_user_sgpr_dispatch_id 0
		.amdhsa_user_sgpr_kernarg_preload_length 0
		.amdhsa_user_sgpr_kernarg_preload_offset 0
		.amdhsa_user_sgpr_private_segment_size 0
		.amdhsa_uses_dynamic_stack 0
		.amdhsa_enable_private_segment 0
		.amdhsa_system_sgpr_workgroup_id_x 1
		.amdhsa_system_sgpr_workgroup_id_y 0
		.amdhsa_system_sgpr_workgroup_id_z 0
		.amdhsa_system_sgpr_workgroup_info 0
		.amdhsa_system_vgpr_workitem_id 0
		.amdhsa_next_free_vgpr 1
		.amdhsa_next_free_sgpr 0
		.amdhsa_accum_offset 4
		.amdhsa_reserve_vcc 0
		.amdhsa_float_round_mode_32 0
		.amdhsa_float_round_mode_16_64 0
		.amdhsa_float_denorm_mode_32 3
		.amdhsa_float_denorm_mode_16_64 3
		.amdhsa_dx10_clamp 1
		.amdhsa_ieee_mode 1
		.amdhsa_fp16_overflow 0
		.amdhsa_tg_split 0
		.amdhsa_exception_fp_ieee_invalid_op 0
		.amdhsa_exception_fp_denorm_src 0
		.amdhsa_exception_fp_ieee_div_zero 0
		.amdhsa_exception_fp_ieee_overflow 0
		.amdhsa_exception_fp_ieee_underflow 0
		.amdhsa_exception_fp_ieee_inexact 0
		.amdhsa_exception_int_div_zero 0
	.end_amdhsa_kernel
	.section	.text._ZN7rocprim17ROCPRIM_400000_NS6detail17trampoline_kernelINS0_14default_configENS1_38merge_sort_block_merge_config_selectorIiNS0_10empty_typeEEEZZNS1_27merge_sort_block_merge_implIS3_N6thrust23THRUST_200600_302600_NS6detail15normal_iteratorINS9_10device_ptrIiEEEEPS5_jNS1_19radix_merge_compareILb0ELb0EiNS0_19identity_decomposerEEEEE10hipError_tT0_T1_T2_jT3_P12ihipStream_tbPNSt15iterator_traitsISK_E10value_typeEPNSQ_ISL_E10value_typeEPSM_NS1_7vsmem_tEENKUlT_SK_SL_SM_E_clIPiSE_SF_SF_EESJ_SZ_SK_SL_SM_EUlSZ_E0_NS1_11comp_targetILNS1_3genE4ELNS1_11target_archE910ELNS1_3gpuE8ELNS1_3repE0EEENS1_38merge_mergepath_config_static_selectorELNS0_4arch9wavefront6targetE1EEEvSL_,"axG",@progbits,_ZN7rocprim17ROCPRIM_400000_NS6detail17trampoline_kernelINS0_14default_configENS1_38merge_sort_block_merge_config_selectorIiNS0_10empty_typeEEEZZNS1_27merge_sort_block_merge_implIS3_N6thrust23THRUST_200600_302600_NS6detail15normal_iteratorINS9_10device_ptrIiEEEEPS5_jNS1_19radix_merge_compareILb0ELb0EiNS0_19identity_decomposerEEEEE10hipError_tT0_T1_T2_jT3_P12ihipStream_tbPNSt15iterator_traitsISK_E10value_typeEPNSQ_ISL_E10value_typeEPSM_NS1_7vsmem_tEENKUlT_SK_SL_SM_E_clIPiSE_SF_SF_EESJ_SZ_SK_SL_SM_EUlSZ_E0_NS1_11comp_targetILNS1_3genE4ELNS1_11target_archE910ELNS1_3gpuE8ELNS1_3repE0EEENS1_38merge_mergepath_config_static_selectorELNS0_4arch9wavefront6targetE1EEEvSL_,comdat
.Lfunc_end30:
	.size	_ZN7rocprim17ROCPRIM_400000_NS6detail17trampoline_kernelINS0_14default_configENS1_38merge_sort_block_merge_config_selectorIiNS0_10empty_typeEEEZZNS1_27merge_sort_block_merge_implIS3_N6thrust23THRUST_200600_302600_NS6detail15normal_iteratorINS9_10device_ptrIiEEEEPS5_jNS1_19radix_merge_compareILb0ELb0EiNS0_19identity_decomposerEEEEE10hipError_tT0_T1_T2_jT3_P12ihipStream_tbPNSt15iterator_traitsISK_E10value_typeEPNSQ_ISL_E10value_typeEPSM_NS1_7vsmem_tEENKUlT_SK_SL_SM_E_clIPiSE_SF_SF_EESJ_SZ_SK_SL_SM_EUlSZ_E0_NS1_11comp_targetILNS1_3genE4ELNS1_11target_archE910ELNS1_3gpuE8ELNS1_3repE0EEENS1_38merge_mergepath_config_static_selectorELNS0_4arch9wavefront6targetE1EEEvSL_, .Lfunc_end30-_ZN7rocprim17ROCPRIM_400000_NS6detail17trampoline_kernelINS0_14default_configENS1_38merge_sort_block_merge_config_selectorIiNS0_10empty_typeEEEZZNS1_27merge_sort_block_merge_implIS3_N6thrust23THRUST_200600_302600_NS6detail15normal_iteratorINS9_10device_ptrIiEEEEPS5_jNS1_19radix_merge_compareILb0ELb0EiNS0_19identity_decomposerEEEEE10hipError_tT0_T1_T2_jT3_P12ihipStream_tbPNSt15iterator_traitsISK_E10value_typeEPNSQ_ISL_E10value_typeEPSM_NS1_7vsmem_tEENKUlT_SK_SL_SM_E_clIPiSE_SF_SF_EESJ_SZ_SK_SL_SM_EUlSZ_E0_NS1_11comp_targetILNS1_3genE4ELNS1_11target_archE910ELNS1_3gpuE8ELNS1_3repE0EEENS1_38merge_mergepath_config_static_selectorELNS0_4arch9wavefront6targetE1EEEvSL_
                                        ; -- End function
	.set _ZN7rocprim17ROCPRIM_400000_NS6detail17trampoline_kernelINS0_14default_configENS1_38merge_sort_block_merge_config_selectorIiNS0_10empty_typeEEEZZNS1_27merge_sort_block_merge_implIS3_N6thrust23THRUST_200600_302600_NS6detail15normal_iteratorINS9_10device_ptrIiEEEEPS5_jNS1_19radix_merge_compareILb0ELb0EiNS0_19identity_decomposerEEEEE10hipError_tT0_T1_T2_jT3_P12ihipStream_tbPNSt15iterator_traitsISK_E10value_typeEPNSQ_ISL_E10value_typeEPSM_NS1_7vsmem_tEENKUlT_SK_SL_SM_E_clIPiSE_SF_SF_EESJ_SZ_SK_SL_SM_EUlSZ_E0_NS1_11comp_targetILNS1_3genE4ELNS1_11target_archE910ELNS1_3gpuE8ELNS1_3repE0EEENS1_38merge_mergepath_config_static_selectorELNS0_4arch9wavefront6targetE1EEEvSL_.num_vgpr, 0
	.set _ZN7rocprim17ROCPRIM_400000_NS6detail17trampoline_kernelINS0_14default_configENS1_38merge_sort_block_merge_config_selectorIiNS0_10empty_typeEEEZZNS1_27merge_sort_block_merge_implIS3_N6thrust23THRUST_200600_302600_NS6detail15normal_iteratorINS9_10device_ptrIiEEEEPS5_jNS1_19radix_merge_compareILb0ELb0EiNS0_19identity_decomposerEEEEE10hipError_tT0_T1_T2_jT3_P12ihipStream_tbPNSt15iterator_traitsISK_E10value_typeEPNSQ_ISL_E10value_typeEPSM_NS1_7vsmem_tEENKUlT_SK_SL_SM_E_clIPiSE_SF_SF_EESJ_SZ_SK_SL_SM_EUlSZ_E0_NS1_11comp_targetILNS1_3genE4ELNS1_11target_archE910ELNS1_3gpuE8ELNS1_3repE0EEENS1_38merge_mergepath_config_static_selectorELNS0_4arch9wavefront6targetE1EEEvSL_.num_agpr, 0
	.set _ZN7rocprim17ROCPRIM_400000_NS6detail17trampoline_kernelINS0_14default_configENS1_38merge_sort_block_merge_config_selectorIiNS0_10empty_typeEEEZZNS1_27merge_sort_block_merge_implIS3_N6thrust23THRUST_200600_302600_NS6detail15normal_iteratorINS9_10device_ptrIiEEEEPS5_jNS1_19radix_merge_compareILb0ELb0EiNS0_19identity_decomposerEEEEE10hipError_tT0_T1_T2_jT3_P12ihipStream_tbPNSt15iterator_traitsISK_E10value_typeEPNSQ_ISL_E10value_typeEPSM_NS1_7vsmem_tEENKUlT_SK_SL_SM_E_clIPiSE_SF_SF_EESJ_SZ_SK_SL_SM_EUlSZ_E0_NS1_11comp_targetILNS1_3genE4ELNS1_11target_archE910ELNS1_3gpuE8ELNS1_3repE0EEENS1_38merge_mergepath_config_static_selectorELNS0_4arch9wavefront6targetE1EEEvSL_.numbered_sgpr, 0
	.set _ZN7rocprim17ROCPRIM_400000_NS6detail17trampoline_kernelINS0_14default_configENS1_38merge_sort_block_merge_config_selectorIiNS0_10empty_typeEEEZZNS1_27merge_sort_block_merge_implIS3_N6thrust23THRUST_200600_302600_NS6detail15normal_iteratorINS9_10device_ptrIiEEEEPS5_jNS1_19radix_merge_compareILb0ELb0EiNS0_19identity_decomposerEEEEE10hipError_tT0_T1_T2_jT3_P12ihipStream_tbPNSt15iterator_traitsISK_E10value_typeEPNSQ_ISL_E10value_typeEPSM_NS1_7vsmem_tEENKUlT_SK_SL_SM_E_clIPiSE_SF_SF_EESJ_SZ_SK_SL_SM_EUlSZ_E0_NS1_11comp_targetILNS1_3genE4ELNS1_11target_archE910ELNS1_3gpuE8ELNS1_3repE0EEENS1_38merge_mergepath_config_static_selectorELNS0_4arch9wavefront6targetE1EEEvSL_.num_named_barrier, 0
	.set _ZN7rocprim17ROCPRIM_400000_NS6detail17trampoline_kernelINS0_14default_configENS1_38merge_sort_block_merge_config_selectorIiNS0_10empty_typeEEEZZNS1_27merge_sort_block_merge_implIS3_N6thrust23THRUST_200600_302600_NS6detail15normal_iteratorINS9_10device_ptrIiEEEEPS5_jNS1_19radix_merge_compareILb0ELb0EiNS0_19identity_decomposerEEEEE10hipError_tT0_T1_T2_jT3_P12ihipStream_tbPNSt15iterator_traitsISK_E10value_typeEPNSQ_ISL_E10value_typeEPSM_NS1_7vsmem_tEENKUlT_SK_SL_SM_E_clIPiSE_SF_SF_EESJ_SZ_SK_SL_SM_EUlSZ_E0_NS1_11comp_targetILNS1_3genE4ELNS1_11target_archE910ELNS1_3gpuE8ELNS1_3repE0EEENS1_38merge_mergepath_config_static_selectorELNS0_4arch9wavefront6targetE1EEEvSL_.private_seg_size, 0
	.set _ZN7rocprim17ROCPRIM_400000_NS6detail17trampoline_kernelINS0_14default_configENS1_38merge_sort_block_merge_config_selectorIiNS0_10empty_typeEEEZZNS1_27merge_sort_block_merge_implIS3_N6thrust23THRUST_200600_302600_NS6detail15normal_iteratorINS9_10device_ptrIiEEEEPS5_jNS1_19radix_merge_compareILb0ELb0EiNS0_19identity_decomposerEEEEE10hipError_tT0_T1_T2_jT3_P12ihipStream_tbPNSt15iterator_traitsISK_E10value_typeEPNSQ_ISL_E10value_typeEPSM_NS1_7vsmem_tEENKUlT_SK_SL_SM_E_clIPiSE_SF_SF_EESJ_SZ_SK_SL_SM_EUlSZ_E0_NS1_11comp_targetILNS1_3genE4ELNS1_11target_archE910ELNS1_3gpuE8ELNS1_3repE0EEENS1_38merge_mergepath_config_static_selectorELNS0_4arch9wavefront6targetE1EEEvSL_.uses_vcc, 0
	.set _ZN7rocprim17ROCPRIM_400000_NS6detail17trampoline_kernelINS0_14default_configENS1_38merge_sort_block_merge_config_selectorIiNS0_10empty_typeEEEZZNS1_27merge_sort_block_merge_implIS3_N6thrust23THRUST_200600_302600_NS6detail15normal_iteratorINS9_10device_ptrIiEEEEPS5_jNS1_19radix_merge_compareILb0ELb0EiNS0_19identity_decomposerEEEEE10hipError_tT0_T1_T2_jT3_P12ihipStream_tbPNSt15iterator_traitsISK_E10value_typeEPNSQ_ISL_E10value_typeEPSM_NS1_7vsmem_tEENKUlT_SK_SL_SM_E_clIPiSE_SF_SF_EESJ_SZ_SK_SL_SM_EUlSZ_E0_NS1_11comp_targetILNS1_3genE4ELNS1_11target_archE910ELNS1_3gpuE8ELNS1_3repE0EEENS1_38merge_mergepath_config_static_selectorELNS0_4arch9wavefront6targetE1EEEvSL_.uses_flat_scratch, 0
	.set _ZN7rocprim17ROCPRIM_400000_NS6detail17trampoline_kernelINS0_14default_configENS1_38merge_sort_block_merge_config_selectorIiNS0_10empty_typeEEEZZNS1_27merge_sort_block_merge_implIS3_N6thrust23THRUST_200600_302600_NS6detail15normal_iteratorINS9_10device_ptrIiEEEEPS5_jNS1_19radix_merge_compareILb0ELb0EiNS0_19identity_decomposerEEEEE10hipError_tT0_T1_T2_jT3_P12ihipStream_tbPNSt15iterator_traitsISK_E10value_typeEPNSQ_ISL_E10value_typeEPSM_NS1_7vsmem_tEENKUlT_SK_SL_SM_E_clIPiSE_SF_SF_EESJ_SZ_SK_SL_SM_EUlSZ_E0_NS1_11comp_targetILNS1_3genE4ELNS1_11target_archE910ELNS1_3gpuE8ELNS1_3repE0EEENS1_38merge_mergepath_config_static_selectorELNS0_4arch9wavefront6targetE1EEEvSL_.has_dyn_sized_stack, 0
	.set _ZN7rocprim17ROCPRIM_400000_NS6detail17trampoline_kernelINS0_14default_configENS1_38merge_sort_block_merge_config_selectorIiNS0_10empty_typeEEEZZNS1_27merge_sort_block_merge_implIS3_N6thrust23THRUST_200600_302600_NS6detail15normal_iteratorINS9_10device_ptrIiEEEEPS5_jNS1_19radix_merge_compareILb0ELb0EiNS0_19identity_decomposerEEEEE10hipError_tT0_T1_T2_jT3_P12ihipStream_tbPNSt15iterator_traitsISK_E10value_typeEPNSQ_ISL_E10value_typeEPSM_NS1_7vsmem_tEENKUlT_SK_SL_SM_E_clIPiSE_SF_SF_EESJ_SZ_SK_SL_SM_EUlSZ_E0_NS1_11comp_targetILNS1_3genE4ELNS1_11target_archE910ELNS1_3gpuE8ELNS1_3repE0EEENS1_38merge_mergepath_config_static_selectorELNS0_4arch9wavefront6targetE1EEEvSL_.has_recursion, 0
	.set _ZN7rocprim17ROCPRIM_400000_NS6detail17trampoline_kernelINS0_14default_configENS1_38merge_sort_block_merge_config_selectorIiNS0_10empty_typeEEEZZNS1_27merge_sort_block_merge_implIS3_N6thrust23THRUST_200600_302600_NS6detail15normal_iteratorINS9_10device_ptrIiEEEEPS5_jNS1_19radix_merge_compareILb0ELb0EiNS0_19identity_decomposerEEEEE10hipError_tT0_T1_T2_jT3_P12ihipStream_tbPNSt15iterator_traitsISK_E10value_typeEPNSQ_ISL_E10value_typeEPSM_NS1_7vsmem_tEENKUlT_SK_SL_SM_E_clIPiSE_SF_SF_EESJ_SZ_SK_SL_SM_EUlSZ_E0_NS1_11comp_targetILNS1_3genE4ELNS1_11target_archE910ELNS1_3gpuE8ELNS1_3repE0EEENS1_38merge_mergepath_config_static_selectorELNS0_4arch9wavefront6targetE1EEEvSL_.has_indirect_call, 0
	.section	.AMDGPU.csdata,"",@progbits
; Kernel info:
; codeLenInByte = 0
; TotalNumSgprs: 6
; NumVgprs: 0
; NumAgprs: 0
; TotalNumVgprs: 0
; ScratchSize: 0
; MemoryBound: 0
; FloatMode: 240
; IeeeMode: 1
; LDSByteSize: 0 bytes/workgroup (compile time only)
; SGPRBlocks: 0
; VGPRBlocks: 0
; NumSGPRsForWavesPerEU: 6
; NumVGPRsForWavesPerEU: 1
; AccumOffset: 4
; Occupancy: 8
; WaveLimiterHint : 0
; COMPUTE_PGM_RSRC2:SCRATCH_EN: 0
; COMPUTE_PGM_RSRC2:USER_SGPR: 2
; COMPUTE_PGM_RSRC2:TRAP_HANDLER: 0
; COMPUTE_PGM_RSRC2:TGID_X_EN: 1
; COMPUTE_PGM_RSRC2:TGID_Y_EN: 0
; COMPUTE_PGM_RSRC2:TGID_Z_EN: 0
; COMPUTE_PGM_RSRC2:TIDIG_COMP_CNT: 0
; COMPUTE_PGM_RSRC3_GFX90A:ACCUM_OFFSET: 0
; COMPUTE_PGM_RSRC3_GFX90A:TG_SPLIT: 0
	.section	.text._ZN7rocprim17ROCPRIM_400000_NS6detail17trampoline_kernelINS0_14default_configENS1_38merge_sort_block_merge_config_selectorIiNS0_10empty_typeEEEZZNS1_27merge_sort_block_merge_implIS3_N6thrust23THRUST_200600_302600_NS6detail15normal_iteratorINS9_10device_ptrIiEEEEPS5_jNS1_19radix_merge_compareILb0ELb0EiNS0_19identity_decomposerEEEEE10hipError_tT0_T1_T2_jT3_P12ihipStream_tbPNSt15iterator_traitsISK_E10value_typeEPNSQ_ISL_E10value_typeEPSM_NS1_7vsmem_tEENKUlT_SK_SL_SM_E_clIPiSE_SF_SF_EESJ_SZ_SK_SL_SM_EUlSZ_E0_NS1_11comp_targetILNS1_3genE3ELNS1_11target_archE908ELNS1_3gpuE7ELNS1_3repE0EEENS1_38merge_mergepath_config_static_selectorELNS0_4arch9wavefront6targetE1EEEvSL_,"axG",@progbits,_ZN7rocprim17ROCPRIM_400000_NS6detail17trampoline_kernelINS0_14default_configENS1_38merge_sort_block_merge_config_selectorIiNS0_10empty_typeEEEZZNS1_27merge_sort_block_merge_implIS3_N6thrust23THRUST_200600_302600_NS6detail15normal_iteratorINS9_10device_ptrIiEEEEPS5_jNS1_19radix_merge_compareILb0ELb0EiNS0_19identity_decomposerEEEEE10hipError_tT0_T1_T2_jT3_P12ihipStream_tbPNSt15iterator_traitsISK_E10value_typeEPNSQ_ISL_E10value_typeEPSM_NS1_7vsmem_tEENKUlT_SK_SL_SM_E_clIPiSE_SF_SF_EESJ_SZ_SK_SL_SM_EUlSZ_E0_NS1_11comp_targetILNS1_3genE3ELNS1_11target_archE908ELNS1_3gpuE7ELNS1_3repE0EEENS1_38merge_mergepath_config_static_selectorELNS0_4arch9wavefront6targetE1EEEvSL_,comdat
	.protected	_ZN7rocprim17ROCPRIM_400000_NS6detail17trampoline_kernelINS0_14default_configENS1_38merge_sort_block_merge_config_selectorIiNS0_10empty_typeEEEZZNS1_27merge_sort_block_merge_implIS3_N6thrust23THRUST_200600_302600_NS6detail15normal_iteratorINS9_10device_ptrIiEEEEPS5_jNS1_19radix_merge_compareILb0ELb0EiNS0_19identity_decomposerEEEEE10hipError_tT0_T1_T2_jT3_P12ihipStream_tbPNSt15iterator_traitsISK_E10value_typeEPNSQ_ISL_E10value_typeEPSM_NS1_7vsmem_tEENKUlT_SK_SL_SM_E_clIPiSE_SF_SF_EESJ_SZ_SK_SL_SM_EUlSZ_E0_NS1_11comp_targetILNS1_3genE3ELNS1_11target_archE908ELNS1_3gpuE7ELNS1_3repE0EEENS1_38merge_mergepath_config_static_selectorELNS0_4arch9wavefront6targetE1EEEvSL_ ; -- Begin function _ZN7rocprim17ROCPRIM_400000_NS6detail17trampoline_kernelINS0_14default_configENS1_38merge_sort_block_merge_config_selectorIiNS0_10empty_typeEEEZZNS1_27merge_sort_block_merge_implIS3_N6thrust23THRUST_200600_302600_NS6detail15normal_iteratorINS9_10device_ptrIiEEEEPS5_jNS1_19radix_merge_compareILb0ELb0EiNS0_19identity_decomposerEEEEE10hipError_tT0_T1_T2_jT3_P12ihipStream_tbPNSt15iterator_traitsISK_E10value_typeEPNSQ_ISL_E10value_typeEPSM_NS1_7vsmem_tEENKUlT_SK_SL_SM_E_clIPiSE_SF_SF_EESJ_SZ_SK_SL_SM_EUlSZ_E0_NS1_11comp_targetILNS1_3genE3ELNS1_11target_archE908ELNS1_3gpuE7ELNS1_3repE0EEENS1_38merge_mergepath_config_static_selectorELNS0_4arch9wavefront6targetE1EEEvSL_
	.globl	_ZN7rocprim17ROCPRIM_400000_NS6detail17trampoline_kernelINS0_14default_configENS1_38merge_sort_block_merge_config_selectorIiNS0_10empty_typeEEEZZNS1_27merge_sort_block_merge_implIS3_N6thrust23THRUST_200600_302600_NS6detail15normal_iteratorINS9_10device_ptrIiEEEEPS5_jNS1_19radix_merge_compareILb0ELb0EiNS0_19identity_decomposerEEEEE10hipError_tT0_T1_T2_jT3_P12ihipStream_tbPNSt15iterator_traitsISK_E10value_typeEPNSQ_ISL_E10value_typeEPSM_NS1_7vsmem_tEENKUlT_SK_SL_SM_E_clIPiSE_SF_SF_EESJ_SZ_SK_SL_SM_EUlSZ_E0_NS1_11comp_targetILNS1_3genE3ELNS1_11target_archE908ELNS1_3gpuE7ELNS1_3repE0EEENS1_38merge_mergepath_config_static_selectorELNS0_4arch9wavefront6targetE1EEEvSL_
	.p2align	8
	.type	_ZN7rocprim17ROCPRIM_400000_NS6detail17trampoline_kernelINS0_14default_configENS1_38merge_sort_block_merge_config_selectorIiNS0_10empty_typeEEEZZNS1_27merge_sort_block_merge_implIS3_N6thrust23THRUST_200600_302600_NS6detail15normal_iteratorINS9_10device_ptrIiEEEEPS5_jNS1_19radix_merge_compareILb0ELb0EiNS0_19identity_decomposerEEEEE10hipError_tT0_T1_T2_jT3_P12ihipStream_tbPNSt15iterator_traitsISK_E10value_typeEPNSQ_ISL_E10value_typeEPSM_NS1_7vsmem_tEENKUlT_SK_SL_SM_E_clIPiSE_SF_SF_EESJ_SZ_SK_SL_SM_EUlSZ_E0_NS1_11comp_targetILNS1_3genE3ELNS1_11target_archE908ELNS1_3gpuE7ELNS1_3repE0EEENS1_38merge_mergepath_config_static_selectorELNS0_4arch9wavefront6targetE1EEEvSL_,@function
_ZN7rocprim17ROCPRIM_400000_NS6detail17trampoline_kernelINS0_14default_configENS1_38merge_sort_block_merge_config_selectorIiNS0_10empty_typeEEEZZNS1_27merge_sort_block_merge_implIS3_N6thrust23THRUST_200600_302600_NS6detail15normal_iteratorINS9_10device_ptrIiEEEEPS5_jNS1_19radix_merge_compareILb0ELb0EiNS0_19identity_decomposerEEEEE10hipError_tT0_T1_T2_jT3_P12ihipStream_tbPNSt15iterator_traitsISK_E10value_typeEPNSQ_ISL_E10value_typeEPSM_NS1_7vsmem_tEENKUlT_SK_SL_SM_E_clIPiSE_SF_SF_EESJ_SZ_SK_SL_SM_EUlSZ_E0_NS1_11comp_targetILNS1_3genE3ELNS1_11target_archE908ELNS1_3gpuE7ELNS1_3repE0EEENS1_38merge_mergepath_config_static_selectorELNS0_4arch9wavefront6targetE1EEEvSL_: ; @_ZN7rocprim17ROCPRIM_400000_NS6detail17trampoline_kernelINS0_14default_configENS1_38merge_sort_block_merge_config_selectorIiNS0_10empty_typeEEEZZNS1_27merge_sort_block_merge_implIS3_N6thrust23THRUST_200600_302600_NS6detail15normal_iteratorINS9_10device_ptrIiEEEEPS5_jNS1_19radix_merge_compareILb0ELb0EiNS0_19identity_decomposerEEEEE10hipError_tT0_T1_T2_jT3_P12ihipStream_tbPNSt15iterator_traitsISK_E10value_typeEPNSQ_ISL_E10value_typeEPSM_NS1_7vsmem_tEENKUlT_SK_SL_SM_E_clIPiSE_SF_SF_EESJ_SZ_SK_SL_SM_EUlSZ_E0_NS1_11comp_targetILNS1_3genE3ELNS1_11target_archE908ELNS1_3gpuE7ELNS1_3repE0EEENS1_38merge_mergepath_config_static_selectorELNS0_4arch9wavefront6targetE1EEEvSL_
; %bb.0:
	.section	.rodata,"a",@progbits
	.p2align	6, 0x0
	.amdhsa_kernel _ZN7rocprim17ROCPRIM_400000_NS6detail17trampoline_kernelINS0_14default_configENS1_38merge_sort_block_merge_config_selectorIiNS0_10empty_typeEEEZZNS1_27merge_sort_block_merge_implIS3_N6thrust23THRUST_200600_302600_NS6detail15normal_iteratorINS9_10device_ptrIiEEEEPS5_jNS1_19radix_merge_compareILb0ELb0EiNS0_19identity_decomposerEEEEE10hipError_tT0_T1_T2_jT3_P12ihipStream_tbPNSt15iterator_traitsISK_E10value_typeEPNSQ_ISL_E10value_typeEPSM_NS1_7vsmem_tEENKUlT_SK_SL_SM_E_clIPiSE_SF_SF_EESJ_SZ_SK_SL_SM_EUlSZ_E0_NS1_11comp_targetILNS1_3genE3ELNS1_11target_archE908ELNS1_3gpuE7ELNS1_3repE0EEENS1_38merge_mergepath_config_static_selectorELNS0_4arch9wavefront6targetE1EEEvSL_
		.amdhsa_group_segment_fixed_size 0
		.amdhsa_private_segment_fixed_size 0
		.amdhsa_kernarg_size 64
		.amdhsa_user_sgpr_count 2
		.amdhsa_user_sgpr_dispatch_ptr 0
		.amdhsa_user_sgpr_queue_ptr 0
		.amdhsa_user_sgpr_kernarg_segment_ptr 1
		.amdhsa_user_sgpr_dispatch_id 0
		.amdhsa_user_sgpr_kernarg_preload_length 0
		.amdhsa_user_sgpr_kernarg_preload_offset 0
		.amdhsa_user_sgpr_private_segment_size 0
		.amdhsa_uses_dynamic_stack 0
		.amdhsa_enable_private_segment 0
		.amdhsa_system_sgpr_workgroup_id_x 1
		.amdhsa_system_sgpr_workgroup_id_y 0
		.amdhsa_system_sgpr_workgroup_id_z 0
		.amdhsa_system_sgpr_workgroup_info 0
		.amdhsa_system_vgpr_workitem_id 0
		.amdhsa_next_free_vgpr 1
		.amdhsa_next_free_sgpr 0
		.amdhsa_accum_offset 4
		.amdhsa_reserve_vcc 0
		.amdhsa_float_round_mode_32 0
		.amdhsa_float_round_mode_16_64 0
		.amdhsa_float_denorm_mode_32 3
		.amdhsa_float_denorm_mode_16_64 3
		.amdhsa_dx10_clamp 1
		.amdhsa_ieee_mode 1
		.amdhsa_fp16_overflow 0
		.amdhsa_tg_split 0
		.amdhsa_exception_fp_ieee_invalid_op 0
		.amdhsa_exception_fp_denorm_src 0
		.amdhsa_exception_fp_ieee_div_zero 0
		.amdhsa_exception_fp_ieee_overflow 0
		.amdhsa_exception_fp_ieee_underflow 0
		.amdhsa_exception_fp_ieee_inexact 0
		.amdhsa_exception_int_div_zero 0
	.end_amdhsa_kernel
	.section	.text._ZN7rocprim17ROCPRIM_400000_NS6detail17trampoline_kernelINS0_14default_configENS1_38merge_sort_block_merge_config_selectorIiNS0_10empty_typeEEEZZNS1_27merge_sort_block_merge_implIS3_N6thrust23THRUST_200600_302600_NS6detail15normal_iteratorINS9_10device_ptrIiEEEEPS5_jNS1_19radix_merge_compareILb0ELb0EiNS0_19identity_decomposerEEEEE10hipError_tT0_T1_T2_jT3_P12ihipStream_tbPNSt15iterator_traitsISK_E10value_typeEPNSQ_ISL_E10value_typeEPSM_NS1_7vsmem_tEENKUlT_SK_SL_SM_E_clIPiSE_SF_SF_EESJ_SZ_SK_SL_SM_EUlSZ_E0_NS1_11comp_targetILNS1_3genE3ELNS1_11target_archE908ELNS1_3gpuE7ELNS1_3repE0EEENS1_38merge_mergepath_config_static_selectorELNS0_4arch9wavefront6targetE1EEEvSL_,"axG",@progbits,_ZN7rocprim17ROCPRIM_400000_NS6detail17trampoline_kernelINS0_14default_configENS1_38merge_sort_block_merge_config_selectorIiNS0_10empty_typeEEEZZNS1_27merge_sort_block_merge_implIS3_N6thrust23THRUST_200600_302600_NS6detail15normal_iteratorINS9_10device_ptrIiEEEEPS5_jNS1_19radix_merge_compareILb0ELb0EiNS0_19identity_decomposerEEEEE10hipError_tT0_T1_T2_jT3_P12ihipStream_tbPNSt15iterator_traitsISK_E10value_typeEPNSQ_ISL_E10value_typeEPSM_NS1_7vsmem_tEENKUlT_SK_SL_SM_E_clIPiSE_SF_SF_EESJ_SZ_SK_SL_SM_EUlSZ_E0_NS1_11comp_targetILNS1_3genE3ELNS1_11target_archE908ELNS1_3gpuE7ELNS1_3repE0EEENS1_38merge_mergepath_config_static_selectorELNS0_4arch9wavefront6targetE1EEEvSL_,comdat
.Lfunc_end31:
	.size	_ZN7rocprim17ROCPRIM_400000_NS6detail17trampoline_kernelINS0_14default_configENS1_38merge_sort_block_merge_config_selectorIiNS0_10empty_typeEEEZZNS1_27merge_sort_block_merge_implIS3_N6thrust23THRUST_200600_302600_NS6detail15normal_iteratorINS9_10device_ptrIiEEEEPS5_jNS1_19radix_merge_compareILb0ELb0EiNS0_19identity_decomposerEEEEE10hipError_tT0_T1_T2_jT3_P12ihipStream_tbPNSt15iterator_traitsISK_E10value_typeEPNSQ_ISL_E10value_typeEPSM_NS1_7vsmem_tEENKUlT_SK_SL_SM_E_clIPiSE_SF_SF_EESJ_SZ_SK_SL_SM_EUlSZ_E0_NS1_11comp_targetILNS1_3genE3ELNS1_11target_archE908ELNS1_3gpuE7ELNS1_3repE0EEENS1_38merge_mergepath_config_static_selectorELNS0_4arch9wavefront6targetE1EEEvSL_, .Lfunc_end31-_ZN7rocprim17ROCPRIM_400000_NS6detail17trampoline_kernelINS0_14default_configENS1_38merge_sort_block_merge_config_selectorIiNS0_10empty_typeEEEZZNS1_27merge_sort_block_merge_implIS3_N6thrust23THRUST_200600_302600_NS6detail15normal_iteratorINS9_10device_ptrIiEEEEPS5_jNS1_19radix_merge_compareILb0ELb0EiNS0_19identity_decomposerEEEEE10hipError_tT0_T1_T2_jT3_P12ihipStream_tbPNSt15iterator_traitsISK_E10value_typeEPNSQ_ISL_E10value_typeEPSM_NS1_7vsmem_tEENKUlT_SK_SL_SM_E_clIPiSE_SF_SF_EESJ_SZ_SK_SL_SM_EUlSZ_E0_NS1_11comp_targetILNS1_3genE3ELNS1_11target_archE908ELNS1_3gpuE7ELNS1_3repE0EEENS1_38merge_mergepath_config_static_selectorELNS0_4arch9wavefront6targetE1EEEvSL_
                                        ; -- End function
	.set _ZN7rocprim17ROCPRIM_400000_NS6detail17trampoline_kernelINS0_14default_configENS1_38merge_sort_block_merge_config_selectorIiNS0_10empty_typeEEEZZNS1_27merge_sort_block_merge_implIS3_N6thrust23THRUST_200600_302600_NS6detail15normal_iteratorINS9_10device_ptrIiEEEEPS5_jNS1_19radix_merge_compareILb0ELb0EiNS0_19identity_decomposerEEEEE10hipError_tT0_T1_T2_jT3_P12ihipStream_tbPNSt15iterator_traitsISK_E10value_typeEPNSQ_ISL_E10value_typeEPSM_NS1_7vsmem_tEENKUlT_SK_SL_SM_E_clIPiSE_SF_SF_EESJ_SZ_SK_SL_SM_EUlSZ_E0_NS1_11comp_targetILNS1_3genE3ELNS1_11target_archE908ELNS1_3gpuE7ELNS1_3repE0EEENS1_38merge_mergepath_config_static_selectorELNS0_4arch9wavefront6targetE1EEEvSL_.num_vgpr, 0
	.set _ZN7rocprim17ROCPRIM_400000_NS6detail17trampoline_kernelINS0_14default_configENS1_38merge_sort_block_merge_config_selectorIiNS0_10empty_typeEEEZZNS1_27merge_sort_block_merge_implIS3_N6thrust23THRUST_200600_302600_NS6detail15normal_iteratorINS9_10device_ptrIiEEEEPS5_jNS1_19radix_merge_compareILb0ELb0EiNS0_19identity_decomposerEEEEE10hipError_tT0_T1_T2_jT3_P12ihipStream_tbPNSt15iterator_traitsISK_E10value_typeEPNSQ_ISL_E10value_typeEPSM_NS1_7vsmem_tEENKUlT_SK_SL_SM_E_clIPiSE_SF_SF_EESJ_SZ_SK_SL_SM_EUlSZ_E0_NS1_11comp_targetILNS1_3genE3ELNS1_11target_archE908ELNS1_3gpuE7ELNS1_3repE0EEENS1_38merge_mergepath_config_static_selectorELNS0_4arch9wavefront6targetE1EEEvSL_.num_agpr, 0
	.set _ZN7rocprim17ROCPRIM_400000_NS6detail17trampoline_kernelINS0_14default_configENS1_38merge_sort_block_merge_config_selectorIiNS0_10empty_typeEEEZZNS1_27merge_sort_block_merge_implIS3_N6thrust23THRUST_200600_302600_NS6detail15normal_iteratorINS9_10device_ptrIiEEEEPS5_jNS1_19radix_merge_compareILb0ELb0EiNS0_19identity_decomposerEEEEE10hipError_tT0_T1_T2_jT3_P12ihipStream_tbPNSt15iterator_traitsISK_E10value_typeEPNSQ_ISL_E10value_typeEPSM_NS1_7vsmem_tEENKUlT_SK_SL_SM_E_clIPiSE_SF_SF_EESJ_SZ_SK_SL_SM_EUlSZ_E0_NS1_11comp_targetILNS1_3genE3ELNS1_11target_archE908ELNS1_3gpuE7ELNS1_3repE0EEENS1_38merge_mergepath_config_static_selectorELNS0_4arch9wavefront6targetE1EEEvSL_.numbered_sgpr, 0
	.set _ZN7rocprim17ROCPRIM_400000_NS6detail17trampoline_kernelINS0_14default_configENS1_38merge_sort_block_merge_config_selectorIiNS0_10empty_typeEEEZZNS1_27merge_sort_block_merge_implIS3_N6thrust23THRUST_200600_302600_NS6detail15normal_iteratorINS9_10device_ptrIiEEEEPS5_jNS1_19radix_merge_compareILb0ELb0EiNS0_19identity_decomposerEEEEE10hipError_tT0_T1_T2_jT3_P12ihipStream_tbPNSt15iterator_traitsISK_E10value_typeEPNSQ_ISL_E10value_typeEPSM_NS1_7vsmem_tEENKUlT_SK_SL_SM_E_clIPiSE_SF_SF_EESJ_SZ_SK_SL_SM_EUlSZ_E0_NS1_11comp_targetILNS1_3genE3ELNS1_11target_archE908ELNS1_3gpuE7ELNS1_3repE0EEENS1_38merge_mergepath_config_static_selectorELNS0_4arch9wavefront6targetE1EEEvSL_.num_named_barrier, 0
	.set _ZN7rocprim17ROCPRIM_400000_NS6detail17trampoline_kernelINS0_14default_configENS1_38merge_sort_block_merge_config_selectorIiNS0_10empty_typeEEEZZNS1_27merge_sort_block_merge_implIS3_N6thrust23THRUST_200600_302600_NS6detail15normal_iteratorINS9_10device_ptrIiEEEEPS5_jNS1_19radix_merge_compareILb0ELb0EiNS0_19identity_decomposerEEEEE10hipError_tT0_T1_T2_jT3_P12ihipStream_tbPNSt15iterator_traitsISK_E10value_typeEPNSQ_ISL_E10value_typeEPSM_NS1_7vsmem_tEENKUlT_SK_SL_SM_E_clIPiSE_SF_SF_EESJ_SZ_SK_SL_SM_EUlSZ_E0_NS1_11comp_targetILNS1_3genE3ELNS1_11target_archE908ELNS1_3gpuE7ELNS1_3repE0EEENS1_38merge_mergepath_config_static_selectorELNS0_4arch9wavefront6targetE1EEEvSL_.private_seg_size, 0
	.set _ZN7rocprim17ROCPRIM_400000_NS6detail17trampoline_kernelINS0_14default_configENS1_38merge_sort_block_merge_config_selectorIiNS0_10empty_typeEEEZZNS1_27merge_sort_block_merge_implIS3_N6thrust23THRUST_200600_302600_NS6detail15normal_iteratorINS9_10device_ptrIiEEEEPS5_jNS1_19radix_merge_compareILb0ELb0EiNS0_19identity_decomposerEEEEE10hipError_tT0_T1_T2_jT3_P12ihipStream_tbPNSt15iterator_traitsISK_E10value_typeEPNSQ_ISL_E10value_typeEPSM_NS1_7vsmem_tEENKUlT_SK_SL_SM_E_clIPiSE_SF_SF_EESJ_SZ_SK_SL_SM_EUlSZ_E0_NS1_11comp_targetILNS1_3genE3ELNS1_11target_archE908ELNS1_3gpuE7ELNS1_3repE0EEENS1_38merge_mergepath_config_static_selectorELNS0_4arch9wavefront6targetE1EEEvSL_.uses_vcc, 0
	.set _ZN7rocprim17ROCPRIM_400000_NS6detail17trampoline_kernelINS0_14default_configENS1_38merge_sort_block_merge_config_selectorIiNS0_10empty_typeEEEZZNS1_27merge_sort_block_merge_implIS3_N6thrust23THRUST_200600_302600_NS6detail15normal_iteratorINS9_10device_ptrIiEEEEPS5_jNS1_19radix_merge_compareILb0ELb0EiNS0_19identity_decomposerEEEEE10hipError_tT0_T1_T2_jT3_P12ihipStream_tbPNSt15iterator_traitsISK_E10value_typeEPNSQ_ISL_E10value_typeEPSM_NS1_7vsmem_tEENKUlT_SK_SL_SM_E_clIPiSE_SF_SF_EESJ_SZ_SK_SL_SM_EUlSZ_E0_NS1_11comp_targetILNS1_3genE3ELNS1_11target_archE908ELNS1_3gpuE7ELNS1_3repE0EEENS1_38merge_mergepath_config_static_selectorELNS0_4arch9wavefront6targetE1EEEvSL_.uses_flat_scratch, 0
	.set _ZN7rocprim17ROCPRIM_400000_NS6detail17trampoline_kernelINS0_14default_configENS1_38merge_sort_block_merge_config_selectorIiNS0_10empty_typeEEEZZNS1_27merge_sort_block_merge_implIS3_N6thrust23THRUST_200600_302600_NS6detail15normal_iteratorINS9_10device_ptrIiEEEEPS5_jNS1_19radix_merge_compareILb0ELb0EiNS0_19identity_decomposerEEEEE10hipError_tT0_T1_T2_jT3_P12ihipStream_tbPNSt15iterator_traitsISK_E10value_typeEPNSQ_ISL_E10value_typeEPSM_NS1_7vsmem_tEENKUlT_SK_SL_SM_E_clIPiSE_SF_SF_EESJ_SZ_SK_SL_SM_EUlSZ_E0_NS1_11comp_targetILNS1_3genE3ELNS1_11target_archE908ELNS1_3gpuE7ELNS1_3repE0EEENS1_38merge_mergepath_config_static_selectorELNS0_4arch9wavefront6targetE1EEEvSL_.has_dyn_sized_stack, 0
	.set _ZN7rocprim17ROCPRIM_400000_NS6detail17trampoline_kernelINS0_14default_configENS1_38merge_sort_block_merge_config_selectorIiNS0_10empty_typeEEEZZNS1_27merge_sort_block_merge_implIS3_N6thrust23THRUST_200600_302600_NS6detail15normal_iteratorINS9_10device_ptrIiEEEEPS5_jNS1_19radix_merge_compareILb0ELb0EiNS0_19identity_decomposerEEEEE10hipError_tT0_T1_T2_jT3_P12ihipStream_tbPNSt15iterator_traitsISK_E10value_typeEPNSQ_ISL_E10value_typeEPSM_NS1_7vsmem_tEENKUlT_SK_SL_SM_E_clIPiSE_SF_SF_EESJ_SZ_SK_SL_SM_EUlSZ_E0_NS1_11comp_targetILNS1_3genE3ELNS1_11target_archE908ELNS1_3gpuE7ELNS1_3repE0EEENS1_38merge_mergepath_config_static_selectorELNS0_4arch9wavefront6targetE1EEEvSL_.has_recursion, 0
	.set _ZN7rocprim17ROCPRIM_400000_NS6detail17trampoline_kernelINS0_14default_configENS1_38merge_sort_block_merge_config_selectorIiNS0_10empty_typeEEEZZNS1_27merge_sort_block_merge_implIS3_N6thrust23THRUST_200600_302600_NS6detail15normal_iteratorINS9_10device_ptrIiEEEEPS5_jNS1_19radix_merge_compareILb0ELb0EiNS0_19identity_decomposerEEEEE10hipError_tT0_T1_T2_jT3_P12ihipStream_tbPNSt15iterator_traitsISK_E10value_typeEPNSQ_ISL_E10value_typeEPSM_NS1_7vsmem_tEENKUlT_SK_SL_SM_E_clIPiSE_SF_SF_EESJ_SZ_SK_SL_SM_EUlSZ_E0_NS1_11comp_targetILNS1_3genE3ELNS1_11target_archE908ELNS1_3gpuE7ELNS1_3repE0EEENS1_38merge_mergepath_config_static_selectorELNS0_4arch9wavefront6targetE1EEEvSL_.has_indirect_call, 0
	.section	.AMDGPU.csdata,"",@progbits
; Kernel info:
; codeLenInByte = 0
; TotalNumSgprs: 6
; NumVgprs: 0
; NumAgprs: 0
; TotalNumVgprs: 0
; ScratchSize: 0
; MemoryBound: 0
; FloatMode: 240
; IeeeMode: 1
; LDSByteSize: 0 bytes/workgroup (compile time only)
; SGPRBlocks: 0
; VGPRBlocks: 0
; NumSGPRsForWavesPerEU: 6
; NumVGPRsForWavesPerEU: 1
; AccumOffset: 4
; Occupancy: 8
; WaveLimiterHint : 0
; COMPUTE_PGM_RSRC2:SCRATCH_EN: 0
; COMPUTE_PGM_RSRC2:USER_SGPR: 2
; COMPUTE_PGM_RSRC2:TRAP_HANDLER: 0
; COMPUTE_PGM_RSRC2:TGID_X_EN: 1
; COMPUTE_PGM_RSRC2:TGID_Y_EN: 0
; COMPUTE_PGM_RSRC2:TGID_Z_EN: 0
; COMPUTE_PGM_RSRC2:TIDIG_COMP_CNT: 0
; COMPUTE_PGM_RSRC3_GFX90A:ACCUM_OFFSET: 0
; COMPUTE_PGM_RSRC3_GFX90A:TG_SPLIT: 0
	.section	.text._ZN7rocprim17ROCPRIM_400000_NS6detail17trampoline_kernelINS0_14default_configENS1_38merge_sort_block_merge_config_selectorIiNS0_10empty_typeEEEZZNS1_27merge_sort_block_merge_implIS3_N6thrust23THRUST_200600_302600_NS6detail15normal_iteratorINS9_10device_ptrIiEEEEPS5_jNS1_19radix_merge_compareILb0ELb0EiNS0_19identity_decomposerEEEEE10hipError_tT0_T1_T2_jT3_P12ihipStream_tbPNSt15iterator_traitsISK_E10value_typeEPNSQ_ISL_E10value_typeEPSM_NS1_7vsmem_tEENKUlT_SK_SL_SM_E_clIPiSE_SF_SF_EESJ_SZ_SK_SL_SM_EUlSZ_E0_NS1_11comp_targetILNS1_3genE2ELNS1_11target_archE906ELNS1_3gpuE6ELNS1_3repE0EEENS1_38merge_mergepath_config_static_selectorELNS0_4arch9wavefront6targetE1EEEvSL_,"axG",@progbits,_ZN7rocprim17ROCPRIM_400000_NS6detail17trampoline_kernelINS0_14default_configENS1_38merge_sort_block_merge_config_selectorIiNS0_10empty_typeEEEZZNS1_27merge_sort_block_merge_implIS3_N6thrust23THRUST_200600_302600_NS6detail15normal_iteratorINS9_10device_ptrIiEEEEPS5_jNS1_19radix_merge_compareILb0ELb0EiNS0_19identity_decomposerEEEEE10hipError_tT0_T1_T2_jT3_P12ihipStream_tbPNSt15iterator_traitsISK_E10value_typeEPNSQ_ISL_E10value_typeEPSM_NS1_7vsmem_tEENKUlT_SK_SL_SM_E_clIPiSE_SF_SF_EESJ_SZ_SK_SL_SM_EUlSZ_E0_NS1_11comp_targetILNS1_3genE2ELNS1_11target_archE906ELNS1_3gpuE6ELNS1_3repE0EEENS1_38merge_mergepath_config_static_selectorELNS0_4arch9wavefront6targetE1EEEvSL_,comdat
	.protected	_ZN7rocprim17ROCPRIM_400000_NS6detail17trampoline_kernelINS0_14default_configENS1_38merge_sort_block_merge_config_selectorIiNS0_10empty_typeEEEZZNS1_27merge_sort_block_merge_implIS3_N6thrust23THRUST_200600_302600_NS6detail15normal_iteratorINS9_10device_ptrIiEEEEPS5_jNS1_19radix_merge_compareILb0ELb0EiNS0_19identity_decomposerEEEEE10hipError_tT0_T1_T2_jT3_P12ihipStream_tbPNSt15iterator_traitsISK_E10value_typeEPNSQ_ISL_E10value_typeEPSM_NS1_7vsmem_tEENKUlT_SK_SL_SM_E_clIPiSE_SF_SF_EESJ_SZ_SK_SL_SM_EUlSZ_E0_NS1_11comp_targetILNS1_3genE2ELNS1_11target_archE906ELNS1_3gpuE6ELNS1_3repE0EEENS1_38merge_mergepath_config_static_selectorELNS0_4arch9wavefront6targetE1EEEvSL_ ; -- Begin function _ZN7rocprim17ROCPRIM_400000_NS6detail17trampoline_kernelINS0_14default_configENS1_38merge_sort_block_merge_config_selectorIiNS0_10empty_typeEEEZZNS1_27merge_sort_block_merge_implIS3_N6thrust23THRUST_200600_302600_NS6detail15normal_iteratorINS9_10device_ptrIiEEEEPS5_jNS1_19radix_merge_compareILb0ELb0EiNS0_19identity_decomposerEEEEE10hipError_tT0_T1_T2_jT3_P12ihipStream_tbPNSt15iterator_traitsISK_E10value_typeEPNSQ_ISL_E10value_typeEPSM_NS1_7vsmem_tEENKUlT_SK_SL_SM_E_clIPiSE_SF_SF_EESJ_SZ_SK_SL_SM_EUlSZ_E0_NS1_11comp_targetILNS1_3genE2ELNS1_11target_archE906ELNS1_3gpuE6ELNS1_3repE0EEENS1_38merge_mergepath_config_static_selectorELNS0_4arch9wavefront6targetE1EEEvSL_
	.globl	_ZN7rocprim17ROCPRIM_400000_NS6detail17trampoline_kernelINS0_14default_configENS1_38merge_sort_block_merge_config_selectorIiNS0_10empty_typeEEEZZNS1_27merge_sort_block_merge_implIS3_N6thrust23THRUST_200600_302600_NS6detail15normal_iteratorINS9_10device_ptrIiEEEEPS5_jNS1_19radix_merge_compareILb0ELb0EiNS0_19identity_decomposerEEEEE10hipError_tT0_T1_T2_jT3_P12ihipStream_tbPNSt15iterator_traitsISK_E10value_typeEPNSQ_ISL_E10value_typeEPSM_NS1_7vsmem_tEENKUlT_SK_SL_SM_E_clIPiSE_SF_SF_EESJ_SZ_SK_SL_SM_EUlSZ_E0_NS1_11comp_targetILNS1_3genE2ELNS1_11target_archE906ELNS1_3gpuE6ELNS1_3repE0EEENS1_38merge_mergepath_config_static_selectorELNS0_4arch9wavefront6targetE1EEEvSL_
	.p2align	8
	.type	_ZN7rocprim17ROCPRIM_400000_NS6detail17trampoline_kernelINS0_14default_configENS1_38merge_sort_block_merge_config_selectorIiNS0_10empty_typeEEEZZNS1_27merge_sort_block_merge_implIS3_N6thrust23THRUST_200600_302600_NS6detail15normal_iteratorINS9_10device_ptrIiEEEEPS5_jNS1_19radix_merge_compareILb0ELb0EiNS0_19identity_decomposerEEEEE10hipError_tT0_T1_T2_jT3_P12ihipStream_tbPNSt15iterator_traitsISK_E10value_typeEPNSQ_ISL_E10value_typeEPSM_NS1_7vsmem_tEENKUlT_SK_SL_SM_E_clIPiSE_SF_SF_EESJ_SZ_SK_SL_SM_EUlSZ_E0_NS1_11comp_targetILNS1_3genE2ELNS1_11target_archE906ELNS1_3gpuE6ELNS1_3repE0EEENS1_38merge_mergepath_config_static_selectorELNS0_4arch9wavefront6targetE1EEEvSL_,@function
_ZN7rocprim17ROCPRIM_400000_NS6detail17trampoline_kernelINS0_14default_configENS1_38merge_sort_block_merge_config_selectorIiNS0_10empty_typeEEEZZNS1_27merge_sort_block_merge_implIS3_N6thrust23THRUST_200600_302600_NS6detail15normal_iteratorINS9_10device_ptrIiEEEEPS5_jNS1_19radix_merge_compareILb0ELb0EiNS0_19identity_decomposerEEEEE10hipError_tT0_T1_T2_jT3_P12ihipStream_tbPNSt15iterator_traitsISK_E10value_typeEPNSQ_ISL_E10value_typeEPSM_NS1_7vsmem_tEENKUlT_SK_SL_SM_E_clIPiSE_SF_SF_EESJ_SZ_SK_SL_SM_EUlSZ_E0_NS1_11comp_targetILNS1_3genE2ELNS1_11target_archE906ELNS1_3gpuE6ELNS1_3repE0EEENS1_38merge_mergepath_config_static_selectorELNS0_4arch9wavefront6targetE1EEEvSL_: ; @_ZN7rocprim17ROCPRIM_400000_NS6detail17trampoline_kernelINS0_14default_configENS1_38merge_sort_block_merge_config_selectorIiNS0_10empty_typeEEEZZNS1_27merge_sort_block_merge_implIS3_N6thrust23THRUST_200600_302600_NS6detail15normal_iteratorINS9_10device_ptrIiEEEEPS5_jNS1_19radix_merge_compareILb0ELb0EiNS0_19identity_decomposerEEEEE10hipError_tT0_T1_T2_jT3_P12ihipStream_tbPNSt15iterator_traitsISK_E10value_typeEPNSQ_ISL_E10value_typeEPSM_NS1_7vsmem_tEENKUlT_SK_SL_SM_E_clIPiSE_SF_SF_EESJ_SZ_SK_SL_SM_EUlSZ_E0_NS1_11comp_targetILNS1_3genE2ELNS1_11target_archE906ELNS1_3gpuE6ELNS1_3repE0EEENS1_38merge_mergepath_config_static_selectorELNS0_4arch9wavefront6targetE1EEEvSL_
; %bb.0:
	.section	.rodata,"a",@progbits
	.p2align	6, 0x0
	.amdhsa_kernel _ZN7rocprim17ROCPRIM_400000_NS6detail17trampoline_kernelINS0_14default_configENS1_38merge_sort_block_merge_config_selectorIiNS0_10empty_typeEEEZZNS1_27merge_sort_block_merge_implIS3_N6thrust23THRUST_200600_302600_NS6detail15normal_iteratorINS9_10device_ptrIiEEEEPS5_jNS1_19radix_merge_compareILb0ELb0EiNS0_19identity_decomposerEEEEE10hipError_tT0_T1_T2_jT3_P12ihipStream_tbPNSt15iterator_traitsISK_E10value_typeEPNSQ_ISL_E10value_typeEPSM_NS1_7vsmem_tEENKUlT_SK_SL_SM_E_clIPiSE_SF_SF_EESJ_SZ_SK_SL_SM_EUlSZ_E0_NS1_11comp_targetILNS1_3genE2ELNS1_11target_archE906ELNS1_3gpuE6ELNS1_3repE0EEENS1_38merge_mergepath_config_static_selectorELNS0_4arch9wavefront6targetE1EEEvSL_
		.amdhsa_group_segment_fixed_size 0
		.amdhsa_private_segment_fixed_size 0
		.amdhsa_kernarg_size 64
		.amdhsa_user_sgpr_count 2
		.amdhsa_user_sgpr_dispatch_ptr 0
		.amdhsa_user_sgpr_queue_ptr 0
		.amdhsa_user_sgpr_kernarg_segment_ptr 1
		.amdhsa_user_sgpr_dispatch_id 0
		.amdhsa_user_sgpr_kernarg_preload_length 0
		.amdhsa_user_sgpr_kernarg_preload_offset 0
		.amdhsa_user_sgpr_private_segment_size 0
		.amdhsa_uses_dynamic_stack 0
		.amdhsa_enable_private_segment 0
		.amdhsa_system_sgpr_workgroup_id_x 1
		.amdhsa_system_sgpr_workgroup_id_y 0
		.amdhsa_system_sgpr_workgroup_id_z 0
		.amdhsa_system_sgpr_workgroup_info 0
		.amdhsa_system_vgpr_workitem_id 0
		.amdhsa_next_free_vgpr 1
		.amdhsa_next_free_sgpr 0
		.amdhsa_accum_offset 4
		.amdhsa_reserve_vcc 0
		.amdhsa_float_round_mode_32 0
		.amdhsa_float_round_mode_16_64 0
		.amdhsa_float_denorm_mode_32 3
		.amdhsa_float_denorm_mode_16_64 3
		.amdhsa_dx10_clamp 1
		.amdhsa_ieee_mode 1
		.amdhsa_fp16_overflow 0
		.amdhsa_tg_split 0
		.amdhsa_exception_fp_ieee_invalid_op 0
		.amdhsa_exception_fp_denorm_src 0
		.amdhsa_exception_fp_ieee_div_zero 0
		.amdhsa_exception_fp_ieee_overflow 0
		.amdhsa_exception_fp_ieee_underflow 0
		.amdhsa_exception_fp_ieee_inexact 0
		.amdhsa_exception_int_div_zero 0
	.end_amdhsa_kernel
	.section	.text._ZN7rocprim17ROCPRIM_400000_NS6detail17trampoline_kernelINS0_14default_configENS1_38merge_sort_block_merge_config_selectorIiNS0_10empty_typeEEEZZNS1_27merge_sort_block_merge_implIS3_N6thrust23THRUST_200600_302600_NS6detail15normal_iteratorINS9_10device_ptrIiEEEEPS5_jNS1_19radix_merge_compareILb0ELb0EiNS0_19identity_decomposerEEEEE10hipError_tT0_T1_T2_jT3_P12ihipStream_tbPNSt15iterator_traitsISK_E10value_typeEPNSQ_ISL_E10value_typeEPSM_NS1_7vsmem_tEENKUlT_SK_SL_SM_E_clIPiSE_SF_SF_EESJ_SZ_SK_SL_SM_EUlSZ_E0_NS1_11comp_targetILNS1_3genE2ELNS1_11target_archE906ELNS1_3gpuE6ELNS1_3repE0EEENS1_38merge_mergepath_config_static_selectorELNS0_4arch9wavefront6targetE1EEEvSL_,"axG",@progbits,_ZN7rocprim17ROCPRIM_400000_NS6detail17trampoline_kernelINS0_14default_configENS1_38merge_sort_block_merge_config_selectorIiNS0_10empty_typeEEEZZNS1_27merge_sort_block_merge_implIS3_N6thrust23THRUST_200600_302600_NS6detail15normal_iteratorINS9_10device_ptrIiEEEEPS5_jNS1_19radix_merge_compareILb0ELb0EiNS0_19identity_decomposerEEEEE10hipError_tT0_T1_T2_jT3_P12ihipStream_tbPNSt15iterator_traitsISK_E10value_typeEPNSQ_ISL_E10value_typeEPSM_NS1_7vsmem_tEENKUlT_SK_SL_SM_E_clIPiSE_SF_SF_EESJ_SZ_SK_SL_SM_EUlSZ_E0_NS1_11comp_targetILNS1_3genE2ELNS1_11target_archE906ELNS1_3gpuE6ELNS1_3repE0EEENS1_38merge_mergepath_config_static_selectorELNS0_4arch9wavefront6targetE1EEEvSL_,comdat
.Lfunc_end32:
	.size	_ZN7rocprim17ROCPRIM_400000_NS6detail17trampoline_kernelINS0_14default_configENS1_38merge_sort_block_merge_config_selectorIiNS0_10empty_typeEEEZZNS1_27merge_sort_block_merge_implIS3_N6thrust23THRUST_200600_302600_NS6detail15normal_iteratorINS9_10device_ptrIiEEEEPS5_jNS1_19radix_merge_compareILb0ELb0EiNS0_19identity_decomposerEEEEE10hipError_tT0_T1_T2_jT3_P12ihipStream_tbPNSt15iterator_traitsISK_E10value_typeEPNSQ_ISL_E10value_typeEPSM_NS1_7vsmem_tEENKUlT_SK_SL_SM_E_clIPiSE_SF_SF_EESJ_SZ_SK_SL_SM_EUlSZ_E0_NS1_11comp_targetILNS1_3genE2ELNS1_11target_archE906ELNS1_3gpuE6ELNS1_3repE0EEENS1_38merge_mergepath_config_static_selectorELNS0_4arch9wavefront6targetE1EEEvSL_, .Lfunc_end32-_ZN7rocprim17ROCPRIM_400000_NS6detail17trampoline_kernelINS0_14default_configENS1_38merge_sort_block_merge_config_selectorIiNS0_10empty_typeEEEZZNS1_27merge_sort_block_merge_implIS3_N6thrust23THRUST_200600_302600_NS6detail15normal_iteratorINS9_10device_ptrIiEEEEPS5_jNS1_19radix_merge_compareILb0ELb0EiNS0_19identity_decomposerEEEEE10hipError_tT0_T1_T2_jT3_P12ihipStream_tbPNSt15iterator_traitsISK_E10value_typeEPNSQ_ISL_E10value_typeEPSM_NS1_7vsmem_tEENKUlT_SK_SL_SM_E_clIPiSE_SF_SF_EESJ_SZ_SK_SL_SM_EUlSZ_E0_NS1_11comp_targetILNS1_3genE2ELNS1_11target_archE906ELNS1_3gpuE6ELNS1_3repE0EEENS1_38merge_mergepath_config_static_selectorELNS0_4arch9wavefront6targetE1EEEvSL_
                                        ; -- End function
	.set _ZN7rocprim17ROCPRIM_400000_NS6detail17trampoline_kernelINS0_14default_configENS1_38merge_sort_block_merge_config_selectorIiNS0_10empty_typeEEEZZNS1_27merge_sort_block_merge_implIS3_N6thrust23THRUST_200600_302600_NS6detail15normal_iteratorINS9_10device_ptrIiEEEEPS5_jNS1_19radix_merge_compareILb0ELb0EiNS0_19identity_decomposerEEEEE10hipError_tT0_T1_T2_jT3_P12ihipStream_tbPNSt15iterator_traitsISK_E10value_typeEPNSQ_ISL_E10value_typeEPSM_NS1_7vsmem_tEENKUlT_SK_SL_SM_E_clIPiSE_SF_SF_EESJ_SZ_SK_SL_SM_EUlSZ_E0_NS1_11comp_targetILNS1_3genE2ELNS1_11target_archE906ELNS1_3gpuE6ELNS1_3repE0EEENS1_38merge_mergepath_config_static_selectorELNS0_4arch9wavefront6targetE1EEEvSL_.num_vgpr, 0
	.set _ZN7rocprim17ROCPRIM_400000_NS6detail17trampoline_kernelINS0_14default_configENS1_38merge_sort_block_merge_config_selectorIiNS0_10empty_typeEEEZZNS1_27merge_sort_block_merge_implIS3_N6thrust23THRUST_200600_302600_NS6detail15normal_iteratorINS9_10device_ptrIiEEEEPS5_jNS1_19radix_merge_compareILb0ELb0EiNS0_19identity_decomposerEEEEE10hipError_tT0_T1_T2_jT3_P12ihipStream_tbPNSt15iterator_traitsISK_E10value_typeEPNSQ_ISL_E10value_typeEPSM_NS1_7vsmem_tEENKUlT_SK_SL_SM_E_clIPiSE_SF_SF_EESJ_SZ_SK_SL_SM_EUlSZ_E0_NS1_11comp_targetILNS1_3genE2ELNS1_11target_archE906ELNS1_3gpuE6ELNS1_3repE0EEENS1_38merge_mergepath_config_static_selectorELNS0_4arch9wavefront6targetE1EEEvSL_.num_agpr, 0
	.set _ZN7rocprim17ROCPRIM_400000_NS6detail17trampoline_kernelINS0_14default_configENS1_38merge_sort_block_merge_config_selectorIiNS0_10empty_typeEEEZZNS1_27merge_sort_block_merge_implIS3_N6thrust23THRUST_200600_302600_NS6detail15normal_iteratorINS9_10device_ptrIiEEEEPS5_jNS1_19radix_merge_compareILb0ELb0EiNS0_19identity_decomposerEEEEE10hipError_tT0_T1_T2_jT3_P12ihipStream_tbPNSt15iterator_traitsISK_E10value_typeEPNSQ_ISL_E10value_typeEPSM_NS1_7vsmem_tEENKUlT_SK_SL_SM_E_clIPiSE_SF_SF_EESJ_SZ_SK_SL_SM_EUlSZ_E0_NS1_11comp_targetILNS1_3genE2ELNS1_11target_archE906ELNS1_3gpuE6ELNS1_3repE0EEENS1_38merge_mergepath_config_static_selectorELNS0_4arch9wavefront6targetE1EEEvSL_.numbered_sgpr, 0
	.set _ZN7rocprim17ROCPRIM_400000_NS6detail17trampoline_kernelINS0_14default_configENS1_38merge_sort_block_merge_config_selectorIiNS0_10empty_typeEEEZZNS1_27merge_sort_block_merge_implIS3_N6thrust23THRUST_200600_302600_NS6detail15normal_iteratorINS9_10device_ptrIiEEEEPS5_jNS1_19radix_merge_compareILb0ELb0EiNS0_19identity_decomposerEEEEE10hipError_tT0_T1_T2_jT3_P12ihipStream_tbPNSt15iterator_traitsISK_E10value_typeEPNSQ_ISL_E10value_typeEPSM_NS1_7vsmem_tEENKUlT_SK_SL_SM_E_clIPiSE_SF_SF_EESJ_SZ_SK_SL_SM_EUlSZ_E0_NS1_11comp_targetILNS1_3genE2ELNS1_11target_archE906ELNS1_3gpuE6ELNS1_3repE0EEENS1_38merge_mergepath_config_static_selectorELNS0_4arch9wavefront6targetE1EEEvSL_.num_named_barrier, 0
	.set _ZN7rocprim17ROCPRIM_400000_NS6detail17trampoline_kernelINS0_14default_configENS1_38merge_sort_block_merge_config_selectorIiNS0_10empty_typeEEEZZNS1_27merge_sort_block_merge_implIS3_N6thrust23THRUST_200600_302600_NS6detail15normal_iteratorINS9_10device_ptrIiEEEEPS5_jNS1_19radix_merge_compareILb0ELb0EiNS0_19identity_decomposerEEEEE10hipError_tT0_T1_T2_jT3_P12ihipStream_tbPNSt15iterator_traitsISK_E10value_typeEPNSQ_ISL_E10value_typeEPSM_NS1_7vsmem_tEENKUlT_SK_SL_SM_E_clIPiSE_SF_SF_EESJ_SZ_SK_SL_SM_EUlSZ_E0_NS1_11comp_targetILNS1_3genE2ELNS1_11target_archE906ELNS1_3gpuE6ELNS1_3repE0EEENS1_38merge_mergepath_config_static_selectorELNS0_4arch9wavefront6targetE1EEEvSL_.private_seg_size, 0
	.set _ZN7rocprim17ROCPRIM_400000_NS6detail17trampoline_kernelINS0_14default_configENS1_38merge_sort_block_merge_config_selectorIiNS0_10empty_typeEEEZZNS1_27merge_sort_block_merge_implIS3_N6thrust23THRUST_200600_302600_NS6detail15normal_iteratorINS9_10device_ptrIiEEEEPS5_jNS1_19radix_merge_compareILb0ELb0EiNS0_19identity_decomposerEEEEE10hipError_tT0_T1_T2_jT3_P12ihipStream_tbPNSt15iterator_traitsISK_E10value_typeEPNSQ_ISL_E10value_typeEPSM_NS1_7vsmem_tEENKUlT_SK_SL_SM_E_clIPiSE_SF_SF_EESJ_SZ_SK_SL_SM_EUlSZ_E0_NS1_11comp_targetILNS1_3genE2ELNS1_11target_archE906ELNS1_3gpuE6ELNS1_3repE0EEENS1_38merge_mergepath_config_static_selectorELNS0_4arch9wavefront6targetE1EEEvSL_.uses_vcc, 0
	.set _ZN7rocprim17ROCPRIM_400000_NS6detail17trampoline_kernelINS0_14default_configENS1_38merge_sort_block_merge_config_selectorIiNS0_10empty_typeEEEZZNS1_27merge_sort_block_merge_implIS3_N6thrust23THRUST_200600_302600_NS6detail15normal_iteratorINS9_10device_ptrIiEEEEPS5_jNS1_19radix_merge_compareILb0ELb0EiNS0_19identity_decomposerEEEEE10hipError_tT0_T1_T2_jT3_P12ihipStream_tbPNSt15iterator_traitsISK_E10value_typeEPNSQ_ISL_E10value_typeEPSM_NS1_7vsmem_tEENKUlT_SK_SL_SM_E_clIPiSE_SF_SF_EESJ_SZ_SK_SL_SM_EUlSZ_E0_NS1_11comp_targetILNS1_3genE2ELNS1_11target_archE906ELNS1_3gpuE6ELNS1_3repE0EEENS1_38merge_mergepath_config_static_selectorELNS0_4arch9wavefront6targetE1EEEvSL_.uses_flat_scratch, 0
	.set _ZN7rocprim17ROCPRIM_400000_NS6detail17trampoline_kernelINS0_14default_configENS1_38merge_sort_block_merge_config_selectorIiNS0_10empty_typeEEEZZNS1_27merge_sort_block_merge_implIS3_N6thrust23THRUST_200600_302600_NS6detail15normal_iteratorINS9_10device_ptrIiEEEEPS5_jNS1_19radix_merge_compareILb0ELb0EiNS0_19identity_decomposerEEEEE10hipError_tT0_T1_T2_jT3_P12ihipStream_tbPNSt15iterator_traitsISK_E10value_typeEPNSQ_ISL_E10value_typeEPSM_NS1_7vsmem_tEENKUlT_SK_SL_SM_E_clIPiSE_SF_SF_EESJ_SZ_SK_SL_SM_EUlSZ_E0_NS1_11comp_targetILNS1_3genE2ELNS1_11target_archE906ELNS1_3gpuE6ELNS1_3repE0EEENS1_38merge_mergepath_config_static_selectorELNS0_4arch9wavefront6targetE1EEEvSL_.has_dyn_sized_stack, 0
	.set _ZN7rocprim17ROCPRIM_400000_NS6detail17trampoline_kernelINS0_14default_configENS1_38merge_sort_block_merge_config_selectorIiNS0_10empty_typeEEEZZNS1_27merge_sort_block_merge_implIS3_N6thrust23THRUST_200600_302600_NS6detail15normal_iteratorINS9_10device_ptrIiEEEEPS5_jNS1_19radix_merge_compareILb0ELb0EiNS0_19identity_decomposerEEEEE10hipError_tT0_T1_T2_jT3_P12ihipStream_tbPNSt15iterator_traitsISK_E10value_typeEPNSQ_ISL_E10value_typeEPSM_NS1_7vsmem_tEENKUlT_SK_SL_SM_E_clIPiSE_SF_SF_EESJ_SZ_SK_SL_SM_EUlSZ_E0_NS1_11comp_targetILNS1_3genE2ELNS1_11target_archE906ELNS1_3gpuE6ELNS1_3repE0EEENS1_38merge_mergepath_config_static_selectorELNS0_4arch9wavefront6targetE1EEEvSL_.has_recursion, 0
	.set _ZN7rocprim17ROCPRIM_400000_NS6detail17trampoline_kernelINS0_14default_configENS1_38merge_sort_block_merge_config_selectorIiNS0_10empty_typeEEEZZNS1_27merge_sort_block_merge_implIS3_N6thrust23THRUST_200600_302600_NS6detail15normal_iteratorINS9_10device_ptrIiEEEEPS5_jNS1_19radix_merge_compareILb0ELb0EiNS0_19identity_decomposerEEEEE10hipError_tT0_T1_T2_jT3_P12ihipStream_tbPNSt15iterator_traitsISK_E10value_typeEPNSQ_ISL_E10value_typeEPSM_NS1_7vsmem_tEENKUlT_SK_SL_SM_E_clIPiSE_SF_SF_EESJ_SZ_SK_SL_SM_EUlSZ_E0_NS1_11comp_targetILNS1_3genE2ELNS1_11target_archE906ELNS1_3gpuE6ELNS1_3repE0EEENS1_38merge_mergepath_config_static_selectorELNS0_4arch9wavefront6targetE1EEEvSL_.has_indirect_call, 0
	.section	.AMDGPU.csdata,"",@progbits
; Kernel info:
; codeLenInByte = 0
; TotalNumSgprs: 6
; NumVgprs: 0
; NumAgprs: 0
; TotalNumVgprs: 0
; ScratchSize: 0
; MemoryBound: 0
; FloatMode: 240
; IeeeMode: 1
; LDSByteSize: 0 bytes/workgroup (compile time only)
; SGPRBlocks: 0
; VGPRBlocks: 0
; NumSGPRsForWavesPerEU: 6
; NumVGPRsForWavesPerEU: 1
; AccumOffset: 4
; Occupancy: 8
; WaveLimiterHint : 0
; COMPUTE_PGM_RSRC2:SCRATCH_EN: 0
; COMPUTE_PGM_RSRC2:USER_SGPR: 2
; COMPUTE_PGM_RSRC2:TRAP_HANDLER: 0
; COMPUTE_PGM_RSRC2:TGID_X_EN: 1
; COMPUTE_PGM_RSRC2:TGID_Y_EN: 0
; COMPUTE_PGM_RSRC2:TGID_Z_EN: 0
; COMPUTE_PGM_RSRC2:TIDIG_COMP_CNT: 0
; COMPUTE_PGM_RSRC3_GFX90A:ACCUM_OFFSET: 0
; COMPUTE_PGM_RSRC3_GFX90A:TG_SPLIT: 0
	.section	.text._ZN7rocprim17ROCPRIM_400000_NS6detail17trampoline_kernelINS0_14default_configENS1_38merge_sort_block_merge_config_selectorIiNS0_10empty_typeEEEZZNS1_27merge_sort_block_merge_implIS3_N6thrust23THRUST_200600_302600_NS6detail15normal_iteratorINS9_10device_ptrIiEEEEPS5_jNS1_19radix_merge_compareILb0ELb0EiNS0_19identity_decomposerEEEEE10hipError_tT0_T1_T2_jT3_P12ihipStream_tbPNSt15iterator_traitsISK_E10value_typeEPNSQ_ISL_E10value_typeEPSM_NS1_7vsmem_tEENKUlT_SK_SL_SM_E_clIPiSE_SF_SF_EESJ_SZ_SK_SL_SM_EUlSZ_E0_NS1_11comp_targetILNS1_3genE9ELNS1_11target_archE1100ELNS1_3gpuE3ELNS1_3repE0EEENS1_38merge_mergepath_config_static_selectorELNS0_4arch9wavefront6targetE1EEEvSL_,"axG",@progbits,_ZN7rocprim17ROCPRIM_400000_NS6detail17trampoline_kernelINS0_14default_configENS1_38merge_sort_block_merge_config_selectorIiNS0_10empty_typeEEEZZNS1_27merge_sort_block_merge_implIS3_N6thrust23THRUST_200600_302600_NS6detail15normal_iteratorINS9_10device_ptrIiEEEEPS5_jNS1_19radix_merge_compareILb0ELb0EiNS0_19identity_decomposerEEEEE10hipError_tT0_T1_T2_jT3_P12ihipStream_tbPNSt15iterator_traitsISK_E10value_typeEPNSQ_ISL_E10value_typeEPSM_NS1_7vsmem_tEENKUlT_SK_SL_SM_E_clIPiSE_SF_SF_EESJ_SZ_SK_SL_SM_EUlSZ_E0_NS1_11comp_targetILNS1_3genE9ELNS1_11target_archE1100ELNS1_3gpuE3ELNS1_3repE0EEENS1_38merge_mergepath_config_static_selectorELNS0_4arch9wavefront6targetE1EEEvSL_,comdat
	.protected	_ZN7rocprim17ROCPRIM_400000_NS6detail17trampoline_kernelINS0_14default_configENS1_38merge_sort_block_merge_config_selectorIiNS0_10empty_typeEEEZZNS1_27merge_sort_block_merge_implIS3_N6thrust23THRUST_200600_302600_NS6detail15normal_iteratorINS9_10device_ptrIiEEEEPS5_jNS1_19radix_merge_compareILb0ELb0EiNS0_19identity_decomposerEEEEE10hipError_tT0_T1_T2_jT3_P12ihipStream_tbPNSt15iterator_traitsISK_E10value_typeEPNSQ_ISL_E10value_typeEPSM_NS1_7vsmem_tEENKUlT_SK_SL_SM_E_clIPiSE_SF_SF_EESJ_SZ_SK_SL_SM_EUlSZ_E0_NS1_11comp_targetILNS1_3genE9ELNS1_11target_archE1100ELNS1_3gpuE3ELNS1_3repE0EEENS1_38merge_mergepath_config_static_selectorELNS0_4arch9wavefront6targetE1EEEvSL_ ; -- Begin function _ZN7rocprim17ROCPRIM_400000_NS6detail17trampoline_kernelINS0_14default_configENS1_38merge_sort_block_merge_config_selectorIiNS0_10empty_typeEEEZZNS1_27merge_sort_block_merge_implIS3_N6thrust23THRUST_200600_302600_NS6detail15normal_iteratorINS9_10device_ptrIiEEEEPS5_jNS1_19radix_merge_compareILb0ELb0EiNS0_19identity_decomposerEEEEE10hipError_tT0_T1_T2_jT3_P12ihipStream_tbPNSt15iterator_traitsISK_E10value_typeEPNSQ_ISL_E10value_typeEPSM_NS1_7vsmem_tEENKUlT_SK_SL_SM_E_clIPiSE_SF_SF_EESJ_SZ_SK_SL_SM_EUlSZ_E0_NS1_11comp_targetILNS1_3genE9ELNS1_11target_archE1100ELNS1_3gpuE3ELNS1_3repE0EEENS1_38merge_mergepath_config_static_selectorELNS0_4arch9wavefront6targetE1EEEvSL_
	.globl	_ZN7rocprim17ROCPRIM_400000_NS6detail17trampoline_kernelINS0_14default_configENS1_38merge_sort_block_merge_config_selectorIiNS0_10empty_typeEEEZZNS1_27merge_sort_block_merge_implIS3_N6thrust23THRUST_200600_302600_NS6detail15normal_iteratorINS9_10device_ptrIiEEEEPS5_jNS1_19radix_merge_compareILb0ELb0EiNS0_19identity_decomposerEEEEE10hipError_tT0_T1_T2_jT3_P12ihipStream_tbPNSt15iterator_traitsISK_E10value_typeEPNSQ_ISL_E10value_typeEPSM_NS1_7vsmem_tEENKUlT_SK_SL_SM_E_clIPiSE_SF_SF_EESJ_SZ_SK_SL_SM_EUlSZ_E0_NS1_11comp_targetILNS1_3genE9ELNS1_11target_archE1100ELNS1_3gpuE3ELNS1_3repE0EEENS1_38merge_mergepath_config_static_selectorELNS0_4arch9wavefront6targetE1EEEvSL_
	.p2align	8
	.type	_ZN7rocprim17ROCPRIM_400000_NS6detail17trampoline_kernelINS0_14default_configENS1_38merge_sort_block_merge_config_selectorIiNS0_10empty_typeEEEZZNS1_27merge_sort_block_merge_implIS3_N6thrust23THRUST_200600_302600_NS6detail15normal_iteratorINS9_10device_ptrIiEEEEPS5_jNS1_19radix_merge_compareILb0ELb0EiNS0_19identity_decomposerEEEEE10hipError_tT0_T1_T2_jT3_P12ihipStream_tbPNSt15iterator_traitsISK_E10value_typeEPNSQ_ISL_E10value_typeEPSM_NS1_7vsmem_tEENKUlT_SK_SL_SM_E_clIPiSE_SF_SF_EESJ_SZ_SK_SL_SM_EUlSZ_E0_NS1_11comp_targetILNS1_3genE9ELNS1_11target_archE1100ELNS1_3gpuE3ELNS1_3repE0EEENS1_38merge_mergepath_config_static_selectorELNS0_4arch9wavefront6targetE1EEEvSL_,@function
_ZN7rocprim17ROCPRIM_400000_NS6detail17trampoline_kernelINS0_14default_configENS1_38merge_sort_block_merge_config_selectorIiNS0_10empty_typeEEEZZNS1_27merge_sort_block_merge_implIS3_N6thrust23THRUST_200600_302600_NS6detail15normal_iteratorINS9_10device_ptrIiEEEEPS5_jNS1_19radix_merge_compareILb0ELb0EiNS0_19identity_decomposerEEEEE10hipError_tT0_T1_T2_jT3_P12ihipStream_tbPNSt15iterator_traitsISK_E10value_typeEPNSQ_ISL_E10value_typeEPSM_NS1_7vsmem_tEENKUlT_SK_SL_SM_E_clIPiSE_SF_SF_EESJ_SZ_SK_SL_SM_EUlSZ_E0_NS1_11comp_targetILNS1_3genE9ELNS1_11target_archE1100ELNS1_3gpuE3ELNS1_3repE0EEENS1_38merge_mergepath_config_static_selectorELNS0_4arch9wavefront6targetE1EEEvSL_: ; @_ZN7rocprim17ROCPRIM_400000_NS6detail17trampoline_kernelINS0_14default_configENS1_38merge_sort_block_merge_config_selectorIiNS0_10empty_typeEEEZZNS1_27merge_sort_block_merge_implIS3_N6thrust23THRUST_200600_302600_NS6detail15normal_iteratorINS9_10device_ptrIiEEEEPS5_jNS1_19radix_merge_compareILb0ELb0EiNS0_19identity_decomposerEEEEE10hipError_tT0_T1_T2_jT3_P12ihipStream_tbPNSt15iterator_traitsISK_E10value_typeEPNSQ_ISL_E10value_typeEPSM_NS1_7vsmem_tEENKUlT_SK_SL_SM_E_clIPiSE_SF_SF_EESJ_SZ_SK_SL_SM_EUlSZ_E0_NS1_11comp_targetILNS1_3genE9ELNS1_11target_archE1100ELNS1_3gpuE3ELNS1_3repE0EEENS1_38merge_mergepath_config_static_selectorELNS0_4arch9wavefront6targetE1EEEvSL_
; %bb.0:
	.section	.rodata,"a",@progbits
	.p2align	6, 0x0
	.amdhsa_kernel _ZN7rocprim17ROCPRIM_400000_NS6detail17trampoline_kernelINS0_14default_configENS1_38merge_sort_block_merge_config_selectorIiNS0_10empty_typeEEEZZNS1_27merge_sort_block_merge_implIS3_N6thrust23THRUST_200600_302600_NS6detail15normal_iteratorINS9_10device_ptrIiEEEEPS5_jNS1_19radix_merge_compareILb0ELb0EiNS0_19identity_decomposerEEEEE10hipError_tT0_T1_T2_jT3_P12ihipStream_tbPNSt15iterator_traitsISK_E10value_typeEPNSQ_ISL_E10value_typeEPSM_NS1_7vsmem_tEENKUlT_SK_SL_SM_E_clIPiSE_SF_SF_EESJ_SZ_SK_SL_SM_EUlSZ_E0_NS1_11comp_targetILNS1_3genE9ELNS1_11target_archE1100ELNS1_3gpuE3ELNS1_3repE0EEENS1_38merge_mergepath_config_static_selectorELNS0_4arch9wavefront6targetE1EEEvSL_
		.amdhsa_group_segment_fixed_size 0
		.amdhsa_private_segment_fixed_size 0
		.amdhsa_kernarg_size 64
		.amdhsa_user_sgpr_count 2
		.amdhsa_user_sgpr_dispatch_ptr 0
		.amdhsa_user_sgpr_queue_ptr 0
		.amdhsa_user_sgpr_kernarg_segment_ptr 1
		.amdhsa_user_sgpr_dispatch_id 0
		.amdhsa_user_sgpr_kernarg_preload_length 0
		.amdhsa_user_sgpr_kernarg_preload_offset 0
		.amdhsa_user_sgpr_private_segment_size 0
		.amdhsa_uses_dynamic_stack 0
		.amdhsa_enable_private_segment 0
		.amdhsa_system_sgpr_workgroup_id_x 1
		.amdhsa_system_sgpr_workgroup_id_y 0
		.amdhsa_system_sgpr_workgroup_id_z 0
		.amdhsa_system_sgpr_workgroup_info 0
		.amdhsa_system_vgpr_workitem_id 0
		.amdhsa_next_free_vgpr 1
		.amdhsa_next_free_sgpr 0
		.amdhsa_accum_offset 4
		.amdhsa_reserve_vcc 0
		.amdhsa_float_round_mode_32 0
		.amdhsa_float_round_mode_16_64 0
		.amdhsa_float_denorm_mode_32 3
		.amdhsa_float_denorm_mode_16_64 3
		.amdhsa_dx10_clamp 1
		.amdhsa_ieee_mode 1
		.amdhsa_fp16_overflow 0
		.amdhsa_tg_split 0
		.amdhsa_exception_fp_ieee_invalid_op 0
		.amdhsa_exception_fp_denorm_src 0
		.amdhsa_exception_fp_ieee_div_zero 0
		.amdhsa_exception_fp_ieee_overflow 0
		.amdhsa_exception_fp_ieee_underflow 0
		.amdhsa_exception_fp_ieee_inexact 0
		.amdhsa_exception_int_div_zero 0
	.end_amdhsa_kernel
	.section	.text._ZN7rocprim17ROCPRIM_400000_NS6detail17trampoline_kernelINS0_14default_configENS1_38merge_sort_block_merge_config_selectorIiNS0_10empty_typeEEEZZNS1_27merge_sort_block_merge_implIS3_N6thrust23THRUST_200600_302600_NS6detail15normal_iteratorINS9_10device_ptrIiEEEEPS5_jNS1_19radix_merge_compareILb0ELb0EiNS0_19identity_decomposerEEEEE10hipError_tT0_T1_T2_jT3_P12ihipStream_tbPNSt15iterator_traitsISK_E10value_typeEPNSQ_ISL_E10value_typeEPSM_NS1_7vsmem_tEENKUlT_SK_SL_SM_E_clIPiSE_SF_SF_EESJ_SZ_SK_SL_SM_EUlSZ_E0_NS1_11comp_targetILNS1_3genE9ELNS1_11target_archE1100ELNS1_3gpuE3ELNS1_3repE0EEENS1_38merge_mergepath_config_static_selectorELNS0_4arch9wavefront6targetE1EEEvSL_,"axG",@progbits,_ZN7rocprim17ROCPRIM_400000_NS6detail17trampoline_kernelINS0_14default_configENS1_38merge_sort_block_merge_config_selectorIiNS0_10empty_typeEEEZZNS1_27merge_sort_block_merge_implIS3_N6thrust23THRUST_200600_302600_NS6detail15normal_iteratorINS9_10device_ptrIiEEEEPS5_jNS1_19radix_merge_compareILb0ELb0EiNS0_19identity_decomposerEEEEE10hipError_tT0_T1_T2_jT3_P12ihipStream_tbPNSt15iterator_traitsISK_E10value_typeEPNSQ_ISL_E10value_typeEPSM_NS1_7vsmem_tEENKUlT_SK_SL_SM_E_clIPiSE_SF_SF_EESJ_SZ_SK_SL_SM_EUlSZ_E0_NS1_11comp_targetILNS1_3genE9ELNS1_11target_archE1100ELNS1_3gpuE3ELNS1_3repE0EEENS1_38merge_mergepath_config_static_selectorELNS0_4arch9wavefront6targetE1EEEvSL_,comdat
.Lfunc_end33:
	.size	_ZN7rocprim17ROCPRIM_400000_NS6detail17trampoline_kernelINS0_14default_configENS1_38merge_sort_block_merge_config_selectorIiNS0_10empty_typeEEEZZNS1_27merge_sort_block_merge_implIS3_N6thrust23THRUST_200600_302600_NS6detail15normal_iteratorINS9_10device_ptrIiEEEEPS5_jNS1_19radix_merge_compareILb0ELb0EiNS0_19identity_decomposerEEEEE10hipError_tT0_T1_T2_jT3_P12ihipStream_tbPNSt15iterator_traitsISK_E10value_typeEPNSQ_ISL_E10value_typeEPSM_NS1_7vsmem_tEENKUlT_SK_SL_SM_E_clIPiSE_SF_SF_EESJ_SZ_SK_SL_SM_EUlSZ_E0_NS1_11comp_targetILNS1_3genE9ELNS1_11target_archE1100ELNS1_3gpuE3ELNS1_3repE0EEENS1_38merge_mergepath_config_static_selectorELNS0_4arch9wavefront6targetE1EEEvSL_, .Lfunc_end33-_ZN7rocprim17ROCPRIM_400000_NS6detail17trampoline_kernelINS0_14default_configENS1_38merge_sort_block_merge_config_selectorIiNS0_10empty_typeEEEZZNS1_27merge_sort_block_merge_implIS3_N6thrust23THRUST_200600_302600_NS6detail15normal_iteratorINS9_10device_ptrIiEEEEPS5_jNS1_19radix_merge_compareILb0ELb0EiNS0_19identity_decomposerEEEEE10hipError_tT0_T1_T2_jT3_P12ihipStream_tbPNSt15iterator_traitsISK_E10value_typeEPNSQ_ISL_E10value_typeEPSM_NS1_7vsmem_tEENKUlT_SK_SL_SM_E_clIPiSE_SF_SF_EESJ_SZ_SK_SL_SM_EUlSZ_E0_NS1_11comp_targetILNS1_3genE9ELNS1_11target_archE1100ELNS1_3gpuE3ELNS1_3repE0EEENS1_38merge_mergepath_config_static_selectorELNS0_4arch9wavefront6targetE1EEEvSL_
                                        ; -- End function
	.set _ZN7rocprim17ROCPRIM_400000_NS6detail17trampoline_kernelINS0_14default_configENS1_38merge_sort_block_merge_config_selectorIiNS0_10empty_typeEEEZZNS1_27merge_sort_block_merge_implIS3_N6thrust23THRUST_200600_302600_NS6detail15normal_iteratorINS9_10device_ptrIiEEEEPS5_jNS1_19radix_merge_compareILb0ELb0EiNS0_19identity_decomposerEEEEE10hipError_tT0_T1_T2_jT3_P12ihipStream_tbPNSt15iterator_traitsISK_E10value_typeEPNSQ_ISL_E10value_typeEPSM_NS1_7vsmem_tEENKUlT_SK_SL_SM_E_clIPiSE_SF_SF_EESJ_SZ_SK_SL_SM_EUlSZ_E0_NS1_11comp_targetILNS1_3genE9ELNS1_11target_archE1100ELNS1_3gpuE3ELNS1_3repE0EEENS1_38merge_mergepath_config_static_selectorELNS0_4arch9wavefront6targetE1EEEvSL_.num_vgpr, 0
	.set _ZN7rocprim17ROCPRIM_400000_NS6detail17trampoline_kernelINS0_14default_configENS1_38merge_sort_block_merge_config_selectorIiNS0_10empty_typeEEEZZNS1_27merge_sort_block_merge_implIS3_N6thrust23THRUST_200600_302600_NS6detail15normal_iteratorINS9_10device_ptrIiEEEEPS5_jNS1_19radix_merge_compareILb0ELb0EiNS0_19identity_decomposerEEEEE10hipError_tT0_T1_T2_jT3_P12ihipStream_tbPNSt15iterator_traitsISK_E10value_typeEPNSQ_ISL_E10value_typeEPSM_NS1_7vsmem_tEENKUlT_SK_SL_SM_E_clIPiSE_SF_SF_EESJ_SZ_SK_SL_SM_EUlSZ_E0_NS1_11comp_targetILNS1_3genE9ELNS1_11target_archE1100ELNS1_3gpuE3ELNS1_3repE0EEENS1_38merge_mergepath_config_static_selectorELNS0_4arch9wavefront6targetE1EEEvSL_.num_agpr, 0
	.set _ZN7rocprim17ROCPRIM_400000_NS6detail17trampoline_kernelINS0_14default_configENS1_38merge_sort_block_merge_config_selectorIiNS0_10empty_typeEEEZZNS1_27merge_sort_block_merge_implIS3_N6thrust23THRUST_200600_302600_NS6detail15normal_iteratorINS9_10device_ptrIiEEEEPS5_jNS1_19radix_merge_compareILb0ELb0EiNS0_19identity_decomposerEEEEE10hipError_tT0_T1_T2_jT3_P12ihipStream_tbPNSt15iterator_traitsISK_E10value_typeEPNSQ_ISL_E10value_typeEPSM_NS1_7vsmem_tEENKUlT_SK_SL_SM_E_clIPiSE_SF_SF_EESJ_SZ_SK_SL_SM_EUlSZ_E0_NS1_11comp_targetILNS1_3genE9ELNS1_11target_archE1100ELNS1_3gpuE3ELNS1_3repE0EEENS1_38merge_mergepath_config_static_selectorELNS0_4arch9wavefront6targetE1EEEvSL_.numbered_sgpr, 0
	.set _ZN7rocprim17ROCPRIM_400000_NS6detail17trampoline_kernelINS0_14default_configENS1_38merge_sort_block_merge_config_selectorIiNS0_10empty_typeEEEZZNS1_27merge_sort_block_merge_implIS3_N6thrust23THRUST_200600_302600_NS6detail15normal_iteratorINS9_10device_ptrIiEEEEPS5_jNS1_19radix_merge_compareILb0ELb0EiNS0_19identity_decomposerEEEEE10hipError_tT0_T1_T2_jT3_P12ihipStream_tbPNSt15iterator_traitsISK_E10value_typeEPNSQ_ISL_E10value_typeEPSM_NS1_7vsmem_tEENKUlT_SK_SL_SM_E_clIPiSE_SF_SF_EESJ_SZ_SK_SL_SM_EUlSZ_E0_NS1_11comp_targetILNS1_3genE9ELNS1_11target_archE1100ELNS1_3gpuE3ELNS1_3repE0EEENS1_38merge_mergepath_config_static_selectorELNS0_4arch9wavefront6targetE1EEEvSL_.num_named_barrier, 0
	.set _ZN7rocprim17ROCPRIM_400000_NS6detail17trampoline_kernelINS0_14default_configENS1_38merge_sort_block_merge_config_selectorIiNS0_10empty_typeEEEZZNS1_27merge_sort_block_merge_implIS3_N6thrust23THRUST_200600_302600_NS6detail15normal_iteratorINS9_10device_ptrIiEEEEPS5_jNS1_19radix_merge_compareILb0ELb0EiNS0_19identity_decomposerEEEEE10hipError_tT0_T1_T2_jT3_P12ihipStream_tbPNSt15iterator_traitsISK_E10value_typeEPNSQ_ISL_E10value_typeEPSM_NS1_7vsmem_tEENKUlT_SK_SL_SM_E_clIPiSE_SF_SF_EESJ_SZ_SK_SL_SM_EUlSZ_E0_NS1_11comp_targetILNS1_3genE9ELNS1_11target_archE1100ELNS1_3gpuE3ELNS1_3repE0EEENS1_38merge_mergepath_config_static_selectorELNS0_4arch9wavefront6targetE1EEEvSL_.private_seg_size, 0
	.set _ZN7rocprim17ROCPRIM_400000_NS6detail17trampoline_kernelINS0_14default_configENS1_38merge_sort_block_merge_config_selectorIiNS0_10empty_typeEEEZZNS1_27merge_sort_block_merge_implIS3_N6thrust23THRUST_200600_302600_NS6detail15normal_iteratorINS9_10device_ptrIiEEEEPS5_jNS1_19radix_merge_compareILb0ELb0EiNS0_19identity_decomposerEEEEE10hipError_tT0_T1_T2_jT3_P12ihipStream_tbPNSt15iterator_traitsISK_E10value_typeEPNSQ_ISL_E10value_typeEPSM_NS1_7vsmem_tEENKUlT_SK_SL_SM_E_clIPiSE_SF_SF_EESJ_SZ_SK_SL_SM_EUlSZ_E0_NS1_11comp_targetILNS1_3genE9ELNS1_11target_archE1100ELNS1_3gpuE3ELNS1_3repE0EEENS1_38merge_mergepath_config_static_selectorELNS0_4arch9wavefront6targetE1EEEvSL_.uses_vcc, 0
	.set _ZN7rocprim17ROCPRIM_400000_NS6detail17trampoline_kernelINS0_14default_configENS1_38merge_sort_block_merge_config_selectorIiNS0_10empty_typeEEEZZNS1_27merge_sort_block_merge_implIS3_N6thrust23THRUST_200600_302600_NS6detail15normal_iteratorINS9_10device_ptrIiEEEEPS5_jNS1_19radix_merge_compareILb0ELb0EiNS0_19identity_decomposerEEEEE10hipError_tT0_T1_T2_jT3_P12ihipStream_tbPNSt15iterator_traitsISK_E10value_typeEPNSQ_ISL_E10value_typeEPSM_NS1_7vsmem_tEENKUlT_SK_SL_SM_E_clIPiSE_SF_SF_EESJ_SZ_SK_SL_SM_EUlSZ_E0_NS1_11comp_targetILNS1_3genE9ELNS1_11target_archE1100ELNS1_3gpuE3ELNS1_3repE0EEENS1_38merge_mergepath_config_static_selectorELNS0_4arch9wavefront6targetE1EEEvSL_.uses_flat_scratch, 0
	.set _ZN7rocprim17ROCPRIM_400000_NS6detail17trampoline_kernelINS0_14default_configENS1_38merge_sort_block_merge_config_selectorIiNS0_10empty_typeEEEZZNS1_27merge_sort_block_merge_implIS3_N6thrust23THRUST_200600_302600_NS6detail15normal_iteratorINS9_10device_ptrIiEEEEPS5_jNS1_19radix_merge_compareILb0ELb0EiNS0_19identity_decomposerEEEEE10hipError_tT0_T1_T2_jT3_P12ihipStream_tbPNSt15iterator_traitsISK_E10value_typeEPNSQ_ISL_E10value_typeEPSM_NS1_7vsmem_tEENKUlT_SK_SL_SM_E_clIPiSE_SF_SF_EESJ_SZ_SK_SL_SM_EUlSZ_E0_NS1_11comp_targetILNS1_3genE9ELNS1_11target_archE1100ELNS1_3gpuE3ELNS1_3repE0EEENS1_38merge_mergepath_config_static_selectorELNS0_4arch9wavefront6targetE1EEEvSL_.has_dyn_sized_stack, 0
	.set _ZN7rocprim17ROCPRIM_400000_NS6detail17trampoline_kernelINS0_14default_configENS1_38merge_sort_block_merge_config_selectorIiNS0_10empty_typeEEEZZNS1_27merge_sort_block_merge_implIS3_N6thrust23THRUST_200600_302600_NS6detail15normal_iteratorINS9_10device_ptrIiEEEEPS5_jNS1_19radix_merge_compareILb0ELb0EiNS0_19identity_decomposerEEEEE10hipError_tT0_T1_T2_jT3_P12ihipStream_tbPNSt15iterator_traitsISK_E10value_typeEPNSQ_ISL_E10value_typeEPSM_NS1_7vsmem_tEENKUlT_SK_SL_SM_E_clIPiSE_SF_SF_EESJ_SZ_SK_SL_SM_EUlSZ_E0_NS1_11comp_targetILNS1_3genE9ELNS1_11target_archE1100ELNS1_3gpuE3ELNS1_3repE0EEENS1_38merge_mergepath_config_static_selectorELNS0_4arch9wavefront6targetE1EEEvSL_.has_recursion, 0
	.set _ZN7rocprim17ROCPRIM_400000_NS6detail17trampoline_kernelINS0_14default_configENS1_38merge_sort_block_merge_config_selectorIiNS0_10empty_typeEEEZZNS1_27merge_sort_block_merge_implIS3_N6thrust23THRUST_200600_302600_NS6detail15normal_iteratorINS9_10device_ptrIiEEEEPS5_jNS1_19radix_merge_compareILb0ELb0EiNS0_19identity_decomposerEEEEE10hipError_tT0_T1_T2_jT3_P12ihipStream_tbPNSt15iterator_traitsISK_E10value_typeEPNSQ_ISL_E10value_typeEPSM_NS1_7vsmem_tEENKUlT_SK_SL_SM_E_clIPiSE_SF_SF_EESJ_SZ_SK_SL_SM_EUlSZ_E0_NS1_11comp_targetILNS1_3genE9ELNS1_11target_archE1100ELNS1_3gpuE3ELNS1_3repE0EEENS1_38merge_mergepath_config_static_selectorELNS0_4arch9wavefront6targetE1EEEvSL_.has_indirect_call, 0
	.section	.AMDGPU.csdata,"",@progbits
; Kernel info:
; codeLenInByte = 0
; TotalNumSgprs: 6
; NumVgprs: 0
; NumAgprs: 0
; TotalNumVgprs: 0
; ScratchSize: 0
; MemoryBound: 0
; FloatMode: 240
; IeeeMode: 1
; LDSByteSize: 0 bytes/workgroup (compile time only)
; SGPRBlocks: 0
; VGPRBlocks: 0
; NumSGPRsForWavesPerEU: 6
; NumVGPRsForWavesPerEU: 1
; AccumOffset: 4
; Occupancy: 8
; WaveLimiterHint : 0
; COMPUTE_PGM_RSRC2:SCRATCH_EN: 0
; COMPUTE_PGM_RSRC2:USER_SGPR: 2
; COMPUTE_PGM_RSRC2:TRAP_HANDLER: 0
; COMPUTE_PGM_RSRC2:TGID_X_EN: 1
; COMPUTE_PGM_RSRC2:TGID_Y_EN: 0
; COMPUTE_PGM_RSRC2:TGID_Z_EN: 0
; COMPUTE_PGM_RSRC2:TIDIG_COMP_CNT: 0
; COMPUTE_PGM_RSRC3_GFX90A:ACCUM_OFFSET: 0
; COMPUTE_PGM_RSRC3_GFX90A:TG_SPLIT: 0
	.section	.text._ZN7rocprim17ROCPRIM_400000_NS6detail17trampoline_kernelINS0_14default_configENS1_38merge_sort_block_merge_config_selectorIiNS0_10empty_typeEEEZZNS1_27merge_sort_block_merge_implIS3_N6thrust23THRUST_200600_302600_NS6detail15normal_iteratorINS9_10device_ptrIiEEEEPS5_jNS1_19radix_merge_compareILb0ELb0EiNS0_19identity_decomposerEEEEE10hipError_tT0_T1_T2_jT3_P12ihipStream_tbPNSt15iterator_traitsISK_E10value_typeEPNSQ_ISL_E10value_typeEPSM_NS1_7vsmem_tEENKUlT_SK_SL_SM_E_clIPiSE_SF_SF_EESJ_SZ_SK_SL_SM_EUlSZ_E0_NS1_11comp_targetILNS1_3genE8ELNS1_11target_archE1030ELNS1_3gpuE2ELNS1_3repE0EEENS1_38merge_mergepath_config_static_selectorELNS0_4arch9wavefront6targetE1EEEvSL_,"axG",@progbits,_ZN7rocprim17ROCPRIM_400000_NS6detail17trampoline_kernelINS0_14default_configENS1_38merge_sort_block_merge_config_selectorIiNS0_10empty_typeEEEZZNS1_27merge_sort_block_merge_implIS3_N6thrust23THRUST_200600_302600_NS6detail15normal_iteratorINS9_10device_ptrIiEEEEPS5_jNS1_19radix_merge_compareILb0ELb0EiNS0_19identity_decomposerEEEEE10hipError_tT0_T1_T2_jT3_P12ihipStream_tbPNSt15iterator_traitsISK_E10value_typeEPNSQ_ISL_E10value_typeEPSM_NS1_7vsmem_tEENKUlT_SK_SL_SM_E_clIPiSE_SF_SF_EESJ_SZ_SK_SL_SM_EUlSZ_E0_NS1_11comp_targetILNS1_3genE8ELNS1_11target_archE1030ELNS1_3gpuE2ELNS1_3repE0EEENS1_38merge_mergepath_config_static_selectorELNS0_4arch9wavefront6targetE1EEEvSL_,comdat
	.protected	_ZN7rocprim17ROCPRIM_400000_NS6detail17trampoline_kernelINS0_14default_configENS1_38merge_sort_block_merge_config_selectorIiNS0_10empty_typeEEEZZNS1_27merge_sort_block_merge_implIS3_N6thrust23THRUST_200600_302600_NS6detail15normal_iteratorINS9_10device_ptrIiEEEEPS5_jNS1_19radix_merge_compareILb0ELb0EiNS0_19identity_decomposerEEEEE10hipError_tT0_T1_T2_jT3_P12ihipStream_tbPNSt15iterator_traitsISK_E10value_typeEPNSQ_ISL_E10value_typeEPSM_NS1_7vsmem_tEENKUlT_SK_SL_SM_E_clIPiSE_SF_SF_EESJ_SZ_SK_SL_SM_EUlSZ_E0_NS1_11comp_targetILNS1_3genE8ELNS1_11target_archE1030ELNS1_3gpuE2ELNS1_3repE0EEENS1_38merge_mergepath_config_static_selectorELNS0_4arch9wavefront6targetE1EEEvSL_ ; -- Begin function _ZN7rocprim17ROCPRIM_400000_NS6detail17trampoline_kernelINS0_14default_configENS1_38merge_sort_block_merge_config_selectorIiNS0_10empty_typeEEEZZNS1_27merge_sort_block_merge_implIS3_N6thrust23THRUST_200600_302600_NS6detail15normal_iteratorINS9_10device_ptrIiEEEEPS5_jNS1_19radix_merge_compareILb0ELb0EiNS0_19identity_decomposerEEEEE10hipError_tT0_T1_T2_jT3_P12ihipStream_tbPNSt15iterator_traitsISK_E10value_typeEPNSQ_ISL_E10value_typeEPSM_NS1_7vsmem_tEENKUlT_SK_SL_SM_E_clIPiSE_SF_SF_EESJ_SZ_SK_SL_SM_EUlSZ_E0_NS1_11comp_targetILNS1_3genE8ELNS1_11target_archE1030ELNS1_3gpuE2ELNS1_3repE0EEENS1_38merge_mergepath_config_static_selectorELNS0_4arch9wavefront6targetE1EEEvSL_
	.globl	_ZN7rocprim17ROCPRIM_400000_NS6detail17trampoline_kernelINS0_14default_configENS1_38merge_sort_block_merge_config_selectorIiNS0_10empty_typeEEEZZNS1_27merge_sort_block_merge_implIS3_N6thrust23THRUST_200600_302600_NS6detail15normal_iteratorINS9_10device_ptrIiEEEEPS5_jNS1_19radix_merge_compareILb0ELb0EiNS0_19identity_decomposerEEEEE10hipError_tT0_T1_T2_jT3_P12ihipStream_tbPNSt15iterator_traitsISK_E10value_typeEPNSQ_ISL_E10value_typeEPSM_NS1_7vsmem_tEENKUlT_SK_SL_SM_E_clIPiSE_SF_SF_EESJ_SZ_SK_SL_SM_EUlSZ_E0_NS1_11comp_targetILNS1_3genE8ELNS1_11target_archE1030ELNS1_3gpuE2ELNS1_3repE0EEENS1_38merge_mergepath_config_static_selectorELNS0_4arch9wavefront6targetE1EEEvSL_
	.p2align	8
	.type	_ZN7rocprim17ROCPRIM_400000_NS6detail17trampoline_kernelINS0_14default_configENS1_38merge_sort_block_merge_config_selectorIiNS0_10empty_typeEEEZZNS1_27merge_sort_block_merge_implIS3_N6thrust23THRUST_200600_302600_NS6detail15normal_iteratorINS9_10device_ptrIiEEEEPS5_jNS1_19radix_merge_compareILb0ELb0EiNS0_19identity_decomposerEEEEE10hipError_tT0_T1_T2_jT3_P12ihipStream_tbPNSt15iterator_traitsISK_E10value_typeEPNSQ_ISL_E10value_typeEPSM_NS1_7vsmem_tEENKUlT_SK_SL_SM_E_clIPiSE_SF_SF_EESJ_SZ_SK_SL_SM_EUlSZ_E0_NS1_11comp_targetILNS1_3genE8ELNS1_11target_archE1030ELNS1_3gpuE2ELNS1_3repE0EEENS1_38merge_mergepath_config_static_selectorELNS0_4arch9wavefront6targetE1EEEvSL_,@function
_ZN7rocprim17ROCPRIM_400000_NS6detail17trampoline_kernelINS0_14default_configENS1_38merge_sort_block_merge_config_selectorIiNS0_10empty_typeEEEZZNS1_27merge_sort_block_merge_implIS3_N6thrust23THRUST_200600_302600_NS6detail15normal_iteratorINS9_10device_ptrIiEEEEPS5_jNS1_19radix_merge_compareILb0ELb0EiNS0_19identity_decomposerEEEEE10hipError_tT0_T1_T2_jT3_P12ihipStream_tbPNSt15iterator_traitsISK_E10value_typeEPNSQ_ISL_E10value_typeEPSM_NS1_7vsmem_tEENKUlT_SK_SL_SM_E_clIPiSE_SF_SF_EESJ_SZ_SK_SL_SM_EUlSZ_E0_NS1_11comp_targetILNS1_3genE8ELNS1_11target_archE1030ELNS1_3gpuE2ELNS1_3repE0EEENS1_38merge_mergepath_config_static_selectorELNS0_4arch9wavefront6targetE1EEEvSL_: ; @_ZN7rocprim17ROCPRIM_400000_NS6detail17trampoline_kernelINS0_14default_configENS1_38merge_sort_block_merge_config_selectorIiNS0_10empty_typeEEEZZNS1_27merge_sort_block_merge_implIS3_N6thrust23THRUST_200600_302600_NS6detail15normal_iteratorINS9_10device_ptrIiEEEEPS5_jNS1_19radix_merge_compareILb0ELb0EiNS0_19identity_decomposerEEEEE10hipError_tT0_T1_T2_jT3_P12ihipStream_tbPNSt15iterator_traitsISK_E10value_typeEPNSQ_ISL_E10value_typeEPSM_NS1_7vsmem_tEENKUlT_SK_SL_SM_E_clIPiSE_SF_SF_EESJ_SZ_SK_SL_SM_EUlSZ_E0_NS1_11comp_targetILNS1_3genE8ELNS1_11target_archE1030ELNS1_3gpuE2ELNS1_3repE0EEENS1_38merge_mergepath_config_static_selectorELNS0_4arch9wavefront6targetE1EEEvSL_
; %bb.0:
	.section	.rodata,"a",@progbits
	.p2align	6, 0x0
	.amdhsa_kernel _ZN7rocprim17ROCPRIM_400000_NS6detail17trampoline_kernelINS0_14default_configENS1_38merge_sort_block_merge_config_selectorIiNS0_10empty_typeEEEZZNS1_27merge_sort_block_merge_implIS3_N6thrust23THRUST_200600_302600_NS6detail15normal_iteratorINS9_10device_ptrIiEEEEPS5_jNS1_19radix_merge_compareILb0ELb0EiNS0_19identity_decomposerEEEEE10hipError_tT0_T1_T2_jT3_P12ihipStream_tbPNSt15iterator_traitsISK_E10value_typeEPNSQ_ISL_E10value_typeEPSM_NS1_7vsmem_tEENKUlT_SK_SL_SM_E_clIPiSE_SF_SF_EESJ_SZ_SK_SL_SM_EUlSZ_E0_NS1_11comp_targetILNS1_3genE8ELNS1_11target_archE1030ELNS1_3gpuE2ELNS1_3repE0EEENS1_38merge_mergepath_config_static_selectorELNS0_4arch9wavefront6targetE1EEEvSL_
		.amdhsa_group_segment_fixed_size 0
		.amdhsa_private_segment_fixed_size 0
		.amdhsa_kernarg_size 64
		.amdhsa_user_sgpr_count 2
		.amdhsa_user_sgpr_dispatch_ptr 0
		.amdhsa_user_sgpr_queue_ptr 0
		.amdhsa_user_sgpr_kernarg_segment_ptr 1
		.amdhsa_user_sgpr_dispatch_id 0
		.amdhsa_user_sgpr_kernarg_preload_length 0
		.amdhsa_user_sgpr_kernarg_preload_offset 0
		.amdhsa_user_sgpr_private_segment_size 0
		.amdhsa_uses_dynamic_stack 0
		.amdhsa_enable_private_segment 0
		.amdhsa_system_sgpr_workgroup_id_x 1
		.amdhsa_system_sgpr_workgroup_id_y 0
		.amdhsa_system_sgpr_workgroup_id_z 0
		.amdhsa_system_sgpr_workgroup_info 0
		.amdhsa_system_vgpr_workitem_id 0
		.amdhsa_next_free_vgpr 1
		.amdhsa_next_free_sgpr 0
		.amdhsa_accum_offset 4
		.amdhsa_reserve_vcc 0
		.amdhsa_float_round_mode_32 0
		.amdhsa_float_round_mode_16_64 0
		.amdhsa_float_denorm_mode_32 3
		.amdhsa_float_denorm_mode_16_64 3
		.amdhsa_dx10_clamp 1
		.amdhsa_ieee_mode 1
		.amdhsa_fp16_overflow 0
		.amdhsa_tg_split 0
		.amdhsa_exception_fp_ieee_invalid_op 0
		.amdhsa_exception_fp_denorm_src 0
		.amdhsa_exception_fp_ieee_div_zero 0
		.amdhsa_exception_fp_ieee_overflow 0
		.amdhsa_exception_fp_ieee_underflow 0
		.amdhsa_exception_fp_ieee_inexact 0
		.amdhsa_exception_int_div_zero 0
	.end_amdhsa_kernel
	.section	.text._ZN7rocprim17ROCPRIM_400000_NS6detail17trampoline_kernelINS0_14default_configENS1_38merge_sort_block_merge_config_selectorIiNS0_10empty_typeEEEZZNS1_27merge_sort_block_merge_implIS3_N6thrust23THRUST_200600_302600_NS6detail15normal_iteratorINS9_10device_ptrIiEEEEPS5_jNS1_19radix_merge_compareILb0ELb0EiNS0_19identity_decomposerEEEEE10hipError_tT0_T1_T2_jT3_P12ihipStream_tbPNSt15iterator_traitsISK_E10value_typeEPNSQ_ISL_E10value_typeEPSM_NS1_7vsmem_tEENKUlT_SK_SL_SM_E_clIPiSE_SF_SF_EESJ_SZ_SK_SL_SM_EUlSZ_E0_NS1_11comp_targetILNS1_3genE8ELNS1_11target_archE1030ELNS1_3gpuE2ELNS1_3repE0EEENS1_38merge_mergepath_config_static_selectorELNS0_4arch9wavefront6targetE1EEEvSL_,"axG",@progbits,_ZN7rocprim17ROCPRIM_400000_NS6detail17trampoline_kernelINS0_14default_configENS1_38merge_sort_block_merge_config_selectorIiNS0_10empty_typeEEEZZNS1_27merge_sort_block_merge_implIS3_N6thrust23THRUST_200600_302600_NS6detail15normal_iteratorINS9_10device_ptrIiEEEEPS5_jNS1_19radix_merge_compareILb0ELb0EiNS0_19identity_decomposerEEEEE10hipError_tT0_T1_T2_jT3_P12ihipStream_tbPNSt15iterator_traitsISK_E10value_typeEPNSQ_ISL_E10value_typeEPSM_NS1_7vsmem_tEENKUlT_SK_SL_SM_E_clIPiSE_SF_SF_EESJ_SZ_SK_SL_SM_EUlSZ_E0_NS1_11comp_targetILNS1_3genE8ELNS1_11target_archE1030ELNS1_3gpuE2ELNS1_3repE0EEENS1_38merge_mergepath_config_static_selectorELNS0_4arch9wavefront6targetE1EEEvSL_,comdat
.Lfunc_end34:
	.size	_ZN7rocprim17ROCPRIM_400000_NS6detail17trampoline_kernelINS0_14default_configENS1_38merge_sort_block_merge_config_selectorIiNS0_10empty_typeEEEZZNS1_27merge_sort_block_merge_implIS3_N6thrust23THRUST_200600_302600_NS6detail15normal_iteratorINS9_10device_ptrIiEEEEPS5_jNS1_19radix_merge_compareILb0ELb0EiNS0_19identity_decomposerEEEEE10hipError_tT0_T1_T2_jT3_P12ihipStream_tbPNSt15iterator_traitsISK_E10value_typeEPNSQ_ISL_E10value_typeEPSM_NS1_7vsmem_tEENKUlT_SK_SL_SM_E_clIPiSE_SF_SF_EESJ_SZ_SK_SL_SM_EUlSZ_E0_NS1_11comp_targetILNS1_3genE8ELNS1_11target_archE1030ELNS1_3gpuE2ELNS1_3repE0EEENS1_38merge_mergepath_config_static_selectorELNS0_4arch9wavefront6targetE1EEEvSL_, .Lfunc_end34-_ZN7rocprim17ROCPRIM_400000_NS6detail17trampoline_kernelINS0_14default_configENS1_38merge_sort_block_merge_config_selectorIiNS0_10empty_typeEEEZZNS1_27merge_sort_block_merge_implIS3_N6thrust23THRUST_200600_302600_NS6detail15normal_iteratorINS9_10device_ptrIiEEEEPS5_jNS1_19radix_merge_compareILb0ELb0EiNS0_19identity_decomposerEEEEE10hipError_tT0_T1_T2_jT3_P12ihipStream_tbPNSt15iterator_traitsISK_E10value_typeEPNSQ_ISL_E10value_typeEPSM_NS1_7vsmem_tEENKUlT_SK_SL_SM_E_clIPiSE_SF_SF_EESJ_SZ_SK_SL_SM_EUlSZ_E0_NS1_11comp_targetILNS1_3genE8ELNS1_11target_archE1030ELNS1_3gpuE2ELNS1_3repE0EEENS1_38merge_mergepath_config_static_selectorELNS0_4arch9wavefront6targetE1EEEvSL_
                                        ; -- End function
	.set _ZN7rocprim17ROCPRIM_400000_NS6detail17trampoline_kernelINS0_14default_configENS1_38merge_sort_block_merge_config_selectorIiNS0_10empty_typeEEEZZNS1_27merge_sort_block_merge_implIS3_N6thrust23THRUST_200600_302600_NS6detail15normal_iteratorINS9_10device_ptrIiEEEEPS5_jNS1_19radix_merge_compareILb0ELb0EiNS0_19identity_decomposerEEEEE10hipError_tT0_T1_T2_jT3_P12ihipStream_tbPNSt15iterator_traitsISK_E10value_typeEPNSQ_ISL_E10value_typeEPSM_NS1_7vsmem_tEENKUlT_SK_SL_SM_E_clIPiSE_SF_SF_EESJ_SZ_SK_SL_SM_EUlSZ_E0_NS1_11comp_targetILNS1_3genE8ELNS1_11target_archE1030ELNS1_3gpuE2ELNS1_3repE0EEENS1_38merge_mergepath_config_static_selectorELNS0_4arch9wavefront6targetE1EEEvSL_.num_vgpr, 0
	.set _ZN7rocprim17ROCPRIM_400000_NS6detail17trampoline_kernelINS0_14default_configENS1_38merge_sort_block_merge_config_selectorIiNS0_10empty_typeEEEZZNS1_27merge_sort_block_merge_implIS3_N6thrust23THRUST_200600_302600_NS6detail15normal_iteratorINS9_10device_ptrIiEEEEPS5_jNS1_19radix_merge_compareILb0ELb0EiNS0_19identity_decomposerEEEEE10hipError_tT0_T1_T2_jT3_P12ihipStream_tbPNSt15iterator_traitsISK_E10value_typeEPNSQ_ISL_E10value_typeEPSM_NS1_7vsmem_tEENKUlT_SK_SL_SM_E_clIPiSE_SF_SF_EESJ_SZ_SK_SL_SM_EUlSZ_E0_NS1_11comp_targetILNS1_3genE8ELNS1_11target_archE1030ELNS1_3gpuE2ELNS1_3repE0EEENS1_38merge_mergepath_config_static_selectorELNS0_4arch9wavefront6targetE1EEEvSL_.num_agpr, 0
	.set _ZN7rocprim17ROCPRIM_400000_NS6detail17trampoline_kernelINS0_14default_configENS1_38merge_sort_block_merge_config_selectorIiNS0_10empty_typeEEEZZNS1_27merge_sort_block_merge_implIS3_N6thrust23THRUST_200600_302600_NS6detail15normal_iteratorINS9_10device_ptrIiEEEEPS5_jNS1_19radix_merge_compareILb0ELb0EiNS0_19identity_decomposerEEEEE10hipError_tT0_T1_T2_jT3_P12ihipStream_tbPNSt15iterator_traitsISK_E10value_typeEPNSQ_ISL_E10value_typeEPSM_NS1_7vsmem_tEENKUlT_SK_SL_SM_E_clIPiSE_SF_SF_EESJ_SZ_SK_SL_SM_EUlSZ_E0_NS1_11comp_targetILNS1_3genE8ELNS1_11target_archE1030ELNS1_3gpuE2ELNS1_3repE0EEENS1_38merge_mergepath_config_static_selectorELNS0_4arch9wavefront6targetE1EEEvSL_.numbered_sgpr, 0
	.set _ZN7rocprim17ROCPRIM_400000_NS6detail17trampoline_kernelINS0_14default_configENS1_38merge_sort_block_merge_config_selectorIiNS0_10empty_typeEEEZZNS1_27merge_sort_block_merge_implIS3_N6thrust23THRUST_200600_302600_NS6detail15normal_iteratorINS9_10device_ptrIiEEEEPS5_jNS1_19radix_merge_compareILb0ELb0EiNS0_19identity_decomposerEEEEE10hipError_tT0_T1_T2_jT3_P12ihipStream_tbPNSt15iterator_traitsISK_E10value_typeEPNSQ_ISL_E10value_typeEPSM_NS1_7vsmem_tEENKUlT_SK_SL_SM_E_clIPiSE_SF_SF_EESJ_SZ_SK_SL_SM_EUlSZ_E0_NS1_11comp_targetILNS1_3genE8ELNS1_11target_archE1030ELNS1_3gpuE2ELNS1_3repE0EEENS1_38merge_mergepath_config_static_selectorELNS0_4arch9wavefront6targetE1EEEvSL_.num_named_barrier, 0
	.set _ZN7rocprim17ROCPRIM_400000_NS6detail17trampoline_kernelINS0_14default_configENS1_38merge_sort_block_merge_config_selectorIiNS0_10empty_typeEEEZZNS1_27merge_sort_block_merge_implIS3_N6thrust23THRUST_200600_302600_NS6detail15normal_iteratorINS9_10device_ptrIiEEEEPS5_jNS1_19radix_merge_compareILb0ELb0EiNS0_19identity_decomposerEEEEE10hipError_tT0_T1_T2_jT3_P12ihipStream_tbPNSt15iterator_traitsISK_E10value_typeEPNSQ_ISL_E10value_typeEPSM_NS1_7vsmem_tEENKUlT_SK_SL_SM_E_clIPiSE_SF_SF_EESJ_SZ_SK_SL_SM_EUlSZ_E0_NS1_11comp_targetILNS1_3genE8ELNS1_11target_archE1030ELNS1_3gpuE2ELNS1_3repE0EEENS1_38merge_mergepath_config_static_selectorELNS0_4arch9wavefront6targetE1EEEvSL_.private_seg_size, 0
	.set _ZN7rocprim17ROCPRIM_400000_NS6detail17trampoline_kernelINS0_14default_configENS1_38merge_sort_block_merge_config_selectorIiNS0_10empty_typeEEEZZNS1_27merge_sort_block_merge_implIS3_N6thrust23THRUST_200600_302600_NS6detail15normal_iteratorINS9_10device_ptrIiEEEEPS5_jNS1_19radix_merge_compareILb0ELb0EiNS0_19identity_decomposerEEEEE10hipError_tT0_T1_T2_jT3_P12ihipStream_tbPNSt15iterator_traitsISK_E10value_typeEPNSQ_ISL_E10value_typeEPSM_NS1_7vsmem_tEENKUlT_SK_SL_SM_E_clIPiSE_SF_SF_EESJ_SZ_SK_SL_SM_EUlSZ_E0_NS1_11comp_targetILNS1_3genE8ELNS1_11target_archE1030ELNS1_3gpuE2ELNS1_3repE0EEENS1_38merge_mergepath_config_static_selectorELNS0_4arch9wavefront6targetE1EEEvSL_.uses_vcc, 0
	.set _ZN7rocprim17ROCPRIM_400000_NS6detail17trampoline_kernelINS0_14default_configENS1_38merge_sort_block_merge_config_selectorIiNS0_10empty_typeEEEZZNS1_27merge_sort_block_merge_implIS3_N6thrust23THRUST_200600_302600_NS6detail15normal_iteratorINS9_10device_ptrIiEEEEPS5_jNS1_19radix_merge_compareILb0ELb0EiNS0_19identity_decomposerEEEEE10hipError_tT0_T1_T2_jT3_P12ihipStream_tbPNSt15iterator_traitsISK_E10value_typeEPNSQ_ISL_E10value_typeEPSM_NS1_7vsmem_tEENKUlT_SK_SL_SM_E_clIPiSE_SF_SF_EESJ_SZ_SK_SL_SM_EUlSZ_E0_NS1_11comp_targetILNS1_3genE8ELNS1_11target_archE1030ELNS1_3gpuE2ELNS1_3repE0EEENS1_38merge_mergepath_config_static_selectorELNS0_4arch9wavefront6targetE1EEEvSL_.uses_flat_scratch, 0
	.set _ZN7rocprim17ROCPRIM_400000_NS6detail17trampoline_kernelINS0_14default_configENS1_38merge_sort_block_merge_config_selectorIiNS0_10empty_typeEEEZZNS1_27merge_sort_block_merge_implIS3_N6thrust23THRUST_200600_302600_NS6detail15normal_iteratorINS9_10device_ptrIiEEEEPS5_jNS1_19radix_merge_compareILb0ELb0EiNS0_19identity_decomposerEEEEE10hipError_tT0_T1_T2_jT3_P12ihipStream_tbPNSt15iterator_traitsISK_E10value_typeEPNSQ_ISL_E10value_typeEPSM_NS1_7vsmem_tEENKUlT_SK_SL_SM_E_clIPiSE_SF_SF_EESJ_SZ_SK_SL_SM_EUlSZ_E0_NS1_11comp_targetILNS1_3genE8ELNS1_11target_archE1030ELNS1_3gpuE2ELNS1_3repE0EEENS1_38merge_mergepath_config_static_selectorELNS0_4arch9wavefront6targetE1EEEvSL_.has_dyn_sized_stack, 0
	.set _ZN7rocprim17ROCPRIM_400000_NS6detail17trampoline_kernelINS0_14default_configENS1_38merge_sort_block_merge_config_selectorIiNS0_10empty_typeEEEZZNS1_27merge_sort_block_merge_implIS3_N6thrust23THRUST_200600_302600_NS6detail15normal_iteratorINS9_10device_ptrIiEEEEPS5_jNS1_19radix_merge_compareILb0ELb0EiNS0_19identity_decomposerEEEEE10hipError_tT0_T1_T2_jT3_P12ihipStream_tbPNSt15iterator_traitsISK_E10value_typeEPNSQ_ISL_E10value_typeEPSM_NS1_7vsmem_tEENKUlT_SK_SL_SM_E_clIPiSE_SF_SF_EESJ_SZ_SK_SL_SM_EUlSZ_E0_NS1_11comp_targetILNS1_3genE8ELNS1_11target_archE1030ELNS1_3gpuE2ELNS1_3repE0EEENS1_38merge_mergepath_config_static_selectorELNS0_4arch9wavefront6targetE1EEEvSL_.has_recursion, 0
	.set _ZN7rocprim17ROCPRIM_400000_NS6detail17trampoline_kernelINS0_14default_configENS1_38merge_sort_block_merge_config_selectorIiNS0_10empty_typeEEEZZNS1_27merge_sort_block_merge_implIS3_N6thrust23THRUST_200600_302600_NS6detail15normal_iteratorINS9_10device_ptrIiEEEEPS5_jNS1_19radix_merge_compareILb0ELb0EiNS0_19identity_decomposerEEEEE10hipError_tT0_T1_T2_jT3_P12ihipStream_tbPNSt15iterator_traitsISK_E10value_typeEPNSQ_ISL_E10value_typeEPSM_NS1_7vsmem_tEENKUlT_SK_SL_SM_E_clIPiSE_SF_SF_EESJ_SZ_SK_SL_SM_EUlSZ_E0_NS1_11comp_targetILNS1_3genE8ELNS1_11target_archE1030ELNS1_3gpuE2ELNS1_3repE0EEENS1_38merge_mergepath_config_static_selectorELNS0_4arch9wavefront6targetE1EEEvSL_.has_indirect_call, 0
	.section	.AMDGPU.csdata,"",@progbits
; Kernel info:
; codeLenInByte = 0
; TotalNumSgprs: 6
; NumVgprs: 0
; NumAgprs: 0
; TotalNumVgprs: 0
; ScratchSize: 0
; MemoryBound: 0
; FloatMode: 240
; IeeeMode: 1
; LDSByteSize: 0 bytes/workgroup (compile time only)
; SGPRBlocks: 0
; VGPRBlocks: 0
; NumSGPRsForWavesPerEU: 6
; NumVGPRsForWavesPerEU: 1
; AccumOffset: 4
; Occupancy: 8
; WaveLimiterHint : 0
; COMPUTE_PGM_RSRC2:SCRATCH_EN: 0
; COMPUTE_PGM_RSRC2:USER_SGPR: 2
; COMPUTE_PGM_RSRC2:TRAP_HANDLER: 0
; COMPUTE_PGM_RSRC2:TGID_X_EN: 1
; COMPUTE_PGM_RSRC2:TGID_Y_EN: 0
; COMPUTE_PGM_RSRC2:TGID_Z_EN: 0
; COMPUTE_PGM_RSRC2:TIDIG_COMP_CNT: 0
; COMPUTE_PGM_RSRC3_GFX90A:ACCUM_OFFSET: 0
; COMPUTE_PGM_RSRC3_GFX90A:TG_SPLIT: 0
	.section	.text._ZN7rocprim17ROCPRIM_400000_NS6detail17trampoline_kernelINS0_14default_configENS1_38merge_sort_block_merge_config_selectorIiNS0_10empty_typeEEEZZNS1_27merge_sort_block_merge_implIS3_N6thrust23THRUST_200600_302600_NS6detail15normal_iteratorINS9_10device_ptrIiEEEEPS5_jNS1_19radix_merge_compareILb0ELb0EiNS0_19identity_decomposerEEEEE10hipError_tT0_T1_T2_jT3_P12ihipStream_tbPNSt15iterator_traitsISK_E10value_typeEPNSQ_ISL_E10value_typeEPSM_NS1_7vsmem_tEENKUlT_SK_SL_SM_E_clIPiSE_SF_SF_EESJ_SZ_SK_SL_SM_EUlSZ_E1_NS1_11comp_targetILNS1_3genE0ELNS1_11target_archE4294967295ELNS1_3gpuE0ELNS1_3repE0EEENS1_36merge_oddeven_config_static_selectorELNS0_4arch9wavefront6targetE1EEEvSL_,"axG",@progbits,_ZN7rocprim17ROCPRIM_400000_NS6detail17trampoline_kernelINS0_14default_configENS1_38merge_sort_block_merge_config_selectorIiNS0_10empty_typeEEEZZNS1_27merge_sort_block_merge_implIS3_N6thrust23THRUST_200600_302600_NS6detail15normal_iteratorINS9_10device_ptrIiEEEEPS5_jNS1_19radix_merge_compareILb0ELb0EiNS0_19identity_decomposerEEEEE10hipError_tT0_T1_T2_jT3_P12ihipStream_tbPNSt15iterator_traitsISK_E10value_typeEPNSQ_ISL_E10value_typeEPSM_NS1_7vsmem_tEENKUlT_SK_SL_SM_E_clIPiSE_SF_SF_EESJ_SZ_SK_SL_SM_EUlSZ_E1_NS1_11comp_targetILNS1_3genE0ELNS1_11target_archE4294967295ELNS1_3gpuE0ELNS1_3repE0EEENS1_36merge_oddeven_config_static_selectorELNS0_4arch9wavefront6targetE1EEEvSL_,comdat
	.protected	_ZN7rocprim17ROCPRIM_400000_NS6detail17trampoline_kernelINS0_14default_configENS1_38merge_sort_block_merge_config_selectorIiNS0_10empty_typeEEEZZNS1_27merge_sort_block_merge_implIS3_N6thrust23THRUST_200600_302600_NS6detail15normal_iteratorINS9_10device_ptrIiEEEEPS5_jNS1_19radix_merge_compareILb0ELb0EiNS0_19identity_decomposerEEEEE10hipError_tT0_T1_T2_jT3_P12ihipStream_tbPNSt15iterator_traitsISK_E10value_typeEPNSQ_ISL_E10value_typeEPSM_NS1_7vsmem_tEENKUlT_SK_SL_SM_E_clIPiSE_SF_SF_EESJ_SZ_SK_SL_SM_EUlSZ_E1_NS1_11comp_targetILNS1_3genE0ELNS1_11target_archE4294967295ELNS1_3gpuE0ELNS1_3repE0EEENS1_36merge_oddeven_config_static_selectorELNS0_4arch9wavefront6targetE1EEEvSL_ ; -- Begin function _ZN7rocprim17ROCPRIM_400000_NS6detail17trampoline_kernelINS0_14default_configENS1_38merge_sort_block_merge_config_selectorIiNS0_10empty_typeEEEZZNS1_27merge_sort_block_merge_implIS3_N6thrust23THRUST_200600_302600_NS6detail15normal_iteratorINS9_10device_ptrIiEEEEPS5_jNS1_19radix_merge_compareILb0ELb0EiNS0_19identity_decomposerEEEEE10hipError_tT0_T1_T2_jT3_P12ihipStream_tbPNSt15iterator_traitsISK_E10value_typeEPNSQ_ISL_E10value_typeEPSM_NS1_7vsmem_tEENKUlT_SK_SL_SM_E_clIPiSE_SF_SF_EESJ_SZ_SK_SL_SM_EUlSZ_E1_NS1_11comp_targetILNS1_3genE0ELNS1_11target_archE4294967295ELNS1_3gpuE0ELNS1_3repE0EEENS1_36merge_oddeven_config_static_selectorELNS0_4arch9wavefront6targetE1EEEvSL_
	.globl	_ZN7rocprim17ROCPRIM_400000_NS6detail17trampoline_kernelINS0_14default_configENS1_38merge_sort_block_merge_config_selectorIiNS0_10empty_typeEEEZZNS1_27merge_sort_block_merge_implIS3_N6thrust23THRUST_200600_302600_NS6detail15normal_iteratorINS9_10device_ptrIiEEEEPS5_jNS1_19radix_merge_compareILb0ELb0EiNS0_19identity_decomposerEEEEE10hipError_tT0_T1_T2_jT3_P12ihipStream_tbPNSt15iterator_traitsISK_E10value_typeEPNSQ_ISL_E10value_typeEPSM_NS1_7vsmem_tEENKUlT_SK_SL_SM_E_clIPiSE_SF_SF_EESJ_SZ_SK_SL_SM_EUlSZ_E1_NS1_11comp_targetILNS1_3genE0ELNS1_11target_archE4294967295ELNS1_3gpuE0ELNS1_3repE0EEENS1_36merge_oddeven_config_static_selectorELNS0_4arch9wavefront6targetE1EEEvSL_
	.p2align	8
	.type	_ZN7rocprim17ROCPRIM_400000_NS6detail17trampoline_kernelINS0_14default_configENS1_38merge_sort_block_merge_config_selectorIiNS0_10empty_typeEEEZZNS1_27merge_sort_block_merge_implIS3_N6thrust23THRUST_200600_302600_NS6detail15normal_iteratorINS9_10device_ptrIiEEEEPS5_jNS1_19radix_merge_compareILb0ELb0EiNS0_19identity_decomposerEEEEE10hipError_tT0_T1_T2_jT3_P12ihipStream_tbPNSt15iterator_traitsISK_E10value_typeEPNSQ_ISL_E10value_typeEPSM_NS1_7vsmem_tEENKUlT_SK_SL_SM_E_clIPiSE_SF_SF_EESJ_SZ_SK_SL_SM_EUlSZ_E1_NS1_11comp_targetILNS1_3genE0ELNS1_11target_archE4294967295ELNS1_3gpuE0ELNS1_3repE0EEENS1_36merge_oddeven_config_static_selectorELNS0_4arch9wavefront6targetE1EEEvSL_,@function
_ZN7rocprim17ROCPRIM_400000_NS6detail17trampoline_kernelINS0_14default_configENS1_38merge_sort_block_merge_config_selectorIiNS0_10empty_typeEEEZZNS1_27merge_sort_block_merge_implIS3_N6thrust23THRUST_200600_302600_NS6detail15normal_iteratorINS9_10device_ptrIiEEEEPS5_jNS1_19radix_merge_compareILb0ELb0EiNS0_19identity_decomposerEEEEE10hipError_tT0_T1_T2_jT3_P12ihipStream_tbPNSt15iterator_traitsISK_E10value_typeEPNSQ_ISL_E10value_typeEPSM_NS1_7vsmem_tEENKUlT_SK_SL_SM_E_clIPiSE_SF_SF_EESJ_SZ_SK_SL_SM_EUlSZ_E1_NS1_11comp_targetILNS1_3genE0ELNS1_11target_archE4294967295ELNS1_3gpuE0ELNS1_3repE0EEENS1_36merge_oddeven_config_static_selectorELNS0_4arch9wavefront6targetE1EEEvSL_: ; @_ZN7rocprim17ROCPRIM_400000_NS6detail17trampoline_kernelINS0_14default_configENS1_38merge_sort_block_merge_config_selectorIiNS0_10empty_typeEEEZZNS1_27merge_sort_block_merge_implIS3_N6thrust23THRUST_200600_302600_NS6detail15normal_iteratorINS9_10device_ptrIiEEEEPS5_jNS1_19radix_merge_compareILb0ELb0EiNS0_19identity_decomposerEEEEE10hipError_tT0_T1_T2_jT3_P12ihipStream_tbPNSt15iterator_traitsISK_E10value_typeEPNSQ_ISL_E10value_typeEPSM_NS1_7vsmem_tEENKUlT_SK_SL_SM_E_clIPiSE_SF_SF_EESJ_SZ_SK_SL_SM_EUlSZ_E1_NS1_11comp_targetILNS1_3genE0ELNS1_11target_archE4294967295ELNS1_3gpuE0ELNS1_3repE0EEENS1_36merge_oddeven_config_static_selectorELNS0_4arch9wavefront6targetE1EEEvSL_
; %bb.0:
	s_load_dword s16, s[0:1], 0x20
	s_waitcnt lgkmcnt(0)
	s_lshr_b32 s3, s16, 8
	s_cmp_lg_u32 s2, s3
	s_cselect_b64 s[12:13], -1, 0
	s_cmp_eq_u32 s2, s3
	s_cselect_b64 s[6:7], -1, 0
	s_lshl_b32 s14, s2, 8
	s_sub_i32 s3, s16, s14
	v_cmp_gt_u32_e64 s[4:5], s3, v0
	s_or_b64 s[8:9], s[12:13], s[4:5]
	s_and_saveexec_b64 s[10:11], s[8:9]
	s_cbranch_execz .LBB35_20
; %bb.1:
	s_load_dwordx4 s[8:11], s[0:1], 0x0
	s_load_dword s17, s[0:1], 0x24
	s_mov_b32 s15, 0
	s_lshl_b64 s[0:1], s[14:15], 2
	v_lshlrev_b32_e32 v1, 2, v0
	s_waitcnt lgkmcnt(0)
	s_add_u32 s0, s8, s0
	s_addc_u32 s1, s9, s1
	global_load_dword v2, v1, s[0:1]
	s_lshr_b32 s0, s17, 8
	s_sub_i32 s1, 0, s0
	s_and_b32 s1, s2, s1
	s_and_b32 s0, s1, s0
	s_lshl_b32 s18, s1, 8
	s_sub_i32 s15, 0, s17
	s_cmp_eq_u32 s0, 0
	s_cselect_b64 s[0:1], -1, 0
	s_and_b64 s[2:3], s[0:1], exec
	s_cselect_b32 s15, s17, s15
	s_add_i32 s15, s15, s18
	s_cmp_gt_u32 s16, s15
	v_add_u32_e32 v0, s14, v0
	s_cbranch_scc1 .LBB35_3
; %bb.2:
	v_cmp_gt_u32_e32 vcc, s16, v0
	s_or_b64 s[2:3], vcc, s[12:13]
	s_and_b64 s[2:3], s[2:3], exec
	s_cbranch_execz .LBB35_4
	s_branch .LBB35_18
.LBB35_3:
	s_mov_b64 s[2:3], 0
.LBB35_4:
	s_min_u32 s12, s15, s16
	s_min_u32 s14, s18, s12
	s_add_i32 s18, s18, s12
	s_add_i32 s13, s12, s17
	v_subrev_u32_e32 v0, s18, v0
	s_min_u32 s13, s13, s16
	v_add_u32_e32 v3, s14, v0
	s_and_b64 vcc, exec, s[6:7]
	s_cbranch_vccz .LBB35_12
; %bb.5:
                                        ; implicit-def: $vgpr0
	s_and_saveexec_b64 s[6:7], s[4:5]
	s_cbranch_execz .LBB35_11
; %bb.6:
	s_cmp_ge_u32 s15, s13
	v_mov_b32_e32 v4, s12
	s_cbranch_scc1 .LBB35_10
; %bb.7:
	s_mov_b64 s[4:5], 0
	v_mov_b32_e32 v5, s13
	v_mov_b32_e32 v4, s12
	;; [unrolled: 1-line block ×3, first 2 shown]
.LBB35_8:                               ; =>This Inner Loop Header: Depth=1
	v_add_u32_e32 v0, v4, v5
	v_lshrrev_b32_e32 v0, 1, v0
	v_lshl_add_u64 v[6:7], v[0:1], 2, s[8:9]
	global_load_dword v6, v[6:7], off
	v_add_u32_e32 v7, 1, v0
	s_waitcnt vmcnt(0)
	v_cmp_gt_i32_e32 vcc, v2, v6
	s_nop 1
	v_cndmask_b32_e64 v8, 0, 1, vcc
	v_cmp_le_i32_e32 vcc, v6, v2
	s_nop 1
	v_cndmask_b32_e64 v6, 0, 1, vcc
	v_cndmask_b32_e64 v6, v6, v8, s[0:1]
	v_and_b32_e32 v6, 1, v6
	v_cmp_eq_u32_e32 vcc, 1, v6
	s_nop 1
	v_cndmask_b32_e32 v5, v0, v5, vcc
	v_cndmask_b32_e32 v4, v4, v7, vcc
	v_cmp_ge_u32_e32 vcc, v4, v5
	s_or_b64 s[4:5], vcc, s[4:5]
	s_andn2_b64 exec, exec, s[4:5]
	s_cbranch_execnz .LBB35_8
; %bb.9:
	s_or_b64 exec, exec, s[4:5]
.LBB35_10:
	v_add_u32_e32 v0, v4, v3
	s_or_b64 s[2:3], s[2:3], exec
.LBB35_11:
	s_or_b64 exec, exec, s[6:7]
	s_branch .LBB35_18
.LBB35_12:
                                        ; implicit-def: $vgpr0
	s_cbranch_execz .LBB35_18
; %bb.13:
	s_cmp_ge_u32 s15, s13
	v_mov_b32_e32 v4, s12
	s_cbranch_scc1 .LBB35_17
; %bb.14:
	s_mov_b64 s[2:3], 0
	v_mov_b32_e32 v5, s13
	v_mov_b32_e32 v4, s12
	;; [unrolled: 1-line block ×3, first 2 shown]
.LBB35_15:                              ; =>This Inner Loop Header: Depth=1
	v_add_u32_e32 v0, v4, v5
	v_lshrrev_b32_e32 v0, 1, v0
	v_lshl_add_u64 v[6:7], v[0:1], 2, s[8:9]
	global_load_dword v6, v[6:7], off
	v_add_u32_e32 v7, 1, v0
	s_waitcnt vmcnt(0)
	v_cmp_gt_i32_e32 vcc, v2, v6
	s_nop 1
	v_cndmask_b32_e64 v8, 0, 1, vcc
	v_cmp_le_i32_e32 vcc, v6, v2
	s_nop 1
	v_cndmask_b32_e64 v6, 0, 1, vcc
	v_cndmask_b32_e64 v6, v6, v8, s[0:1]
	v_and_b32_e32 v6, 1, v6
	v_cmp_eq_u32_e32 vcc, 1, v6
	s_nop 1
	v_cndmask_b32_e32 v5, v0, v5, vcc
	v_cndmask_b32_e32 v4, v4, v7, vcc
	v_cmp_ge_u32_e32 vcc, v4, v5
	s_or_b64 s[2:3], vcc, s[2:3]
	s_andn2_b64 exec, exec, s[2:3]
	s_cbranch_execnz .LBB35_15
; %bb.16:
	s_or_b64 exec, exec, s[2:3]
.LBB35_17:
	v_add_u32_e32 v0, v4, v3
	s_mov_b64 s[2:3], -1
.LBB35_18:
	s_and_b64 exec, exec, s[2:3]
	s_cbranch_execz .LBB35_20
; %bb.19:
	v_mov_b32_e32 v4, s10
	v_mov_b32_e32 v5, s11
	;; [unrolled: 1-line block ×3, first 2 shown]
	v_lshl_add_u64 v[0:1], v[0:1], 2, v[4:5]
	s_waitcnt vmcnt(0)
	global_store_dword v[0:1], v2, off
.LBB35_20:
	s_endpgm
	.section	.rodata,"a",@progbits
	.p2align	6, 0x0
	.amdhsa_kernel _ZN7rocprim17ROCPRIM_400000_NS6detail17trampoline_kernelINS0_14default_configENS1_38merge_sort_block_merge_config_selectorIiNS0_10empty_typeEEEZZNS1_27merge_sort_block_merge_implIS3_N6thrust23THRUST_200600_302600_NS6detail15normal_iteratorINS9_10device_ptrIiEEEEPS5_jNS1_19radix_merge_compareILb0ELb0EiNS0_19identity_decomposerEEEEE10hipError_tT0_T1_T2_jT3_P12ihipStream_tbPNSt15iterator_traitsISK_E10value_typeEPNSQ_ISL_E10value_typeEPSM_NS1_7vsmem_tEENKUlT_SK_SL_SM_E_clIPiSE_SF_SF_EESJ_SZ_SK_SL_SM_EUlSZ_E1_NS1_11comp_targetILNS1_3genE0ELNS1_11target_archE4294967295ELNS1_3gpuE0ELNS1_3repE0EEENS1_36merge_oddeven_config_static_selectorELNS0_4arch9wavefront6targetE1EEEvSL_
		.amdhsa_group_segment_fixed_size 0
		.amdhsa_private_segment_fixed_size 0
		.amdhsa_kernarg_size 48
		.amdhsa_user_sgpr_count 2
		.amdhsa_user_sgpr_dispatch_ptr 0
		.amdhsa_user_sgpr_queue_ptr 0
		.amdhsa_user_sgpr_kernarg_segment_ptr 1
		.amdhsa_user_sgpr_dispatch_id 0
		.amdhsa_user_sgpr_kernarg_preload_length 0
		.amdhsa_user_sgpr_kernarg_preload_offset 0
		.amdhsa_user_sgpr_private_segment_size 0
		.amdhsa_uses_dynamic_stack 0
		.amdhsa_enable_private_segment 0
		.amdhsa_system_sgpr_workgroup_id_x 1
		.amdhsa_system_sgpr_workgroup_id_y 0
		.amdhsa_system_sgpr_workgroup_id_z 0
		.amdhsa_system_sgpr_workgroup_info 0
		.amdhsa_system_vgpr_workitem_id 0
		.amdhsa_next_free_vgpr 9
		.amdhsa_next_free_sgpr 19
		.amdhsa_accum_offset 12
		.amdhsa_reserve_vcc 1
		.amdhsa_float_round_mode_32 0
		.amdhsa_float_round_mode_16_64 0
		.amdhsa_float_denorm_mode_32 3
		.amdhsa_float_denorm_mode_16_64 3
		.amdhsa_dx10_clamp 1
		.amdhsa_ieee_mode 1
		.amdhsa_fp16_overflow 0
		.amdhsa_tg_split 0
		.amdhsa_exception_fp_ieee_invalid_op 0
		.amdhsa_exception_fp_denorm_src 0
		.amdhsa_exception_fp_ieee_div_zero 0
		.amdhsa_exception_fp_ieee_overflow 0
		.amdhsa_exception_fp_ieee_underflow 0
		.amdhsa_exception_fp_ieee_inexact 0
		.amdhsa_exception_int_div_zero 0
	.end_amdhsa_kernel
	.section	.text._ZN7rocprim17ROCPRIM_400000_NS6detail17trampoline_kernelINS0_14default_configENS1_38merge_sort_block_merge_config_selectorIiNS0_10empty_typeEEEZZNS1_27merge_sort_block_merge_implIS3_N6thrust23THRUST_200600_302600_NS6detail15normal_iteratorINS9_10device_ptrIiEEEEPS5_jNS1_19radix_merge_compareILb0ELb0EiNS0_19identity_decomposerEEEEE10hipError_tT0_T1_T2_jT3_P12ihipStream_tbPNSt15iterator_traitsISK_E10value_typeEPNSQ_ISL_E10value_typeEPSM_NS1_7vsmem_tEENKUlT_SK_SL_SM_E_clIPiSE_SF_SF_EESJ_SZ_SK_SL_SM_EUlSZ_E1_NS1_11comp_targetILNS1_3genE0ELNS1_11target_archE4294967295ELNS1_3gpuE0ELNS1_3repE0EEENS1_36merge_oddeven_config_static_selectorELNS0_4arch9wavefront6targetE1EEEvSL_,"axG",@progbits,_ZN7rocprim17ROCPRIM_400000_NS6detail17trampoline_kernelINS0_14default_configENS1_38merge_sort_block_merge_config_selectorIiNS0_10empty_typeEEEZZNS1_27merge_sort_block_merge_implIS3_N6thrust23THRUST_200600_302600_NS6detail15normal_iteratorINS9_10device_ptrIiEEEEPS5_jNS1_19radix_merge_compareILb0ELb0EiNS0_19identity_decomposerEEEEE10hipError_tT0_T1_T2_jT3_P12ihipStream_tbPNSt15iterator_traitsISK_E10value_typeEPNSQ_ISL_E10value_typeEPSM_NS1_7vsmem_tEENKUlT_SK_SL_SM_E_clIPiSE_SF_SF_EESJ_SZ_SK_SL_SM_EUlSZ_E1_NS1_11comp_targetILNS1_3genE0ELNS1_11target_archE4294967295ELNS1_3gpuE0ELNS1_3repE0EEENS1_36merge_oddeven_config_static_selectorELNS0_4arch9wavefront6targetE1EEEvSL_,comdat
.Lfunc_end35:
	.size	_ZN7rocprim17ROCPRIM_400000_NS6detail17trampoline_kernelINS0_14default_configENS1_38merge_sort_block_merge_config_selectorIiNS0_10empty_typeEEEZZNS1_27merge_sort_block_merge_implIS3_N6thrust23THRUST_200600_302600_NS6detail15normal_iteratorINS9_10device_ptrIiEEEEPS5_jNS1_19radix_merge_compareILb0ELb0EiNS0_19identity_decomposerEEEEE10hipError_tT0_T1_T2_jT3_P12ihipStream_tbPNSt15iterator_traitsISK_E10value_typeEPNSQ_ISL_E10value_typeEPSM_NS1_7vsmem_tEENKUlT_SK_SL_SM_E_clIPiSE_SF_SF_EESJ_SZ_SK_SL_SM_EUlSZ_E1_NS1_11comp_targetILNS1_3genE0ELNS1_11target_archE4294967295ELNS1_3gpuE0ELNS1_3repE0EEENS1_36merge_oddeven_config_static_selectorELNS0_4arch9wavefront6targetE1EEEvSL_, .Lfunc_end35-_ZN7rocprim17ROCPRIM_400000_NS6detail17trampoline_kernelINS0_14default_configENS1_38merge_sort_block_merge_config_selectorIiNS0_10empty_typeEEEZZNS1_27merge_sort_block_merge_implIS3_N6thrust23THRUST_200600_302600_NS6detail15normal_iteratorINS9_10device_ptrIiEEEEPS5_jNS1_19radix_merge_compareILb0ELb0EiNS0_19identity_decomposerEEEEE10hipError_tT0_T1_T2_jT3_P12ihipStream_tbPNSt15iterator_traitsISK_E10value_typeEPNSQ_ISL_E10value_typeEPSM_NS1_7vsmem_tEENKUlT_SK_SL_SM_E_clIPiSE_SF_SF_EESJ_SZ_SK_SL_SM_EUlSZ_E1_NS1_11comp_targetILNS1_3genE0ELNS1_11target_archE4294967295ELNS1_3gpuE0ELNS1_3repE0EEENS1_36merge_oddeven_config_static_selectorELNS0_4arch9wavefront6targetE1EEEvSL_
                                        ; -- End function
	.set _ZN7rocprim17ROCPRIM_400000_NS6detail17trampoline_kernelINS0_14default_configENS1_38merge_sort_block_merge_config_selectorIiNS0_10empty_typeEEEZZNS1_27merge_sort_block_merge_implIS3_N6thrust23THRUST_200600_302600_NS6detail15normal_iteratorINS9_10device_ptrIiEEEEPS5_jNS1_19radix_merge_compareILb0ELb0EiNS0_19identity_decomposerEEEEE10hipError_tT0_T1_T2_jT3_P12ihipStream_tbPNSt15iterator_traitsISK_E10value_typeEPNSQ_ISL_E10value_typeEPSM_NS1_7vsmem_tEENKUlT_SK_SL_SM_E_clIPiSE_SF_SF_EESJ_SZ_SK_SL_SM_EUlSZ_E1_NS1_11comp_targetILNS1_3genE0ELNS1_11target_archE4294967295ELNS1_3gpuE0ELNS1_3repE0EEENS1_36merge_oddeven_config_static_selectorELNS0_4arch9wavefront6targetE1EEEvSL_.num_vgpr, 9
	.set _ZN7rocprim17ROCPRIM_400000_NS6detail17trampoline_kernelINS0_14default_configENS1_38merge_sort_block_merge_config_selectorIiNS0_10empty_typeEEEZZNS1_27merge_sort_block_merge_implIS3_N6thrust23THRUST_200600_302600_NS6detail15normal_iteratorINS9_10device_ptrIiEEEEPS5_jNS1_19radix_merge_compareILb0ELb0EiNS0_19identity_decomposerEEEEE10hipError_tT0_T1_T2_jT3_P12ihipStream_tbPNSt15iterator_traitsISK_E10value_typeEPNSQ_ISL_E10value_typeEPSM_NS1_7vsmem_tEENKUlT_SK_SL_SM_E_clIPiSE_SF_SF_EESJ_SZ_SK_SL_SM_EUlSZ_E1_NS1_11comp_targetILNS1_3genE0ELNS1_11target_archE4294967295ELNS1_3gpuE0ELNS1_3repE0EEENS1_36merge_oddeven_config_static_selectorELNS0_4arch9wavefront6targetE1EEEvSL_.num_agpr, 0
	.set _ZN7rocprim17ROCPRIM_400000_NS6detail17trampoline_kernelINS0_14default_configENS1_38merge_sort_block_merge_config_selectorIiNS0_10empty_typeEEEZZNS1_27merge_sort_block_merge_implIS3_N6thrust23THRUST_200600_302600_NS6detail15normal_iteratorINS9_10device_ptrIiEEEEPS5_jNS1_19radix_merge_compareILb0ELb0EiNS0_19identity_decomposerEEEEE10hipError_tT0_T1_T2_jT3_P12ihipStream_tbPNSt15iterator_traitsISK_E10value_typeEPNSQ_ISL_E10value_typeEPSM_NS1_7vsmem_tEENKUlT_SK_SL_SM_E_clIPiSE_SF_SF_EESJ_SZ_SK_SL_SM_EUlSZ_E1_NS1_11comp_targetILNS1_3genE0ELNS1_11target_archE4294967295ELNS1_3gpuE0ELNS1_3repE0EEENS1_36merge_oddeven_config_static_selectorELNS0_4arch9wavefront6targetE1EEEvSL_.numbered_sgpr, 19
	.set _ZN7rocprim17ROCPRIM_400000_NS6detail17trampoline_kernelINS0_14default_configENS1_38merge_sort_block_merge_config_selectorIiNS0_10empty_typeEEEZZNS1_27merge_sort_block_merge_implIS3_N6thrust23THRUST_200600_302600_NS6detail15normal_iteratorINS9_10device_ptrIiEEEEPS5_jNS1_19radix_merge_compareILb0ELb0EiNS0_19identity_decomposerEEEEE10hipError_tT0_T1_T2_jT3_P12ihipStream_tbPNSt15iterator_traitsISK_E10value_typeEPNSQ_ISL_E10value_typeEPSM_NS1_7vsmem_tEENKUlT_SK_SL_SM_E_clIPiSE_SF_SF_EESJ_SZ_SK_SL_SM_EUlSZ_E1_NS1_11comp_targetILNS1_3genE0ELNS1_11target_archE4294967295ELNS1_3gpuE0ELNS1_3repE0EEENS1_36merge_oddeven_config_static_selectorELNS0_4arch9wavefront6targetE1EEEvSL_.num_named_barrier, 0
	.set _ZN7rocprim17ROCPRIM_400000_NS6detail17trampoline_kernelINS0_14default_configENS1_38merge_sort_block_merge_config_selectorIiNS0_10empty_typeEEEZZNS1_27merge_sort_block_merge_implIS3_N6thrust23THRUST_200600_302600_NS6detail15normal_iteratorINS9_10device_ptrIiEEEEPS5_jNS1_19radix_merge_compareILb0ELb0EiNS0_19identity_decomposerEEEEE10hipError_tT0_T1_T2_jT3_P12ihipStream_tbPNSt15iterator_traitsISK_E10value_typeEPNSQ_ISL_E10value_typeEPSM_NS1_7vsmem_tEENKUlT_SK_SL_SM_E_clIPiSE_SF_SF_EESJ_SZ_SK_SL_SM_EUlSZ_E1_NS1_11comp_targetILNS1_3genE0ELNS1_11target_archE4294967295ELNS1_3gpuE0ELNS1_3repE0EEENS1_36merge_oddeven_config_static_selectorELNS0_4arch9wavefront6targetE1EEEvSL_.private_seg_size, 0
	.set _ZN7rocprim17ROCPRIM_400000_NS6detail17trampoline_kernelINS0_14default_configENS1_38merge_sort_block_merge_config_selectorIiNS0_10empty_typeEEEZZNS1_27merge_sort_block_merge_implIS3_N6thrust23THRUST_200600_302600_NS6detail15normal_iteratorINS9_10device_ptrIiEEEEPS5_jNS1_19radix_merge_compareILb0ELb0EiNS0_19identity_decomposerEEEEE10hipError_tT0_T1_T2_jT3_P12ihipStream_tbPNSt15iterator_traitsISK_E10value_typeEPNSQ_ISL_E10value_typeEPSM_NS1_7vsmem_tEENKUlT_SK_SL_SM_E_clIPiSE_SF_SF_EESJ_SZ_SK_SL_SM_EUlSZ_E1_NS1_11comp_targetILNS1_3genE0ELNS1_11target_archE4294967295ELNS1_3gpuE0ELNS1_3repE0EEENS1_36merge_oddeven_config_static_selectorELNS0_4arch9wavefront6targetE1EEEvSL_.uses_vcc, 1
	.set _ZN7rocprim17ROCPRIM_400000_NS6detail17trampoline_kernelINS0_14default_configENS1_38merge_sort_block_merge_config_selectorIiNS0_10empty_typeEEEZZNS1_27merge_sort_block_merge_implIS3_N6thrust23THRUST_200600_302600_NS6detail15normal_iteratorINS9_10device_ptrIiEEEEPS5_jNS1_19radix_merge_compareILb0ELb0EiNS0_19identity_decomposerEEEEE10hipError_tT0_T1_T2_jT3_P12ihipStream_tbPNSt15iterator_traitsISK_E10value_typeEPNSQ_ISL_E10value_typeEPSM_NS1_7vsmem_tEENKUlT_SK_SL_SM_E_clIPiSE_SF_SF_EESJ_SZ_SK_SL_SM_EUlSZ_E1_NS1_11comp_targetILNS1_3genE0ELNS1_11target_archE4294967295ELNS1_3gpuE0ELNS1_3repE0EEENS1_36merge_oddeven_config_static_selectorELNS0_4arch9wavefront6targetE1EEEvSL_.uses_flat_scratch, 0
	.set _ZN7rocprim17ROCPRIM_400000_NS6detail17trampoline_kernelINS0_14default_configENS1_38merge_sort_block_merge_config_selectorIiNS0_10empty_typeEEEZZNS1_27merge_sort_block_merge_implIS3_N6thrust23THRUST_200600_302600_NS6detail15normal_iteratorINS9_10device_ptrIiEEEEPS5_jNS1_19radix_merge_compareILb0ELb0EiNS0_19identity_decomposerEEEEE10hipError_tT0_T1_T2_jT3_P12ihipStream_tbPNSt15iterator_traitsISK_E10value_typeEPNSQ_ISL_E10value_typeEPSM_NS1_7vsmem_tEENKUlT_SK_SL_SM_E_clIPiSE_SF_SF_EESJ_SZ_SK_SL_SM_EUlSZ_E1_NS1_11comp_targetILNS1_3genE0ELNS1_11target_archE4294967295ELNS1_3gpuE0ELNS1_3repE0EEENS1_36merge_oddeven_config_static_selectorELNS0_4arch9wavefront6targetE1EEEvSL_.has_dyn_sized_stack, 0
	.set _ZN7rocprim17ROCPRIM_400000_NS6detail17trampoline_kernelINS0_14default_configENS1_38merge_sort_block_merge_config_selectorIiNS0_10empty_typeEEEZZNS1_27merge_sort_block_merge_implIS3_N6thrust23THRUST_200600_302600_NS6detail15normal_iteratorINS9_10device_ptrIiEEEEPS5_jNS1_19radix_merge_compareILb0ELb0EiNS0_19identity_decomposerEEEEE10hipError_tT0_T1_T2_jT3_P12ihipStream_tbPNSt15iterator_traitsISK_E10value_typeEPNSQ_ISL_E10value_typeEPSM_NS1_7vsmem_tEENKUlT_SK_SL_SM_E_clIPiSE_SF_SF_EESJ_SZ_SK_SL_SM_EUlSZ_E1_NS1_11comp_targetILNS1_3genE0ELNS1_11target_archE4294967295ELNS1_3gpuE0ELNS1_3repE0EEENS1_36merge_oddeven_config_static_selectorELNS0_4arch9wavefront6targetE1EEEvSL_.has_recursion, 0
	.set _ZN7rocprim17ROCPRIM_400000_NS6detail17trampoline_kernelINS0_14default_configENS1_38merge_sort_block_merge_config_selectorIiNS0_10empty_typeEEEZZNS1_27merge_sort_block_merge_implIS3_N6thrust23THRUST_200600_302600_NS6detail15normal_iteratorINS9_10device_ptrIiEEEEPS5_jNS1_19radix_merge_compareILb0ELb0EiNS0_19identity_decomposerEEEEE10hipError_tT0_T1_T2_jT3_P12ihipStream_tbPNSt15iterator_traitsISK_E10value_typeEPNSQ_ISL_E10value_typeEPSM_NS1_7vsmem_tEENKUlT_SK_SL_SM_E_clIPiSE_SF_SF_EESJ_SZ_SK_SL_SM_EUlSZ_E1_NS1_11comp_targetILNS1_3genE0ELNS1_11target_archE4294967295ELNS1_3gpuE0ELNS1_3repE0EEENS1_36merge_oddeven_config_static_selectorELNS0_4arch9wavefront6targetE1EEEvSL_.has_indirect_call, 0
	.section	.AMDGPU.csdata,"",@progbits
; Kernel info:
; codeLenInByte = 584
; TotalNumSgprs: 25
; NumVgprs: 9
; NumAgprs: 0
; TotalNumVgprs: 9
; ScratchSize: 0
; MemoryBound: 0
; FloatMode: 240
; IeeeMode: 1
; LDSByteSize: 0 bytes/workgroup (compile time only)
; SGPRBlocks: 3
; VGPRBlocks: 1
; NumSGPRsForWavesPerEU: 25
; NumVGPRsForWavesPerEU: 9
; AccumOffset: 12
; Occupancy: 8
; WaveLimiterHint : 0
; COMPUTE_PGM_RSRC2:SCRATCH_EN: 0
; COMPUTE_PGM_RSRC2:USER_SGPR: 2
; COMPUTE_PGM_RSRC2:TRAP_HANDLER: 0
; COMPUTE_PGM_RSRC2:TGID_X_EN: 1
; COMPUTE_PGM_RSRC2:TGID_Y_EN: 0
; COMPUTE_PGM_RSRC2:TGID_Z_EN: 0
; COMPUTE_PGM_RSRC2:TIDIG_COMP_CNT: 0
; COMPUTE_PGM_RSRC3_GFX90A:ACCUM_OFFSET: 2
; COMPUTE_PGM_RSRC3_GFX90A:TG_SPLIT: 0
	.section	.text._ZN7rocprim17ROCPRIM_400000_NS6detail17trampoline_kernelINS0_14default_configENS1_38merge_sort_block_merge_config_selectorIiNS0_10empty_typeEEEZZNS1_27merge_sort_block_merge_implIS3_N6thrust23THRUST_200600_302600_NS6detail15normal_iteratorINS9_10device_ptrIiEEEEPS5_jNS1_19radix_merge_compareILb0ELb0EiNS0_19identity_decomposerEEEEE10hipError_tT0_T1_T2_jT3_P12ihipStream_tbPNSt15iterator_traitsISK_E10value_typeEPNSQ_ISL_E10value_typeEPSM_NS1_7vsmem_tEENKUlT_SK_SL_SM_E_clIPiSE_SF_SF_EESJ_SZ_SK_SL_SM_EUlSZ_E1_NS1_11comp_targetILNS1_3genE10ELNS1_11target_archE1201ELNS1_3gpuE5ELNS1_3repE0EEENS1_36merge_oddeven_config_static_selectorELNS0_4arch9wavefront6targetE1EEEvSL_,"axG",@progbits,_ZN7rocprim17ROCPRIM_400000_NS6detail17trampoline_kernelINS0_14default_configENS1_38merge_sort_block_merge_config_selectorIiNS0_10empty_typeEEEZZNS1_27merge_sort_block_merge_implIS3_N6thrust23THRUST_200600_302600_NS6detail15normal_iteratorINS9_10device_ptrIiEEEEPS5_jNS1_19radix_merge_compareILb0ELb0EiNS0_19identity_decomposerEEEEE10hipError_tT0_T1_T2_jT3_P12ihipStream_tbPNSt15iterator_traitsISK_E10value_typeEPNSQ_ISL_E10value_typeEPSM_NS1_7vsmem_tEENKUlT_SK_SL_SM_E_clIPiSE_SF_SF_EESJ_SZ_SK_SL_SM_EUlSZ_E1_NS1_11comp_targetILNS1_3genE10ELNS1_11target_archE1201ELNS1_3gpuE5ELNS1_3repE0EEENS1_36merge_oddeven_config_static_selectorELNS0_4arch9wavefront6targetE1EEEvSL_,comdat
	.protected	_ZN7rocprim17ROCPRIM_400000_NS6detail17trampoline_kernelINS0_14default_configENS1_38merge_sort_block_merge_config_selectorIiNS0_10empty_typeEEEZZNS1_27merge_sort_block_merge_implIS3_N6thrust23THRUST_200600_302600_NS6detail15normal_iteratorINS9_10device_ptrIiEEEEPS5_jNS1_19radix_merge_compareILb0ELb0EiNS0_19identity_decomposerEEEEE10hipError_tT0_T1_T2_jT3_P12ihipStream_tbPNSt15iterator_traitsISK_E10value_typeEPNSQ_ISL_E10value_typeEPSM_NS1_7vsmem_tEENKUlT_SK_SL_SM_E_clIPiSE_SF_SF_EESJ_SZ_SK_SL_SM_EUlSZ_E1_NS1_11comp_targetILNS1_3genE10ELNS1_11target_archE1201ELNS1_3gpuE5ELNS1_3repE0EEENS1_36merge_oddeven_config_static_selectorELNS0_4arch9wavefront6targetE1EEEvSL_ ; -- Begin function _ZN7rocprim17ROCPRIM_400000_NS6detail17trampoline_kernelINS0_14default_configENS1_38merge_sort_block_merge_config_selectorIiNS0_10empty_typeEEEZZNS1_27merge_sort_block_merge_implIS3_N6thrust23THRUST_200600_302600_NS6detail15normal_iteratorINS9_10device_ptrIiEEEEPS5_jNS1_19radix_merge_compareILb0ELb0EiNS0_19identity_decomposerEEEEE10hipError_tT0_T1_T2_jT3_P12ihipStream_tbPNSt15iterator_traitsISK_E10value_typeEPNSQ_ISL_E10value_typeEPSM_NS1_7vsmem_tEENKUlT_SK_SL_SM_E_clIPiSE_SF_SF_EESJ_SZ_SK_SL_SM_EUlSZ_E1_NS1_11comp_targetILNS1_3genE10ELNS1_11target_archE1201ELNS1_3gpuE5ELNS1_3repE0EEENS1_36merge_oddeven_config_static_selectorELNS0_4arch9wavefront6targetE1EEEvSL_
	.globl	_ZN7rocprim17ROCPRIM_400000_NS6detail17trampoline_kernelINS0_14default_configENS1_38merge_sort_block_merge_config_selectorIiNS0_10empty_typeEEEZZNS1_27merge_sort_block_merge_implIS3_N6thrust23THRUST_200600_302600_NS6detail15normal_iteratorINS9_10device_ptrIiEEEEPS5_jNS1_19radix_merge_compareILb0ELb0EiNS0_19identity_decomposerEEEEE10hipError_tT0_T1_T2_jT3_P12ihipStream_tbPNSt15iterator_traitsISK_E10value_typeEPNSQ_ISL_E10value_typeEPSM_NS1_7vsmem_tEENKUlT_SK_SL_SM_E_clIPiSE_SF_SF_EESJ_SZ_SK_SL_SM_EUlSZ_E1_NS1_11comp_targetILNS1_3genE10ELNS1_11target_archE1201ELNS1_3gpuE5ELNS1_3repE0EEENS1_36merge_oddeven_config_static_selectorELNS0_4arch9wavefront6targetE1EEEvSL_
	.p2align	8
	.type	_ZN7rocprim17ROCPRIM_400000_NS6detail17trampoline_kernelINS0_14default_configENS1_38merge_sort_block_merge_config_selectorIiNS0_10empty_typeEEEZZNS1_27merge_sort_block_merge_implIS3_N6thrust23THRUST_200600_302600_NS6detail15normal_iteratorINS9_10device_ptrIiEEEEPS5_jNS1_19radix_merge_compareILb0ELb0EiNS0_19identity_decomposerEEEEE10hipError_tT0_T1_T2_jT3_P12ihipStream_tbPNSt15iterator_traitsISK_E10value_typeEPNSQ_ISL_E10value_typeEPSM_NS1_7vsmem_tEENKUlT_SK_SL_SM_E_clIPiSE_SF_SF_EESJ_SZ_SK_SL_SM_EUlSZ_E1_NS1_11comp_targetILNS1_3genE10ELNS1_11target_archE1201ELNS1_3gpuE5ELNS1_3repE0EEENS1_36merge_oddeven_config_static_selectorELNS0_4arch9wavefront6targetE1EEEvSL_,@function
_ZN7rocprim17ROCPRIM_400000_NS6detail17trampoline_kernelINS0_14default_configENS1_38merge_sort_block_merge_config_selectorIiNS0_10empty_typeEEEZZNS1_27merge_sort_block_merge_implIS3_N6thrust23THRUST_200600_302600_NS6detail15normal_iteratorINS9_10device_ptrIiEEEEPS5_jNS1_19radix_merge_compareILb0ELb0EiNS0_19identity_decomposerEEEEE10hipError_tT0_T1_T2_jT3_P12ihipStream_tbPNSt15iterator_traitsISK_E10value_typeEPNSQ_ISL_E10value_typeEPSM_NS1_7vsmem_tEENKUlT_SK_SL_SM_E_clIPiSE_SF_SF_EESJ_SZ_SK_SL_SM_EUlSZ_E1_NS1_11comp_targetILNS1_3genE10ELNS1_11target_archE1201ELNS1_3gpuE5ELNS1_3repE0EEENS1_36merge_oddeven_config_static_selectorELNS0_4arch9wavefront6targetE1EEEvSL_: ; @_ZN7rocprim17ROCPRIM_400000_NS6detail17trampoline_kernelINS0_14default_configENS1_38merge_sort_block_merge_config_selectorIiNS0_10empty_typeEEEZZNS1_27merge_sort_block_merge_implIS3_N6thrust23THRUST_200600_302600_NS6detail15normal_iteratorINS9_10device_ptrIiEEEEPS5_jNS1_19radix_merge_compareILb0ELb0EiNS0_19identity_decomposerEEEEE10hipError_tT0_T1_T2_jT3_P12ihipStream_tbPNSt15iterator_traitsISK_E10value_typeEPNSQ_ISL_E10value_typeEPSM_NS1_7vsmem_tEENKUlT_SK_SL_SM_E_clIPiSE_SF_SF_EESJ_SZ_SK_SL_SM_EUlSZ_E1_NS1_11comp_targetILNS1_3genE10ELNS1_11target_archE1201ELNS1_3gpuE5ELNS1_3repE0EEENS1_36merge_oddeven_config_static_selectorELNS0_4arch9wavefront6targetE1EEEvSL_
; %bb.0:
	.section	.rodata,"a",@progbits
	.p2align	6, 0x0
	.amdhsa_kernel _ZN7rocprim17ROCPRIM_400000_NS6detail17trampoline_kernelINS0_14default_configENS1_38merge_sort_block_merge_config_selectorIiNS0_10empty_typeEEEZZNS1_27merge_sort_block_merge_implIS3_N6thrust23THRUST_200600_302600_NS6detail15normal_iteratorINS9_10device_ptrIiEEEEPS5_jNS1_19radix_merge_compareILb0ELb0EiNS0_19identity_decomposerEEEEE10hipError_tT0_T1_T2_jT3_P12ihipStream_tbPNSt15iterator_traitsISK_E10value_typeEPNSQ_ISL_E10value_typeEPSM_NS1_7vsmem_tEENKUlT_SK_SL_SM_E_clIPiSE_SF_SF_EESJ_SZ_SK_SL_SM_EUlSZ_E1_NS1_11comp_targetILNS1_3genE10ELNS1_11target_archE1201ELNS1_3gpuE5ELNS1_3repE0EEENS1_36merge_oddeven_config_static_selectorELNS0_4arch9wavefront6targetE1EEEvSL_
		.amdhsa_group_segment_fixed_size 0
		.amdhsa_private_segment_fixed_size 0
		.amdhsa_kernarg_size 48
		.amdhsa_user_sgpr_count 2
		.amdhsa_user_sgpr_dispatch_ptr 0
		.amdhsa_user_sgpr_queue_ptr 0
		.amdhsa_user_sgpr_kernarg_segment_ptr 1
		.amdhsa_user_sgpr_dispatch_id 0
		.amdhsa_user_sgpr_kernarg_preload_length 0
		.amdhsa_user_sgpr_kernarg_preload_offset 0
		.amdhsa_user_sgpr_private_segment_size 0
		.amdhsa_uses_dynamic_stack 0
		.amdhsa_enable_private_segment 0
		.amdhsa_system_sgpr_workgroup_id_x 1
		.amdhsa_system_sgpr_workgroup_id_y 0
		.amdhsa_system_sgpr_workgroup_id_z 0
		.amdhsa_system_sgpr_workgroup_info 0
		.amdhsa_system_vgpr_workitem_id 0
		.amdhsa_next_free_vgpr 1
		.amdhsa_next_free_sgpr 0
		.amdhsa_accum_offset 4
		.amdhsa_reserve_vcc 0
		.amdhsa_float_round_mode_32 0
		.amdhsa_float_round_mode_16_64 0
		.amdhsa_float_denorm_mode_32 3
		.amdhsa_float_denorm_mode_16_64 3
		.amdhsa_dx10_clamp 1
		.amdhsa_ieee_mode 1
		.amdhsa_fp16_overflow 0
		.amdhsa_tg_split 0
		.amdhsa_exception_fp_ieee_invalid_op 0
		.amdhsa_exception_fp_denorm_src 0
		.amdhsa_exception_fp_ieee_div_zero 0
		.amdhsa_exception_fp_ieee_overflow 0
		.amdhsa_exception_fp_ieee_underflow 0
		.amdhsa_exception_fp_ieee_inexact 0
		.amdhsa_exception_int_div_zero 0
	.end_amdhsa_kernel
	.section	.text._ZN7rocprim17ROCPRIM_400000_NS6detail17trampoline_kernelINS0_14default_configENS1_38merge_sort_block_merge_config_selectorIiNS0_10empty_typeEEEZZNS1_27merge_sort_block_merge_implIS3_N6thrust23THRUST_200600_302600_NS6detail15normal_iteratorINS9_10device_ptrIiEEEEPS5_jNS1_19radix_merge_compareILb0ELb0EiNS0_19identity_decomposerEEEEE10hipError_tT0_T1_T2_jT3_P12ihipStream_tbPNSt15iterator_traitsISK_E10value_typeEPNSQ_ISL_E10value_typeEPSM_NS1_7vsmem_tEENKUlT_SK_SL_SM_E_clIPiSE_SF_SF_EESJ_SZ_SK_SL_SM_EUlSZ_E1_NS1_11comp_targetILNS1_3genE10ELNS1_11target_archE1201ELNS1_3gpuE5ELNS1_3repE0EEENS1_36merge_oddeven_config_static_selectorELNS0_4arch9wavefront6targetE1EEEvSL_,"axG",@progbits,_ZN7rocprim17ROCPRIM_400000_NS6detail17trampoline_kernelINS0_14default_configENS1_38merge_sort_block_merge_config_selectorIiNS0_10empty_typeEEEZZNS1_27merge_sort_block_merge_implIS3_N6thrust23THRUST_200600_302600_NS6detail15normal_iteratorINS9_10device_ptrIiEEEEPS5_jNS1_19radix_merge_compareILb0ELb0EiNS0_19identity_decomposerEEEEE10hipError_tT0_T1_T2_jT3_P12ihipStream_tbPNSt15iterator_traitsISK_E10value_typeEPNSQ_ISL_E10value_typeEPSM_NS1_7vsmem_tEENKUlT_SK_SL_SM_E_clIPiSE_SF_SF_EESJ_SZ_SK_SL_SM_EUlSZ_E1_NS1_11comp_targetILNS1_3genE10ELNS1_11target_archE1201ELNS1_3gpuE5ELNS1_3repE0EEENS1_36merge_oddeven_config_static_selectorELNS0_4arch9wavefront6targetE1EEEvSL_,comdat
.Lfunc_end36:
	.size	_ZN7rocprim17ROCPRIM_400000_NS6detail17trampoline_kernelINS0_14default_configENS1_38merge_sort_block_merge_config_selectorIiNS0_10empty_typeEEEZZNS1_27merge_sort_block_merge_implIS3_N6thrust23THRUST_200600_302600_NS6detail15normal_iteratorINS9_10device_ptrIiEEEEPS5_jNS1_19radix_merge_compareILb0ELb0EiNS0_19identity_decomposerEEEEE10hipError_tT0_T1_T2_jT3_P12ihipStream_tbPNSt15iterator_traitsISK_E10value_typeEPNSQ_ISL_E10value_typeEPSM_NS1_7vsmem_tEENKUlT_SK_SL_SM_E_clIPiSE_SF_SF_EESJ_SZ_SK_SL_SM_EUlSZ_E1_NS1_11comp_targetILNS1_3genE10ELNS1_11target_archE1201ELNS1_3gpuE5ELNS1_3repE0EEENS1_36merge_oddeven_config_static_selectorELNS0_4arch9wavefront6targetE1EEEvSL_, .Lfunc_end36-_ZN7rocprim17ROCPRIM_400000_NS6detail17trampoline_kernelINS0_14default_configENS1_38merge_sort_block_merge_config_selectorIiNS0_10empty_typeEEEZZNS1_27merge_sort_block_merge_implIS3_N6thrust23THRUST_200600_302600_NS6detail15normal_iteratorINS9_10device_ptrIiEEEEPS5_jNS1_19radix_merge_compareILb0ELb0EiNS0_19identity_decomposerEEEEE10hipError_tT0_T1_T2_jT3_P12ihipStream_tbPNSt15iterator_traitsISK_E10value_typeEPNSQ_ISL_E10value_typeEPSM_NS1_7vsmem_tEENKUlT_SK_SL_SM_E_clIPiSE_SF_SF_EESJ_SZ_SK_SL_SM_EUlSZ_E1_NS1_11comp_targetILNS1_3genE10ELNS1_11target_archE1201ELNS1_3gpuE5ELNS1_3repE0EEENS1_36merge_oddeven_config_static_selectorELNS0_4arch9wavefront6targetE1EEEvSL_
                                        ; -- End function
	.set _ZN7rocprim17ROCPRIM_400000_NS6detail17trampoline_kernelINS0_14default_configENS1_38merge_sort_block_merge_config_selectorIiNS0_10empty_typeEEEZZNS1_27merge_sort_block_merge_implIS3_N6thrust23THRUST_200600_302600_NS6detail15normal_iteratorINS9_10device_ptrIiEEEEPS5_jNS1_19radix_merge_compareILb0ELb0EiNS0_19identity_decomposerEEEEE10hipError_tT0_T1_T2_jT3_P12ihipStream_tbPNSt15iterator_traitsISK_E10value_typeEPNSQ_ISL_E10value_typeEPSM_NS1_7vsmem_tEENKUlT_SK_SL_SM_E_clIPiSE_SF_SF_EESJ_SZ_SK_SL_SM_EUlSZ_E1_NS1_11comp_targetILNS1_3genE10ELNS1_11target_archE1201ELNS1_3gpuE5ELNS1_3repE0EEENS1_36merge_oddeven_config_static_selectorELNS0_4arch9wavefront6targetE1EEEvSL_.num_vgpr, 0
	.set _ZN7rocprim17ROCPRIM_400000_NS6detail17trampoline_kernelINS0_14default_configENS1_38merge_sort_block_merge_config_selectorIiNS0_10empty_typeEEEZZNS1_27merge_sort_block_merge_implIS3_N6thrust23THRUST_200600_302600_NS6detail15normal_iteratorINS9_10device_ptrIiEEEEPS5_jNS1_19radix_merge_compareILb0ELb0EiNS0_19identity_decomposerEEEEE10hipError_tT0_T1_T2_jT3_P12ihipStream_tbPNSt15iterator_traitsISK_E10value_typeEPNSQ_ISL_E10value_typeEPSM_NS1_7vsmem_tEENKUlT_SK_SL_SM_E_clIPiSE_SF_SF_EESJ_SZ_SK_SL_SM_EUlSZ_E1_NS1_11comp_targetILNS1_3genE10ELNS1_11target_archE1201ELNS1_3gpuE5ELNS1_3repE0EEENS1_36merge_oddeven_config_static_selectorELNS0_4arch9wavefront6targetE1EEEvSL_.num_agpr, 0
	.set _ZN7rocprim17ROCPRIM_400000_NS6detail17trampoline_kernelINS0_14default_configENS1_38merge_sort_block_merge_config_selectorIiNS0_10empty_typeEEEZZNS1_27merge_sort_block_merge_implIS3_N6thrust23THRUST_200600_302600_NS6detail15normal_iteratorINS9_10device_ptrIiEEEEPS5_jNS1_19radix_merge_compareILb0ELb0EiNS0_19identity_decomposerEEEEE10hipError_tT0_T1_T2_jT3_P12ihipStream_tbPNSt15iterator_traitsISK_E10value_typeEPNSQ_ISL_E10value_typeEPSM_NS1_7vsmem_tEENKUlT_SK_SL_SM_E_clIPiSE_SF_SF_EESJ_SZ_SK_SL_SM_EUlSZ_E1_NS1_11comp_targetILNS1_3genE10ELNS1_11target_archE1201ELNS1_3gpuE5ELNS1_3repE0EEENS1_36merge_oddeven_config_static_selectorELNS0_4arch9wavefront6targetE1EEEvSL_.numbered_sgpr, 0
	.set _ZN7rocprim17ROCPRIM_400000_NS6detail17trampoline_kernelINS0_14default_configENS1_38merge_sort_block_merge_config_selectorIiNS0_10empty_typeEEEZZNS1_27merge_sort_block_merge_implIS3_N6thrust23THRUST_200600_302600_NS6detail15normal_iteratorINS9_10device_ptrIiEEEEPS5_jNS1_19radix_merge_compareILb0ELb0EiNS0_19identity_decomposerEEEEE10hipError_tT0_T1_T2_jT3_P12ihipStream_tbPNSt15iterator_traitsISK_E10value_typeEPNSQ_ISL_E10value_typeEPSM_NS1_7vsmem_tEENKUlT_SK_SL_SM_E_clIPiSE_SF_SF_EESJ_SZ_SK_SL_SM_EUlSZ_E1_NS1_11comp_targetILNS1_3genE10ELNS1_11target_archE1201ELNS1_3gpuE5ELNS1_3repE0EEENS1_36merge_oddeven_config_static_selectorELNS0_4arch9wavefront6targetE1EEEvSL_.num_named_barrier, 0
	.set _ZN7rocprim17ROCPRIM_400000_NS6detail17trampoline_kernelINS0_14default_configENS1_38merge_sort_block_merge_config_selectorIiNS0_10empty_typeEEEZZNS1_27merge_sort_block_merge_implIS3_N6thrust23THRUST_200600_302600_NS6detail15normal_iteratorINS9_10device_ptrIiEEEEPS5_jNS1_19radix_merge_compareILb0ELb0EiNS0_19identity_decomposerEEEEE10hipError_tT0_T1_T2_jT3_P12ihipStream_tbPNSt15iterator_traitsISK_E10value_typeEPNSQ_ISL_E10value_typeEPSM_NS1_7vsmem_tEENKUlT_SK_SL_SM_E_clIPiSE_SF_SF_EESJ_SZ_SK_SL_SM_EUlSZ_E1_NS1_11comp_targetILNS1_3genE10ELNS1_11target_archE1201ELNS1_3gpuE5ELNS1_3repE0EEENS1_36merge_oddeven_config_static_selectorELNS0_4arch9wavefront6targetE1EEEvSL_.private_seg_size, 0
	.set _ZN7rocprim17ROCPRIM_400000_NS6detail17trampoline_kernelINS0_14default_configENS1_38merge_sort_block_merge_config_selectorIiNS0_10empty_typeEEEZZNS1_27merge_sort_block_merge_implIS3_N6thrust23THRUST_200600_302600_NS6detail15normal_iteratorINS9_10device_ptrIiEEEEPS5_jNS1_19radix_merge_compareILb0ELb0EiNS0_19identity_decomposerEEEEE10hipError_tT0_T1_T2_jT3_P12ihipStream_tbPNSt15iterator_traitsISK_E10value_typeEPNSQ_ISL_E10value_typeEPSM_NS1_7vsmem_tEENKUlT_SK_SL_SM_E_clIPiSE_SF_SF_EESJ_SZ_SK_SL_SM_EUlSZ_E1_NS1_11comp_targetILNS1_3genE10ELNS1_11target_archE1201ELNS1_3gpuE5ELNS1_3repE0EEENS1_36merge_oddeven_config_static_selectorELNS0_4arch9wavefront6targetE1EEEvSL_.uses_vcc, 0
	.set _ZN7rocprim17ROCPRIM_400000_NS6detail17trampoline_kernelINS0_14default_configENS1_38merge_sort_block_merge_config_selectorIiNS0_10empty_typeEEEZZNS1_27merge_sort_block_merge_implIS3_N6thrust23THRUST_200600_302600_NS6detail15normal_iteratorINS9_10device_ptrIiEEEEPS5_jNS1_19radix_merge_compareILb0ELb0EiNS0_19identity_decomposerEEEEE10hipError_tT0_T1_T2_jT3_P12ihipStream_tbPNSt15iterator_traitsISK_E10value_typeEPNSQ_ISL_E10value_typeEPSM_NS1_7vsmem_tEENKUlT_SK_SL_SM_E_clIPiSE_SF_SF_EESJ_SZ_SK_SL_SM_EUlSZ_E1_NS1_11comp_targetILNS1_3genE10ELNS1_11target_archE1201ELNS1_3gpuE5ELNS1_3repE0EEENS1_36merge_oddeven_config_static_selectorELNS0_4arch9wavefront6targetE1EEEvSL_.uses_flat_scratch, 0
	.set _ZN7rocprim17ROCPRIM_400000_NS6detail17trampoline_kernelINS0_14default_configENS1_38merge_sort_block_merge_config_selectorIiNS0_10empty_typeEEEZZNS1_27merge_sort_block_merge_implIS3_N6thrust23THRUST_200600_302600_NS6detail15normal_iteratorINS9_10device_ptrIiEEEEPS5_jNS1_19radix_merge_compareILb0ELb0EiNS0_19identity_decomposerEEEEE10hipError_tT0_T1_T2_jT3_P12ihipStream_tbPNSt15iterator_traitsISK_E10value_typeEPNSQ_ISL_E10value_typeEPSM_NS1_7vsmem_tEENKUlT_SK_SL_SM_E_clIPiSE_SF_SF_EESJ_SZ_SK_SL_SM_EUlSZ_E1_NS1_11comp_targetILNS1_3genE10ELNS1_11target_archE1201ELNS1_3gpuE5ELNS1_3repE0EEENS1_36merge_oddeven_config_static_selectorELNS0_4arch9wavefront6targetE1EEEvSL_.has_dyn_sized_stack, 0
	.set _ZN7rocprim17ROCPRIM_400000_NS6detail17trampoline_kernelINS0_14default_configENS1_38merge_sort_block_merge_config_selectorIiNS0_10empty_typeEEEZZNS1_27merge_sort_block_merge_implIS3_N6thrust23THRUST_200600_302600_NS6detail15normal_iteratorINS9_10device_ptrIiEEEEPS5_jNS1_19radix_merge_compareILb0ELb0EiNS0_19identity_decomposerEEEEE10hipError_tT0_T1_T2_jT3_P12ihipStream_tbPNSt15iterator_traitsISK_E10value_typeEPNSQ_ISL_E10value_typeEPSM_NS1_7vsmem_tEENKUlT_SK_SL_SM_E_clIPiSE_SF_SF_EESJ_SZ_SK_SL_SM_EUlSZ_E1_NS1_11comp_targetILNS1_3genE10ELNS1_11target_archE1201ELNS1_3gpuE5ELNS1_3repE0EEENS1_36merge_oddeven_config_static_selectorELNS0_4arch9wavefront6targetE1EEEvSL_.has_recursion, 0
	.set _ZN7rocprim17ROCPRIM_400000_NS6detail17trampoline_kernelINS0_14default_configENS1_38merge_sort_block_merge_config_selectorIiNS0_10empty_typeEEEZZNS1_27merge_sort_block_merge_implIS3_N6thrust23THRUST_200600_302600_NS6detail15normal_iteratorINS9_10device_ptrIiEEEEPS5_jNS1_19radix_merge_compareILb0ELb0EiNS0_19identity_decomposerEEEEE10hipError_tT0_T1_T2_jT3_P12ihipStream_tbPNSt15iterator_traitsISK_E10value_typeEPNSQ_ISL_E10value_typeEPSM_NS1_7vsmem_tEENKUlT_SK_SL_SM_E_clIPiSE_SF_SF_EESJ_SZ_SK_SL_SM_EUlSZ_E1_NS1_11comp_targetILNS1_3genE10ELNS1_11target_archE1201ELNS1_3gpuE5ELNS1_3repE0EEENS1_36merge_oddeven_config_static_selectorELNS0_4arch9wavefront6targetE1EEEvSL_.has_indirect_call, 0
	.section	.AMDGPU.csdata,"",@progbits
; Kernel info:
; codeLenInByte = 0
; TotalNumSgprs: 6
; NumVgprs: 0
; NumAgprs: 0
; TotalNumVgprs: 0
; ScratchSize: 0
; MemoryBound: 0
; FloatMode: 240
; IeeeMode: 1
; LDSByteSize: 0 bytes/workgroup (compile time only)
; SGPRBlocks: 0
; VGPRBlocks: 0
; NumSGPRsForWavesPerEU: 6
; NumVGPRsForWavesPerEU: 1
; AccumOffset: 4
; Occupancy: 8
; WaveLimiterHint : 0
; COMPUTE_PGM_RSRC2:SCRATCH_EN: 0
; COMPUTE_PGM_RSRC2:USER_SGPR: 2
; COMPUTE_PGM_RSRC2:TRAP_HANDLER: 0
; COMPUTE_PGM_RSRC2:TGID_X_EN: 1
; COMPUTE_PGM_RSRC2:TGID_Y_EN: 0
; COMPUTE_PGM_RSRC2:TGID_Z_EN: 0
; COMPUTE_PGM_RSRC2:TIDIG_COMP_CNT: 0
; COMPUTE_PGM_RSRC3_GFX90A:ACCUM_OFFSET: 0
; COMPUTE_PGM_RSRC3_GFX90A:TG_SPLIT: 0
	.section	.text._ZN7rocprim17ROCPRIM_400000_NS6detail17trampoline_kernelINS0_14default_configENS1_38merge_sort_block_merge_config_selectorIiNS0_10empty_typeEEEZZNS1_27merge_sort_block_merge_implIS3_N6thrust23THRUST_200600_302600_NS6detail15normal_iteratorINS9_10device_ptrIiEEEEPS5_jNS1_19radix_merge_compareILb0ELb0EiNS0_19identity_decomposerEEEEE10hipError_tT0_T1_T2_jT3_P12ihipStream_tbPNSt15iterator_traitsISK_E10value_typeEPNSQ_ISL_E10value_typeEPSM_NS1_7vsmem_tEENKUlT_SK_SL_SM_E_clIPiSE_SF_SF_EESJ_SZ_SK_SL_SM_EUlSZ_E1_NS1_11comp_targetILNS1_3genE5ELNS1_11target_archE942ELNS1_3gpuE9ELNS1_3repE0EEENS1_36merge_oddeven_config_static_selectorELNS0_4arch9wavefront6targetE1EEEvSL_,"axG",@progbits,_ZN7rocprim17ROCPRIM_400000_NS6detail17trampoline_kernelINS0_14default_configENS1_38merge_sort_block_merge_config_selectorIiNS0_10empty_typeEEEZZNS1_27merge_sort_block_merge_implIS3_N6thrust23THRUST_200600_302600_NS6detail15normal_iteratorINS9_10device_ptrIiEEEEPS5_jNS1_19radix_merge_compareILb0ELb0EiNS0_19identity_decomposerEEEEE10hipError_tT0_T1_T2_jT3_P12ihipStream_tbPNSt15iterator_traitsISK_E10value_typeEPNSQ_ISL_E10value_typeEPSM_NS1_7vsmem_tEENKUlT_SK_SL_SM_E_clIPiSE_SF_SF_EESJ_SZ_SK_SL_SM_EUlSZ_E1_NS1_11comp_targetILNS1_3genE5ELNS1_11target_archE942ELNS1_3gpuE9ELNS1_3repE0EEENS1_36merge_oddeven_config_static_selectorELNS0_4arch9wavefront6targetE1EEEvSL_,comdat
	.protected	_ZN7rocprim17ROCPRIM_400000_NS6detail17trampoline_kernelINS0_14default_configENS1_38merge_sort_block_merge_config_selectorIiNS0_10empty_typeEEEZZNS1_27merge_sort_block_merge_implIS3_N6thrust23THRUST_200600_302600_NS6detail15normal_iteratorINS9_10device_ptrIiEEEEPS5_jNS1_19radix_merge_compareILb0ELb0EiNS0_19identity_decomposerEEEEE10hipError_tT0_T1_T2_jT3_P12ihipStream_tbPNSt15iterator_traitsISK_E10value_typeEPNSQ_ISL_E10value_typeEPSM_NS1_7vsmem_tEENKUlT_SK_SL_SM_E_clIPiSE_SF_SF_EESJ_SZ_SK_SL_SM_EUlSZ_E1_NS1_11comp_targetILNS1_3genE5ELNS1_11target_archE942ELNS1_3gpuE9ELNS1_3repE0EEENS1_36merge_oddeven_config_static_selectorELNS0_4arch9wavefront6targetE1EEEvSL_ ; -- Begin function _ZN7rocprim17ROCPRIM_400000_NS6detail17trampoline_kernelINS0_14default_configENS1_38merge_sort_block_merge_config_selectorIiNS0_10empty_typeEEEZZNS1_27merge_sort_block_merge_implIS3_N6thrust23THRUST_200600_302600_NS6detail15normal_iteratorINS9_10device_ptrIiEEEEPS5_jNS1_19radix_merge_compareILb0ELb0EiNS0_19identity_decomposerEEEEE10hipError_tT0_T1_T2_jT3_P12ihipStream_tbPNSt15iterator_traitsISK_E10value_typeEPNSQ_ISL_E10value_typeEPSM_NS1_7vsmem_tEENKUlT_SK_SL_SM_E_clIPiSE_SF_SF_EESJ_SZ_SK_SL_SM_EUlSZ_E1_NS1_11comp_targetILNS1_3genE5ELNS1_11target_archE942ELNS1_3gpuE9ELNS1_3repE0EEENS1_36merge_oddeven_config_static_selectorELNS0_4arch9wavefront6targetE1EEEvSL_
	.globl	_ZN7rocprim17ROCPRIM_400000_NS6detail17trampoline_kernelINS0_14default_configENS1_38merge_sort_block_merge_config_selectorIiNS0_10empty_typeEEEZZNS1_27merge_sort_block_merge_implIS3_N6thrust23THRUST_200600_302600_NS6detail15normal_iteratorINS9_10device_ptrIiEEEEPS5_jNS1_19radix_merge_compareILb0ELb0EiNS0_19identity_decomposerEEEEE10hipError_tT0_T1_T2_jT3_P12ihipStream_tbPNSt15iterator_traitsISK_E10value_typeEPNSQ_ISL_E10value_typeEPSM_NS1_7vsmem_tEENKUlT_SK_SL_SM_E_clIPiSE_SF_SF_EESJ_SZ_SK_SL_SM_EUlSZ_E1_NS1_11comp_targetILNS1_3genE5ELNS1_11target_archE942ELNS1_3gpuE9ELNS1_3repE0EEENS1_36merge_oddeven_config_static_selectorELNS0_4arch9wavefront6targetE1EEEvSL_
	.p2align	8
	.type	_ZN7rocprim17ROCPRIM_400000_NS6detail17trampoline_kernelINS0_14default_configENS1_38merge_sort_block_merge_config_selectorIiNS0_10empty_typeEEEZZNS1_27merge_sort_block_merge_implIS3_N6thrust23THRUST_200600_302600_NS6detail15normal_iteratorINS9_10device_ptrIiEEEEPS5_jNS1_19radix_merge_compareILb0ELb0EiNS0_19identity_decomposerEEEEE10hipError_tT0_T1_T2_jT3_P12ihipStream_tbPNSt15iterator_traitsISK_E10value_typeEPNSQ_ISL_E10value_typeEPSM_NS1_7vsmem_tEENKUlT_SK_SL_SM_E_clIPiSE_SF_SF_EESJ_SZ_SK_SL_SM_EUlSZ_E1_NS1_11comp_targetILNS1_3genE5ELNS1_11target_archE942ELNS1_3gpuE9ELNS1_3repE0EEENS1_36merge_oddeven_config_static_selectorELNS0_4arch9wavefront6targetE1EEEvSL_,@function
_ZN7rocprim17ROCPRIM_400000_NS6detail17trampoline_kernelINS0_14default_configENS1_38merge_sort_block_merge_config_selectorIiNS0_10empty_typeEEEZZNS1_27merge_sort_block_merge_implIS3_N6thrust23THRUST_200600_302600_NS6detail15normal_iteratorINS9_10device_ptrIiEEEEPS5_jNS1_19radix_merge_compareILb0ELb0EiNS0_19identity_decomposerEEEEE10hipError_tT0_T1_T2_jT3_P12ihipStream_tbPNSt15iterator_traitsISK_E10value_typeEPNSQ_ISL_E10value_typeEPSM_NS1_7vsmem_tEENKUlT_SK_SL_SM_E_clIPiSE_SF_SF_EESJ_SZ_SK_SL_SM_EUlSZ_E1_NS1_11comp_targetILNS1_3genE5ELNS1_11target_archE942ELNS1_3gpuE9ELNS1_3repE0EEENS1_36merge_oddeven_config_static_selectorELNS0_4arch9wavefront6targetE1EEEvSL_: ; @_ZN7rocprim17ROCPRIM_400000_NS6detail17trampoline_kernelINS0_14default_configENS1_38merge_sort_block_merge_config_selectorIiNS0_10empty_typeEEEZZNS1_27merge_sort_block_merge_implIS3_N6thrust23THRUST_200600_302600_NS6detail15normal_iteratorINS9_10device_ptrIiEEEEPS5_jNS1_19radix_merge_compareILb0ELb0EiNS0_19identity_decomposerEEEEE10hipError_tT0_T1_T2_jT3_P12ihipStream_tbPNSt15iterator_traitsISK_E10value_typeEPNSQ_ISL_E10value_typeEPSM_NS1_7vsmem_tEENKUlT_SK_SL_SM_E_clIPiSE_SF_SF_EESJ_SZ_SK_SL_SM_EUlSZ_E1_NS1_11comp_targetILNS1_3genE5ELNS1_11target_archE942ELNS1_3gpuE9ELNS1_3repE0EEENS1_36merge_oddeven_config_static_selectorELNS0_4arch9wavefront6targetE1EEEvSL_
; %bb.0:
	.section	.rodata,"a",@progbits
	.p2align	6, 0x0
	.amdhsa_kernel _ZN7rocprim17ROCPRIM_400000_NS6detail17trampoline_kernelINS0_14default_configENS1_38merge_sort_block_merge_config_selectorIiNS0_10empty_typeEEEZZNS1_27merge_sort_block_merge_implIS3_N6thrust23THRUST_200600_302600_NS6detail15normal_iteratorINS9_10device_ptrIiEEEEPS5_jNS1_19radix_merge_compareILb0ELb0EiNS0_19identity_decomposerEEEEE10hipError_tT0_T1_T2_jT3_P12ihipStream_tbPNSt15iterator_traitsISK_E10value_typeEPNSQ_ISL_E10value_typeEPSM_NS1_7vsmem_tEENKUlT_SK_SL_SM_E_clIPiSE_SF_SF_EESJ_SZ_SK_SL_SM_EUlSZ_E1_NS1_11comp_targetILNS1_3genE5ELNS1_11target_archE942ELNS1_3gpuE9ELNS1_3repE0EEENS1_36merge_oddeven_config_static_selectorELNS0_4arch9wavefront6targetE1EEEvSL_
		.amdhsa_group_segment_fixed_size 0
		.amdhsa_private_segment_fixed_size 0
		.amdhsa_kernarg_size 48
		.amdhsa_user_sgpr_count 2
		.amdhsa_user_sgpr_dispatch_ptr 0
		.amdhsa_user_sgpr_queue_ptr 0
		.amdhsa_user_sgpr_kernarg_segment_ptr 1
		.amdhsa_user_sgpr_dispatch_id 0
		.amdhsa_user_sgpr_kernarg_preload_length 0
		.amdhsa_user_sgpr_kernarg_preload_offset 0
		.amdhsa_user_sgpr_private_segment_size 0
		.amdhsa_uses_dynamic_stack 0
		.amdhsa_enable_private_segment 0
		.amdhsa_system_sgpr_workgroup_id_x 1
		.amdhsa_system_sgpr_workgroup_id_y 0
		.amdhsa_system_sgpr_workgroup_id_z 0
		.amdhsa_system_sgpr_workgroup_info 0
		.amdhsa_system_vgpr_workitem_id 0
		.amdhsa_next_free_vgpr 1
		.amdhsa_next_free_sgpr 0
		.amdhsa_accum_offset 4
		.amdhsa_reserve_vcc 0
		.amdhsa_float_round_mode_32 0
		.amdhsa_float_round_mode_16_64 0
		.amdhsa_float_denorm_mode_32 3
		.amdhsa_float_denorm_mode_16_64 3
		.amdhsa_dx10_clamp 1
		.amdhsa_ieee_mode 1
		.amdhsa_fp16_overflow 0
		.amdhsa_tg_split 0
		.amdhsa_exception_fp_ieee_invalid_op 0
		.amdhsa_exception_fp_denorm_src 0
		.amdhsa_exception_fp_ieee_div_zero 0
		.amdhsa_exception_fp_ieee_overflow 0
		.amdhsa_exception_fp_ieee_underflow 0
		.amdhsa_exception_fp_ieee_inexact 0
		.amdhsa_exception_int_div_zero 0
	.end_amdhsa_kernel
	.section	.text._ZN7rocprim17ROCPRIM_400000_NS6detail17trampoline_kernelINS0_14default_configENS1_38merge_sort_block_merge_config_selectorIiNS0_10empty_typeEEEZZNS1_27merge_sort_block_merge_implIS3_N6thrust23THRUST_200600_302600_NS6detail15normal_iteratorINS9_10device_ptrIiEEEEPS5_jNS1_19radix_merge_compareILb0ELb0EiNS0_19identity_decomposerEEEEE10hipError_tT0_T1_T2_jT3_P12ihipStream_tbPNSt15iterator_traitsISK_E10value_typeEPNSQ_ISL_E10value_typeEPSM_NS1_7vsmem_tEENKUlT_SK_SL_SM_E_clIPiSE_SF_SF_EESJ_SZ_SK_SL_SM_EUlSZ_E1_NS1_11comp_targetILNS1_3genE5ELNS1_11target_archE942ELNS1_3gpuE9ELNS1_3repE0EEENS1_36merge_oddeven_config_static_selectorELNS0_4arch9wavefront6targetE1EEEvSL_,"axG",@progbits,_ZN7rocprim17ROCPRIM_400000_NS6detail17trampoline_kernelINS0_14default_configENS1_38merge_sort_block_merge_config_selectorIiNS0_10empty_typeEEEZZNS1_27merge_sort_block_merge_implIS3_N6thrust23THRUST_200600_302600_NS6detail15normal_iteratorINS9_10device_ptrIiEEEEPS5_jNS1_19radix_merge_compareILb0ELb0EiNS0_19identity_decomposerEEEEE10hipError_tT0_T1_T2_jT3_P12ihipStream_tbPNSt15iterator_traitsISK_E10value_typeEPNSQ_ISL_E10value_typeEPSM_NS1_7vsmem_tEENKUlT_SK_SL_SM_E_clIPiSE_SF_SF_EESJ_SZ_SK_SL_SM_EUlSZ_E1_NS1_11comp_targetILNS1_3genE5ELNS1_11target_archE942ELNS1_3gpuE9ELNS1_3repE0EEENS1_36merge_oddeven_config_static_selectorELNS0_4arch9wavefront6targetE1EEEvSL_,comdat
.Lfunc_end37:
	.size	_ZN7rocprim17ROCPRIM_400000_NS6detail17trampoline_kernelINS0_14default_configENS1_38merge_sort_block_merge_config_selectorIiNS0_10empty_typeEEEZZNS1_27merge_sort_block_merge_implIS3_N6thrust23THRUST_200600_302600_NS6detail15normal_iteratorINS9_10device_ptrIiEEEEPS5_jNS1_19radix_merge_compareILb0ELb0EiNS0_19identity_decomposerEEEEE10hipError_tT0_T1_T2_jT3_P12ihipStream_tbPNSt15iterator_traitsISK_E10value_typeEPNSQ_ISL_E10value_typeEPSM_NS1_7vsmem_tEENKUlT_SK_SL_SM_E_clIPiSE_SF_SF_EESJ_SZ_SK_SL_SM_EUlSZ_E1_NS1_11comp_targetILNS1_3genE5ELNS1_11target_archE942ELNS1_3gpuE9ELNS1_3repE0EEENS1_36merge_oddeven_config_static_selectorELNS0_4arch9wavefront6targetE1EEEvSL_, .Lfunc_end37-_ZN7rocprim17ROCPRIM_400000_NS6detail17trampoline_kernelINS0_14default_configENS1_38merge_sort_block_merge_config_selectorIiNS0_10empty_typeEEEZZNS1_27merge_sort_block_merge_implIS3_N6thrust23THRUST_200600_302600_NS6detail15normal_iteratorINS9_10device_ptrIiEEEEPS5_jNS1_19radix_merge_compareILb0ELb0EiNS0_19identity_decomposerEEEEE10hipError_tT0_T1_T2_jT3_P12ihipStream_tbPNSt15iterator_traitsISK_E10value_typeEPNSQ_ISL_E10value_typeEPSM_NS1_7vsmem_tEENKUlT_SK_SL_SM_E_clIPiSE_SF_SF_EESJ_SZ_SK_SL_SM_EUlSZ_E1_NS1_11comp_targetILNS1_3genE5ELNS1_11target_archE942ELNS1_3gpuE9ELNS1_3repE0EEENS1_36merge_oddeven_config_static_selectorELNS0_4arch9wavefront6targetE1EEEvSL_
                                        ; -- End function
	.set _ZN7rocprim17ROCPRIM_400000_NS6detail17trampoline_kernelINS0_14default_configENS1_38merge_sort_block_merge_config_selectorIiNS0_10empty_typeEEEZZNS1_27merge_sort_block_merge_implIS3_N6thrust23THRUST_200600_302600_NS6detail15normal_iteratorINS9_10device_ptrIiEEEEPS5_jNS1_19radix_merge_compareILb0ELb0EiNS0_19identity_decomposerEEEEE10hipError_tT0_T1_T2_jT3_P12ihipStream_tbPNSt15iterator_traitsISK_E10value_typeEPNSQ_ISL_E10value_typeEPSM_NS1_7vsmem_tEENKUlT_SK_SL_SM_E_clIPiSE_SF_SF_EESJ_SZ_SK_SL_SM_EUlSZ_E1_NS1_11comp_targetILNS1_3genE5ELNS1_11target_archE942ELNS1_3gpuE9ELNS1_3repE0EEENS1_36merge_oddeven_config_static_selectorELNS0_4arch9wavefront6targetE1EEEvSL_.num_vgpr, 0
	.set _ZN7rocprim17ROCPRIM_400000_NS6detail17trampoline_kernelINS0_14default_configENS1_38merge_sort_block_merge_config_selectorIiNS0_10empty_typeEEEZZNS1_27merge_sort_block_merge_implIS3_N6thrust23THRUST_200600_302600_NS6detail15normal_iteratorINS9_10device_ptrIiEEEEPS5_jNS1_19radix_merge_compareILb0ELb0EiNS0_19identity_decomposerEEEEE10hipError_tT0_T1_T2_jT3_P12ihipStream_tbPNSt15iterator_traitsISK_E10value_typeEPNSQ_ISL_E10value_typeEPSM_NS1_7vsmem_tEENKUlT_SK_SL_SM_E_clIPiSE_SF_SF_EESJ_SZ_SK_SL_SM_EUlSZ_E1_NS1_11comp_targetILNS1_3genE5ELNS1_11target_archE942ELNS1_3gpuE9ELNS1_3repE0EEENS1_36merge_oddeven_config_static_selectorELNS0_4arch9wavefront6targetE1EEEvSL_.num_agpr, 0
	.set _ZN7rocprim17ROCPRIM_400000_NS6detail17trampoline_kernelINS0_14default_configENS1_38merge_sort_block_merge_config_selectorIiNS0_10empty_typeEEEZZNS1_27merge_sort_block_merge_implIS3_N6thrust23THRUST_200600_302600_NS6detail15normal_iteratorINS9_10device_ptrIiEEEEPS5_jNS1_19radix_merge_compareILb0ELb0EiNS0_19identity_decomposerEEEEE10hipError_tT0_T1_T2_jT3_P12ihipStream_tbPNSt15iterator_traitsISK_E10value_typeEPNSQ_ISL_E10value_typeEPSM_NS1_7vsmem_tEENKUlT_SK_SL_SM_E_clIPiSE_SF_SF_EESJ_SZ_SK_SL_SM_EUlSZ_E1_NS1_11comp_targetILNS1_3genE5ELNS1_11target_archE942ELNS1_3gpuE9ELNS1_3repE0EEENS1_36merge_oddeven_config_static_selectorELNS0_4arch9wavefront6targetE1EEEvSL_.numbered_sgpr, 0
	.set _ZN7rocprim17ROCPRIM_400000_NS6detail17trampoline_kernelINS0_14default_configENS1_38merge_sort_block_merge_config_selectorIiNS0_10empty_typeEEEZZNS1_27merge_sort_block_merge_implIS3_N6thrust23THRUST_200600_302600_NS6detail15normal_iteratorINS9_10device_ptrIiEEEEPS5_jNS1_19radix_merge_compareILb0ELb0EiNS0_19identity_decomposerEEEEE10hipError_tT0_T1_T2_jT3_P12ihipStream_tbPNSt15iterator_traitsISK_E10value_typeEPNSQ_ISL_E10value_typeEPSM_NS1_7vsmem_tEENKUlT_SK_SL_SM_E_clIPiSE_SF_SF_EESJ_SZ_SK_SL_SM_EUlSZ_E1_NS1_11comp_targetILNS1_3genE5ELNS1_11target_archE942ELNS1_3gpuE9ELNS1_3repE0EEENS1_36merge_oddeven_config_static_selectorELNS0_4arch9wavefront6targetE1EEEvSL_.num_named_barrier, 0
	.set _ZN7rocprim17ROCPRIM_400000_NS6detail17trampoline_kernelINS0_14default_configENS1_38merge_sort_block_merge_config_selectorIiNS0_10empty_typeEEEZZNS1_27merge_sort_block_merge_implIS3_N6thrust23THRUST_200600_302600_NS6detail15normal_iteratorINS9_10device_ptrIiEEEEPS5_jNS1_19radix_merge_compareILb0ELb0EiNS0_19identity_decomposerEEEEE10hipError_tT0_T1_T2_jT3_P12ihipStream_tbPNSt15iterator_traitsISK_E10value_typeEPNSQ_ISL_E10value_typeEPSM_NS1_7vsmem_tEENKUlT_SK_SL_SM_E_clIPiSE_SF_SF_EESJ_SZ_SK_SL_SM_EUlSZ_E1_NS1_11comp_targetILNS1_3genE5ELNS1_11target_archE942ELNS1_3gpuE9ELNS1_3repE0EEENS1_36merge_oddeven_config_static_selectorELNS0_4arch9wavefront6targetE1EEEvSL_.private_seg_size, 0
	.set _ZN7rocprim17ROCPRIM_400000_NS6detail17trampoline_kernelINS0_14default_configENS1_38merge_sort_block_merge_config_selectorIiNS0_10empty_typeEEEZZNS1_27merge_sort_block_merge_implIS3_N6thrust23THRUST_200600_302600_NS6detail15normal_iteratorINS9_10device_ptrIiEEEEPS5_jNS1_19radix_merge_compareILb0ELb0EiNS0_19identity_decomposerEEEEE10hipError_tT0_T1_T2_jT3_P12ihipStream_tbPNSt15iterator_traitsISK_E10value_typeEPNSQ_ISL_E10value_typeEPSM_NS1_7vsmem_tEENKUlT_SK_SL_SM_E_clIPiSE_SF_SF_EESJ_SZ_SK_SL_SM_EUlSZ_E1_NS1_11comp_targetILNS1_3genE5ELNS1_11target_archE942ELNS1_3gpuE9ELNS1_3repE0EEENS1_36merge_oddeven_config_static_selectorELNS0_4arch9wavefront6targetE1EEEvSL_.uses_vcc, 0
	.set _ZN7rocprim17ROCPRIM_400000_NS6detail17trampoline_kernelINS0_14default_configENS1_38merge_sort_block_merge_config_selectorIiNS0_10empty_typeEEEZZNS1_27merge_sort_block_merge_implIS3_N6thrust23THRUST_200600_302600_NS6detail15normal_iteratorINS9_10device_ptrIiEEEEPS5_jNS1_19radix_merge_compareILb0ELb0EiNS0_19identity_decomposerEEEEE10hipError_tT0_T1_T2_jT3_P12ihipStream_tbPNSt15iterator_traitsISK_E10value_typeEPNSQ_ISL_E10value_typeEPSM_NS1_7vsmem_tEENKUlT_SK_SL_SM_E_clIPiSE_SF_SF_EESJ_SZ_SK_SL_SM_EUlSZ_E1_NS1_11comp_targetILNS1_3genE5ELNS1_11target_archE942ELNS1_3gpuE9ELNS1_3repE0EEENS1_36merge_oddeven_config_static_selectorELNS0_4arch9wavefront6targetE1EEEvSL_.uses_flat_scratch, 0
	.set _ZN7rocprim17ROCPRIM_400000_NS6detail17trampoline_kernelINS0_14default_configENS1_38merge_sort_block_merge_config_selectorIiNS0_10empty_typeEEEZZNS1_27merge_sort_block_merge_implIS3_N6thrust23THRUST_200600_302600_NS6detail15normal_iteratorINS9_10device_ptrIiEEEEPS5_jNS1_19radix_merge_compareILb0ELb0EiNS0_19identity_decomposerEEEEE10hipError_tT0_T1_T2_jT3_P12ihipStream_tbPNSt15iterator_traitsISK_E10value_typeEPNSQ_ISL_E10value_typeEPSM_NS1_7vsmem_tEENKUlT_SK_SL_SM_E_clIPiSE_SF_SF_EESJ_SZ_SK_SL_SM_EUlSZ_E1_NS1_11comp_targetILNS1_3genE5ELNS1_11target_archE942ELNS1_3gpuE9ELNS1_3repE0EEENS1_36merge_oddeven_config_static_selectorELNS0_4arch9wavefront6targetE1EEEvSL_.has_dyn_sized_stack, 0
	.set _ZN7rocprim17ROCPRIM_400000_NS6detail17trampoline_kernelINS0_14default_configENS1_38merge_sort_block_merge_config_selectorIiNS0_10empty_typeEEEZZNS1_27merge_sort_block_merge_implIS3_N6thrust23THRUST_200600_302600_NS6detail15normal_iteratorINS9_10device_ptrIiEEEEPS5_jNS1_19radix_merge_compareILb0ELb0EiNS0_19identity_decomposerEEEEE10hipError_tT0_T1_T2_jT3_P12ihipStream_tbPNSt15iterator_traitsISK_E10value_typeEPNSQ_ISL_E10value_typeEPSM_NS1_7vsmem_tEENKUlT_SK_SL_SM_E_clIPiSE_SF_SF_EESJ_SZ_SK_SL_SM_EUlSZ_E1_NS1_11comp_targetILNS1_3genE5ELNS1_11target_archE942ELNS1_3gpuE9ELNS1_3repE0EEENS1_36merge_oddeven_config_static_selectorELNS0_4arch9wavefront6targetE1EEEvSL_.has_recursion, 0
	.set _ZN7rocprim17ROCPRIM_400000_NS6detail17trampoline_kernelINS0_14default_configENS1_38merge_sort_block_merge_config_selectorIiNS0_10empty_typeEEEZZNS1_27merge_sort_block_merge_implIS3_N6thrust23THRUST_200600_302600_NS6detail15normal_iteratorINS9_10device_ptrIiEEEEPS5_jNS1_19radix_merge_compareILb0ELb0EiNS0_19identity_decomposerEEEEE10hipError_tT0_T1_T2_jT3_P12ihipStream_tbPNSt15iterator_traitsISK_E10value_typeEPNSQ_ISL_E10value_typeEPSM_NS1_7vsmem_tEENKUlT_SK_SL_SM_E_clIPiSE_SF_SF_EESJ_SZ_SK_SL_SM_EUlSZ_E1_NS1_11comp_targetILNS1_3genE5ELNS1_11target_archE942ELNS1_3gpuE9ELNS1_3repE0EEENS1_36merge_oddeven_config_static_selectorELNS0_4arch9wavefront6targetE1EEEvSL_.has_indirect_call, 0
	.section	.AMDGPU.csdata,"",@progbits
; Kernel info:
; codeLenInByte = 0
; TotalNumSgprs: 6
; NumVgprs: 0
; NumAgprs: 0
; TotalNumVgprs: 0
; ScratchSize: 0
; MemoryBound: 0
; FloatMode: 240
; IeeeMode: 1
; LDSByteSize: 0 bytes/workgroup (compile time only)
; SGPRBlocks: 0
; VGPRBlocks: 0
; NumSGPRsForWavesPerEU: 6
; NumVGPRsForWavesPerEU: 1
; AccumOffset: 4
; Occupancy: 8
; WaveLimiterHint : 0
; COMPUTE_PGM_RSRC2:SCRATCH_EN: 0
; COMPUTE_PGM_RSRC2:USER_SGPR: 2
; COMPUTE_PGM_RSRC2:TRAP_HANDLER: 0
; COMPUTE_PGM_RSRC2:TGID_X_EN: 1
; COMPUTE_PGM_RSRC2:TGID_Y_EN: 0
; COMPUTE_PGM_RSRC2:TGID_Z_EN: 0
; COMPUTE_PGM_RSRC2:TIDIG_COMP_CNT: 0
; COMPUTE_PGM_RSRC3_GFX90A:ACCUM_OFFSET: 0
; COMPUTE_PGM_RSRC3_GFX90A:TG_SPLIT: 0
	.section	.text._ZN7rocprim17ROCPRIM_400000_NS6detail17trampoline_kernelINS0_14default_configENS1_38merge_sort_block_merge_config_selectorIiNS0_10empty_typeEEEZZNS1_27merge_sort_block_merge_implIS3_N6thrust23THRUST_200600_302600_NS6detail15normal_iteratorINS9_10device_ptrIiEEEEPS5_jNS1_19radix_merge_compareILb0ELb0EiNS0_19identity_decomposerEEEEE10hipError_tT0_T1_T2_jT3_P12ihipStream_tbPNSt15iterator_traitsISK_E10value_typeEPNSQ_ISL_E10value_typeEPSM_NS1_7vsmem_tEENKUlT_SK_SL_SM_E_clIPiSE_SF_SF_EESJ_SZ_SK_SL_SM_EUlSZ_E1_NS1_11comp_targetILNS1_3genE4ELNS1_11target_archE910ELNS1_3gpuE8ELNS1_3repE0EEENS1_36merge_oddeven_config_static_selectorELNS0_4arch9wavefront6targetE1EEEvSL_,"axG",@progbits,_ZN7rocprim17ROCPRIM_400000_NS6detail17trampoline_kernelINS0_14default_configENS1_38merge_sort_block_merge_config_selectorIiNS0_10empty_typeEEEZZNS1_27merge_sort_block_merge_implIS3_N6thrust23THRUST_200600_302600_NS6detail15normal_iteratorINS9_10device_ptrIiEEEEPS5_jNS1_19radix_merge_compareILb0ELb0EiNS0_19identity_decomposerEEEEE10hipError_tT0_T1_T2_jT3_P12ihipStream_tbPNSt15iterator_traitsISK_E10value_typeEPNSQ_ISL_E10value_typeEPSM_NS1_7vsmem_tEENKUlT_SK_SL_SM_E_clIPiSE_SF_SF_EESJ_SZ_SK_SL_SM_EUlSZ_E1_NS1_11comp_targetILNS1_3genE4ELNS1_11target_archE910ELNS1_3gpuE8ELNS1_3repE0EEENS1_36merge_oddeven_config_static_selectorELNS0_4arch9wavefront6targetE1EEEvSL_,comdat
	.protected	_ZN7rocprim17ROCPRIM_400000_NS6detail17trampoline_kernelINS0_14default_configENS1_38merge_sort_block_merge_config_selectorIiNS0_10empty_typeEEEZZNS1_27merge_sort_block_merge_implIS3_N6thrust23THRUST_200600_302600_NS6detail15normal_iteratorINS9_10device_ptrIiEEEEPS5_jNS1_19radix_merge_compareILb0ELb0EiNS0_19identity_decomposerEEEEE10hipError_tT0_T1_T2_jT3_P12ihipStream_tbPNSt15iterator_traitsISK_E10value_typeEPNSQ_ISL_E10value_typeEPSM_NS1_7vsmem_tEENKUlT_SK_SL_SM_E_clIPiSE_SF_SF_EESJ_SZ_SK_SL_SM_EUlSZ_E1_NS1_11comp_targetILNS1_3genE4ELNS1_11target_archE910ELNS1_3gpuE8ELNS1_3repE0EEENS1_36merge_oddeven_config_static_selectorELNS0_4arch9wavefront6targetE1EEEvSL_ ; -- Begin function _ZN7rocprim17ROCPRIM_400000_NS6detail17trampoline_kernelINS0_14default_configENS1_38merge_sort_block_merge_config_selectorIiNS0_10empty_typeEEEZZNS1_27merge_sort_block_merge_implIS3_N6thrust23THRUST_200600_302600_NS6detail15normal_iteratorINS9_10device_ptrIiEEEEPS5_jNS1_19radix_merge_compareILb0ELb0EiNS0_19identity_decomposerEEEEE10hipError_tT0_T1_T2_jT3_P12ihipStream_tbPNSt15iterator_traitsISK_E10value_typeEPNSQ_ISL_E10value_typeEPSM_NS1_7vsmem_tEENKUlT_SK_SL_SM_E_clIPiSE_SF_SF_EESJ_SZ_SK_SL_SM_EUlSZ_E1_NS1_11comp_targetILNS1_3genE4ELNS1_11target_archE910ELNS1_3gpuE8ELNS1_3repE0EEENS1_36merge_oddeven_config_static_selectorELNS0_4arch9wavefront6targetE1EEEvSL_
	.globl	_ZN7rocprim17ROCPRIM_400000_NS6detail17trampoline_kernelINS0_14default_configENS1_38merge_sort_block_merge_config_selectorIiNS0_10empty_typeEEEZZNS1_27merge_sort_block_merge_implIS3_N6thrust23THRUST_200600_302600_NS6detail15normal_iteratorINS9_10device_ptrIiEEEEPS5_jNS1_19radix_merge_compareILb0ELb0EiNS0_19identity_decomposerEEEEE10hipError_tT0_T1_T2_jT3_P12ihipStream_tbPNSt15iterator_traitsISK_E10value_typeEPNSQ_ISL_E10value_typeEPSM_NS1_7vsmem_tEENKUlT_SK_SL_SM_E_clIPiSE_SF_SF_EESJ_SZ_SK_SL_SM_EUlSZ_E1_NS1_11comp_targetILNS1_3genE4ELNS1_11target_archE910ELNS1_3gpuE8ELNS1_3repE0EEENS1_36merge_oddeven_config_static_selectorELNS0_4arch9wavefront6targetE1EEEvSL_
	.p2align	8
	.type	_ZN7rocprim17ROCPRIM_400000_NS6detail17trampoline_kernelINS0_14default_configENS1_38merge_sort_block_merge_config_selectorIiNS0_10empty_typeEEEZZNS1_27merge_sort_block_merge_implIS3_N6thrust23THRUST_200600_302600_NS6detail15normal_iteratorINS9_10device_ptrIiEEEEPS5_jNS1_19radix_merge_compareILb0ELb0EiNS0_19identity_decomposerEEEEE10hipError_tT0_T1_T2_jT3_P12ihipStream_tbPNSt15iterator_traitsISK_E10value_typeEPNSQ_ISL_E10value_typeEPSM_NS1_7vsmem_tEENKUlT_SK_SL_SM_E_clIPiSE_SF_SF_EESJ_SZ_SK_SL_SM_EUlSZ_E1_NS1_11comp_targetILNS1_3genE4ELNS1_11target_archE910ELNS1_3gpuE8ELNS1_3repE0EEENS1_36merge_oddeven_config_static_selectorELNS0_4arch9wavefront6targetE1EEEvSL_,@function
_ZN7rocprim17ROCPRIM_400000_NS6detail17trampoline_kernelINS0_14default_configENS1_38merge_sort_block_merge_config_selectorIiNS0_10empty_typeEEEZZNS1_27merge_sort_block_merge_implIS3_N6thrust23THRUST_200600_302600_NS6detail15normal_iteratorINS9_10device_ptrIiEEEEPS5_jNS1_19radix_merge_compareILb0ELb0EiNS0_19identity_decomposerEEEEE10hipError_tT0_T1_T2_jT3_P12ihipStream_tbPNSt15iterator_traitsISK_E10value_typeEPNSQ_ISL_E10value_typeEPSM_NS1_7vsmem_tEENKUlT_SK_SL_SM_E_clIPiSE_SF_SF_EESJ_SZ_SK_SL_SM_EUlSZ_E1_NS1_11comp_targetILNS1_3genE4ELNS1_11target_archE910ELNS1_3gpuE8ELNS1_3repE0EEENS1_36merge_oddeven_config_static_selectorELNS0_4arch9wavefront6targetE1EEEvSL_: ; @_ZN7rocprim17ROCPRIM_400000_NS6detail17trampoline_kernelINS0_14default_configENS1_38merge_sort_block_merge_config_selectorIiNS0_10empty_typeEEEZZNS1_27merge_sort_block_merge_implIS3_N6thrust23THRUST_200600_302600_NS6detail15normal_iteratorINS9_10device_ptrIiEEEEPS5_jNS1_19radix_merge_compareILb0ELb0EiNS0_19identity_decomposerEEEEE10hipError_tT0_T1_T2_jT3_P12ihipStream_tbPNSt15iterator_traitsISK_E10value_typeEPNSQ_ISL_E10value_typeEPSM_NS1_7vsmem_tEENKUlT_SK_SL_SM_E_clIPiSE_SF_SF_EESJ_SZ_SK_SL_SM_EUlSZ_E1_NS1_11comp_targetILNS1_3genE4ELNS1_11target_archE910ELNS1_3gpuE8ELNS1_3repE0EEENS1_36merge_oddeven_config_static_selectorELNS0_4arch9wavefront6targetE1EEEvSL_
; %bb.0:
	.section	.rodata,"a",@progbits
	.p2align	6, 0x0
	.amdhsa_kernel _ZN7rocprim17ROCPRIM_400000_NS6detail17trampoline_kernelINS0_14default_configENS1_38merge_sort_block_merge_config_selectorIiNS0_10empty_typeEEEZZNS1_27merge_sort_block_merge_implIS3_N6thrust23THRUST_200600_302600_NS6detail15normal_iteratorINS9_10device_ptrIiEEEEPS5_jNS1_19radix_merge_compareILb0ELb0EiNS0_19identity_decomposerEEEEE10hipError_tT0_T1_T2_jT3_P12ihipStream_tbPNSt15iterator_traitsISK_E10value_typeEPNSQ_ISL_E10value_typeEPSM_NS1_7vsmem_tEENKUlT_SK_SL_SM_E_clIPiSE_SF_SF_EESJ_SZ_SK_SL_SM_EUlSZ_E1_NS1_11comp_targetILNS1_3genE4ELNS1_11target_archE910ELNS1_3gpuE8ELNS1_3repE0EEENS1_36merge_oddeven_config_static_selectorELNS0_4arch9wavefront6targetE1EEEvSL_
		.amdhsa_group_segment_fixed_size 0
		.amdhsa_private_segment_fixed_size 0
		.amdhsa_kernarg_size 48
		.amdhsa_user_sgpr_count 2
		.amdhsa_user_sgpr_dispatch_ptr 0
		.amdhsa_user_sgpr_queue_ptr 0
		.amdhsa_user_sgpr_kernarg_segment_ptr 1
		.amdhsa_user_sgpr_dispatch_id 0
		.amdhsa_user_sgpr_kernarg_preload_length 0
		.amdhsa_user_sgpr_kernarg_preload_offset 0
		.amdhsa_user_sgpr_private_segment_size 0
		.amdhsa_uses_dynamic_stack 0
		.amdhsa_enable_private_segment 0
		.amdhsa_system_sgpr_workgroup_id_x 1
		.amdhsa_system_sgpr_workgroup_id_y 0
		.amdhsa_system_sgpr_workgroup_id_z 0
		.amdhsa_system_sgpr_workgroup_info 0
		.amdhsa_system_vgpr_workitem_id 0
		.amdhsa_next_free_vgpr 1
		.amdhsa_next_free_sgpr 0
		.amdhsa_accum_offset 4
		.amdhsa_reserve_vcc 0
		.amdhsa_float_round_mode_32 0
		.amdhsa_float_round_mode_16_64 0
		.amdhsa_float_denorm_mode_32 3
		.amdhsa_float_denorm_mode_16_64 3
		.amdhsa_dx10_clamp 1
		.amdhsa_ieee_mode 1
		.amdhsa_fp16_overflow 0
		.amdhsa_tg_split 0
		.amdhsa_exception_fp_ieee_invalid_op 0
		.amdhsa_exception_fp_denorm_src 0
		.amdhsa_exception_fp_ieee_div_zero 0
		.amdhsa_exception_fp_ieee_overflow 0
		.amdhsa_exception_fp_ieee_underflow 0
		.amdhsa_exception_fp_ieee_inexact 0
		.amdhsa_exception_int_div_zero 0
	.end_amdhsa_kernel
	.section	.text._ZN7rocprim17ROCPRIM_400000_NS6detail17trampoline_kernelINS0_14default_configENS1_38merge_sort_block_merge_config_selectorIiNS0_10empty_typeEEEZZNS1_27merge_sort_block_merge_implIS3_N6thrust23THRUST_200600_302600_NS6detail15normal_iteratorINS9_10device_ptrIiEEEEPS5_jNS1_19radix_merge_compareILb0ELb0EiNS0_19identity_decomposerEEEEE10hipError_tT0_T1_T2_jT3_P12ihipStream_tbPNSt15iterator_traitsISK_E10value_typeEPNSQ_ISL_E10value_typeEPSM_NS1_7vsmem_tEENKUlT_SK_SL_SM_E_clIPiSE_SF_SF_EESJ_SZ_SK_SL_SM_EUlSZ_E1_NS1_11comp_targetILNS1_3genE4ELNS1_11target_archE910ELNS1_3gpuE8ELNS1_3repE0EEENS1_36merge_oddeven_config_static_selectorELNS0_4arch9wavefront6targetE1EEEvSL_,"axG",@progbits,_ZN7rocprim17ROCPRIM_400000_NS6detail17trampoline_kernelINS0_14default_configENS1_38merge_sort_block_merge_config_selectorIiNS0_10empty_typeEEEZZNS1_27merge_sort_block_merge_implIS3_N6thrust23THRUST_200600_302600_NS6detail15normal_iteratorINS9_10device_ptrIiEEEEPS5_jNS1_19radix_merge_compareILb0ELb0EiNS0_19identity_decomposerEEEEE10hipError_tT0_T1_T2_jT3_P12ihipStream_tbPNSt15iterator_traitsISK_E10value_typeEPNSQ_ISL_E10value_typeEPSM_NS1_7vsmem_tEENKUlT_SK_SL_SM_E_clIPiSE_SF_SF_EESJ_SZ_SK_SL_SM_EUlSZ_E1_NS1_11comp_targetILNS1_3genE4ELNS1_11target_archE910ELNS1_3gpuE8ELNS1_3repE0EEENS1_36merge_oddeven_config_static_selectorELNS0_4arch9wavefront6targetE1EEEvSL_,comdat
.Lfunc_end38:
	.size	_ZN7rocprim17ROCPRIM_400000_NS6detail17trampoline_kernelINS0_14default_configENS1_38merge_sort_block_merge_config_selectorIiNS0_10empty_typeEEEZZNS1_27merge_sort_block_merge_implIS3_N6thrust23THRUST_200600_302600_NS6detail15normal_iteratorINS9_10device_ptrIiEEEEPS5_jNS1_19radix_merge_compareILb0ELb0EiNS0_19identity_decomposerEEEEE10hipError_tT0_T1_T2_jT3_P12ihipStream_tbPNSt15iterator_traitsISK_E10value_typeEPNSQ_ISL_E10value_typeEPSM_NS1_7vsmem_tEENKUlT_SK_SL_SM_E_clIPiSE_SF_SF_EESJ_SZ_SK_SL_SM_EUlSZ_E1_NS1_11comp_targetILNS1_3genE4ELNS1_11target_archE910ELNS1_3gpuE8ELNS1_3repE0EEENS1_36merge_oddeven_config_static_selectorELNS0_4arch9wavefront6targetE1EEEvSL_, .Lfunc_end38-_ZN7rocprim17ROCPRIM_400000_NS6detail17trampoline_kernelINS0_14default_configENS1_38merge_sort_block_merge_config_selectorIiNS0_10empty_typeEEEZZNS1_27merge_sort_block_merge_implIS3_N6thrust23THRUST_200600_302600_NS6detail15normal_iteratorINS9_10device_ptrIiEEEEPS5_jNS1_19radix_merge_compareILb0ELb0EiNS0_19identity_decomposerEEEEE10hipError_tT0_T1_T2_jT3_P12ihipStream_tbPNSt15iterator_traitsISK_E10value_typeEPNSQ_ISL_E10value_typeEPSM_NS1_7vsmem_tEENKUlT_SK_SL_SM_E_clIPiSE_SF_SF_EESJ_SZ_SK_SL_SM_EUlSZ_E1_NS1_11comp_targetILNS1_3genE4ELNS1_11target_archE910ELNS1_3gpuE8ELNS1_3repE0EEENS1_36merge_oddeven_config_static_selectorELNS0_4arch9wavefront6targetE1EEEvSL_
                                        ; -- End function
	.set _ZN7rocprim17ROCPRIM_400000_NS6detail17trampoline_kernelINS0_14default_configENS1_38merge_sort_block_merge_config_selectorIiNS0_10empty_typeEEEZZNS1_27merge_sort_block_merge_implIS3_N6thrust23THRUST_200600_302600_NS6detail15normal_iteratorINS9_10device_ptrIiEEEEPS5_jNS1_19radix_merge_compareILb0ELb0EiNS0_19identity_decomposerEEEEE10hipError_tT0_T1_T2_jT3_P12ihipStream_tbPNSt15iterator_traitsISK_E10value_typeEPNSQ_ISL_E10value_typeEPSM_NS1_7vsmem_tEENKUlT_SK_SL_SM_E_clIPiSE_SF_SF_EESJ_SZ_SK_SL_SM_EUlSZ_E1_NS1_11comp_targetILNS1_3genE4ELNS1_11target_archE910ELNS1_3gpuE8ELNS1_3repE0EEENS1_36merge_oddeven_config_static_selectorELNS0_4arch9wavefront6targetE1EEEvSL_.num_vgpr, 0
	.set _ZN7rocprim17ROCPRIM_400000_NS6detail17trampoline_kernelINS0_14default_configENS1_38merge_sort_block_merge_config_selectorIiNS0_10empty_typeEEEZZNS1_27merge_sort_block_merge_implIS3_N6thrust23THRUST_200600_302600_NS6detail15normal_iteratorINS9_10device_ptrIiEEEEPS5_jNS1_19radix_merge_compareILb0ELb0EiNS0_19identity_decomposerEEEEE10hipError_tT0_T1_T2_jT3_P12ihipStream_tbPNSt15iterator_traitsISK_E10value_typeEPNSQ_ISL_E10value_typeEPSM_NS1_7vsmem_tEENKUlT_SK_SL_SM_E_clIPiSE_SF_SF_EESJ_SZ_SK_SL_SM_EUlSZ_E1_NS1_11comp_targetILNS1_3genE4ELNS1_11target_archE910ELNS1_3gpuE8ELNS1_3repE0EEENS1_36merge_oddeven_config_static_selectorELNS0_4arch9wavefront6targetE1EEEvSL_.num_agpr, 0
	.set _ZN7rocprim17ROCPRIM_400000_NS6detail17trampoline_kernelINS0_14default_configENS1_38merge_sort_block_merge_config_selectorIiNS0_10empty_typeEEEZZNS1_27merge_sort_block_merge_implIS3_N6thrust23THRUST_200600_302600_NS6detail15normal_iteratorINS9_10device_ptrIiEEEEPS5_jNS1_19radix_merge_compareILb0ELb0EiNS0_19identity_decomposerEEEEE10hipError_tT0_T1_T2_jT3_P12ihipStream_tbPNSt15iterator_traitsISK_E10value_typeEPNSQ_ISL_E10value_typeEPSM_NS1_7vsmem_tEENKUlT_SK_SL_SM_E_clIPiSE_SF_SF_EESJ_SZ_SK_SL_SM_EUlSZ_E1_NS1_11comp_targetILNS1_3genE4ELNS1_11target_archE910ELNS1_3gpuE8ELNS1_3repE0EEENS1_36merge_oddeven_config_static_selectorELNS0_4arch9wavefront6targetE1EEEvSL_.numbered_sgpr, 0
	.set _ZN7rocprim17ROCPRIM_400000_NS6detail17trampoline_kernelINS0_14default_configENS1_38merge_sort_block_merge_config_selectorIiNS0_10empty_typeEEEZZNS1_27merge_sort_block_merge_implIS3_N6thrust23THRUST_200600_302600_NS6detail15normal_iteratorINS9_10device_ptrIiEEEEPS5_jNS1_19radix_merge_compareILb0ELb0EiNS0_19identity_decomposerEEEEE10hipError_tT0_T1_T2_jT3_P12ihipStream_tbPNSt15iterator_traitsISK_E10value_typeEPNSQ_ISL_E10value_typeEPSM_NS1_7vsmem_tEENKUlT_SK_SL_SM_E_clIPiSE_SF_SF_EESJ_SZ_SK_SL_SM_EUlSZ_E1_NS1_11comp_targetILNS1_3genE4ELNS1_11target_archE910ELNS1_3gpuE8ELNS1_3repE0EEENS1_36merge_oddeven_config_static_selectorELNS0_4arch9wavefront6targetE1EEEvSL_.num_named_barrier, 0
	.set _ZN7rocprim17ROCPRIM_400000_NS6detail17trampoline_kernelINS0_14default_configENS1_38merge_sort_block_merge_config_selectorIiNS0_10empty_typeEEEZZNS1_27merge_sort_block_merge_implIS3_N6thrust23THRUST_200600_302600_NS6detail15normal_iteratorINS9_10device_ptrIiEEEEPS5_jNS1_19radix_merge_compareILb0ELb0EiNS0_19identity_decomposerEEEEE10hipError_tT0_T1_T2_jT3_P12ihipStream_tbPNSt15iterator_traitsISK_E10value_typeEPNSQ_ISL_E10value_typeEPSM_NS1_7vsmem_tEENKUlT_SK_SL_SM_E_clIPiSE_SF_SF_EESJ_SZ_SK_SL_SM_EUlSZ_E1_NS1_11comp_targetILNS1_3genE4ELNS1_11target_archE910ELNS1_3gpuE8ELNS1_3repE0EEENS1_36merge_oddeven_config_static_selectorELNS0_4arch9wavefront6targetE1EEEvSL_.private_seg_size, 0
	.set _ZN7rocprim17ROCPRIM_400000_NS6detail17trampoline_kernelINS0_14default_configENS1_38merge_sort_block_merge_config_selectorIiNS0_10empty_typeEEEZZNS1_27merge_sort_block_merge_implIS3_N6thrust23THRUST_200600_302600_NS6detail15normal_iteratorINS9_10device_ptrIiEEEEPS5_jNS1_19radix_merge_compareILb0ELb0EiNS0_19identity_decomposerEEEEE10hipError_tT0_T1_T2_jT3_P12ihipStream_tbPNSt15iterator_traitsISK_E10value_typeEPNSQ_ISL_E10value_typeEPSM_NS1_7vsmem_tEENKUlT_SK_SL_SM_E_clIPiSE_SF_SF_EESJ_SZ_SK_SL_SM_EUlSZ_E1_NS1_11comp_targetILNS1_3genE4ELNS1_11target_archE910ELNS1_3gpuE8ELNS1_3repE0EEENS1_36merge_oddeven_config_static_selectorELNS0_4arch9wavefront6targetE1EEEvSL_.uses_vcc, 0
	.set _ZN7rocprim17ROCPRIM_400000_NS6detail17trampoline_kernelINS0_14default_configENS1_38merge_sort_block_merge_config_selectorIiNS0_10empty_typeEEEZZNS1_27merge_sort_block_merge_implIS3_N6thrust23THRUST_200600_302600_NS6detail15normal_iteratorINS9_10device_ptrIiEEEEPS5_jNS1_19radix_merge_compareILb0ELb0EiNS0_19identity_decomposerEEEEE10hipError_tT0_T1_T2_jT3_P12ihipStream_tbPNSt15iterator_traitsISK_E10value_typeEPNSQ_ISL_E10value_typeEPSM_NS1_7vsmem_tEENKUlT_SK_SL_SM_E_clIPiSE_SF_SF_EESJ_SZ_SK_SL_SM_EUlSZ_E1_NS1_11comp_targetILNS1_3genE4ELNS1_11target_archE910ELNS1_3gpuE8ELNS1_3repE0EEENS1_36merge_oddeven_config_static_selectorELNS0_4arch9wavefront6targetE1EEEvSL_.uses_flat_scratch, 0
	.set _ZN7rocprim17ROCPRIM_400000_NS6detail17trampoline_kernelINS0_14default_configENS1_38merge_sort_block_merge_config_selectorIiNS0_10empty_typeEEEZZNS1_27merge_sort_block_merge_implIS3_N6thrust23THRUST_200600_302600_NS6detail15normal_iteratorINS9_10device_ptrIiEEEEPS5_jNS1_19radix_merge_compareILb0ELb0EiNS0_19identity_decomposerEEEEE10hipError_tT0_T1_T2_jT3_P12ihipStream_tbPNSt15iterator_traitsISK_E10value_typeEPNSQ_ISL_E10value_typeEPSM_NS1_7vsmem_tEENKUlT_SK_SL_SM_E_clIPiSE_SF_SF_EESJ_SZ_SK_SL_SM_EUlSZ_E1_NS1_11comp_targetILNS1_3genE4ELNS1_11target_archE910ELNS1_3gpuE8ELNS1_3repE0EEENS1_36merge_oddeven_config_static_selectorELNS0_4arch9wavefront6targetE1EEEvSL_.has_dyn_sized_stack, 0
	.set _ZN7rocprim17ROCPRIM_400000_NS6detail17trampoline_kernelINS0_14default_configENS1_38merge_sort_block_merge_config_selectorIiNS0_10empty_typeEEEZZNS1_27merge_sort_block_merge_implIS3_N6thrust23THRUST_200600_302600_NS6detail15normal_iteratorINS9_10device_ptrIiEEEEPS5_jNS1_19radix_merge_compareILb0ELb0EiNS0_19identity_decomposerEEEEE10hipError_tT0_T1_T2_jT3_P12ihipStream_tbPNSt15iterator_traitsISK_E10value_typeEPNSQ_ISL_E10value_typeEPSM_NS1_7vsmem_tEENKUlT_SK_SL_SM_E_clIPiSE_SF_SF_EESJ_SZ_SK_SL_SM_EUlSZ_E1_NS1_11comp_targetILNS1_3genE4ELNS1_11target_archE910ELNS1_3gpuE8ELNS1_3repE0EEENS1_36merge_oddeven_config_static_selectorELNS0_4arch9wavefront6targetE1EEEvSL_.has_recursion, 0
	.set _ZN7rocprim17ROCPRIM_400000_NS6detail17trampoline_kernelINS0_14default_configENS1_38merge_sort_block_merge_config_selectorIiNS0_10empty_typeEEEZZNS1_27merge_sort_block_merge_implIS3_N6thrust23THRUST_200600_302600_NS6detail15normal_iteratorINS9_10device_ptrIiEEEEPS5_jNS1_19radix_merge_compareILb0ELb0EiNS0_19identity_decomposerEEEEE10hipError_tT0_T1_T2_jT3_P12ihipStream_tbPNSt15iterator_traitsISK_E10value_typeEPNSQ_ISL_E10value_typeEPSM_NS1_7vsmem_tEENKUlT_SK_SL_SM_E_clIPiSE_SF_SF_EESJ_SZ_SK_SL_SM_EUlSZ_E1_NS1_11comp_targetILNS1_3genE4ELNS1_11target_archE910ELNS1_3gpuE8ELNS1_3repE0EEENS1_36merge_oddeven_config_static_selectorELNS0_4arch9wavefront6targetE1EEEvSL_.has_indirect_call, 0
	.section	.AMDGPU.csdata,"",@progbits
; Kernel info:
; codeLenInByte = 0
; TotalNumSgprs: 6
; NumVgprs: 0
; NumAgprs: 0
; TotalNumVgprs: 0
; ScratchSize: 0
; MemoryBound: 0
; FloatMode: 240
; IeeeMode: 1
; LDSByteSize: 0 bytes/workgroup (compile time only)
; SGPRBlocks: 0
; VGPRBlocks: 0
; NumSGPRsForWavesPerEU: 6
; NumVGPRsForWavesPerEU: 1
; AccumOffset: 4
; Occupancy: 8
; WaveLimiterHint : 0
; COMPUTE_PGM_RSRC2:SCRATCH_EN: 0
; COMPUTE_PGM_RSRC2:USER_SGPR: 2
; COMPUTE_PGM_RSRC2:TRAP_HANDLER: 0
; COMPUTE_PGM_RSRC2:TGID_X_EN: 1
; COMPUTE_PGM_RSRC2:TGID_Y_EN: 0
; COMPUTE_PGM_RSRC2:TGID_Z_EN: 0
; COMPUTE_PGM_RSRC2:TIDIG_COMP_CNT: 0
; COMPUTE_PGM_RSRC3_GFX90A:ACCUM_OFFSET: 0
; COMPUTE_PGM_RSRC3_GFX90A:TG_SPLIT: 0
	.section	.text._ZN7rocprim17ROCPRIM_400000_NS6detail17trampoline_kernelINS0_14default_configENS1_38merge_sort_block_merge_config_selectorIiNS0_10empty_typeEEEZZNS1_27merge_sort_block_merge_implIS3_N6thrust23THRUST_200600_302600_NS6detail15normal_iteratorINS9_10device_ptrIiEEEEPS5_jNS1_19radix_merge_compareILb0ELb0EiNS0_19identity_decomposerEEEEE10hipError_tT0_T1_T2_jT3_P12ihipStream_tbPNSt15iterator_traitsISK_E10value_typeEPNSQ_ISL_E10value_typeEPSM_NS1_7vsmem_tEENKUlT_SK_SL_SM_E_clIPiSE_SF_SF_EESJ_SZ_SK_SL_SM_EUlSZ_E1_NS1_11comp_targetILNS1_3genE3ELNS1_11target_archE908ELNS1_3gpuE7ELNS1_3repE0EEENS1_36merge_oddeven_config_static_selectorELNS0_4arch9wavefront6targetE1EEEvSL_,"axG",@progbits,_ZN7rocprim17ROCPRIM_400000_NS6detail17trampoline_kernelINS0_14default_configENS1_38merge_sort_block_merge_config_selectorIiNS0_10empty_typeEEEZZNS1_27merge_sort_block_merge_implIS3_N6thrust23THRUST_200600_302600_NS6detail15normal_iteratorINS9_10device_ptrIiEEEEPS5_jNS1_19radix_merge_compareILb0ELb0EiNS0_19identity_decomposerEEEEE10hipError_tT0_T1_T2_jT3_P12ihipStream_tbPNSt15iterator_traitsISK_E10value_typeEPNSQ_ISL_E10value_typeEPSM_NS1_7vsmem_tEENKUlT_SK_SL_SM_E_clIPiSE_SF_SF_EESJ_SZ_SK_SL_SM_EUlSZ_E1_NS1_11comp_targetILNS1_3genE3ELNS1_11target_archE908ELNS1_3gpuE7ELNS1_3repE0EEENS1_36merge_oddeven_config_static_selectorELNS0_4arch9wavefront6targetE1EEEvSL_,comdat
	.protected	_ZN7rocprim17ROCPRIM_400000_NS6detail17trampoline_kernelINS0_14default_configENS1_38merge_sort_block_merge_config_selectorIiNS0_10empty_typeEEEZZNS1_27merge_sort_block_merge_implIS3_N6thrust23THRUST_200600_302600_NS6detail15normal_iteratorINS9_10device_ptrIiEEEEPS5_jNS1_19radix_merge_compareILb0ELb0EiNS0_19identity_decomposerEEEEE10hipError_tT0_T1_T2_jT3_P12ihipStream_tbPNSt15iterator_traitsISK_E10value_typeEPNSQ_ISL_E10value_typeEPSM_NS1_7vsmem_tEENKUlT_SK_SL_SM_E_clIPiSE_SF_SF_EESJ_SZ_SK_SL_SM_EUlSZ_E1_NS1_11comp_targetILNS1_3genE3ELNS1_11target_archE908ELNS1_3gpuE7ELNS1_3repE0EEENS1_36merge_oddeven_config_static_selectorELNS0_4arch9wavefront6targetE1EEEvSL_ ; -- Begin function _ZN7rocprim17ROCPRIM_400000_NS6detail17trampoline_kernelINS0_14default_configENS1_38merge_sort_block_merge_config_selectorIiNS0_10empty_typeEEEZZNS1_27merge_sort_block_merge_implIS3_N6thrust23THRUST_200600_302600_NS6detail15normal_iteratorINS9_10device_ptrIiEEEEPS5_jNS1_19radix_merge_compareILb0ELb0EiNS0_19identity_decomposerEEEEE10hipError_tT0_T1_T2_jT3_P12ihipStream_tbPNSt15iterator_traitsISK_E10value_typeEPNSQ_ISL_E10value_typeEPSM_NS1_7vsmem_tEENKUlT_SK_SL_SM_E_clIPiSE_SF_SF_EESJ_SZ_SK_SL_SM_EUlSZ_E1_NS1_11comp_targetILNS1_3genE3ELNS1_11target_archE908ELNS1_3gpuE7ELNS1_3repE0EEENS1_36merge_oddeven_config_static_selectorELNS0_4arch9wavefront6targetE1EEEvSL_
	.globl	_ZN7rocprim17ROCPRIM_400000_NS6detail17trampoline_kernelINS0_14default_configENS1_38merge_sort_block_merge_config_selectorIiNS0_10empty_typeEEEZZNS1_27merge_sort_block_merge_implIS3_N6thrust23THRUST_200600_302600_NS6detail15normal_iteratorINS9_10device_ptrIiEEEEPS5_jNS1_19radix_merge_compareILb0ELb0EiNS0_19identity_decomposerEEEEE10hipError_tT0_T1_T2_jT3_P12ihipStream_tbPNSt15iterator_traitsISK_E10value_typeEPNSQ_ISL_E10value_typeEPSM_NS1_7vsmem_tEENKUlT_SK_SL_SM_E_clIPiSE_SF_SF_EESJ_SZ_SK_SL_SM_EUlSZ_E1_NS1_11comp_targetILNS1_3genE3ELNS1_11target_archE908ELNS1_3gpuE7ELNS1_3repE0EEENS1_36merge_oddeven_config_static_selectorELNS0_4arch9wavefront6targetE1EEEvSL_
	.p2align	8
	.type	_ZN7rocprim17ROCPRIM_400000_NS6detail17trampoline_kernelINS0_14default_configENS1_38merge_sort_block_merge_config_selectorIiNS0_10empty_typeEEEZZNS1_27merge_sort_block_merge_implIS3_N6thrust23THRUST_200600_302600_NS6detail15normal_iteratorINS9_10device_ptrIiEEEEPS5_jNS1_19radix_merge_compareILb0ELb0EiNS0_19identity_decomposerEEEEE10hipError_tT0_T1_T2_jT3_P12ihipStream_tbPNSt15iterator_traitsISK_E10value_typeEPNSQ_ISL_E10value_typeEPSM_NS1_7vsmem_tEENKUlT_SK_SL_SM_E_clIPiSE_SF_SF_EESJ_SZ_SK_SL_SM_EUlSZ_E1_NS1_11comp_targetILNS1_3genE3ELNS1_11target_archE908ELNS1_3gpuE7ELNS1_3repE0EEENS1_36merge_oddeven_config_static_selectorELNS0_4arch9wavefront6targetE1EEEvSL_,@function
_ZN7rocprim17ROCPRIM_400000_NS6detail17trampoline_kernelINS0_14default_configENS1_38merge_sort_block_merge_config_selectorIiNS0_10empty_typeEEEZZNS1_27merge_sort_block_merge_implIS3_N6thrust23THRUST_200600_302600_NS6detail15normal_iteratorINS9_10device_ptrIiEEEEPS5_jNS1_19radix_merge_compareILb0ELb0EiNS0_19identity_decomposerEEEEE10hipError_tT0_T1_T2_jT3_P12ihipStream_tbPNSt15iterator_traitsISK_E10value_typeEPNSQ_ISL_E10value_typeEPSM_NS1_7vsmem_tEENKUlT_SK_SL_SM_E_clIPiSE_SF_SF_EESJ_SZ_SK_SL_SM_EUlSZ_E1_NS1_11comp_targetILNS1_3genE3ELNS1_11target_archE908ELNS1_3gpuE7ELNS1_3repE0EEENS1_36merge_oddeven_config_static_selectorELNS0_4arch9wavefront6targetE1EEEvSL_: ; @_ZN7rocprim17ROCPRIM_400000_NS6detail17trampoline_kernelINS0_14default_configENS1_38merge_sort_block_merge_config_selectorIiNS0_10empty_typeEEEZZNS1_27merge_sort_block_merge_implIS3_N6thrust23THRUST_200600_302600_NS6detail15normal_iteratorINS9_10device_ptrIiEEEEPS5_jNS1_19radix_merge_compareILb0ELb0EiNS0_19identity_decomposerEEEEE10hipError_tT0_T1_T2_jT3_P12ihipStream_tbPNSt15iterator_traitsISK_E10value_typeEPNSQ_ISL_E10value_typeEPSM_NS1_7vsmem_tEENKUlT_SK_SL_SM_E_clIPiSE_SF_SF_EESJ_SZ_SK_SL_SM_EUlSZ_E1_NS1_11comp_targetILNS1_3genE3ELNS1_11target_archE908ELNS1_3gpuE7ELNS1_3repE0EEENS1_36merge_oddeven_config_static_selectorELNS0_4arch9wavefront6targetE1EEEvSL_
; %bb.0:
	.section	.rodata,"a",@progbits
	.p2align	6, 0x0
	.amdhsa_kernel _ZN7rocprim17ROCPRIM_400000_NS6detail17trampoline_kernelINS0_14default_configENS1_38merge_sort_block_merge_config_selectorIiNS0_10empty_typeEEEZZNS1_27merge_sort_block_merge_implIS3_N6thrust23THRUST_200600_302600_NS6detail15normal_iteratorINS9_10device_ptrIiEEEEPS5_jNS1_19radix_merge_compareILb0ELb0EiNS0_19identity_decomposerEEEEE10hipError_tT0_T1_T2_jT3_P12ihipStream_tbPNSt15iterator_traitsISK_E10value_typeEPNSQ_ISL_E10value_typeEPSM_NS1_7vsmem_tEENKUlT_SK_SL_SM_E_clIPiSE_SF_SF_EESJ_SZ_SK_SL_SM_EUlSZ_E1_NS1_11comp_targetILNS1_3genE3ELNS1_11target_archE908ELNS1_3gpuE7ELNS1_3repE0EEENS1_36merge_oddeven_config_static_selectorELNS0_4arch9wavefront6targetE1EEEvSL_
		.amdhsa_group_segment_fixed_size 0
		.amdhsa_private_segment_fixed_size 0
		.amdhsa_kernarg_size 48
		.amdhsa_user_sgpr_count 2
		.amdhsa_user_sgpr_dispatch_ptr 0
		.amdhsa_user_sgpr_queue_ptr 0
		.amdhsa_user_sgpr_kernarg_segment_ptr 1
		.amdhsa_user_sgpr_dispatch_id 0
		.amdhsa_user_sgpr_kernarg_preload_length 0
		.amdhsa_user_sgpr_kernarg_preload_offset 0
		.amdhsa_user_sgpr_private_segment_size 0
		.amdhsa_uses_dynamic_stack 0
		.amdhsa_enable_private_segment 0
		.amdhsa_system_sgpr_workgroup_id_x 1
		.amdhsa_system_sgpr_workgroup_id_y 0
		.amdhsa_system_sgpr_workgroup_id_z 0
		.amdhsa_system_sgpr_workgroup_info 0
		.amdhsa_system_vgpr_workitem_id 0
		.amdhsa_next_free_vgpr 1
		.amdhsa_next_free_sgpr 0
		.amdhsa_accum_offset 4
		.amdhsa_reserve_vcc 0
		.amdhsa_float_round_mode_32 0
		.amdhsa_float_round_mode_16_64 0
		.amdhsa_float_denorm_mode_32 3
		.amdhsa_float_denorm_mode_16_64 3
		.amdhsa_dx10_clamp 1
		.amdhsa_ieee_mode 1
		.amdhsa_fp16_overflow 0
		.amdhsa_tg_split 0
		.amdhsa_exception_fp_ieee_invalid_op 0
		.amdhsa_exception_fp_denorm_src 0
		.amdhsa_exception_fp_ieee_div_zero 0
		.amdhsa_exception_fp_ieee_overflow 0
		.amdhsa_exception_fp_ieee_underflow 0
		.amdhsa_exception_fp_ieee_inexact 0
		.amdhsa_exception_int_div_zero 0
	.end_amdhsa_kernel
	.section	.text._ZN7rocprim17ROCPRIM_400000_NS6detail17trampoline_kernelINS0_14default_configENS1_38merge_sort_block_merge_config_selectorIiNS0_10empty_typeEEEZZNS1_27merge_sort_block_merge_implIS3_N6thrust23THRUST_200600_302600_NS6detail15normal_iteratorINS9_10device_ptrIiEEEEPS5_jNS1_19radix_merge_compareILb0ELb0EiNS0_19identity_decomposerEEEEE10hipError_tT0_T1_T2_jT3_P12ihipStream_tbPNSt15iterator_traitsISK_E10value_typeEPNSQ_ISL_E10value_typeEPSM_NS1_7vsmem_tEENKUlT_SK_SL_SM_E_clIPiSE_SF_SF_EESJ_SZ_SK_SL_SM_EUlSZ_E1_NS1_11comp_targetILNS1_3genE3ELNS1_11target_archE908ELNS1_3gpuE7ELNS1_3repE0EEENS1_36merge_oddeven_config_static_selectorELNS0_4arch9wavefront6targetE1EEEvSL_,"axG",@progbits,_ZN7rocprim17ROCPRIM_400000_NS6detail17trampoline_kernelINS0_14default_configENS1_38merge_sort_block_merge_config_selectorIiNS0_10empty_typeEEEZZNS1_27merge_sort_block_merge_implIS3_N6thrust23THRUST_200600_302600_NS6detail15normal_iteratorINS9_10device_ptrIiEEEEPS5_jNS1_19radix_merge_compareILb0ELb0EiNS0_19identity_decomposerEEEEE10hipError_tT0_T1_T2_jT3_P12ihipStream_tbPNSt15iterator_traitsISK_E10value_typeEPNSQ_ISL_E10value_typeEPSM_NS1_7vsmem_tEENKUlT_SK_SL_SM_E_clIPiSE_SF_SF_EESJ_SZ_SK_SL_SM_EUlSZ_E1_NS1_11comp_targetILNS1_3genE3ELNS1_11target_archE908ELNS1_3gpuE7ELNS1_3repE0EEENS1_36merge_oddeven_config_static_selectorELNS0_4arch9wavefront6targetE1EEEvSL_,comdat
.Lfunc_end39:
	.size	_ZN7rocprim17ROCPRIM_400000_NS6detail17trampoline_kernelINS0_14default_configENS1_38merge_sort_block_merge_config_selectorIiNS0_10empty_typeEEEZZNS1_27merge_sort_block_merge_implIS3_N6thrust23THRUST_200600_302600_NS6detail15normal_iteratorINS9_10device_ptrIiEEEEPS5_jNS1_19radix_merge_compareILb0ELb0EiNS0_19identity_decomposerEEEEE10hipError_tT0_T1_T2_jT3_P12ihipStream_tbPNSt15iterator_traitsISK_E10value_typeEPNSQ_ISL_E10value_typeEPSM_NS1_7vsmem_tEENKUlT_SK_SL_SM_E_clIPiSE_SF_SF_EESJ_SZ_SK_SL_SM_EUlSZ_E1_NS1_11comp_targetILNS1_3genE3ELNS1_11target_archE908ELNS1_3gpuE7ELNS1_3repE0EEENS1_36merge_oddeven_config_static_selectorELNS0_4arch9wavefront6targetE1EEEvSL_, .Lfunc_end39-_ZN7rocprim17ROCPRIM_400000_NS6detail17trampoline_kernelINS0_14default_configENS1_38merge_sort_block_merge_config_selectorIiNS0_10empty_typeEEEZZNS1_27merge_sort_block_merge_implIS3_N6thrust23THRUST_200600_302600_NS6detail15normal_iteratorINS9_10device_ptrIiEEEEPS5_jNS1_19radix_merge_compareILb0ELb0EiNS0_19identity_decomposerEEEEE10hipError_tT0_T1_T2_jT3_P12ihipStream_tbPNSt15iterator_traitsISK_E10value_typeEPNSQ_ISL_E10value_typeEPSM_NS1_7vsmem_tEENKUlT_SK_SL_SM_E_clIPiSE_SF_SF_EESJ_SZ_SK_SL_SM_EUlSZ_E1_NS1_11comp_targetILNS1_3genE3ELNS1_11target_archE908ELNS1_3gpuE7ELNS1_3repE0EEENS1_36merge_oddeven_config_static_selectorELNS0_4arch9wavefront6targetE1EEEvSL_
                                        ; -- End function
	.set _ZN7rocprim17ROCPRIM_400000_NS6detail17trampoline_kernelINS0_14default_configENS1_38merge_sort_block_merge_config_selectorIiNS0_10empty_typeEEEZZNS1_27merge_sort_block_merge_implIS3_N6thrust23THRUST_200600_302600_NS6detail15normal_iteratorINS9_10device_ptrIiEEEEPS5_jNS1_19radix_merge_compareILb0ELb0EiNS0_19identity_decomposerEEEEE10hipError_tT0_T1_T2_jT3_P12ihipStream_tbPNSt15iterator_traitsISK_E10value_typeEPNSQ_ISL_E10value_typeEPSM_NS1_7vsmem_tEENKUlT_SK_SL_SM_E_clIPiSE_SF_SF_EESJ_SZ_SK_SL_SM_EUlSZ_E1_NS1_11comp_targetILNS1_3genE3ELNS1_11target_archE908ELNS1_3gpuE7ELNS1_3repE0EEENS1_36merge_oddeven_config_static_selectorELNS0_4arch9wavefront6targetE1EEEvSL_.num_vgpr, 0
	.set _ZN7rocprim17ROCPRIM_400000_NS6detail17trampoline_kernelINS0_14default_configENS1_38merge_sort_block_merge_config_selectorIiNS0_10empty_typeEEEZZNS1_27merge_sort_block_merge_implIS3_N6thrust23THRUST_200600_302600_NS6detail15normal_iteratorINS9_10device_ptrIiEEEEPS5_jNS1_19radix_merge_compareILb0ELb0EiNS0_19identity_decomposerEEEEE10hipError_tT0_T1_T2_jT3_P12ihipStream_tbPNSt15iterator_traitsISK_E10value_typeEPNSQ_ISL_E10value_typeEPSM_NS1_7vsmem_tEENKUlT_SK_SL_SM_E_clIPiSE_SF_SF_EESJ_SZ_SK_SL_SM_EUlSZ_E1_NS1_11comp_targetILNS1_3genE3ELNS1_11target_archE908ELNS1_3gpuE7ELNS1_3repE0EEENS1_36merge_oddeven_config_static_selectorELNS0_4arch9wavefront6targetE1EEEvSL_.num_agpr, 0
	.set _ZN7rocprim17ROCPRIM_400000_NS6detail17trampoline_kernelINS0_14default_configENS1_38merge_sort_block_merge_config_selectorIiNS0_10empty_typeEEEZZNS1_27merge_sort_block_merge_implIS3_N6thrust23THRUST_200600_302600_NS6detail15normal_iteratorINS9_10device_ptrIiEEEEPS5_jNS1_19radix_merge_compareILb0ELb0EiNS0_19identity_decomposerEEEEE10hipError_tT0_T1_T2_jT3_P12ihipStream_tbPNSt15iterator_traitsISK_E10value_typeEPNSQ_ISL_E10value_typeEPSM_NS1_7vsmem_tEENKUlT_SK_SL_SM_E_clIPiSE_SF_SF_EESJ_SZ_SK_SL_SM_EUlSZ_E1_NS1_11comp_targetILNS1_3genE3ELNS1_11target_archE908ELNS1_3gpuE7ELNS1_3repE0EEENS1_36merge_oddeven_config_static_selectorELNS0_4arch9wavefront6targetE1EEEvSL_.numbered_sgpr, 0
	.set _ZN7rocprim17ROCPRIM_400000_NS6detail17trampoline_kernelINS0_14default_configENS1_38merge_sort_block_merge_config_selectorIiNS0_10empty_typeEEEZZNS1_27merge_sort_block_merge_implIS3_N6thrust23THRUST_200600_302600_NS6detail15normal_iteratorINS9_10device_ptrIiEEEEPS5_jNS1_19radix_merge_compareILb0ELb0EiNS0_19identity_decomposerEEEEE10hipError_tT0_T1_T2_jT3_P12ihipStream_tbPNSt15iterator_traitsISK_E10value_typeEPNSQ_ISL_E10value_typeEPSM_NS1_7vsmem_tEENKUlT_SK_SL_SM_E_clIPiSE_SF_SF_EESJ_SZ_SK_SL_SM_EUlSZ_E1_NS1_11comp_targetILNS1_3genE3ELNS1_11target_archE908ELNS1_3gpuE7ELNS1_3repE0EEENS1_36merge_oddeven_config_static_selectorELNS0_4arch9wavefront6targetE1EEEvSL_.num_named_barrier, 0
	.set _ZN7rocprim17ROCPRIM_400000_NS6detail17trampoline_kernelINS0_14default_configENS1_38merge_sort_block_merge_config_selectorIiNS0_10empty_typeEEEZZNS1_27merge_sort_block_merge_implIS3_N6thrust23THRUST_200600_302600_NS6detail15normal_iteratorINS9_10device_ptrIiEEEEPS5_jNS1_19radix_merge_compareILb0ELb0EiNS0_19identity_decomposerEEEEE10hipError_tT0_T1_T2_jT3_P12ihipStream_tbPNSt15iterator_traitsISK_E10value_typeEPNSQ_ISL_E10value_typeEPSM_NS1_7vsmem_tEENKUlT_SK_SL_SM_E_clIPiSE_SF_SF_EESJ_SZ_SK_SL_SM_EUlSZ_E1_NS1_11comp_targetILNS1_3genE3ELNS1_11target_archE908ELNS1_3gpuE7ELNS1_3repE0EEENS1_36merge_oddeven_config_static_selectorELNS0_4arch9wavefront6targetE1EEEvSL_.private_seg_size, 0
	.set _ZN7rocprim17ROCPRIM_400000_NS6detail17trampoline_kernelINS0_14default_configENS1_38merge_sort_block_merge_config_selectorIiNS0_10empty_typeEEEZZNS1_27merge_sort_block_merge_implIS3_N6thrust23THRUST_200600_302600_NS6detail15normal_iteratorINS9_10device_ptrIiEEEEPS5_jNS1_19radix_merge_compareILb0ELb0EiNS0_19identity_decomposerEEEEE10hipError_tT0_T1_T2_jT3_P12ihipStream_tbPNSt15iterator_traitsISK_E10value_typeEPNSQ_ISL_E10value_typeEPSM_NS1_7vsmem_tEENKUlT_SK_SL_SM_E_clIPiSE_SF_SF_EESJ_SZ_SK_SL_SM_EUlSZ_E1_NS1_11comp_targetILNS1_3genE3ELNS1_11target_archE908ELNS1_3gpuE7ELNS1_3repE0EEENS1_36merge_oddeven_config_static_selectorELNS0_4arch9wavefront6targetE1EEEvSL_.uses_vcc, 0
	.set _ZN7rocprim17ROCPRIM_400000_NS6detail17trampoline_kernelINS0_14default_configENS1_38merge_sort_block_merge_config_selectorIiNS0_10empty_typeEEEZZNS1_27merge_sort_block_merge_implIS3_N6thrust23THRUST_200600_302600_NS6detail15normal_iteratorINS9_10device_ptrIiEEEEPS5_jNS1_19radix_merge_compareILb0ELb0EiNS0_19identity_decomposerEEEEE10hipError_tT0_T1_T2_jT3_P12ihipStream_tbPNSt15iterator_traitsISK_E10value_typeEPNSQ_ISL_E10value_typeEPSM_NS1_7vsmem_tEENKUlT_SK_SL_SM_E_clIPiSE_SF_SF_EESJ_SZ_SK_SL_SM_EUlSZ_E1_NS1_11comp_targetILNS1_3genE3ELNS1_11target_archE908ELNS1_3gpuE7ELNS1_3repE0EEENS1_36merge_oddeven_config_static_selectorELNS0_4arch9wavefront6targetE1EEEvSL_.uses_flat_scratch, 0
	.set _ZN7rocprim17ROCPRIM_400000_NS6detail17trampoline_kernelINS0_14default_configENS1_38merge_sort_block_merge_config_selectorIiNS0_10empty_typeEEEZZNS1_27merge_sort_block_merge_implIS3_N6thrust23THRUST_200600_302600_NS6detail15normal_iteratorINS9_10device_ptrIiEEEEPS5_jNS1_19radix_merge_compareILb0ELb0EiNS0_19identity_decomposerEEEEE10hipError_tT0_T1_T2_jT3_P12ihipStream_tbPNSt15iterator_traitsISK_E10value_typeEPNSQ_ISL_E10value_typeEPSM_NS1_7vsmem_tEENKUlT_SK_SL_SM_E_clIPiSE_SF_SF_EESJ_SZ_SK_SL_SM_EUlSZ_E1_NS1_11comp_targetILNS1_3genE3ELNS1_11target_archE908ELNS1_3gpuE7ELNS1_3repE0EEENS1_36merge_oddeven_config_static_selectorELNS0_4arch9wavefront6targetE1EEEvSL_.has_dyn_sized_stack, 0
	.set _ZN7rocprim17ROCPRIM_400000_NS6detail17trampoline_kernelINS0_14default_configENS1_38merge_sort_block_merge_config_selectorIiNS0_10empty_typeEEEZZNS1_27merge_sort_block_merge_implIS3_N6thrust23THRUST_200600_302600_NS6detail15normal_iteratorINS9_10device_ptrIiEEEEPS5_jNS1_19radix_merge_compareILb0ELb0EiNS0_19identity_decomposerEEEEE10hipError_tT0_T1_T2_jT3_P12ihipStream_tbPNSt15iterator_traitsISK_E10value_typeEPNSQ_ISL_E10value_typeEPSM_NS1_7vsmem_tEENKUlT_SK_SL_SM_E_clIPiSE_SF_SF_EESJ_SZ_SK_SL_SM_EUlSZ_E1_NS1_11comp_targetILNS1_3genE3ELNS1_11target_archE908ELNS1_3gpuE7ELNS1_3repE0EEENS1_36merge_oddeven_config_static_selectorELNS0_4arch9wavefront6targetE1EEEvSL_.has_recursion, 0
	.set _ZN7rocprim17ROCPRIM_400000_NS6detail17trampoline_kernelINS0_14default_configENS1_38merge_sort_block_merge_config_selectorIiNS0_10empty_typeEEEZZNS1_27merge_sort_block_merge_implIS3_N6thrust23THRUST_200600_302600_NS6detail15normal_iteratorINS9_10device_ptrIiEEEEPS5_jNS1_19radix_merge_compareILb0ELb0EiNS0_19identity_decomposerEEEEE10hipError_tT0_T1_T2_jT3_P12ihipStream_tbPNSt15iterator_traitsISK_E10value_typeEPNSQ_ISL_E10value_typeEPSM_NS1_7vsmem_tEENKUlT_SK_SL_SM_E_clIPiSE_SF_SF_EESJ_SZ_SK_SL_SM_EUlSZ_E1_NS1_11comp_targetILNS1_3genE3ELNS1_11target_archE908ELNS1_3gpuE7ELNS1_3repE0EEENS1_36merge_oddeven_config_static_selectorELNS0_4arch9wavefront6targetE1EEEvSL_.has_indirect_call, 0
	.section	.AMDGPU.csdata,"",@progbits
; Kernel info:
; codeLenInByte = 0
; TotalNumSgprs: 6
; NumVgprs: 0
; NumAgprs: 0
; TotalNumVgprs: 0
; ScratchSize: 0
; MemoryBound: 0
; FloatMode: 240
; IeeeMode: 1
; LDSByteSize: 0 bytes/workgroup (compile time only)
; SGPRBlocks: 0
; VGPRBlocks: 0
; NumSGPRsForWavesPerEU: 6
; NumVGPRsForWavesPerEU: 1
; AccumOffset: 4
; Occupancy: 8
; WaveLimiterHint : 0
; COMPUTE_PGM_RSRC2:SCRATCH_EN: 0
; COMPUTE_PGM_RSRC2:USER_SGPR: 2
; COMPUTE_PGM_RSRC2:TRAP_HANDLER: 0
; COMPUTE_PGM_RSRC2:TGID_X_EN: 1
; COMPUTE_PGM_RSRC2:TGID_Y_EN: 0
; COMPUTE_PGM_RSRC2:TGID_Z_EN: 0
; COMPUTE_PGM_RSRC2:TIDIG_COMP_CNT: 0
; COMPUTE_PGM_RSRC3_GFX90A:ACCUM_OFFSET: 0
; COMPUTE_PGM_RSRC3_GFX90A:TG_SPLIT: 0
	.section	.text._ZN7rocprim17ROCPRIM_400000_NS6detail17trampoline_kernelINS0_14default_configENS1_38merge_sort_block_merge_config_selectorIiNS0_10empty_typeEEEZZNS1_27merge_sort_block_merge_implIS3_N6thrust23THRUST_200600_302600_NS6detail15normal_iteratorINS9_10device_ptrIiEEEEPS5_jNS1_19radix_merge_compareILb0ELb0EiNS0_19identity_decomposerEEEEE10hipError_tT0_T1_T2_jT3_P12ihipStream_tbPNSt15iterator_traitsISK_E10value_typeEPNSQ_ISL_E10value_typeEPSM_NS1_7vsmem_tEENKUlT_SK_SL_SM_E_clIPiSE_SF_SF_EESJ_SZ_SK_SL_SM_EUlSZ_E1_NS1_11comp_targetILNS1_3genE2ELNS1_11target_archE906ELNS1_3gpuE6ELNS1_3repE0EEENS1_36merge_oddeven_config_static_selectorELNS0_4arch9wavefront6targetE1EEEvSL_,"axG",@progbits,_ZN7rocprim17ROCPRIM_400000_NS6detail17trampoline_kernelINS0_14default_configENS1_38merge_sort_block_merge_config_selectorIiNS0_10empty_typeEEEZZNS1_27merge_sort_block_merge_implIS3_N6thrust23THRUST_200600_302600_NS6detail15normal_iteratorINS9_10device_ptrIiEEEEPS5_jNS1_19radix_merge_compareILb0ELb0EiNS0_19identity_decomposerEEEEE10hipError_tT0_T1_T2_jT3_P12ihipStream_tbPNSt15iterator_traitsISK_E10value_typeEPNSQ_ISL_E10value_typeEPSM_NS1_7vsmem_tEENKUlT_SK_SL_SM_E_clIPiSE_SF_SF_EESJ_SZ_SK_SL_SM_EUlSZ_E1_NS1_11comp_targetILNS1_3genE2ELNS1_11target_archE906ELNS1_3gpuE6ELNS1_3repE0EEENS1_36merge_oddeven_config_static_selectorELNS0_4arch9wavefront6targetE1EEEvSL_,comdat
	.protected	_ZN7rocprim17ROCPRIM_400000_NS6detail17trampoline_kernelINS0_14default_configENS1_38merge_sort_block_merge_config_selectorIiNS0_10empty_typeEEEZZNS1_27merge_sort_block_merge_implIS3_N6thrust23THRUST_200600_302600_NS6detail15normal_iteratorINS9_10device_ptrIiEEEEPS5_jNS1_19radix_merge_compareILb0ELb0EiNS0_19identity_decomposerEEEEE10hipError_tT0_T1_T2_jT3_P12ihipStream_tbPNSt15iterator_traitsISK_E10value_typeEPNSQ_ISL_E10value_typeEPSM_NS1_7vsmem_tEENKUlT_SK_SL_SM_E_clIPiSE_SF_SF_EESJ_SZ_SK_SL_SM_EUlSZ_E1_NS1_11comp_targetILNS1_3genE2ELNS1_11target_archE906ELNS1_3gpuE6ELNS1_3repE0EEENS1_36merge_oddeven_config_static_selectorELNS0_4arch9wavefront6targetE1EEEvSL_ ; -- Begin function _ZN7rocprim17ROCPRIM_400000_NS6detail17trampoline_kernelINS0_14default_configENS1_38merge_sort_block_merge_config_selectorIiNS0_10empty_typeEEEZZNS1_27merge_sort_block_merge_implIS3_N6thrust23THRUST_200600_302600_NS6detail15normal_iteratorINS9_10device_ptrIiEEEEPS5_jNS1_19radix_merge_compareILb0ELb0EiNS0_19identity_decomposerEEEEE10hipError_tT0_T1_T2_jT3_P12ihipStream_tbPNSt15iterator_traitsISK_E10value_typeEPNSQ_ISL_E10value_typeEPSM_NS1_7vsmem_tEENKUlT_SK_SL_SM_E_clIPiSE_SF_SF_EESJ_SZ_SK_SL_SM_EUlSZ_E1_NS1_11comp_targetILNS1_3genE2ELNS1_11target_archE906ELNS1_3gpuE6ELNS1_3repE0EEENS1_36merge_oddeven_config_static_selectorELNS0_4arch9wavefront6targetE1EEEvSL_
	.globl	_ZN7rocprim17ROCPRIM_400000_NS6detail17trampoline_kernelINS0_14default_configENS1_38merge_sort_block_merge_config_selectorIiNS0_10empty_typeEEEZZNS1_27merge_sort_block_merge_implIS3_N6thrust23THRUST_200600_302600_NS6detail15normal_iteratorINS9_10device_ptrIiEEEEPS5_jNS1_19radix_merge_compareILb0ELb0EiNS0_19identity_decomposerEEEEE10hipError_tT0_T1_T2_jT3_P12ihipStream_tbPNSt15iterator_traitsISK_E10value_typeEPNSQ_ISL_E10value_typeEPSM_NS1_7vsmem_tEENKUlT_SK_SL_SM_E_clIPiSE_SF_SF_EESJ_SZ_SK_SL_SM_EUlSZ_E1_NS1_11comp_targetILNS1_3genE2ELNS1_11target_archE906ELNS1_3gpuE6ELNS1_3repE0EEENS1_36merge_oddeven_config_static_selectorELNS0_4arch9wavefront6targetE1EEEvSL_
	.p2align	8
	.type	_ZN7rocprim17ROCPRIM_400000_NS6detail17trampoline_kernelINS0_14default_configENS1_38merge_sort_block_merge_config_selectorIiNS0_10empty_typeEEEZZNS1_27merge_sort_block_merge_implIS3_N6thrust23THRUST_200600_302600_NS6detail15normal_iteratorINS9_10device_ptrIiEEEEPS5_jNS1_19radix_merge_compareILb0ELb0EiNS0_19identity_decomposerEEEEE10hipError_tT0_T1_T2_jT3_P12ihipStream_tbPNSt15iterator_traitsISK_E10value_typeEPNSQ_ISL_E10value_typeEPSM_NS1_7vsmem_tEENKUlT_SK_SL_SM_E_clIPiSE_SF_SF_EESJ_SZ_SK_SL_SM_EUlSZ_E1_NS1_11comp_targetILNS1_3genE2ELNS1_11target_archE906ELNS1_3gpuE6ELNS1_3repE0EEENS1_36merge_oddeven_config_static_selectorELNS0_4arch9wavefront6targetE1EEEvSL_,@function
_ZN7rocprim17ROCPRIM_400000_NS6detail17trampoline_kernelINS0_14default_configENS1_38merge_sort_block_merge_config_selectorIiNS0_10empty_typeEEEZZNS1_27merge_sort_block_merge_implIS3_N6thrust23THRUST_200600_302600_NS6detail15normal_iteratorINS9_10device_ptrIiEEEEPS5_jNS1_19radix_merge_compareILb0ELb0EiNS0_19identity_decomposerEEEEE10hipError_tT0_T1_T2_jT3_P12ihipStream_tbPNSt15iterator_traitsISK_E10value_typeEPNSQ_ISL_E10value_typeEPSM_NS1_7vsmem_tEENKUlT_SK_SL_SM_E_clIPiSE_SF_SF_EESJ_SZ_SK_SL_SM_EUlSZ_E1_NS1_11comp_targetILNS1_3genE2ELNS1_11target_archE906ELNS1_3gpuE6ELNS1_3repE0EEENS1_36merge_oddeven_config_static_selectorELNS0_4arch9wavefront6targetE1EEEvSL_: ; @_ZN7rocprim17ROCPRIM_400000_NS6detail17trampoline_kernelINS0_14default_configENS1_38merge_sort_block_merge_config_selectorIiNS0_10empty_typeEEEZZNS1_27merge_sort_block_merge_implIS3_N6thrust23THRUST_200600_302600_NS6detail15normal_iteratorINS9_10device_ptrIiEEEEPS5_jNS1_19radix_merge_compareILb0ELb0EiNS0_19identity_decomposerEEEEE10hipError_tT0_T1_T2_jT3_P12ihipStream_tbPNSt15iterator_traitsISK_E10value_typeEPNSQ_ISL_E10value_typeEPSM_NS1_7vsmem_tEENKUlT_SK_SL_SM_E_clIPiSE_SF_SF_EESJ_SZ_SK_SL_SM_EUlSZ_E1_NS1_11comp_targetILNS1_3genE2ELNS1_11target_archE906ELNS1_3gpuE6ELNS1_3repE0EEENS1_36merge_oddeven_config_static_selectorELNS0_4arch9wavefront6targetE1EEEvSL_
; %bb.0:
	.section	.rodata,"a",@progbits
	.p2align	6, 0x0
	.amdhsa_kernel _ZN7rocprim17ROCPRIM_400000_NS6detail17trampoline_kernelINS0_14default_configENS1_38merge_sort_block_merge_config_selectorIiNS0_10empty_typeEEEZZNS1_27merge_sort_block_merge_implIS3_N6thrust23THRUST_200600_302600_NS6detail15normal_iteratorINS9_10device_ptrIiEEEEPS5_jNS1_19radix_merge_compareILb0ELb0EiNS0_19identity_decomposerEEEEE10hipError_tT0_T1_T2_jT3_P12ihipStream_tbPNSt15iterator_traitsISK_E10value_typeEPNSQ_ISL_E10value_typeEPSM_NS1_7vsmem_tEENKUlT_SK_SL_SM_E_clIPiSE_SF_SF_EESJ_SZ_SK_SL_SM_EUlSZ_E1_NS1_11comp_targetILNS1_3genE2ELNS1_11target_archE906ELNS1_3gpuE6ELNS1_3repE0EEENS1_36merge_oddeven_config_static_selectorELNS0_4arch9wavefront6targetE1EEEvSL_
		.amdhsa_group_segment_fixed_size 0
		.amdhsa_private_segment_fixed_size 0
		.amdhsa_kernarg_size 48
		.amdhsa_user_sgpr_count 2
		.amdhsa_user_sgpr_dispatch_ptr 0
		.amdhsa_user_sgpr_queue_ptr 0
		.amdhsa_user_sgpr_kernarg_segment_ptr 1
		.amdhsa_user_sgpr_dispatch_id 0
		.amdhsa_user_sgpr_kernarg_preload_length 0
		.amdhsa_user_sgpr_kernarg_preload_offset 0
		.amdhsa_user_sgpr_private_segment_size 0
		.amdhsa_uses_dynamic_stack 0
		.amdhsa_enable_private_segment 0
		.amdhsa_system_sgpr_workgroup_id_x 1
		.amdhsa_system_sgpr_workgroup_id_y 0
		.amdhsa_system_sgpr_workgroup_id_z 0
		.amdhsa_system_sgpr_workgroup_info 0
		.amdhsa_system_vgpr_workitem_id 0
		.amdhsa_next_free_vgpr 1
		.amdhsa_next_free_sgpr 0
		.amdhsa_accum_offset 4
		.amdhsa_reserve_vcc 0
		.amdhsa_float_round_mode_32 0
		.amdhsa_float_round_mode_16_64 0
		.amdhsa_float_denorm_mode_32 3
		.amdhsa_float_denorm_mode_16_64 3
		.amdhsa_dx10_clamp 1
		.amdhsa_ieee_mode 1
		.amdhsa_fp16_overflow 0
		.amdhsa_tg_split 0
		.amdhsa_exception_fp_ieee_invalid_op 0
		.amdhsa_exception_fp_denorm_src 0
		.amdhsa_exception_fp_ieee_div_zero 0
		.amdhsa_exception_fp_ieee_overflow 0
		.amdhsa_exception_fp_ieee_underflow 0
		.amdhsa_exception_fp_ieee_inexact 0
		.amdhsa_exception_int_div_zero 0
	.end_amdhsa_kernel
	.section	.text._ZN7rocprim17ROCPRIM_400000_NS6detail17trampoline_kernelINS0_14default_configENS1_38merge_sort_block_merge_config_selectorIiNS0_10empty_typeEEEZZNS1_27merge_sort_block_merge_implIS3_N6thrust23THRUST_200600_302600_NS6detail15normal_iteratorINS9_10device_ptrIiEEEEPS5_jNS1_19radix_merge_compareILb0ELb0EiNS0_19identity_decomposerEEEEE10hipError_tT0_T1_T2_jT3_P12ihipStream_tbPNSt15iterator_traitsISK_E10value_typeEPNSQ_ISL_E10value_typeEPSM_NS1_7vsmem_tEENKUlT_SK_SL_SM_E_clIPiSE_SF_SF_EESJ_SZ_SK_SL_SM_EUlSZ_E1_NS1_11comp_targetILNS1_3genE2ELNS1_11target_archE906ELNS1_3gpuE6ELNS1_3repE0EEENS1_36merge_oddeven_config_static_selectorELNS0_4arch9wavefront6targetE1EEEvSL_,"axG",@progbits,_ZN7rocprim17ROCPRIM_400000_NS6detail17trampoline_kernelINS0_14default_configENS1_38merge_sort_block_merge_config_selectorIiNS0_10empty_typeEEEZZNS1_27merge_sort_block_merge_implIS3_N6thrust23THRUST_200600_302600_NS6detail15normal_iteratorINS9_10device_ptrIiEEEEPS5_jNS1_19radix_merge_compareILb0ELb0EiNS0_19identity_decomposerEEEEE10hipError_tT0_T1_T2_jT3_P12ihipStream_tbPNSt15iterator_traitsISK_E10value_typeEPNSQ_ISL_E10value_typeEPSM_NS1_7vsmem_tEENKUlT_SK_SL_SM_E_clIPiSE_SF_SF_EESJ_SZ_SK_SL_SM_EUlSZ_E1_NS1_11comp_targetILNS1_3genE2ELNS1_11target_archE906ELNS1_3gpuE6ELNS1_3repE0EEENS1_36merge_oddeven_config_static_selectorELNS0_4arch9wavefront6targetE1EEEvSL_,comdat
.Lfunc_end40:
	.size	_ZN7rocprim17ROCPRIM_400000_NS6detail17trampoline_kernelINS0_14default_configENS1_38merge_sort_block_merge_config_selectorIiNS0_10empty_typeEEEZZNS1_27merge_sort_block_merge_implIS3_N6thrust23THRUST_200600_302600_NS6detail15normal_iteratorINS9_10device_ptrIiEEEEPS5_jNS1_19radix_merge_compareILb0ELb0EiNS0_19identity_decomposerEEEEE10hipError_tT0_T1_T2_jT3_P12ihipStream_tbPNSt15iterator_traitsISK_E10value_typeEPNSQ_ISL_E10value_typeEPSM_NS1_7vsmem_tEENKUlT_SK_SL_SM_E_clIPiSE_SF_SF_EESJ_SZ_SK_SL_SM_EUlSZ_E1_NS1_11comp_targetILNS1_3genE2ELNS1_11target_archE906ELNS1_3gpuE6ELNS1_3repE0EEENS1_36merge_oddeven_config_static_selectorELNS0_4arch9wavefront6targetE1EEEvSL_, .Lfunc_end40-_ZN7rocprim17ROCPRIM_400000_NS6detail17trampoline_kernelINS0_14default_configENS1_38merge_sort_block_merge_config_selectorIiNS0_10empty_typeEEEZZNS1_27merge_sort_block_merge_implIS3_N6thrust23THRUST_200600_302600_NS6detail15normal_iteratorINS9_10device_ptrIiEEEEPS5_jNS1_19radix_merge_compareILb0ELb0EiNS0_19identity_decomposerEEEEE10hipError_tT0_T1_T2_jT3_P12ihipStream_tbPNSt15iterator_traitsISK_E10value_typeEPNSQ_ISL_E10value_typeEPSM_NS1_7vsmem_tEENKUlT_SK_SL_SM_E_clIPiSE_SF_SF_EESJ_SZ_SK_SL_SM_EUlSZ_E1_NS1_11comp_targetILNS1_3genE2ELNS1_11target_archE906ELNS1_3gpuE6ELNS1_3repE0EEENS1_36merge_oddeven_config_static_selectorELNS0_4arch9wavefront6targetE1EEEvSL_
                                        ; -- End function
	.set _ZN7rocprim17ROCPRIM_400000_NS6detail17trampoline_kernelINS0_14default_configENS1_38merge_sort_block_merge_config_selectorIiNS0_10empty_typeEEEZZNS1_27merge_sort_block_merge_implIS3_N6thrust23THRUST_200600_302600_NS6detail15normal_iteratorINS9_10device_ptrIiEEEEPS5_jNS1_19radix_merge_compareILb0ELb0EiNS0_19identity_decomposerEEEEE10hipError_tT0_T1_T2_jT3_P12ihipStream_tbPNSt15iterator_traitsISK_E10value_typeEPNSQ_ISL_E10value_typeEPSM_NS1_7vsmem_tEENKUlT_SK_SL_SM_E_clIPiSE_SF_SF_EESJ_SZ_SK_SL_SM_EUlSZ_E1_NS1_11comp_targetILNS1_3genE2ELNS1_11target_archE906ELNS1_3gpuE6ELNS1_3repE0EEENS1_36merge_oddeven_config_static_selectorELNS0_4arch9wavefront6targetE1EEEvSL_.num_vgpr, 0
	.set _ZN7rocprim17ROCPRIM_400000_NS6detail17trampoline_kernelINS0_14default_configENS1_38merge_sort_block_merge_config_selectorIiNS0_10empty_typeEEEZZNS1_27merge_sort_block_merge_implIS3_N6thrust23THRUST_200600_302600_NS6detail15normal_iteratorINS9_10device_ptrIiEEEEPS5_jNS1_19radix_merge_compareILb0ELb0EiNS0_19identity_decomposerEEEEE10hipError_tT0_T1_T2_jT3_P12ihipStream_tbPNSt15iterator_traitsISK_E10value_typeEPNSQ_ISL_E10value_typeEPSM_NS1_7vsmem_tEENKUlT_SK_SL_SM_E_clIPiSE_SF_SF_EESJ_SZ_SK_SL_SM_EUlSZ_E1_NS1_11comp_targetILNS1_3genE2ELNS1_11target_archE906ELNS1_3gpuE6ELNS1_3repE0EEENS1_36merge_oddeven_config_static_selectorELNS0_4arch9wavefront6targetE1EEEvSL_.num_agpr, 0
	.set _ZN7rocprim17ROCPRIM_400000_NS6detail17trampoline_kernelINS0_14default_configENS1_38merge_sort_block_merge_config_selectorIiNS0_10empty_typeEEEZZNS1_27merge_sort_block_merge_implIS3_N6thrust23THRUST_200600_302600_NS6detail15normal_iteratorINS9_10device_ptrIiEEEEPS5_jNS1_19radix_merge_compareILb0ELb0EiNS0_19identity_decomposerEEEEE10hipError_tT0_T1_T2_jT3_P12ihipStream_tbPNSt15iterator_traitsISK_E10value_typeEPNSQ_ISL_E10value_typeEPSM_NS1_7vsmem_tEENKUlT_SK_SL_SM_E_clIPiSE_SF_SF_EESJ_SZ_SK_SL_SM_EUlSZ_E1_NS1_11comp_targetILNS1_3genE2ELNS1_11target_archE906ELNS1_3gpuE6ELNS1_3repE0EEENS1_36merge_oddeven_config_static_selectorELNS0_4arch9wavefront6targetE1EEEvSL_.numbered_sgpr, 0
	.set _ZN7rocprim17ROCPRIM_400000_NS6detail17trampoline_kernelINS0_14default_configENS1_38merge_sort_block_merge_config_selectorIiNS0_10empty_typeEEEZZNS1_27merge_sort_block_merge_implIS3_N6thrust23THRUST_200600_302600_NS6detail15normal_iteratorINS9_10device_ptrIiEEEEPS5_jNS1_19radix_merge_compareILb0ELb0EiNS0_19identity_decomposerEEEEE10hipError_tT0_T1_T2_jT3_P12ihipStream_tbPNSt15iterator_traitsISK_E10value_typeEPNSQ_ISL_E10value_typeEPSM_NS1_7vsmem_tEENKUlT_SK_SL_SM_E_clIPiSE_SF_SF_EESJ_SZ_SK_SL_SM_EUlSZ_E1_NS1_11comp_targetILNS1_3genE2ELNS1_11target_archE906ELNS1_3gpuE6ELNS1_3repE0EEENS1_36merge_oddeven_config_static_selectorELNS0_4arch9wavefront6targetE1EEEvSL_.num_named_barrier, 0
	.set _ZN7rocprim17ROCPRIM_400000_NS6detail17trampoline_kernelINS0_14default_configENS1_38merge_sort_block_merge_config_selectorIiNS0_10empty_typeEEEZZNS1_27merge_sort_block_merge_implIS3_N6thrust23THRUST_200600_302600_NS6detail15normal_iteratorINS9_10device_ptrIiEEEEPS5_jNS1_19radix_merge_compareILb0ELb0EiNS0_19identity_decomposerEEEEE10hipError_tT0_T1_T2_jT3_P12ihipStream_tbPNSt15iterator_traitsISK_E10value_typeEPNSQ_ISL_E10value_typeEPSM_NS1_7vsmem_tEENKUlT_SK_SL_SM_E_clIPiSE_SF_SF_EESJ_SZ_SK_SL_SM_EUlSZ_E1_NS1_11comp_targetILNS1_3genE2ELNS1_11target_archE906ELNS1_3gpuE6ELNS1_3repE0EEENS1_36merge_oddeven_config_static_selectorELNS0_4arch9wavefront6targetE1EEEvSL_.private_seg_size, 0
	.set _ZN7rocprim17ROCPRIM_400000_NS6detail17trampoline_kernelINS0_14default_configENS1_38merge_sort_block_merge_config_selectorIiNS0_10empty_typeEEEZZNS1_27merge_sort_block_merge_implIS3_N6thrust23THRUST_200600_302600_NS6detail15normal_iteratorINS9_10device_ptrIiEEEEPS5_jNS1_19radix_merge_compareILb0ELb0EiNS0_19identity_decomposerEEEEE10hipError_tT0_T1_T2_jT3_P12ihipStream_tbPNSt15iterator_traitsISK_E10value_typeEPNSQ_ISL_E10value_typeEPSM_NS1_7vsmem_tEENKUlT_SK_SL_SM_E_clIPiSE_SF_SF_EESJ_SZ_SK_SL_SM_EUlSZ_E1_NS1_11comp_targetILNS1_3genE2ELNS1_11target_archE906ELNS1_3gpuE6ELNS1_3repE0EEENS1_36merge_oddeven_config_static_selectorELNS0_4arch9wavefront6targetE1EEEvSL_.uses_vcc, 0
	.set _ZN7rocprim17ROCPRIM_400000_NS6detail17trampoline_kernelINS0_14default_configENS1_38merge_sort_block_merge_config_selectorIiNS0_10empty_typeEEEZZNS1_27merge_sort_block_merge_implIS3_N6thrust23THRUST_200600_302600_NS6detail15normal_iteratorINS9_10device_ptrIiEEEEPS5_jNS1_19radix_merge_compareILb0ELb0EiNS0_19identity_decomposerEEEEE10hipError_tT0_T1_T2_jT3_P12ihipStream_tbPNSt15iterator_traitsISK_E10value_typeEPNSQ_ISL_E10value_typeEPSM_NS1_7vsmem_tEENKUlT_SK_SL_SM_E_clIPiSE_SF_SF_EESJ_SZ_SK_SL_SM_EUlSZ_E1_NS1_11comp_targetILNS1_3genE2ELNS1_11target_archE906ELNS1_3gpuE6ELNS1_3repE0EEENS1_36merge_oddeven_config_static_selectorELNS0_4arch9wavefront6targetE1EEEvSL_.uses_flat_scratch, 0
	.set _ZN7rocprim17ROCPRIM_400000_NS6detail17trampoline_kernelINS0_14default_configENS1_38merge_sort_block_merge_config_selectorIiNS0_10empty_typeEEEZZNS1_27merge_sort_block_merge_implIS3_N6thrust23THRUST_200600_302600_NS6detail15normal_iteratorINS9_10device_ptrIiEEEEPS5_jNS1_19radix_merge_compareILb0ELb0EiNS0_19identity_decomposerEEEEE10hipError_tT0_T1_T2_jT3_P12ihipStream_tbPNSt15iterator_traitsISK_E10value_typeEPNSQ_ISL_E10value_typeEPSM_NS1_7vsmem_tEENKUlT_SK_SL_SM_E_clIPiSE_SF_SF_EESJ_SZ_SK_SL_SM_EUlSZ_E1_NS1_11comp_targetILNS1_3genE2ELNS1_11target_archE906ELNS1_3gpuE6ELNS1_3repE0EEENS1_36merge_oddeven_config_static_selectorELNS0_4arch9wavefront6targetE1EEEvSL_.has_dyn_sized_stack, 0
	.set _ZN7rocprim17ROCPRIM_400000_NS6detail17trampoline_kernelINS0_14default_configENS1_38merge_sort_block_merge_config_selectorIiNS0_10empty_typeEEEZZNS1_27merge_sort_block_merge_implIS3_N6thrust23THRUST_200600_302600_NS6detail15normal_iteratorINS9_10device_ptrIiEEEEPS5_jNS1_19radix_merge_compareILb0ELb0EiNS0_19identity_decomposerEEEEE10hipError_tT0_T1_T2_jT3_P12ihipStream_tbPNSt15iterator_traitsISK_E10value_typeEPNSQ_ISL_E10value_typeEPSM_NS1_7vsmem_tEENKUlT_SK_SL_SM_E_clIPiSE_SF_SF_EESJ_SZ_SK_SL_SM_EUlSZ_E1_NS1_11comp_targetILNS1_3genE2ELNS1_11target_archE906ELNS1_3gpuE6ELNS1_3repE0EEENS1_36merge_oddeven_config_static_selectorELNS0_4arch9wavefront6targetE1EEEvSL_.has_recursion, 0
	.set _ZN7rocprim17ROCPRIM_400000_NS6detail17trampoline_kernelINS0_14default_configENS1_38merge_sort_block_merge_config_selectorIiNS0_10empty_typeEEEZZNS1_27merge_sort_block_merge_implIS3_N6thrust23THRUST_200600_302600_NS6detail15normal_iteratorINS9_10device_ptrIiEEEEPS5_jNS1_19radix_merge_compareILb0ELb0EiNS0_19identity_decomposerEEEEE10hipError_tT0_T1_T2_jT3_P12ihipStream_tbPNSt15iterator_traitsISK_E10value_typeEPNSQ_ISL_E10value_typeEPSM_NS1_7vsmem_tEENKUlT_SK_SL_SM_E_clIPiSE_SF_SF_EESJ_SZ_SK_SL_SM_EUlSZ_E1_NS1_11comp_targetILNS1_3genE2ELNS1_11target_archE906ELNS1_3gpuE6ELNS1_3repE0EEENS1_36merge_oddeven_config_static_selectorELNS0_4arch9wavefront6targetE1EEEvSL_.has_indirect_call, 0
	.section	.AMDGPU.csdata,"",@progbits
; Kernel info:
; codeLenInByte = 0
; TotalNumSgprs: 6
; NumVgprs: 0
; NumAgprs: 0
; TotalNumVgprs: 0
; ScratchSize: 0
; MemoryBound: 0
; FloatMode: 240
; IeeeMode: 1
; LDSByteSize: 0 bytes/workgroup (compile time only)
; SGPRBlocks: 0
; VGPRBlocks: 0
; NumSGPRsForWavesPerEU: 6
; NumVGPRsForWavesPerEU: 1
; AccumOffset: 4
; Occupancy: 8
; WaveLimiterHint : 0
; COMPUTE_PGM_RSRC2:SCRATCH_EN: 0
; COMPUTE_PGM_RSRC2:USER_SGPR: 2
; COMPUTE_PGM_RSRC2:TRAP_HANDLER: 0
; COMPUTE_PGM_RSRC2:TGID_X_EN: 1
; COMPUTE_PGM_RSRC2:TGID_Y_EN: 0
; COMPUTE_PGM_RSRC2:TGID_Z_EN: 0
; COMPUTE_PGM_RSRC2:TIDIG_COMP_CNT: 0
; COMPUTE_PGM_RSRC3_GFX90A:ACCUM_OFFSET: 0
; COMPUTE_PGM_RSRC3_GFX90A:TG_SPLIT: 0
	.section	.text._ZN7rocprim17ROCPRIM_400000_NS6detail17trampoline_kernelINS0_14default_configENS1_38merge_sort_block_merge_config_selectorIiNS0_10empty_typeEEEZZNS1_27merge_sort_block_merge_implIS3_N6thrust23THRUST_200600_302600_NS6detail15normal_iteratorINS9_10device_ptrIiEEEEPS5_jNS1_19radix_merge_compareILb0ELb0EiNS0_19identity_decomposerEEEEE10hipError_tT0_T1_T2_jT3_P12ihipStream_tbPNSt15iterator_traitsISK_E10value_typeEPNSQ_ISL_E10value_typeEPSM_NS1_7vsmem_tEENKUlT_SK_SL_SM_E_clIPiSE_SF_SF_EESJ_SZ_SK_SL_SM_EUlSZ_E1_NS1_11comp_targetILNS1_3genE9ELNS1_11target_archE1100ELNS1_3gpuE3ELNS1_3repE0EEENS1_36merge_oddeven_config_static_selectorELNS0_4arch9wavefront6targetE1EEEvSL_,"axG",@progbits,_ZN7rocprim17ROCPRIM_400000_NS6detail17trampoline_kernelINS0_14default_configENS1_38merge_sort_block_merge_config_selectorIiNS0_10empty_typeEEEZZNS1_27merge_sort_block_merge_implIS3_N6thrust23THRUST_200600_302600_NS6detail15normal_iteratorINS9_10device_ptrIiEEEEPS5_jNS1_19radix_merge_compareILb0ELb0EiNS0_19identity_decomposerEEEEE10hipError_tT0_T1_T2_jT3_P12ihipStream_tbPNSt15iterator_traitsISK_E10value_typeEPNSQ_ISL_E10value_typeEPSM_NS1_7vsmem_tEENKUlT_SK_SL_SM_E_clIPiSE_SF_SF_EESJ_SZ_SK_SL_SM_EUlSZ_E1_NS1_11comp_targetILNS1_3genE9ELNS1_11target_archE1100ELNS1_3gpuE3ELNS1_3repE0EEENS1_36merge_oddeven_config_static_selectorELNS0_4arch9wavefront6targetE1EEEvSL_,comdat
	.protected	_ZN7rocprim17ROCPRIM_400000_NS6detail17trampoline_kernelINS0_14default_configENS1_38merge_sort_block_merge_config_selectorIiNS0_10empty_typeEEEZZNS1_27merge_sort_block_merge_implIS3_N6thrust23THRUST_200600_302600_NS6detail15normal_iteratorINS9_10device_ptrIiEEEEPS5_jNS1_19radix_merge_compareILb0ELb0EiNS0_19identity_decomposerEEEEE10hipError_tT0_T1_T2_jT3_P12ihipStream_tbPNSt15iterator_traitsISK_E10value_typeEPNSQ_ISL_E10value_typeEPSM_NS1_7vsmem_tEENKUlT_SK_SL_SM_E_clIPiSE_SF_SF_EESJ_SZ_SK_SL_SM_EUlSZ_E1_NS1_11comp_targetILNS1_3genE9ELNS1_11target_archE1100ELNS1_3gpuE3ELNS1_3repE0EEENS1_36merge_oddeven_config_static_selectorELNS0_4arch9wavefront6targetE1EEEvSL_ ; -- Begin function _ZN7rocprim17ROCPRIM_400000_NS6detail17trampoline_kernelINS0_14default_configENS1_38merge_sort_block_merge_config_selectorIiNS0_10empty_typeEEEZZNS1_27merge_sort_block_merge_implIS3_N6thrust23THRUST_200600_302600_NS6detail15normal_iteratorINS9_10device_ptrIiEEEEPS5_jNS1_19radix_merge_compareILb0ELb0EiNS0_19identity_decomposerEEEEE10hipError_tT0_T1_T2_jT3_P12ihipStream_tbPNSt15iterator_traitsISK_E10value_typeEPNSQ_ISL_E10value_typeEPSM_NS1_7vsmem_tEENKUlT_SK_SL_SM_E_clIPiSE_SF_SF_EESJ_SZ_SK_SL_SM_EUlSZ_E1_NS1_11comp_targetILNS1_3genE9ELNS1_11target_archE1100ELNS1_3gpuE3ELNS1_3repE0EEENS1_36merge_oddeven_config_static_selectorELNS0_4arch9wavefront6targetE1EEEvSL_
	.globl	_ZN7rocprim17ROCPRIM_400000_NS6detail17trampoline_kernelINS0_14default_configENS1_38merge_sort_block_merge_config_selectorIiNS0_10empty_typeEEEZZNS1_27merge_sort_block_merge_implIS3_N6thrust23THRUST_200600_302600_NS6detail15normal_iteratorINS9_10device_ptrIiEEEEPS5_jNS1_19radix_merge_compareILb0ELb0EiNS0_19identity_decomposerEEEEE10hipError_tT0_T1_T2_jT3_P12ihipStream_tbPNSt15iterator_traitsISK_E10value_typeEPNSQ_ISL_E10value_typeEPSM_NS1_7vsmem_tEENKUlT_SK_SL_SM_E_clIPiSE_SF_SF_EESJ_SZ_SK_SL_SM_EUlSZ_E1_NS1_11comp_targetILNS1_3genE9ELNS1_11target_archE1100ELNS1_3gpuE3ELNS1_3repE0EEENS1_36merge_oddeven_config_static_selectorELNS0_4arch9wavefront6targetE1EEEvSL_
	.p2align	8
	.type	_ZN7rocprim17ROCPRIM_400000_NS6detail17trampoline_kernelINS0_14default_configENS1_38merge_sort_block_merge_config_selectorIiNS0_10empty_typeEEEZZNS1_27merge_sort_block_merge_implIS3_N6thrust23THRUST_200600_302600_NS6detail15normal_iteratorINS9_10device_ptrIiEEEEPS5_jNS1_19radix_merge_compareILb0ELb0EiNS0_19identity_decomposerEEEEE10hipError_tT0_T1_T2_jT3_P12ihipStream_tbPNSt15iterator_traitsISK_E10value_typeEPNSQ_ISL_E10value_typeEPSM_NS1_7vsmem_tEENKUlT_SK_SL_SM_E_clIPiSE_SF_SF_EESJ_SZ_SK_SL_SM_EUlSZ_E1_NS1_11comp_targetILNS1_3genE9ELNS1_11target_archE1100ELNS1_3gpuE3ELNS1_3repE0EEENS1_36merge_oddeven_config_static_selectorELNS0_4arch9wavefront6targetE1EEEvSL_,@function
_ZN7rocprim17ROCPRIM_400000_NS6detail17trampoline_kernelINS0_14default_configENS1_38merge_sort_block_merge_config_selectorIiNS0_10empty_typeEEEZZNS1_27merge_sort_block_merge_implIS3_N6thrust23THRUST_200600_302600_NS6detail15normal_iteratorINS9_10device_ptrIiEEEEPS5_jNS1_19radix_merge_compareILb0ELb0EiNS0_19identity_decomposerEEEEE10hipError_tT0_T1_T2_jT3_P12ihipStream_tbPNSt15iterator_traitsISK_E10value_typeEPNSQ_ISL_E10value_typeEPSM_NS1_7vsmem_tEENKUlT_SK_SL_SM_E_clIPiSE_SF_SF_EESJ_SZ_SK_SL_SM_EUlSZ_E1_NS1_11comp_targetILNS1_3genE9ELNS1_11target_archE1100ELNS1_3gpuE3ELNS1_3repE0EEENS1_36merge_oddeven_config_static_selectorELNS0_4arch9wavefront6targetE1EEEvSL_: ; @_ZN7rocprim17ROCPRIM_400000_NS6detail17trampoline_kernelINS0_14default_configENS1_38merge_sort_block_merge_config_selectorIiNS0_10empty_typeEEEZZNS1_27merge_sort_block_merge_implIS3_N6thrust23THRUST_200600_302600_NS6detail15normal_iteratorINS9_10device_ptrIiEEEEPS5_jNS1_19radix_merge_compareILb0ELb0EiNS0_19identity_decomposerEEEEE10hipError_tT0_T1_T2_jT3_P12ihipStream_tbPNSt15iterator_traitsISK_E10value_typeEPNSQ_ISL_E10value_typeEPSM_NS1_7vsmem_tEENKUlT_SK_SL_SM_E_clIPiSE_SF_SF_EESJ_SZ_SK_SL_SM_EUlSZ_E1_NS1_11comp_targetILNS1_3genE9ELNS1_11target_archE1100ELNS1_3gpuE3ELNS1_3repE0EEENS1_36merge_oddeven_config_static_selectorELNS0_4arch9wavefront6targetE1EEEvSL_
; %bb.0:
	.section	.rodata,"a",@progbits
	.p2align	6, 0x0
	.amdhsa_kernel _ZN7rocprim17ROCPRIM_400000_NS6detail17trampoline_kernelINS0_14default_configENS1_38merge_sort_block_merge_config_selectorIiNS0_10empty_typeEEEZZNS1_27merge_sort_block_merge_implIS3_N6thrust23THRUST_200600_302600_NS6detail15normal_iteratorINS9_10device_ptrIiEEEEPS5_jNS1_19radix_merge_compareILb0ELb0EiNS0_19identity_decomposerEEEEE10hipError_tT0_T1_T2_jT3_P12ihipStream_tbPNSt15iterator_traitsISK_E10value_typeEPNSQ_ISL_E10value_typeEPSM_NS1_7vsmem_tEENKUlT_SK_SL_SM_E_clIPiSE_SF_SF_EESJ_SZ_SK_SL_SM_EUlSZ_E1_NS1_11comp_targetILNS1_3genE9ELNS1_11target_archE1100ELNS1_3gpuE3ELNS1_3repE0EEENS1_36merge_oddeven_config_static_selectorELNS0_4arch9wavefront6targetE1EEEvSL_
		.amdhsa_group_segment_fixed_size 0
		.amdhsa_private_segment_fixed_size 0
		.amdhsa_kernarg_size 48
		.amdhsa_user_sgpr_count 2
		.amdhsa_user_sgpr_dispatch_ptr 0
		.amdhsa_user_sgpr_queue_ptr 0
		.amdhsa_user_sgpr_kernarg_segment_ptr 1
		.amdhsa_user_sgpr_dispatch_id 0
		.amdhsa_user_sgpr_kernarg_preload_length 0
		.amdhsa_user_sgpr_kernarg_preload_offset 0
		.amdhsa_user_sgpr_private_segment_size 0
		.amdhsa_uses_dynamic_stack 0
		.amdhsa_enable_private_segment 0
		.amdhsa_system_sgpr_workgroup_id_x 1
		.amdhsa_system_sgpr_workgroup_id_y 0
		.amdhsa_system_sgpr_workgroup_id_z 0
		.amdhsa_system_sgpr_workgroup_info 0
		.amdhsa_system_vgpr_workitem_id 0
		.amdhsa_next_free_vgpr 1
		.amdhsa_next_free_sgpr 0
		.amdhsa_accum_offset 4
		.amdhsa_reserve_vcc 0
		.amdhsa_float_round_mode_32 0
		.amdhsa_float_round_mode_16_64 0
		.amdhsa_float_denorm_mode_32 3
		.amdhsa_float_denorm_mode_16_64 3
		.amdhsa_dx10_clamp 1
		.amdhsa_ieee_mode 1
		.amdhsa_fp16_overflow 0
		.amdhsa_tg_split 0
		.amdhsa_exception_fp_ieee_invalid_op 0
		.amdhsa_exception_fp_denorm_src 0
		.amdhsa_exception_fp_ieee_div_zero 0
		.amdhsa_exception_fp_ieee_overflow 0
		.amdhsa_exception_fp_ieee_underflow 0
		.amdhsa_exception_fp_ieee_inexact 0
		.amdhsa_exception_int_div_zero 0
	.end_amdhsa_kernel
	.section	.text._ZN7rocprim17ROCPRIM_400000_NS6detail17trampoline_kernelINS0_14default_configENS1_38merge_sort_block_merge_config_selectorIiNS0_10empty_typeEEEZZNS1_27merge_sort_block_merge_implIS3_N6thrust23THRUST_200600_302600_NS6detail15normal_iteratorINS9_10device_ptrIiEEEEPS5_jNS1_19radix_merge_compareILb0ELb0EiNS0_19identity_decomposerEEEEE10hipError_tT0_T1_T2_jT3_P12ihipStream_tbPNSt15iterator_traitsISK_E10value_typeEPNSQ_ISL_E10value_typeEPSM_NS1_7vsmem_tEENKUlT_SK_SL_SM_E_clIPiSE_SF_SF_EESJ_SZ_SK_SL_SM_EUlSZ_E1_NS1_11comp_targetILNS1_3genE9ELNS1_11target_archE1100ELNS1_3gpuE3ELNS1_3repE0EEENS1_36merge_oddeven_config_static_selectorELNS0_4arch9wavefront6targetE1EEEvSL_,"axG",@progbits,_ZN7rocprim17ROCPRIM_400000_NS6detail17trampoline_kernelINS0_14default_configENS1_38merge_sort_block_merge_config_selectorIiNS0_10empty_typeEEEZZNS1_27merge_sort_block_merge_implIS3_N6thrust23THRUST_200600_302600_NS6detail15normal_iteratorINS9_10device_ptrIiEEEEPS5_jNS1_19radix_merge_compareILb0ELb0EiNS0_19identity_decomposerEEEEE10hipError_tT0_T1_T2_jT3_P12ihipStream_tbPNSt15iterator_traitsISK_E10value_typeEPNSQ_ISL_E10value_typeEPSM_NS1_7vsmem_tEENKUlT_SK_SL_SM_E_clIPiSE_SF_SF_EESJ_SZ_SK_SL_SM_EUlSZ_E1_NS1_11comp_targetILNS1_3genE9ELNS1_11target_archE1100ELNS1_3gpuE3ELNS1_3repE0EEENS1_36merge_oddeven_config_static_selectorELNS0_4arch9wavefront6targetE1EEEvSL_,comdat
.Lfunc_end41:
	.size	_ZN7rocprim17ROCPRIM_400000_NS6detail17trampoline_kernelINS0_14default_configENS1_38merge_sort_block_merge_config_selectorIiNS0_10empty_typeEEEZZNS1_27merge_sort_block_merge_implIS3_N6thrust23THRUST_200600_302600_NS6detail15normal_iteratorINS9_10device_ptrIiEEEEPS5_jNS1_19radix_merge_compareILb0ELb0EiNS0_19identity_decomposerEEEEE10hipError_tT0_T1_T2_jT3_P12ihipStream_tbPNSt15iterator_traitsISK_E10value_typeEPNSQ_ISL_E10value_typeEPSM_NS1_7vsmem_tEENKUlT_SK_SL_SM_E_clIPiSE_SF_SF_EESJ_SZ_SK_SL_SM_EUlSZ_E1_NS1_11comp_targetILNS1_3genE9ELNS1_11target_archE1100ELNS1_3gpuE3ELNS1_3repE0EEENS1_36merge_oddeven_config_static_selectorELNS0_4arch9wavefront6targetE1EEEvSL_, .Lfunc_end41-_ZN7rocprim17ROCPRIM_400000_NS6detail17trampoline_kernelINS0_14default_configENS1_38merge_sort_block_merge_config_selectorIiNS0_10empty_typeEEEZZNS1_27merge_sort_block_merge_implIS3_N6thrust23THRUST_200600_302600_NS6detail15normal_iteratorINS9_10device_ptrIiEEEEPS5_jNS1_19radix_merge_compareILb0ELb0EiNS0_19identity_decomposerEEEEE10hipError_tT0_T1_T2_jT3_P12ihipStream_tbPNSt15iterator_traitsISK_E10value_typeEPNSQ_ISL_E10value_typeEPSM_NS1_7vsmem_tEENKUlT_SK_SL_SM_E_clIPiSE_SF_SF_EESJ_SZ_SK_SL_SM_EUlSZ_E1_NS1_11comp_targetILNS1_3genE9ELNS1_11target_archE1100ELNS1_3gpuE3ELNS1_3repE0EEENS1_36merge_oddeven_config_static_selectorELNS0_4arch9wavefront6targetE1EEEvSL_
                                        ; -- End function
	.set _ZN7rocprim17ROCPRIM_400000_NS6detail17trampoline_kernelINS0_14default_configENS1_38merge_sort_block_merge_config_selectorIiNS0_10empty_typeEEEZZNS1_27merge_sort_block_merge_implIS3_N6thrust23THRUST_200600_302600_NS6detail15normal_iteratorINS9_10device_ptrIiEEEEPS5_jNS1_19radix_merge_compareILb0ELb0EiNS0_19identity_decomposerEEEEE10hipError_tT0_T1_T2_jT3_P12ihipStream_tbPNSt15iterator_traitsISK_E10value_typeEPNSQ_ISL_E10value_typeEPSM_NS1_7vsmem_tEENKUlT_SK_SL_SM_E_clIPiSE_SF_SF_EESJ_SZ_SK_SL_SM_EUlSZ_E1_NS1_11comp_targetILNS1_3genE9ELNS1_11target_archE1100ELNS1_3gpuE3ELNS1_3repE0EEENS1_36merge_oddeven_config_static_selectorELNS0_4arch9wavefront6targetE1EEEvSL_.num_vgpr, 0
	.set _ZN7rocprim17ROCPRIM_400000_NS6detail17trampoline_kernelINS0_14default_configENS1_38merge_sort_block_merge_config_selectorIiNS0_10empty_typeEEEZZNS1_27merge_sort_block_merge_implIS3_N6thrust23THRUST_200600_302600_NS6detail15normal_iteratorINS9_10device_ptrIiEEEEPS5_jNS1_19radix_merge_compareILb0ELb0EiNS0_19identity_decomposerEEEEE10hipError_tT0_T1_T2_jT3_P12ihipStream_tbPNSt15iterator_traitsISK_E10value_typeEPNSQ_ISL_E10value_typeEPSM_NS1_7vsmem_tEENKUlT_SK_SL_SM_E_clIPiSE_SF_SF_EESJ_SZ_SK_SL_SM_EUlSZ_E1_NS1_11comp_targetILNS1_3genE9ELNS1_11target_archE1100ELNS1_3gpuE3ELNS1_3repE0EEENS1_36merge_oddeven_config_static_selectorELNS0_4arch9wavefront6targetE1EEEvSL_.num_agpr, 0
	.set _ZN7rocprim17ROCPRIM_400000_NS6detail17trampoline_kernelINS0_14default_configENS1_38merge_sort_block_merge_config_selectorIiNS0_10empty_typeEEEZZNS1_27merge_sort_block_merge_implIS3_N6thrust23THRUST_200600_302600_NS6detail15normal_iteratorINS9_10device_ptrIiEEEEPS5_jNS1_19radix_merge_compareILb0ELb0EiNS0_19identity_decomposerEEEEE10hipError_tT0_T1_T2_jT3_P12ihipStream_tbPNSt15iterator_traitsISK_E10value_typeEPNSQ_ISL_E10value_typeEPSM_NS1_7vsmem_tEENKUlT_SK_SL_SM_E_clIPiSE_SF_SF_EESJ_SZ_SK_SL_SM_EUlSZ_E1_NS1_11comp_targetILNS1_3genE9ELNS1_11target_archE1100ELNS1_3gpuE3ELNS1_3repE0EEENS1_36merge_oddeven_config_static_selectorELNS0_4arch9wavefront6targetE1EEEvSL_.numbered_sgpr, 0
	.set _ZN7rocprim17ROCPRIM_400000_NS6detail17trampoline_kernelINS0_14default_configENS1_38merge_sort_block_merge_config_selectorIiNS0_10empty_typeEEEZZNS1_27merge_sort_block_merge_implIS3_N6thrust23THRUST_200600_302600_NS6detail15normal_iteratorINS9_10device_ptrIiEEEEPS5_jNS1_19radix_merge_compareILb0ELb0EiNS0_19identity_decomposerEEEEE10hipError_tT0_T1_T2_jT3_P12ihipStream_tbPNSt15iterator_traitsISK_E10value_typeEPNSQ_ISL_E10value_typeEPSM_NS1_7vsmem_tEENKUlT_SK_SL_SM_E_clIPiSE_SF_SF_EESJ_SZ_SK_SL_SM_EUlSZ_E1_NS1_11comp_targetILNS1_3genE9ELNS1_11target_archE1100ELNS1_3gpuE3ELNS1_3repE0EEENS1_36merge_oddeven_config_static_selectorELNS0_4arch9wavefront6targetE1EEEvSL_.num_named_barrier, 0
	.set _ZN7rocprim17ROCPRIM_400000_NS6detail17trampoline_kernelINS0_14default_configENS1_38merge_sort_block_merge_config_selectorIiNS0_10empty_typeEEEZZNS1_27merge_sort_block_merge_implIS3_N6thrust23THRUST_200600_302600_NS6detail15normal_iteratorINS9_10device_ptrIiEEEEPS5_jNS1_19radix_merge_compareILb0ELb0EiNS0_19identity_decomposerEEEEE10hipError_tT0_T1_T2_jT3_P12ihipStream_tbPNSt15iterator_traitsISK_E10value_typeEPNSQ_ISL_E10value_typeEPSM_NS1_7vsmem_tEENKUlT_SK_SL_SM_E_clIPiSE_SF_SF_EESJ_SZ_SK_SL_SM_EUlSZ_E1_NS1_11comp_targetILNS1_3genE9ELNS1_11target_archE1100ELNS1_3gpuE3ELNS1_3repE0EEENS1_36merge_oddeven_config_static_selectorELNS0_4arch9wavefront6targetE1EEEvSL_.private_seg_size, 0
	.set _ZN7rocprim17ROCPRIM_400000_NS6detail17trampoline_kernelINS0_14default_configENS1_38merge_sort_block_merge_config_selectorIiNS0_10empty_typeEEEZZNS1_27merge_sort_block_merge_implIS3_N6thrust23THRUST_200600_302600_NS6detail15normal_iteratorINS9_10device_ptrIiEEEEPS5_jNS1_19radix_merge_compareILb0ELb0EiNS0_19identity_decomposerEEEEE10hipError_tT0_T1_T2_jT3_P12ihipStream_tbPNSt15iterator_traitsISK_E10value_typeEPNSQ_ISL_E10value_typeEPSM_NS1_7vsmem_tEENKUlT_SK_SL_SM_E_clIPiSE_SF_SF_EESJ_SZ_SK_SL_SM_EUlSZ_E1_NS1_11comp_targetILNS1_3genE9ELNS1_11target_archE1100ELNS1_3gpuE3ELNS1_3repE0EEENS1_36merge_oddeven_config_static_selectorELNS0_4arch9wavefront6targetE1EEEvSL_.uses_vcc, 0
	.set _ZN7rocprim17ROCPRIM_400000_NS6detail17trampoline_kernelINS0_14default_configENS1_38merge_sort_block_merge_config_selectorIiNS0_10empty_typeEEEZZNS1_27merge_sort_block_merge_implIS3_N6thrust23THRUST_200600_302600_NS6detail15normal_iteratorINS9_10device_ptrIiEEEEPS5_jNS1_19radix_merge_compareILb0ELb0EiNS0_19identity_decomposerEEEEE10hipError_tT0_T1_T2_jT3_P12ihipStream_tbPNSt15iterator_traitsISK_E10value_typeEPNSQ_ISL_E10value_typeEPSM_NS1_7vsmem_tEENKUlT_SK_SL_SM_E_clIPiSE_SF_SF_EESJ_SZ_SK_SL_SM_EUlSZ_E1_NS1_11comp_targetILNS1_3genE9ELNS1_11target_archE1100ELNS1_3gpuE3ELNS1_3repE0EEENS1_36merge_oddeven_config_static_selectorELNS0_4arch9wavefront6targetE1EEEvSL_.uses_flat_scratch, 0
	.set _ZN7rocprim17ROCPRIM_400000_NS6detail17trampoline_kernelINS0_14default_configENS1_38merge_sort_block_merge_config_selectorIiNS0_10empty_typeEEEZZNS1_27merge_sort_block_merge_implIS3_N6thrust23THRUST_200600_302600_NS6detail15normal_iteratorINS9_10device_ptrIiEEEEPS5_jNS1_19radix_merge_compareILb0ELb0EiNS0_19identity_decomposerEEEEE10hipError_tT0_T1_T2_jT3_P12ihipStream_tbPNSt15iterator_traitsISK_E10value_typeEPNSQ_ISL_E10value_typeEPSM_NS1_7vsmem_tEENKUlT_SK_SL_SM_E_clIPiSE_SF_SF_EESJ_SZ_SK_SL_SM_EUlSZ_E1_NS1_11comp_targetILNS1_3genE9ELNS1_11target_archE1100ELNS1_3gpuE3ELNS1_3repE0EEENS1_36merge_oddeven_config_static_selectorELNS0_4arch9wavefront6targetE1EEEvSL_.has_dyn_sized_stack, 0
	.set _ZN7rocprim17ROCPRIM_400000_NS6detail17trampoline_kernelINS0_14default_configENS1_38merge_sort_block_merge_config_selectorIiNS0_10empty_typeEEEZZNS1_27merge_sort_block_merge_implIS3_N6thrust23THRUST_200600_302600_NS6detail15normal_iteratorINS9_10device_ptrIiEEEEPS5_jNS1_19radix_merge_compareILb0ELb0EiNS0_19identity_decomposerEEEEE10hipError_tT0_T1_T2_jT3_P12ihipStream_tbPNSt15iterator_traitsISK_E10value_typeEPNSQ_ISL_E10value_typeEPSM_NS1_7vsmem_tEENKUlT_SK_SL_SM_E_clIPiSE_SF_SF_EESJ_SZ_SK_SL_SM_EUlSZ_E1_NS1_11comp_targetILNS1_3genE9ELNS1_11target_archE1100ELNS1_3gpuE3ELNS1_3repE0EEENS1_36merge_oddeven_config_static_selectorELNS0_4arch9wavefront6targetE1EEEvSL_.has_recursion, 0
	.set _ZN7rocprim17ROCPRIM_400000_NS6detail17trampoline_kernelINS0_14default_configENS1_38merge_sort_block_merge_config_selectorIiNS0_10empty_typeEEEZZNS1_27merge_sort_block_merge_implIS3_N6thrust23THRUST_200600_302600_NS6detail15normal_iteratorINS9_10device_ptrIiEEEEPS5_jNS1_19radix_merge_compareILb0ELb0EiNS0_19identity_decomposerEEEEE10hipError_tT0_T1_T2_jT3_P12ihipStream_tbPNSt15iterator_traitsISK_E10value_typeEPNSQ_ISL_E10value_typeEPSM_NS1_7vsmem_tEENKUlT_SK_SL_SM_E_clIPiSE_SF_SF_EESJ_SZ_SK_SL_SM_EUlSZ_E1_NS1_11comp_targetILNS1_3genE9ELNS1_11target_archE1100ELNS1_3gpuE3ELNS1_3repE0EEENS1_36merge_oddeven_config_static_selectorELNS0_4arch9wavefront6targetE1EEEvSL_.has_indirect_call, 0
	.section	.AMDGPU.csdata,"",@progbits
; Kernel info:
; codeLenInByte = 0
; TotalNumSgprs: 6
; NumVgprs: 0
; NumAgprs: 0
; TotalNumVgprs: 0
; ScratchSize: 0
; MemoryBound: 0
; FloatMode: 240
; IeeeMode: 1
; LDSByteSize: 0 bytes/workgroup (compile time only)
; SGPRBlocks: 0
; VGPRBlocks: 0
; NumSGPRsForWavesPerEU: 6
; NumVGPRsForWavesPerEU: 1
; AccumOffset: 4
; Occupancy: 8
; WaveLimiterHint : 0
; COMPUTE_PGM_RSRC2:SCRATCH_EN: 0
; COMPUTE_PGM_RSRC2:USER_SGPR: 2
; COMPUTE_PGM_RSRC2:TRAP_HANDLER: 0
; COMPUTE_PGM_RSRC2:TGID_X_EN: 1
; COMPUTE_PGM_RSRC2:TGID_Y_EN: 0
; COMPUTE_PGM_RSRC2:TGID_Z_EN: 0
; COMPUTE_PGM_RSRC2:TIDIG_COMP_CNT: 0
; COMPUTE_PGM_RSRC3_GFX90A:ACCUM_OFFSET: 0
; COMPUTE_PGM_RSRC3_GFX90A:TG_SPLIT: 0
	.section	.text._ZN7rocprim17ROCPRIM_400000_NS6detail17trampoline_kernelINS0_14default_configENS1_38merge_sort_block_merge_config_selectorIiNS0_10empty_typeEEEZZNS1_27merge_sort_block_merge_implIS3_N6thrust23THRUST_200600_302600_NS6detail15normal_iteratorINS9_10device_ptrIiEEEEPS5_jNS1_19radix_merge_compareILb0ELb0EiNS0_19identity_decomposerEEEEE10hipError_tT0_T1_T2_jT3_P12ihipStream_tbPNSt15iterator_traitsISK_E10value_typeEPNSQ_ISL_E10value_typeEPSM_NS1_7vsmem_tEENKUlT_SK_SL_SM_E_clIPiSE_SF_SF_EESJ_SZ_SK_SL_SM_EUlSZ_E1_NS1_11comp_targetILNS1_3genE8ELNS1_11target_archE1030ELNS1_3gpuE2ELNS1_3repE0EEENS1_36merge_oddeven_config_static_selectorELNS0_4arch9wavefront6targetE1EEEvSL_,"axG",@progbits,_ZN7rocprim17ROCPRIM_400000_NS6detail17trampoline_kernelINS0_14default_configENS1_38merge_sort_block_merge_config_selectorIiNS0_10empty_typeEEEZZNS1_27merge_sort_block_merge_implIS3_N6thrust23THRUST_200600_302600_NS6detail15normal_iteratorINS9_10device_ptrIiEEEEPS5_jNS1_19radix_merge_compareILb0ELb0EiNS0_19identity_decomposerEEEEE10hipError_tT0_T1_T2_jT3_P12ihipStream_tbPNSt15iterator_traitsISK_E10value_typeEPNSQ_ISL_E10value_typeEPSM_NS1_7vsmem_tEENKUlT_SK_SL_SM_E_clIPiSE_SF_SF_EESJ_SZ_SK_SL_SM_EUlSZ_E1_NS1_11comp_targetILNS1_3genE8ELNS1_11target_archE1030ELNS1_3gpuE2ELNS1_3repE0EEENS1_36merge_oddeven_config_static_selectorELNS0_4arch9wavefront6targetE1EEEvSL_,comdat
	.protected	_ZN7rocprim17ROCPRIM_400000_NS6detail17trampoline_kernelINS0_14default_configENS1_38merge_sort_block_merge_config_selectorIiNS0_10empty_typeEEEZZNS1_27merge_sort_block_merge_implIS3_N6thrust23THRUST_200600_302600_NS6detail15normal_iteratorINS9_10device_ptrIiEEEEPS5_jNS1_19radix_merge_compareILb0ELb0EiNS0_19identity_decomposerEEEEE10hipError_tT0_T1_T2_jT3_P12ihipStream_tbPNSt15iterator_traitsISK_E10value_typeEPNSQ_ISL_E10value_typeEPSM_NS1_7vsmem_tEENKUlT_SK_SL_SM_E_clIPiSE_SF_SF_EESJ_SZ_SK_SL_SM_EUlSZ_E1_NS1_11comp_targetILNS1_3genE8ELNS1_11target_archE1030ELNS1_3gpuE2ELNS1_3repE0EEENS1_36merge_oddeven_config_static_selectorELNS0_4arch9wavefront6targetE1EEEvSL_ ; -- Begin function _ZN7rocprim17ROCPRIM_400000_NS6detail17trampoline_kernelINS0_14default_configENS1_38merge_sort_block_merge_config_selectorIiNS0_10empty_typeEEEZZNS1_27merge_sort_block_merge_implIS3_N6thrust23THRUST_200600_302600_NS6detail15normal_iteratorINS9_10device_ptrIiEEEEPS5_jNS1_19radix_merge_compareILb0ELb0EiNS0_19identity_decomposerEEEEE10hipError_tT0_T1_T2_jT3_P12ihipStream_tbPNSt15iterator_traitsISK_E10value_typeEPNSQ_ISL_E10value_typeEPSM_NS1_7vsmem_tEENKUlT_SK_SL_SM_E_clIPiSE_SF_SF_EESJ_SZ_SK_SL_SM_EUlSZ_E1_NS1_11comp_targetILNS1_3genE8ELNS1_11target_archE1030ELNS1_3gpuE2ELNS1_3repE0EEENS1_36merge_oddeven_config_static_selectorELNS0_4arch9wavefront6targetE1EEEvSL_
	.globl	_ZN7rocprim17ROCPRIM_400000_NS6detail17trampoline_kernelINS0_14default_configENS1_38merge_sort_block_merge_config_selectorIiNS0_10empty_typeEEEZZNS1_27merge_sort_block_merge_implIS3_N6thrust23THRUST_200600_302600_NS6detail15normal_iteratorINS9_10device_ptrIiEEEEPS5_jNS1_19radix_merge_compareILb0ELb0EiNS0_19identity_decomposerEEEEE10hipError_tT0_T1_T2_jT3_P12ihipStream_tbPNSt15iterator_traitsISK_E10value_typeEPNSQ_ISL_E10value_typeEPSM_NS1_7vsmem_tEENKUlT_SK_SL_SM_E_clIPiSE_SF_SF_EESJ_SZ_SK_SL_SM_EUlSZ_E1_NS1_11comp_targetILNS1_3genE8ELNS1_11target_archE1030ELNS1_3gpuE2ELNS1_3repE0EEENS1_36merge_oddeven_config_static_selectorELNS0_4arch9wavefront6targetE1EEEvSL_
	.p2align	8
	.type	_ZN7rocprim17ROCPRIM_400000_NS6detail17trampoline_kernelINS0_14default_configENS1_38merge_sort_block_merge_config_selectorIiNS0_10empty_typeEEEZZNS1_27merge_sort_block_merge_implIS3_N6thrust23THRUST_200600_302600_NS6detail15normal_iteratorINS9_10device_ptrIiEEEEPS5_jNS1_19radix_merge_compareILb0ELb0EiNS0_19identity_decomposerEEEEE10hipError_tT0_T1_T2_jT3_P12ihipStream_tbPNSt15iterator_traitsISK_E10value_typeEPNSQ_ISL_E10value_typeEPSM_NS1_7vsmem_tEENKUlT_SK_SL_SM_E_clIPiSE_SF_SF_EESJ_SZ_SK_SL_SM_EUlSZ_E1_NS1_11comp_targetILNS1_3genE8ELNS1_11target_archE1030ELNS1_3gpuE2ELNS1_3repE0EEENS1_36merge_oddeven_config_static_selectorELNS0_4arch9wavefront6targetE1EEEvSL_,@function
_ZN7rocprim17ROCPRIM_400000_NS6detail17trampoline_kernelINS0_14default_configENS1_38merge_sort_block_merge_config_selectorIiNS0_10empty_typeEEEZZNS1_27merge_sort_block_merge_implIS3_N6thrust23THRUST_200600_302600_NS6detail15normal_iteratorINS9_10device_ptrIiEEEEPS5_jNS1_19radix_merge_compareILb0ELb0EiNS0_19identity_decomposerEEEEE10hipError_tT0_T1_T2_jT3_P12ihipStream_tbPNSt15iterator_traitsISK_E10value_typeEPNSQ_ISL_E10value_typeEPSM_NS1_7vsmem_tEENKUlT_SK_SL_SM_E_clIPiSE_SF_SF_EESJ_SZ_SK_SL_SM_EUlSZ_E1_NS1_11comp_targetILNS1_3genE8ELNS1_11target_archE1030ELNS1_3gpuE2ELNS1_3repE0EEENS1_36merge_oddeven_config_static_selectorELNS0_4arch9wavefront6targetE1EEEvSL_: ; @_ZN7rocprim17ROCPRIM_400000_NS6detail17trampoline_kernelINS0_14default_configENS1_38merge_sort_block_merge_config_selectorIiNS0_10empty_typeEEEZZNS1_27merge_sort_block_merge_implIS3_N6thrust23THRUST_200600_302600_NS6detail15normal_iteratorINS9_10device_ptrIiEEEEPS5_jNS1_19radix_merge_compareILb0ELb0EiNS0_19identity_decomposerEEEEE10hipError_tT0_T1_T2_jT3_P12ihipStream_tbPNSt15iterator_traitsISK_E10value_typeEPNSQ_ISL_E10value_typeEPSM_NS1_7vsmem_tEENKUlT_SK_SL_SM_E_clIPiSE_SF_SF_EESJ_SZ_SK_SL_SM_EUlSZ_E1_NS1_11comp_targetILNS1_3genE8ELNS1_11target_archE1030ELNS1_3gpuE2ELNS1_3repE0EEENS1_36merge_oddeven_config_static_selectorELNS0_4arch9wavefront6targetE1EEEvSL_
; %bb.0:
	.section	.rodata,"a",@progbits
	.p2align	6, 0x0
	.amdhsa_kernel _ZN7rocprim17ROCPRIM_400000_NS6detail17trampoline_kernelINS0_14default_configENS1_38merge_sort_block_merge_config_selectorIiNS0_10empty_typeEEEZZNS1_27merge_sort_block_merge_implIS3_N6thrust23THRUST_200600_302600_NS6detail15normal_iteratorINS9_10device_ptrIiEEEEPS5_jNS1_19radix_merge_compareILb0ELb0EiNS0_19identity_decomposerEEEEE10hipError_tT0_T1_T2_jT3_P12ihipStream_tbPNSt15iterator_traitsISK_E10value_typeEPNSQ_ISL_E10value_typeEPSM_NS1_7vsmem_tEENKUlT_SK_SL_SM_E_clIPiSE_SF_SF_EESJ_SZ_SK_SL_SM_EUlSZ_E1_NS1_11comp_targetILNS1_3genE8ELNS1_11target_archE1030ELNS1_3gpuE2ELNS1_3repE0EEENS1_36merge_oddeven_config_static_selectorELNS0_4arch9wavefront6targetE1EEEvSL_
		.amdhsa_group_segment_fixed_size 0
		.amdhsa_private_segment_fixed_size 0
		.amdhsa_kernarg_size 48
		.amdhsa_user_sgpr_count 2
		.amdhsa_user_sgpr_dispatch_ptr 0
		.amdhsa_user_sgpr_queue_ptr 0
		.amdhsa_user_sgpr_kernarg_segment_ptr 1
		.amdhsa_user_sgpr_dispatch_id 0
		.amdhsa_user_sgpr_kernarg_preload_length 0
		.amdhsa_user_sgpr_kernarg_preload_offset 0
		.amdhsa_user_sgpr_private_segment_size 0
		.amdhsa_uses_dynamic_stack 0
		.amdhsa_enable_private_segment 0
		.amdhsa_system_sgpr_workgroup_id_x 1
		.amdhsa_system_sgpr_workgroup_id_y 0
		.amdhsa_system_sgpr_workgroup_id_z 0
		.amdhsa_system_sgpr_workgroup_info 0
		.amdhsa_system_vgpr_workitem_id 0
		.amdhsa_next_free_vgpr 1
		.amdhsa_next_free_sgpr 0
		.amdhsa_accum_offset 4
		.amdhsa_reserve_vcc 0
		.amdhsa_float_round_mode_32 0
		.amdhsa_float_round_mode_16_64 0
		.amdhsa_float_denorm_mode_32 3
		.amdhsa_float_denorm_mode_16_64 3
		.amdhsa_dx10_clamp 1
		.amdhsa_ieee_mode 1
		.amdhsa_fp16_overflow 0
		.amdhsa_tg_split 0
		.amdhsa_exception_fp_ieee_invalid_op 0
		.amdhsa_exception_fp_denorm_src 0
		.amdhsa_exception_fp_ieee_div_zero 0
		.amdhsa_exception_fp_ieee_overflow 0
		.amdhsa_exception_fp_ieee_underflow 0
		.amdhsa_exception_fp_ieee_inexact 0
		.amdhsa_exception_int_div_zero 0
	.end_amdhsa_kernel
	.section	.text._ZN7rocprim17ROCPRIM_400000_NS6detail17trampoline_kernelINS0_14default_configENS1_38merge_sort_block_merge_config_selectorIiNS0_10empty_typeEEEZZNS1_27merge_sort_block_merge_implIS3_N6thrust23THRUST_200600_302600_NS6detail15normal_iteratorINS9_10device_ptrIiEEEEPS5_jNS1_19radix_merge_compareILb0ELb0EiNS0_19identity_decomposerEEEEE10hipError_tT0_T1_T2_jT3_P12ihipStream_tbPNSt15iterator_traitsISK_E10value_typeEPNSQ_ISL_E10value_typeEPSM_NS1_7vsmem_tEENKUlT_SK_SL_SM_E_clIPiSE_SF_SF_EESJ_SZ_SK_SL_SM_EUlSZ_E1_NS1_11comp_targetILNS1_3genE8ELNS1_11target_archE1030ELNS1_3gpuE2ELNS1_3repE0EEENS1_36merge_oddeven_config_static_selectorELNS0_4arch9wavefront6targetE1EEEvSL_,"axG",@progbits,_ZN7rocprim17ROCPRIM_400000_NS6detail17trampoline_kernelINS0_14default_configENS1_38merge_sort_block_merge_config_selectorIiNS0_10empty_typeEEEZZNS1_27merge_sort_block_merge_implIS3_N6thrust23THRUST_200600_302600_NS6detail15normal_iteratorINS9_10device_ptrIiEEEEPS5_jNS1_19radix_merge_compareILb0ELb0EiNS0_19identity_decomposerEEEEE10hipError_tT0_T1_T2_jT3_P12ihipStream_tbPNSt15iterator_traitsISK_E10value_typeEPNSQ_ISL_E10value_typeEPSM_NS1_7vsmem_tEENKUlT_SK_SL_SM_E_clIPiSE_SF_SF_EESJ_SZ_SK_SL_SM_EUlSZ_E1_NS1_11comp_targetILNS1_3genE8ELNS1_11target_archE1030ELNS1_3gpuE2ELNS1_3repE0EEENS1_36merge_oddeven_config_static_selectorELNS0_4arch9wavefront6targetE1EEEvSL_,comdat
.Lfunc_end42:
	.size	_ZN7rocprim17ROCPRIM_400000_NS6detail17trampoline_kernelINS0_14default_configENS1_38merge_sort_block_merge_config_selectorIiNS0_10empty_typeEEEZZNS1_27merge_sort_block_merge_implIS3_N6thrust23THRUST_200600_302600_NS6detail15normal_iteratorINS9_10device_ptrIiEEEEPS5_jNS1_19radix_merge_compareILb0ELb0EiNS0_19identity_decomposerEEEEE10hipError_tT0_T1_T2_jT3_P12ihipStream_tbPNSt15iterator_traitsISK_E10value_typeEPNSQ_ISL_E10value_typeEPSM_NS1_7vsmem_tEENKUlT_SK_SL_SM_E_clIPiSE_SF_SF_EESJ_SZ_SK_SL_SM_EUlSZ_E1_NS1_11comp_targetILNS1_3genE8ELNS1_11target_archE1030ELNS1_3gpuE2ELNS1_3repE0EEENS1_36merge_oddeven_config_static_selectorELNS0_4arch9wavefront6targetE1EEEvSL_, .Lfunc_end42-_ZN7rocprim17ROCPRIM_400000_NS6detail17trampoline_kernelINS0_14default_configENS1_38merge_sort_block_merge_config_selectorIiNS0_10empty_typeEEEZZNS1_27merge_sort_block_merge_implIS3_N6thrust23THRUST_200600_302600_NS6detail15normal_iteratorINS9_10device_ptrIiEEEEPS5_jNS1_19radix_merge_compareILb0ELb0EiNS0_19identity_decomposerEEEEE10hipError_tT0_T1_T2_jT3_P12ihipStream_tbPNSt15iterator_traitsISK_E10value_typeEPNSQ_ISL_E10value_typeEPSM_NS1_7vsmem_tEENKUlT_SK_SL_SM_E_clIPiSE_SF_SF_EESJ_SZ_SK_SL_SM_EUlSZ_E1_NS1_11comp_targetILNS1_3genE8ELNS1_11target_archE1030ELNS1_3gpuE2ELNS1_3repE0EEENS1_36merge_oddeven_config_static_selectorELNS0_4arch9wavefront6targetE1EEEvSL_
                                        ; -- End function
	.set _ZN7rocprim17ROCPRIM_400000_NS6detail17trampoline_kernelINS0_14default_configENS1_38merge_sort_block_merge_config_selectorIiNS0_10empty_typeEEEZZNS1_27merge_sort_block_merge_implIS3_N6thrust23THRUST_200600_302600_NS6detail15normal_iteratorINS9_10device_ptrIiEEEEPS5_jNS1_19radix_merge_compareILb0ELb0EiNS0_19identity_decomposerEEEEE10hipError_tT0_T1_T2_jT3_P12ihipStream_tbPNSt15iterator_traitsISK_E10value_typeEPNSQ_ISL_E10value_typeEPSM_NS1_7vsmem_tEENKUlT_SK_SL_SM_E_clIPiSE_SF_SF_EESJ_SZ_SK_SL_SM_EUlSZ_E1_NS1_11comp_targetILNS1_3genE8ELNS1_11target_archE1030ELNS1_3gpuE2ELNS1_3repE0EEENS1_36merge_oddeven_config_static_selectorELNS0_4arch9wavefront6targetE1EEEvSL_.num_vgpr, 0
	.set _ZN7rocprim17ROCPRIM_400000_NS6detail17trampoline_kernelINS0_14default_configENS1_38merge_sort_block_merge_config_selectorIiNS0_10empty_typeEEEZZNS1_27merge_sort_block_merge_implIS3_N6thrust23THRUST_200600_302600_NS6detail15normal_iteratorINS9_10device_ptrIiEEEEPS5_jNS1_19radix_merge_compareILb0ELb0EiNS0_19identity_decomposerEEEEE10hipError_tT0_T1_T2_jT3_P12ihipStream_tbPNSt15iterator_traitsISK_E10value_typeEPNSQ_ISL_E10value_typeEPSM_NS1_7vsmem_tEENKUlT_SK_SL_SM_E_clIPiSE_SF_SF_EESJ_SZ_SK_SL_SM_EUlSZ_E1_NS1_11comp_targetILNS1_3genE8ELNS1_11target_archE1030ELNS1_3gpuE2ELNS1_3repE0EEENS1_36merge_oddeven_config_static_selectorELNS0_4arch9wavefront6targetE1EEEvSL_.num_agpr, 0
	.set _ZN7rocprim17ROCPRIM_400000_NS6detail17trampoline_kernelINS0_14default_configENS1_38merge_sort_block_merge_config_selectorIiNS0_10empty_typeEEEZZNS1_27merge_sort_block_merge_implIS3_N6thrust23THRUST_200600_302600_NS6detail15normal_iteratorINS9_10device_ptrIiEEEEPS5_jNS1_19radix_merge_compareILb0ELb0EiNS0_19identity_decomposerEEEEE10hipError_tT0_T1_T2_jT3_P12ihipStream_tbPNSt15iterator_traitsISK_E10value_typeEPNSQ_ISL_E10value_typeEPSM_NS1_7vsmem_tEENKUlT_SK_SL_SM_E_clIPiSE_SF_SF_EESJ_SZ_SK_SL_SM_EUlSZ_E1_NS1_11comp_targetILNS1_3genE8ELNS1_11target_archE1030ELNS1_3gpuE2ELNS1_3repE0EEENS1_36merge_oddeven_config_static_selectorELNS0_4arch9wavefront6targetE1EEEvSL_.numbered_sgpr, 0
	.set _ZN7rocprim17ROCPRIM_400000_NS6detail17trampoline_kernelINS0_14default_configENS1_38merge_sort_block_merge_config_selectorIiNS0_10empty_typeEEEZZNS1_27merge_sort_block_merge_implIS3_N6thrust23THRUST_200600_302600_NS6detail15normal_iteratorINS9_10device_ptrIiEEEEPS5_jNS1_19radix_merge_compareILb0ELb0EiNS0_19identity_decomposerEEEEE10hipError_tT0_T1_T2_jT3_P12ihipStream_tbPNSt15iterator_traitsISK_E10value_typeEPNSQ_ISL_E10value_typeEPSM_NS1_7vsmem_tEENKUlT_SK_SL_SM_E_clIPiSE_SF_SF_EESJ_SZ_SK_SL_SM_EUlSZ_E1_NS1_11comp_targetILNS1_3genE8ELNS1_11target_archE1030ELNS1_3gpuE2ELNS1_3repE0EEENS1_36merge_oddeven_config_static_selectorELNS0_4arch9wavefront6targetE1EEEvSL_.num_named_barrier, 0
	.set _ZN7rocprim17ROCPRIM_400000_NS6detail17trampoline_kernelINS0_14default_configENS1_38merge_sort_block_merge_config_selectorIiNS0_10empty_typeEEEZZNS1_27merge_sort_block_merge_implIS3_N6thrust23THRUST_200600_302600_NS6detail15normal_iteratorINS9_10device_ptrIiEEEEPS5_jNS1_19radix_merge_compareILb0ELb0EiNS0_19identity_decomposerEEEEE10hipError_tT0_T1_T2_jT3_P12ihipStream_tbPNSt15iterator_traitsISK_E10value_typeEPNSQ_ISL_E10value_typeEPSM_NS1_7vsmem_tEENKUlT_SK_SL_SM_E_clIPiSE_SF_SF_EESJ_SZ_SK_SL_SM_EUlSZ_E1_NS1_11comp_targetILNS1_3genE8ELNS1_11target_archE1030ELNS1_3gpuE2ELNS1_3repE0EEENS1_36merge_oddeven_config_static_selectorELNS0_4arch9wavefront6targetE1EEEvSL_.private_seg_size, 0
	.set _ZN7rocprim17ROCPRIM_400000_NS6detail17trampoline_kernelINS0_14default_configENS1_38merge_sort_block_merge_config_selectorIiNS0_10empty_typeEEEZZNS1_27merge_sort_block_merge_implIS3_N6thrust23THRUST_200600_302600_NS6detail15normal_iteratorINS9_10device_ptrIiEEEEPS5_jNS1_19radix_merge_compareILb0ELb0EiNS0_19identity_decomposerEEEEE10hipError_tT0_T1_T2_jT3_P12ihipStream_tbPNSt15iterator_traitsISK_E10value_typeEPNSQ_ISL_E10value_typeEPSM_NS1_7vsmem_tEENKUlT_SK_SL_SM_E_clIPiSE_SF_SF_EESJ_SZ_SK_SL_SM_EUlSZ_E1_NS1_11comp_targetILNS1_3genE8ELNS1_11target_archE1030ELNS1_3gpuE2ELNS1_3repE0EEENS1_36merge_oddeven_config_static_selectorELNS0_4arch9wavefront6targetE1EEEvSL_.uses_vcc, 0
	.set _ZN7rocprim17ROCPRIM_400000_NS6detail17trampoline_kernelINS0_14default_configENS1_38merge_sort_block_merge_config_selectorIiNS0_10empty_typeEEEZZNS1_27merge_sort_block_merge_implIS3_N6thrust23THRUST_200600_302600_NS6detail15normal_iteratorINS9_10device_ptrIiEEEEPS5_jNS1_19radix_merge_compareILb0ELb0EiNS0_19identity_decomposerEEEEE10hipError_tT0_T1_T2_jT3_P12ihipStream_tbPNSt15iterator_traitsISK_E10value_typeEPNSQ_ISL_E10value_typeEPSM_NS1_7vsmem_tEENKUlT_SK_SL_SM_E_clIPiSE_SF_SF_EESJ_SZ_SK_SL_SM_EUlSZ_E1_NS1_11comp_targetILNS1_3genE8ELNS1_11target_archE1030ELNS1_3gpuE2ELNS1_3repE0EEENS1_36merge_oddeven_config_static_selectorELNS0_4arch9wavefront6targetE1EEEvSL_.uses_flat_scratch, 0
	.set _ZN7rocprim17ROCPRIM_400000_NS6detail17trampoline_kernelINS0_14default_configENS1_38merge_sort_block_merge_config_selectorIiNS0_10empty_typeEEEZZNS1_27merge_sort_block_merge_implIS3_N6thrust23THRUST_200600_302600_NS6detail15normal_iteratorINS9_10device_ptrIiEEEEPS5_jNS1_19radix_merge_compareILb0ELb0EiNS0_19identity_decomposerEEEEE10hipError_tT0_T1_T2_jT3_P12ihipStream_tbPNSt15iterator_traitsISK_E10value_typeEPNSQ_ISL_E10value_typeEPSM_NS1_7vsmem_tEENKUlT_SK_SL_SM_E_clIPiSE_SF_SF_EESJ_SZ_SK_SL_SM_EUlSZ_E1_NS1_11comp_targetILNS1_3genE8ELNS1_11target_archE1030ELNS1_3gpuE2ELNS1_3repE0EEENS1_36merge_oddeven_config_static_selectorELNS0_4arch9wavefront6targetE1EEEvSL_.has_dyn_sized_stack, 0
	.set _ZN7rocprim17ROCPRIM_400000_NS6detail17trampoline_kernelINS0_14default_configENS1_38merge_sort_block_merge_config_selectorIiNS0_10empty_typeEEEZZNS1_27merge_sort_block_merge_implIS3_N6thrust23THRUST_200600_302600_NS6detail15normal_iteratorINS9_10device_ptrIiEEEEPS5_jNS1_19radix_merge_compareILb0ELb0EiNS0_19identity_decomposerEEEEE10hipError_tT0_T1_T2_jT3_P12ihipStream_tbPNSt15iterator_traitsISK_E10value_typeEPNSQ_ISL_E10value_typeEPSM_NS1_7vsmem_tEENKUlT_SK_SL_SM_E_clIPiSE_SF_SF_EESJ_SZ_SK_SL_SM_EUlSZ_E1_NS1_11comp_targetILNS1_3genE8ELNS1_11target_archE1030ELNS1_3gpuE2ELNS1_3repE0EEENS1_36merge_oddeven_config_static_selectorELNS0_4arch9wavefront6targetE1EEEvSL_.has_recursion, 0
	.set _ZN7rocprim17ROCPRIM_400000_NS6detail17trampoline_kernelINS0_14default_configENS1_38merge_sort_block_merge_config_selectorIiNS0_10empty_typeEEEZZNS1_27merge_sort_block_merge_implIS3_N6thrust23THRUST_200600_302600_NS6detail15normal_iteratorINS9_10device_ptrIiEEEEPS5_jNS1_19radix_merge_compareILb0ELb0EiNS0_19identity_decomposerEEEEE10hipError_tT0_T1_T2_jT3_P12ihipStream_tbPNSt15iterator_traitsISK_E10value_typeEPNSQ_ISL_E10value_typeEPSM_NS1_7vsmem_tEENKUlT_SK_SL_SM_E_clIPiSE_SF_SF_EESJ_SZ_SK_SL_SM_EUlSZ_E1_NS1_11comp_targetILNS1_3genE8ELNS1_11target_archE1030ELNS1_3gpuE2ELNS1_3repE0EEENS1_36merge_oddeven_config_static_selectorELNS0_4arch9wavefront6targetE1EEEvSL_.has_indirect_call, 0
	.section	.AMDGPU.csdata,"",@progbits
; Kernel info:
; codeLenInByte = 0
; TotalNumSgprs: 6
; NumVgprs: 0
; NumAgprs: 0
; TotalNumVgprs: 0
; ScratchSize: 0
; MemoryBound: 0
; FloatMode: 240
; IeeeMode: 1
; LDSByteSize: 0 bytes/workgroup (compile time only)
; SGPRBlocks: 0
; VGPRBlocks: 0
; NumSGPRsForWavesPerEU: 6
; NumVGPRsForWavesPerEU: 1
; AccumOffset: 4
; Occupancy: 8
; WaveLimiterHint : 0
; COMPUTE_PGM_RSRC2:SCRATCH_EN: 0
; COMPUTE_PGM_RSRC2:USER_SGPR: 2
; COMPUTE_PGM_RSRC2:TRAP_HANDLER: 0
; COMPUTE_PGM_RSRC2:TGID_X_EN: 1
; COMPUTE_PGM_RSRC2:TGID_Y_EN: 0
; COMPUTE_PGM_RSRC2:TGID_Z_EN: 0
; COMPUTE_PGM_RSRC2:TIDIG_COMP_CNT: 0
; COMPUTE_PGM_RSRC3_GFX90A:ACCUM_OFFSET: 0
; COMPUTE_PGM_RSRC3_GFX90A:TG_SPLIT: 0
	.section	.text._ZN7rocprim17ROCPRIM_400000_NS6detail17trampoline_kernelINS0_14default_configENS1_38merge_sort_block_merge_config_selectorIiNS0_10empty_typeEEEZZNS1_27merge_sort_block_merge_implIS3_N6thrust23THRUST_200600_302600_NS6detail15normal_iteratorINS9_10device_ptrIiEEEEPS5_jNS1_19radix_merge_compareILb0ELb0EiNS0_19identity_decomposerEEEEE10hipError_tT0_T1_T2_jT3_P12ihipStream_tbPNSt15iterator_traitsISK_E10value_typeEPNSQ_ISL_E10value_typeEPSM_NS1_7vsmem_tEENKUlT_SK_SL_SM_E_clISE_PiSF_SF_EESJ_SZ_SK_SL_SM_EUlSZ_E_NS1_11comp_targetILNS1_3genE0ELNS1_11target_archE4294967295ELNS1_3gpuE0ELNS1_3repE0EEENS1_48merge_mergepath_partition_config_static_selectorELNS0_4arch9wavefront6targetE1EEEvSL_,"axG",@progbits,_ZN7rocprim17ROCPRIM_400000_NS6detail17trampoline_kernelINS0_14default_configENS1_38merge_sort_block_merge_config_selectorIiNS0_10empty_typeEEEZZNS1_27merge_sort_block_merge_implIS3_N6thrust23THRUST_200600_302600_NS6detail15normal_iteratorINS9_10device_ptrIiEEEEPS5_jNS1_19radix_merge_compareILb0ELb0EiNS0_19identity_decomposerEEEEE10hipError_tT0_T1_T2_jT3_P12ihipStream_tbPNSt15iterator_traitsISK_E10value_typeEPNSQ_ISL_E10value_typeEPSM_NS1_7vsmem_tEENKUlT_SK_SL_SM_E_clISE_PiSF_SF_EESJ_SZ_SK_SL_SM_EUlSZ_E_NS1_11comp_targetILNS1_3genE0ELNS1_11target_archE4294967295ELNS1_3gpuE0ELNS1_3repE0EEENS1_48merge_mergepath_partition_config_static_selectorELNS0_4arch9wavefront6targetE1EEEvSL_,comdat
	.protected	_ZN7rocprim17ROCPRIM_400000_NS6detail17trampoline_kernelINS0_14default_configENS1_38merge_sort_block_merge_config_selectorIiNS0_10empty_typeEEEZZNS1_27merge_sort_block_merge_implIS3_N6thrust23THRUST_200600_302600_NS6detail15normal_iteratorINS9_10device_ptrIiEEEEPS5_jNS1_19radix_merge_compareILb0ELb0EiNS0_19identity_decomposerEEEEE10hipError_tT0_T1_T2_jT3_P12ihipStream_tbPNSt15iterator_traitsISK_E10value_typeEPNSQ_ISL_E10value_typeEPSM_NS1_7vsmem_tEENKUlT_SK_SL_SM_E_clISE_PiSF_SF_EESJ_SZ_SK_SL_SM_EUlSZ_E_NS1_11comp_targetILNS1_3genE0ELNS1_11target_archE4294967295ELNS1_3gpuE0ELNS1_3repE0EEENS1_48merge_mergepath_partition_config_static_selectorELNS0_4arch9wavefront6targetE1EEEvSL_ ; -- Begin function _ZN7rocprim17ROCPRIM_400000_NS6detail17trampoline_kernelINS0_14default_configENS1_38merge_sort_block_merge_config_selectorIiNS0_10empty_typeEEEZZNS1_27merge_sort_block_merge_implIS3_N6thrust23THRUST_200600_302600_NS6detail15normal_iteratorINS9_10device_ptrIiEEEEPS5_jNS1_19radix_merge_compareILb0ELb0EiNS0_19identity_decomposerEEEEE10hipError_tT0_T1_T2_jT3_P12ihipStream_tbPNSt15iterator_traitsISK_E10value_typeEPNSQ_ISL_E10value_typeEPSM_NS1_7vsmem_tEENKUlT_SK_SL_SM_E_clISE_PiSF_SF_EESJ_SZ_SK_SL_SM_EUlSZ_E_NS1_11comp_targetILNS1_3genE0ELNS1_11target_archE4294967295ELNS1_3gpuE0ELNS1_3repE0EEENS1_48merge_mergepath_partition_config_static_selectorELNS0_4arch9wavefront6targetE1EEEvSL_
	.globl	_ZN7rocprim17ROCPRIM_400000_NS6detail17trampoline_kernelINS0_14default_configENS1_38merge_sort_block_merge_config_selectorIiNS0_10empty_typeEEEZZNS1_27merge_sort_block_merge_implIS3_N6thrust23THRUST_200600_302600_NS6detail15normal_iteratorINS9_10device_ptrIiEEEEPS5_jNS1_19radix_merge_compareILb0ELb0EiNS0_19identity_decomposerEEEEE10hipError_tT0_T1_T2_jT3_P12ihipStream_tbPNSt15iterator_traitsISK_E10value_typeEPNSQ_ISL_E10value_typeEPSM_NS1_7vsmem_tEENKUlT_SK_SL_SM_E_clISE_PiSF_SF_EESJ_SZ_SK_SL_SM_EUlSZ_E_NS1_11comp_targetILNS1_3genE0ELNS1_11target_archE4294967295ELNS1_3gpuE0ELNS1_3repE0EEENS1_48merge_mergepath_partition_config_static_selectorELNS0_4arch9wavefront6targetE1EEEvSL_
	.p2align	8
	.type	_ZN7rocprim17ROCPRIM_400000_NS6detail17trampoline_kernelINS0_14default_configENS1_38merge_sort_block_merge_config_selectorIiNS0_10empty_typeEEEZZNS1_27merge_sort_block_merge_implIS3_N6thrust23THRUST_200600_302600_NS6detail15normal_iteratorINS9_10device_ptrIiEEEEPS5_jNS1_19radix_merge_compareILb0ELb0EiNS0_19identity_decomposerEEEEE10hipError_tT0_T1_T2_jT3_P12ihipStream_tbPNSt15iterator_traitsISK_E10value_typeEPNSQ_ISL_E10value_typeEPSM_NS1_7vsmem_tEENKUlT_SK_SL_SM_E_clISE_PiSF_SF_EESJ_SZ_SK_SL_SM_EUlSZ_E_NS1_11comp_targetILNS1_3genE0ELNS1_11target_archE4294967295ELNS1_3gpuE0ELNS1_3repE0EEENS1_48merge_mergepath_partition_config_static_selectorELNS0_4arch9wavefront6targetE1EEEvSL_,@function
_ZN7rocprim17ROCPRIM_400000_NS6detail17trampoline_kernelINS0_14default_configENS1_38merge_sort_block_merge_config_selectorIiNS0_10empty_typeEEEZZNS1_27merge_sort_block_merge_implIS3_N6thrust23THRUST_200600_302600_NS6detail15normal_iteratorINS9_10device_ptrIiEEEEPS5_jNS1_19radix_merge_compareILb0ELb0EiNS0_19identity_decomposerEEEEE10hipError_tT0_T1_T2_jT3_P12ihipStream_tbPNSt15iterator_traitsISK_E10value_typeEPNSQ_ISL_E10value_typeEPSM_NS1_7vsmem_tEENKUlT_SK_SL_SM_E_clISE_PiSF_SF_EESJ_SZ_SK_SL_SM_EUlSZ_E_NS1_11comp_targetILNS1_3genE0ELNS1_11target_archE4294967295ELNS1_3gpuE0ELNS1_3repE0EEENS1_48merge_mergepath_partition_config_static_selectorELNS0_4arch9wavefront6targetE1EEEvSL_: ; @_ZN7rocprim17ROCPRIM_400000_NS6detail17trampoline_kernelINS0_14default_configENS1_38merge_sort_block_merge_config_selectorIiNS0_10empty_typeEEEZZNS1_27merge_sort_block_merge_implIS3_N6thrust23THRUST_200600_302600_NS6detail15normal_iteratorINS9_10device_ptrIiEEEEPS5_jNS1_19radix_merge_compareILb0ELb0EiNS0_19identity_decomposerEEEEE10hipError_tT0_T1_T2_jT3_P12ihipStream_tbPNSt15iterator_traitsISK_E10value_typeEPNSQ_ISL_E10value_typeEPSM_NS1_7vsmem_tEENKUlT_SK_SL_SM_E_clISE_PiSF_SF_EESJ_SZ_SK_SL_SM_EUlSZ_E_NS1_11comp_targetILNS1_3genE0ELNS1_11target_archE4294967295ELNS1_3gpuE0ELNS1_3repE0EEENS1_48merge_mergepath_partition_config_static_selectorELNS0_4arch9wavefront6targetE1EEEvSL_
; %bb.0:
	s_load_dword s3, s[0:1], 0x0
	v_lshl_or_b32 v0, s2, 7, v0
	s_waitcnt lgkmcnt(0)
	v_cmp_gt_u32_e32 vcc, s3, v0
	s_and_saveexec_b64 s[2:3], vcc
	s_cbranch_execz .LBB43_6
; %bb.1:
	s_load_dwordx2 s[4:5], s[0:1], 0x4
	s_load_dwordx2 s[2:3], s[0:1], 0x20
	s_waitcnt lgkmcnt(0)
	s_lshr_b32 s6, s4, 9
	s_and_b32 s6, s6, 0x7ffffe
	s_add_i32 s7, s6, -1
	s_sub_i32 s6, 0, s6
	v_and_b32_e32 v1, s6, v0
	v_lshlrev_b32_e32 v1, 10, v1
	v_min_u32_e32 v2, s5, v1
	v_add_u32_e32 v1, s4, v1
	v_min_u32_e32 v4, s5, v1
	v_add_u32_e32 v1, s4, v4
	v_and_b32_e32 v3, s7, v0
	v_min_u32_e32 v1, s5, v1
	v_sub_u32_e32 v5, v1, v2
	v_lshlrev_b32_e32 v3, 10, v3
	v_min_u32_e32 v10, v5, v3
	v_sub_u32_e32 v3, v4, v2
	v_sub_u32_e32 v1, v1, v4
	v_sub_u32_e64 v1, v10, v1 clamp
	v_min_u32_e32 v11, v10, v3
	v_cmp_lt_u32_e32 vcc, v1, v11
	s_and_saveexec_b64 s[4:5], vcc
	s_cbranch_execz .LBB43_5
; %bb.2:
	s_load_dwordx2 s[0:1], s[0:1], 0x10
	v_mov_b32_e32 v5, 0
	v_mov_b32_e32 v3, v5
	s_waitcnt lgkmcnt(0)
	v_lshl_add_u64 v[6:7], v[2:3], 2, s[0:1]
	v_lshl_add_u64 v[8:9], v[4:5], 2, s[0:1]
	s_mov_b64 s[0:1], 0
.LBB43_3:                               ; =>This Inner Loop Header: Depth=1
	v_add_u32_e32 v3, v11, v1
	v_lshrrev_b32_e32 v4, 1, v3
	v_mov_b32_e32 v13, v5
	v_xad_u32 v12, v4, -1, v10
	v_lshl_add_u64 v[14:15], v[4:5], 2, v[6:7]
	v_lshl_add_u64 v[12:13], v[12:13], 2, v[8:9]
	flat_load_dword v3, v[14:15]
	flat_load_dword v16, v[12:13]
	v_add_u32_e32 v12, 1, v4
	s_waitcnt vmcnt(0) lgkmcnt(0)
	v_cmp_gt_i32_e32 vcc, v3, v16
	s_nop 1
	v_cndmask_b32_e32 v11, v11, v4, vcc
	v_cndmask_b32_e32 v1, v12, v1, vcc
	v_cmp_ge_u32_e32 vcc, v1, v11
	s_or_b64 s[0:1], vcc, s[0:1]
	s_andn2_b64 exec, exec, s[0:1]
	s_cbranch_execnz .LBB43_3
; %bb.4:
	s_or_b64 exec, exec, s[0:1]
.LBB43_5:
	s_or_b64 exec, exec, s[4:5]
	v_add_u32_e32 v2, v1, v2
	v_mov_b32_e32 v1, 0
	v_lshl_add_u64 v[0:1], v[0:1], 2, s[2:3]
	global_store_dword v[0:1], v2, off
.LBB43_6:
	s_endpgm
	.section	.rodata,"a",@progbits
	.p2align	6, 0x0
	.amdhsa_kernel _ZN7rocprim17ROCPRIM_400000_NS6detail17trampoline_kernelINS0_14default_configENS1_38merge_sort_block_merge_config_selectorIiNS0_10empty_typeEEEZZNS1_27merge_sort_block_merge_implIS3_N6thrust23THRUST_200600_302600_NS6detail15normal_iteratorINS9_10device_ptrIiEEEEPS5_jNS1_19radix_merge_compareILb0ELb0EiNS0_19identity_decomposerEEEEE10hipError_tT0_T1_T2_jT3_P12ihipStream_tbPNSt15iterator_traitsISK_E10value_typeEPNSQ_ISL_E10value_typeEPSM_NS1_7vsmem_tEENKUlT_SK_SL_SM_E_clISE_PiSF_SF_EESJ_SZ_SK_SL_SM_EUlSZ_E_NS1_11comp_targetILNS1_3genE0ELNS1_11target_archE4294967295ELNS1_3gpuE0ELNS1_3repE0EEENS1_48merge_mergepath_partition_config_static_selectorELNS0_4arch9wavefront6targetE1EEEvSL_
		.amdhsa_group_segment_fixed_size 0
		.amdhsa_private_segment_fixed_size 0
		.amdhsa_kernarg_size 40
		.amdhsa_user_sgpr_count 2
		.amdhsa_user_sgpr_dispatch_ptr 0
		.amdhsa_user_sgpr_queue_ptr 0
		.amdhsa_user_sgpr_kernarg_segment_ptr 1
		.amdhsa_user_sgpr_dispatch_id 0
		.amdhsa_user_sgpr_kernarg_preload_length 0
		.amdhsa_user_sgpr_kernarg_preload_offset 0
		.amdhsa_user_sgpr_private_segment_size 0
		.amdhsa_uses_dynamic_stack 0
		.amdhsa_enable_private_segment 0
		.amdhsa_system_sgpr_workgroup_id_x 1
		.amdhsa_system_sgpr_workgroup_id_y 0
		.amdhsa_system_sgpr_workgroup_id_z 0
		.amdhsa_system_sgpr_workgroup_info 0
		.amdhsa_system_vgpr_workitem_id 0
		.amdhsa_next_free_vgpr 17
		.amdhsa_next_free_sgpr 8
		.amdhsa_accum_offset 20
		.amdhsa_reserve_vcc 1
		.amdhsa_float_round_mode_32 0
		.amdhsa_float_round_mode_16_64 0
		.amdhsa_float_denorm_mode_32 3
		.amdhsa_float_denorm_mode_16_64 3
		.amdhsa_dx10_clamp 1
		.amdhsa_ieee_mode 1
		.amdhsa_fp16_overflow 0
		.amdhsa_tg_split 0
		.amdhsa_exception_fp_ieee_invalid_op 0
		.amdhsa_exception_fp_denorm_src 0
		.amdhsa_exception_fp_ieee_div_zero 0
		.amdhsa_exception_fp_ieee_overflow 0
		.amdhsa_exception_fp_ieee_underflow 0
		.amdhsa_exception_fp_ieee_inexact 0
		.amdhsa_exception_int_div_zero 0
	.end_amdhsa_kernel
	.section	.text._ZN7rocprim17ROCPRIM_400000_NS6detail17trampoline_kernelINS0_14default_configENS1_38merge_sort_block_merge_config_selectorIiNS0_10empty_typeEEEZZNS1_27merge_sort_block_merge_implIS3_N6thrust23THRUST_200600_302600_NS6detail15normal_iteratorINS9_10device_ptrIiEEEEPS5_jNS1_19radix_merge_compareILb0ELb0EiNS0_19identity_decomposerEEEEE10hipError_tT0_T1_T2_jT3_P12ihipStream_tbPNSt15iterator_traitsISK_E10value_typeEPNSQ_ISL_E10value_typeEPSM_NS1_7vsmem_tEENKUlT_SK_SL_SM_E_clISE_PiSF_SF_EESJ_SZ_SK_SL_SM_EUlSZ_E_NS1_11comp_targetILNS1_3genE0ELNS1_11target_archE4294967295ELNS1_3gpuE0ELNS1_3repE0EEENS1_48merge_mergepath_partition_config_static_selectorELNS0_4arch9wavefront6targetE1EEEvSL_,"axG",@progbits,_ZN7rocprim17ROCPRIM_400000_NS6detail17trampoline_kernelINS0_14default_configENS1_38merge_sort_block_merge_config_selectorIiNS0_10empty_typeEEEZZNS1_27merge_sort_block_merge_implIS3_N6thrust23THRUST_200600_302600_NS6detail15normal_iteratorINS9_10device_ptrIiEEEEPS5_jNS1_19radix_merge_compareILb0ELb0EiNS0_19identity_decomposerEEEEE10hipError_tT0_T1_T2_jT3_P12ihipStream_tbPNSt15iterator_traitsISK_E10value_typeEPNSQ_ISL_E10value_typeEPSM_NS1_7vsmem_tEENKUlT_SK_SL_SM_E_clISE_PiSF_SF_EESJ_SZ_SK_SL_SM_EUlSZ_E_NS1_11comp_targetILNS1_3genE0ELNS1_11target_archE4294967295ELNS1_3gpuE0ELNS1_3repE0EEENS1_48merge_mergepath_partition_config_static_selectorELNS0_4arch9wavefront6targetE1EEEvSL_,comdat
.Lfunc_end43:
	.size	_ZN7rocprim17ROCPRIM_400000_NS6detail17trampoline_kernelINS0_14default_configENS1_38merge_sort_block_merge_config_selectorIiNS0_10empty_typeEEEZZNS1_27merge_sort_block_merge_implIS3_N6thrust23THRUST_200600_302600_NS6detail15normal_iteratorINS9_10device_ptrIiEEEEPS5_jNS1_19radix_merge_compareILb0ELb0EiNS0_19identity_decomposerEEEEE10hipError_tT0_T1_T2_jT3_P12ihipStream_tbPNSt15iterator_traitsISK_E10value_typeEPNSQ_ISL_E10value_typeEPSM_NS1_7vsmem_tEENKUlT_SK_SL_SM_E_clISE_PiSF_SF_EESJ_SZ_SK_SL_SM_EUlSZ_E_NS1_11comp_targetILNS1_3genE0ELNS1_11target_archE4294967295ELNS1_3gpuE0ELNS1_3repE0EEENS1_48merge_mergepath_partition_config_static_selectorELNS0_4arch9wavefront6targetE1EEEvSL_, .Lfunc_end43-_ZN7rocprim17ROCPRIM_400000_NS6detail17trampoline_kernelINS0_14default_configENS1_38merge_sort_block_merge_config_selectorIiNS0_10empty_typeEEEZZNS1_27merge_sort_block_merge_implIS3_N6thrust23THRUST_200600_302600_NS6detail15normal_iteratorINS9_10device_ptrIiEEEEPS5_jNS1_19radix_merge_compareILb0ELb0EiNS0_19identity_decomposerEEEEE10hipError_tT0_T1_T2_jT3_P12ihipStream_tbPNSt15iterator_traitsISK_E10value_typeEPNSQ_ISL_E10value_typeEPSM_NS1_7vsmem_tEENKUlT_SK_SL_SM_E_clISE_PiSF_SF_EESJ_SZ_SK_SL_SM_EUlSZ_E_NS1_11comp_targetILNS1_3genE0ELNS1_11target_archE4294967295ELNS1_3gpuE0ELNS1_3repE0EEENS1_48merge_mergepath_partition_config_static_selectorELNS0_4arch9wavefront6targetE1EEEvSL_
                                        ; -- End function
	.set _ZN7rocprim17ROCPRIM_400000_NS6detail17trampoline_kernelINS0_14default_configENS1_38merge_sort_block_merge_config_selectorIiNS0_10empty_typeEEEZZNS1_27merge_sort_block_merge_implIS3_N6thrust23THRUST_200600_302600_NS6detail15normal_iteratorINS9_10device_ptrIiEEEEPS5_jNS1_19radix_merge_compareILb0ELb0EiNS0_19identity_decomposerEEEEE10hipError_tT0_T1_T2_jT3_P12ihipStream_tbPNSt15iterator_traitsISK_E10value_typeEPNSQ_ISL_E10value_typeEPSM_NS1_7vsmem_tEENKUlT_SK_SL_SM_E_clISE_PiSF_SF_EESJ_SZ_SK_SL_SM_EUlSZ_E_NS1_11comp_targetILNS1_3genE0ELNS1_11target_archE4294967295ELNS1_3gpuE0ELNS1_3repE0EEENS1_48merge_mergepath_partition_config_static_selectorELNS0_4arch9wavefront6targetE1EEEvSL_.num_vgpr, 17
	.set _ZN7rocprim17ROCPRIM_400000_NS6detail17trampoline_kernelINS0_14default_configENS1_38merge_sort_block_merge_config_selectorIiNS0_10empty_typeEEEZZNS1_27merge_sort_block_merge_implIS3_N6thrust23THRUST_200600_302600_NS6detail15normal_iteratorINS9_10device_ptrIiEEEEPS5_jNS1_19radix_merge_compareILb0ELb0EiNS0_19identity_decomposerEEEEE10hipError_tT0_T1_T2_jT3_P12ihipStream_tbPNSt15iterator_traitsISK_E10value_typeEPNSQ_ISL_E10value_typeEPSM_NS1_7vsmem_tEENKUlT_SK_SL_SM_E_clISE_PiSF_SF_EESJ_SZ_SK_SL_SM_EUlSZ_E_NS1_11comp_targetILNS1_3genE0ELNS1_11target_archE4294967295ELNS1_3gpuE0ELNS1_3repE0EEENS1_48merge_mergepath_partition_config_static_selectorELNS0_4arch9wavefront6targetE1EEEvSL_.num_agpr, 0
	.set _ZN7rocprim17ROCPRIM_400000_NS6detail17trampoline_kernelINS0_14default_configENS1_38merge_sort_block_merge_config_selectorIiNS0_10empty_typeEEEZZNS1_27merge_sort_block_merge_implIS3_N6thrust23THRUST_200600_302600_NS6detail15normal_iteratorINS9_10device_ptrIiEEEEPS5_jNS1_19radix_merge_compareILb0ELb0EiNS0_19identity_decomposerEEEEE10hipError_tT0_T1_T2_jT3_P12ihipStream_tbPNSt15iterator_traitsISK_E10value_typeEPNSQ_ISL_E10value_typeEPSM_NS1_7vsmem_tEENKUlT_SK_SL_SM_E_clISE_PiSF_SF_EESJ_SZ_SK_SL_SM_EUlSZ_E_NS1_11comp_targetILNS1_3genE0ELNS1_11target_archE4294967295ELNS1_3gpuE0ELNS1_3repE0EEENS1_48merge_mergepath_partition_config_static_selectorELNS0_4arch9wavefront6targetE1EEEvSL_.numbered_sgpr, 8
	.set _ZN7rocprim17ROCPRIM_400000_NS6detail17trampoline_kernelINS0_14default_configENS1_38merge_sort_block_merge_config_selectorIiNS0_10empty_typeEEEZZNS1_27merge_sort_block_merge_implIS3_N6thrust23THRUST_200600_302600_NS6detail15normal_iteratorINS9_10device_ptrIiEEEEPS5_jNS1_19radix_merge_compareILb0ELb0EiNS0_19identity_decomposerEEEEE10hipError_tT0_T1_T2_jT3_P12ihipStream_tbPNSt15iterator_traitsISK_E10value_typeEPNSQ_ISL_E10value_typeEPSM_NS1_7vsmem_tEENKUlT_SK_SL_SM_E_clISE_PiSF_SF_EESJ_SZ_SK_SL_SM_EUlSZ_E_NS1_11comp_targetILNS1_3genE0ELNS1_11target_archE4294967295ELNS1_3gpuE0ELNS1_3repE0EEENS1_48merge_mergepath_partition_config_static_selectorELNS0_4arch9wavefront6targetE1EEEvSL_.num_named_barrier, 0
	.set _ZN7rocprim17ROCPRIM_400000_NS6detail17trampoline_kernelINS0_14default_configENS1_38merge_sort_block_merge_config_selectorIiNS0_10empty_typeEEEZZNS1_27merge_sort_block_merge_implIS3_N6thrust23THRUST_200600_302600_NS6detail15normal_iteratorINS9_10device_ptrIiEEEEPS5_jNS1_19radix_merge_compareILb0ELb0EiNS0_19identity_decomposerEEEEE10hipError_tT0_T1_T2_jT3_P12ihipStream_tbPNSt15iterator_traitsISK_E10value_typeEPNSQ_ISL_E10value_typeEPSM_NS1_7vsmem_tEENKUlT_SK_SL_SM_E_clISE_PiSF_SF_EESJ_SZ_SK_SL_SM_EUlSZ_E_NS1_11comp_targetILNS1_3genE0ELNS1_11target_archE4294967295ELNS1_3gpuE0ELNS1_3repE0EEENS1_48merge_mergepath_partition_config_static_selectorELNS0_4arch9wavefront6targetE1EEEvSL_.private_seg_size, 0
	.set _ZN7rocprim17ROCPRIM_400000_NS6detail17trampoline_kernelINS0_14default_configENS1_38merge_sort_block_merge_config_selectorIiNS0_10empty_typeEEEZZNS1_27merge_sort_block_merge_implIS3_N6thrust23THRUST_200600_302600_NS6detail15normal_iteratorINS9_10device_ptrIiEEEEPS5_jNS1_19radix_merge_compareILb0ELb0EiNS0_19identity_decomposerEEEEE10hipError_tT0_T1_T2_jT3_P12ihipStream_tbPNSt15iterator_traitsISK_E10value_typeEPNSQ_ISL_E10value_typeEPSM_NS1_7vsmem_tEENKUlT_SK_SL_SM_E_clISE_PiSF_SF_EESJ_SZ_SK_SL_SM_EUlSZ_E_NS1_11comp_targetILNS1_3genE0ELNS1_11target_archE4294967295ELNS1_3gpuE0ELNS1_3repE0EEENS1_48merge_mergepath_partition_config_static_selectorELNS0_4arch9wavefront6targetE1EEEvSL_.uses_vcc, 1
	.set _ZN7rocprim17ROCPRIM_400000_NS6detail17trampoline_kernelINS0_14default_configENS1_38merge_sort_block_merge_config_selectorIiNS0_10empty_typeEEEZZNS1_27merge_sort_block_merge_implIS3_N6thrust23THRUST_200600_302600_NS6detail15normal_iteratorINS9_10device_ptrIiEEEEPS5_jNS1_19radix_merge_compareILb0ELb0EiNS0_19identity_decomposerEEEEE10hipError_tT0_T1_T2_jT3_P12ihipStream_tbPNSt15iterator_traitsISK_E10value_typeEPNSQ_ISL_E10value_typeEPSM_NS1_7vsmem_tEENKUlT_SK_SL_SM_E_clISE_PiSF_SF_EESJ_SZ_SK_SL_SM_EUlSZ_E_NS1_11comp_targetILNS1_3genE0ELNS1_11target_archE4294967295ELNS1_3gpuE0ELNS1_3repE0EEENS1_48merge_mergepath_partition_config_static_selectorELNS0_4arch9wavefront6targetE1EEEvSL_.uses_flat_scratch, 0
	.set _ZN7rocprim17ROCPRIM_400000_NS6detail17trampoline_kernelINS0_14default_configENS1_38merge_sort_block_merge_config_selectorIiNS0_10empty_typeEEEZZNS1_27merge_sort_block_merge_implIS3_N6thrust23THRUST_200600_302600_NS6detail15normal_iteratorINS9_10device_ptrIiEEEEPS5_jNS1_19radix_merge_compareILb0ELb0EiNS0_19identity_decomposerEEEEE10hipError_tT0_T1_T2_jT3_P12ihipStream_tbPNSt15iterator_traitsISK_E10value_typeEPNSQ_ISL_E10value_typeEPSM_NS1_7vsmem_tEENKUlT_SK_SL_SM_E_clISE_PiSF_SF_EESJ_SZ_SK_SL_SM_EUlSZ_E_NS1_11comp_targetILNS1_3genE0ELNS1_11target_archE4294967295ELNS1_3gpuE0ELNS1_3repE0EEENS1_48merge_mergepath_partition_config_static_selectorELNS0_4arch9wavefront6targetE1EEEvSL_.has_dyn_sized_stack, 0
	.set _ZN7rocprim17ROCPRIM_400000_NS6detail17trampoline_kernelINS0_14default_configENS1_38merge_sort_block_merge_config_selectorIiNS0_10empty_typeEEEZZNS1_27merge_sort_block_merge_implIS3_N6thrust23THRUST_200600_302600_NS6detail15normal_iteratorINS9_10device_ptrIiEEEEPS5_jNS1_19radix_merge_compareILb0ELb0EiNS0_19identity_decomposerEEEEE10hipError_tT0_T1_T2_jT3_P12ihipStream_tbPNSt15iterator_traitsISK_E10value_typeEPNSQ_ISL_E10value_typeEPSM_NS1_7vsmem_tEENKUlT_SK_SL_SM_E_clISE_PiSF_SF_EESJ_SZ_SK_SL_SM_EUlSZ_E_NS1_11comp_targetILNS1_3genE0ELNS1_11target_archE4294967295ELNS1_3gpuE0ELNS1_3repE0EEENS1_48merge_mergepath_partition_config_static_selectorELNS0_4arch9wavefront6targetE1EEEvSL_.has_recursion, 0
	.set _ZN7rocprim17ROCPRIM_400000_NS6detail17trampoline_kernelINS0_14default_configENS1_38merge_sort_block_merge_config_selectorIiNS0_10empty_typeEEEZZNS1_27merge_sort_block_merge_implIS3_N6thrust23THRUST_200600_302600_NS6detail15normal_iteratorINS9_10device_ptrIiEEEEPS5_jNS1_19radix_merge_compareILb0ELb0EiNS0_19identity_decomposerEEEEE10hipError_tT0_T1_T2_jT3_P12ihipStream_tbPNSt15iterator_traitsISK_E10value_typeEPNSQ_ISL_E10value_typeEPSM_NS1_7vsmem_tEENKUlT_SK_SL_SM_E_clISE_PiSF_SF_EESJ_SZ_SK_SL_SM_EUlSZ_E_NS1_11comp_targetILNS1_3genE0ELNS1_11target_archE4294967295ELNS1_3gpuE0ELNS1_3repE0EEENS1_48merge_mergepath_partition_config_static_selectorELNS0_4arch9wavefront6targetE1EEEvSL_.has_indirect_call, 0
	.section	.AMDGPU.csdata,"",@progbits
; Kernel info:
; codeLenInByte = 316
; TotalNumSgprs: 14
; NumVgprs: 17
; NumAgprs: 0
; TotalNumVgprs: 17
; ScratchSize: 0
; MemoryBound: 0
; FloatMode: 240
; IeeeMode: 1
; LDSByteSize: 0 bytes/workgroup (compile time only)
; SGPRBlocks: 1
; VGPRBlocks: 2
; NumSGPRsForWavesPerEU: 14
; NumVGPRsForWavesPerEU: 17
; AccumOffset: 20
; Occupancy: 8
; WaveLimiterHint : 0
; COMPUTE_PGM_RSRC2:SCRATCH_EN: 0
; COMPUTE_PGM_RSRC2:USER_SGPR: 2
; COMPUTE_PGM_RSRC2:TRAP_HANDLER: 0
; COMPUTE_PGM_RSRC2:TGID_X_EN: 1
; COMPUTE_PGM_RSRC2:TGID_Y_EN: 0
; COMPUTE_PGM_RSRC2:TGID_Z_EN: 0
; COMPUTE_PGM_RSRC2:TIDIG_COMP_CNT: 0
; COMPUTE_PGM_RSRC3_GFX90A:ACCUM_OFFSET: 4
; COMPUTE_PGM_RSRC3_GFX90A:TG_SPLIT: 0
	.section	.text._ZN7rocprim17ROCPRIM_400000_NS6detail17trampoline_kernelINS0_14default_configENS1_38merge_sort_block_merge_config_selectorIiNS0_10empty_typeEEEZZNS1_27merge_sort_block_merge_implIS3_N6thrust23THRUST_200600_302600_NS6detail15normal_iteratorINS9_10device_ptrIiEEEEPS5_jNS1_19radix_merge_compareILb0ELb0EiNS0_19identity_decomposerEEEEE10hipError_tT0_T1_T2_jT3_P12ihipStream_tbPNSt15iterator_traitsISK_E10value_typeEPNSQ_ISL_E10value_typeEPSM_NS1_7vsmem_tEENKUlT_SK_SL_SM_E_clISE_PiSF_SF_EESJ_SZ_SK_SL_SM_EUlSZ_E_NS1_11comp_targetILNS1_3genE10ELNS1_11target_archE1201ELNS1_3gpuE5ELNS1_3repE0EEENS1_48merge_mergepath_partition_config_static_selectorELNS0_4arch9wavefront6targetE1EEEvSL_,"axG",@progbits,_ZN7rocprim17ROCPRIM_400000_NS6detail17trampoline_kernelINS0_14default_configENS1_38merge_sort_block_merge_config_selectorIiNS0_10empty_typeEEEZZNS1_27merge_sort_block_merge_implIS3_N6thrust23THRUST_200600_302600_NS6detail15normal_iteratorINS9_10device_ptrIiEEEEPS5_jNS1_19radix_merge_compareILb0ELb0EiNS0_19identity_decomposerEEEEE10hipError_tT0_T1_T2_jT3_P12ihipStream_tbPNSt15iterator_traitsISK_E10value_typeEPNSQ_ISL_E10value_typeEPSM_NS1_7vsmem_tEENKUlT_SK_SL_SM_E_clISE_PiSF_SF_EESJ_SZ_SK_SL_SM_EUlSZ_E_NS1_11comp_targetILNS1_3genE10ELNS1_11target_archE1201ELNS1_3gpuE5ELNS1_3repE0EEENS1_48merge_mergepath_partition_config_static_selectorELNS0_4arch9wavefront6targetE1EEEvSL_,comdat
	.protected	_ZN7rocprim17ROCPRIM_400000_NS6detail17trampoline_kernelINS0_14default_configENS1_38merge_sort_block_merge_config_selectorIiNS0_10empty_typeEEEZZNS1_27merge_sort_block_merge_implIS3_N6thrust23THRUST_200600_302600_NS6detail15normal_iteratorINS9_10device_ptrIiEEEEPS5_jNS1_19radix_merge_compareILb0ELb0EiNS0_19identity_decomposerEEEEE10hipError_tT0_T1_T2_jT3_P12ihipStream_tbPNSt15iterator_traitsISK_E10value_typeEPNSQ_ISL_E10value_typeEPSM_NS1_7vsmem_tEENKUlT_SK_SL_SM_E_clISE_PiSF_SF_EESJ_SZ_SK_SL_SM_EUlSZ_E_NS1_11comp_targetILNS1_3genE10ELNS1_11target_archE1201ELNS1_3gpuE5ELNS1_3repE0EEENS1_48merge_mergepath_partition_config_static_selectorELNS0_4arch9wavefront6targetE1EEEvSL_ ; -- Begin function _ZN7rocprim17ROCPRIM_400000_NS6detail17trampoline_kernelINS0_14default_configENS1_38merge_sort_block_merge_config_selectorIiNS0_10empty_typeEEEZZNS1_27merge_sort_block_merge_implIS3_N6thrust23THRUST_200600_302600_NS6detail15normal_iteratorINS9_10device_ptrIiEEEEPS5_jNS1_19radix_merge_compareILb0ELb0EiNS0_19identity_decomposerEEEEE10hipError_tT0_T1_T2_jT3_P12ihipStream_tbPNSt15iterator_traitsISK_E10value_typeEPNSQ_ISL_E10value_typeEPSM_NS1_7vsmem_tEENKUlT_SK_SL_SM_E_clISE_PiSF_SF_EESJ_SZ_SK_SL_SM_EUlSZ_E_NS1_11comp_targetILNS1_3genE10ELNS1_11target_archE1201ELNS1_3gpuE5ELNS1_3repE0EEENS1_48merge_mergepath_partition_config_static_selectorELNS0_4arch9wavefront6targetE1EEEvSL_
	.globl	_ZN7rocprim17ROCPRIM_400000_NS6detail17trampoline_kernelINS0_14default_configENS1_38merge_sort_block_merge_config_selectorIiNS0_10empty_typeEEEZZNS1_27merge_sort_block_merge_implIS3_N6thrust23THRUST_200600_302600_NS6detail15normal_iteratorINS9_10device_ptrIiEEEEPS5_jNS1_19radix_merge_compareILb0ELb0EiNS0_19identity_decomposerEEEEE10hipError_tT0_T1_T2_jT3_P12ihipStream_tbPNSt15iterator_traitsISK_E10value_typeEPNSQ_ISL_E10value_typeEPSM_NS1_7vsmem_tEENKUlT_SK_SL_SM_E_clISE_PiSF_SF_EESJ_SZ_SK_SL_SM_EUlSZ_E_NS1_11comp_targetILNS1_3genE10ELNS1_11target_archE1201ELNS1_3gpuE5ELNS1_3repE0EEENS1_48merge_mergepath_partition_config_static_selectorELNS0_4arch9wavefront6targetE1EEEvSL_
	.p2align	8
	.type	_ZN7rocprim17ROCPRIM_400000_NS6detail17trampoline_kernelINS0_14default_configENS1_38merge_sort_block_merge_config_selectorIiNS0_10empty_typeEEEZZNS1_27merge_sort_block_merge_implIS3_N6thrust23THRUST_200600_302600_NS6detail15normal_iteratorINS9_10device_ptrIiEEEEPS5_jNS1_19radix_merge_compareILb0ELb0EiNS0_19identity_decomposerEEEEE10hipError_tT0_T1_T2_jT3_P12ihipStream_tbPNSt15iterator_traitsISK_E10value_typeEPNSQ_ISL_E10value_typeEPSM_NS1_7vsmem_tEENKUlT_SK_SL_SM_E_clISE_PiSF_SF_EESJ_SZ_SK_SL_SM_EUlSZ_E_NS1_11comp_targetILNS1_3genE10ELNS1_11target_archE1201ELNS1_3gpuE5ELNS1_3repE0EEENS1_48merge_mergepath_partition_config_static_selectorELNS0_4arch9wavefront6targetE1EEEvSL_,@function
_ZN7rocprim17ROCPRIM_400000_NS6detail17trampoline_kernelINS0_14default_configENS1_38merge_sort_block_merge_config_selectorIiNS0_10empty_typeEEEZZNS1_27merge_sort_block_merge_implIS3_N6thrust23THRUST_200600_302600_NS6detail15normal_iteratorINS9_10device_ptrIiEEEEPS5_jNS1_19radix_merge_compareILb0ELb0EiNS0_19identity_decomposerEEEEE10hipError_tT0_T1_T2_jT3_P12ihipStream_tbPNSt15iterator_traitsISK_E10value_typeEPNSQ_ISL_E10value_typeEPSM_NS1_7vsmem_tEENKUlT_SK_SL_SM_E_clISE_PiSF_SF_EESJ_SZ_SK_SL_SM_EUlSZ_E_NS1_11comp_targetILNS1_3genE10ELNS1_11target_archE1201ELNS1_3gpuE5ELNS1_3repE0EEENS1_48merge_mergepath_partition_config_static_selectorELNS0_4arch9wavefront6targetE1EEEvSL_: ; @_ZN7rocprim17ROCPRIM_400000_NS6detail17trampoline_kernelINS0_14default_configENS1_38merge_sort_block_merge_config_selectorIiNS0_10empty_typeEEEZZNS1_27merge_sort_block_merge_implIS3_N6thrust23THRUST_200600_302600_NS6detail15normal_iteratorINS9_10device_ptrIiEEEEPS5_jNS1_19radix_merge_compareILb0ELb0EiNS0_19identity_decomposerEEEEE10hipError_tT0_T1_T2_jT3_P12ihipStream_tbPNSt15iterator_traitsISK_E10value_typeEPNSQ_ISL_E10value_typeEPSM_NS1_7vsmem_tEENKUlT_SK_SL_SM_E_clISE_PiSF_SF_EESJ_SZ_SK_SL_SM_EUlSZ_E_NS1_11comp_targetILNS1_3genE10ELNS1_11target_archE1201ELNS1_3gpuE5ELNS1_3repE0EEENS1_48merge_mergepath_partition_config_static_selectorELNS0_4arch9wavefront6targetE1EEEvSL_
; %bb.0:
	.section	.rodata,"a",@progbits
	.p2align	6, 0x0
	.amdhsa_kernel _ZN7rocprim17ROCPRIM_400000_NS6detail17trampoline_kernelINS0_14default_configENS1_38merge_sort_block_merge_config_selectorIiNS0_10empty_typeEEEZZNS1_27merge_sort_block_merge_implIS3_N6thrust23THRUST_200600_302600_NS6detail15normal_iteratorINS9_10device_ptrIiEEEEPS5_jNS1_19radix_merge_compareILb0ELb0EiNS0_19identity_decomposerEEEEE10hipError_tT0_T1_T2_jT3_P12ihipStream_tbPNSt15iterator_traitsISK_E10value_typeEPNSQ_ISL_E10value_typeEPSM_NS1_7vsmem_tEENKUlT_SK_SL_SM_E_clISE_PiSF_SF_EESJ_SZ_SK_SL_SM_EUlSZ_E_NS1_11comp_targetILNS1_3genE10ELNS1_11target_archE1201ELNS1_3gpuE5ELNS1_3repE0EEENS1_48merge_mergepath_partition_config_static_selectorELNS0_4arch9wavefront6targetE1EEEvSL_
		.amdhsa_group_segment_fixed_size 0
		.amdhsa_private_segment_fixed_size 0
		.amdhsa_kernarg_size 40
		.amdhsa_user_sgpr_count 2
		.amdhsa_user_sgpr_dispatch_ptr 0
		.amdhsa_user_sgpr_queue_ptr 0
		.amdhsa_user_sgpr_kernarg_segment_ptr 1
		.amdhsa_user_sgpr_dispatch_id 0
		.amdhsa_user_sgpr_kernarg_preload_length 0
		.amdhsa_user_sgpr_kernarg_preload_offset 0
		.amdhsa_user_sgpr_private_segment_size 0
		.amdhsa_uses_dynamic_stack 0
		.amdhsa_enable_private_segment 0
		.amdhsa_system_sgpr_workgroup_id_x 1
		.amdhsa_system_sgpr_workgroup_id_y 0
		.amdhsa_system_sgpr_workgroup_id_z 0
		.amdhsa_system_sgpr_workgroup_info 0
		.amdhsa_system_vgpr_workitem_id 0
		.amdhsa_next_free_vgpr 1
		.amdhsa_next_free_sgpr 0
		.amdhsa_accum_offset 4
		.amdhsa_reserve_vcc 0
		.amdhsa_float_round_mode_32 0
		.amdhsa_float_round_mode_16_64 0
		.amdhsa_float_denorm_mode_32 3
		.amdhsa_float_denorm_mode_16_64 3
		.amdhsa_dx10_clamp 1
		.amdhsa_ieee_mode 1
		.amdhsa_fp16_overflow 0
		.amdhsa_tg_split 0
		.amdhsa_exception_fp_ieee_invalid_op 0
		.amdhsa_exception_fp_denorm_src 0
		.amdhsa_exception_fp_ieee_div_zero 0
		.amdhsa_exception_fp_ieee_overflow 0
		.amdhsa_exception_fp_ieee_underflow 0
		.amdhsa_exception_fp_ieee_inexact 0
		.amdhsa_exception_int_div_zero 0
	.end_amdhsa_kernel
	.section	.text._ZN7rocprim17ROCPRIM_400000_NS6detail17trampoline_kernelINS0_14default_configENS1_38merge_sort_block_merge_config_selectorIiNS0_10empty_typeEEEZZNS1_27merge_sort_block_merge_implIS3_N6thrust23THRUST_200600_302600_NS6detail15normal_iteratorINS9_10device_ptrIiEEEEPS5_jNS1_19radix_merge_compareILb0ELb0EiNS0_19identity_decomposerEEEEE10hipError_tT0_T1_T2_jT3_P12ihipStream_tbPNSt15iterator_traitsISK_E10value_typeEPNSQ_ISL_E10value_typeEPSM_NS1_7vsmem_tEENKUlT_SK_SL_SM_E_clISE_PiSF_SF_EESJ_SZ_SK_SL_SM_EUlSZ_E_NS1_11comp_targetILNS1_3genE10ELNS1_11target_archE1201ELNS1_3gpuE5ELNS1_3repE0EEENS1_48merge_mergepath_partition_config_static_selectorELNS0_4arch9wavefront6targetE1EEEvSL_,"axG",@progbits,_ZN7rocprim17ROCPRIM_400000_NS6detail17trampoline_kernelINS0_14default_configENS1_38merge_sort_block_merge_config_selectorIiNS0_10empty_typeEEEZZNS1_27merge_sort_block_merge_implIS3_N6thrust23THRUST_200600_302600_NS6detail15normal_iteratorINS9_10device_ptrIiEEEEPS5_jNS1_19radix_merge_compareILb0ELb0EiNS0_19identity_decomposerEEEEE10hipError_tT0_T1_T2_jT3_P12ihipStream_tbPNSt15iterator_traitsISK_E10value_typeEPNSQ_ISL_E10value_typeEPSM_NS1_7vsmem_tEENKUlT_SK_SL_SM_E_clISE_PiSF_SF_EESJ_SZ_SK_SL_SM_EUlSZ_E_NS1_11comp_targetILNS1_3genE10ELNS1_11target_archE1201ELNS1_3gpuE5ELNS1_3repE0EEENS1_48merge_mergepath_partition_config_static_selectorELNS0_4arch9wavefront6targetE1EEEvSL_,comdat
.Lfunc_end44:
	.size	_ZN7rocprim17ROCPRIM_400000_NS6detail17trampoline_kernelINS0_14default_configENS1_38merge_sort_block_merge_config_selectorIiNS0_10empty_typeEEEZZNS1_27merge_sort_block_merge_implIS3_N6thrust23THRUST_200600_302600_NS6detail15normal_iteratorINS9_10device_ptrIiEEEEPS5_jNS1_19radix_merge_compareILb0ELb0EiNS0_19identity_decomposerEEEEE10hipError_tT0_T1_T2_jT3_P12ihipStream_tbPNSt15iterator_traitsISK_E10value_typeEPNSQ_ISL_E10value_typeEPSM_NS1_7vsmem_tEENKUlT_SK_SL_SM_E_clISE_PiSF_SF_EESJ_SZ_SK_SL_SM_EUlSZ_E_NS1_11comp_targetILNS1_3genE10ELNS1_11target_archE1201ELNS1_3gpuE5ELNS1_3repE0EEENS1_48merge_mergepath_partition_config_static_selectorELNS0_4arch9wavefront6targetE1EEEvSL_, .Lfunc_end44-_ZN7rocprim17ROCPRIM_400000_NS6detail17trampoline_kernelINS0_14default_configENS1_38merge_sort_block_merge_config_selectorIiNS0_10empty_typeEEEZZNS1_27merge_sort_block_merge_implIS3_N6thrust23THRUST_200600_302600_NS6detail15normal_iteratorINS9_10device_ptrIiEEEEPS5_jNS1_19radix_merge_compareILb0ELb0EiNS0_19identity_decomposerEEEEE10hipError_tT0_T1_T2_jT3_P12ihipStream_tbPNSt15iterator_traitsISK_E10value_typeEPNSQ_ISL_E10value_typeEPSM_NS1_7vsmem_tEENKUlT_SK_SL_SM_E_clISE_PiSF_SF_EESJ_SZ_SK_SL_SM_EUlSZ_E_NS1_11comp_targetILNS1_3genE10ELNS1_11target_archE1201ELNS1_3gpuE5ELNS1_3repE0EEENS1_48merge_mergepath_partition_config_static_selectorELNS0_4arch9wavefront6targetE1EEEvSL_
                                        ; -- End function
	.set _ZN7rocprim17ROCPRIM_400000_NS6detail17trampoline_kernelINS0_14default_configENS1_38merge_sort_block_merge_config_selectorIiNS0_10empty_typeEEEZZNS1_27merge_sort_block_merge_implIS3_N6thrust23THRUST_200600_302600_NS6detail15normal_iteratorINS9_10device_ptrIiEEEEPS5_jNS1_19radix_merge_compareILb0ELb0EiNS0_19identity_decomposerEEEEE10hipError_tT0_T1_T2_jT3_P12ihipStream_tbPNSt15iterator_traitsISK_E10value_typeEPNSQ_ISL_E10value_typeEPSM_NS1_7vsmem_tEENKUlT_SK_SL_SM_E_clISE_PiSF_SF_EESJ_SZ_SK_SL_SM_EUlSZ_E_NS1_11comp_targetILNS1_3genE10ELNS1_11target_archE1201ELNS1_3gpuE5ELNS1_3repE0EEENS1_48merge_mergepath_partition_config_static_selectorELNS0_4arch9wavefront6targetE1EEEvSL_.num_vgpr, 0
	.set _ZN7rocprim17ROCPRIM_400000_NS6detail17trampoline_kernelINS0_14default_configENS1_38merge_sort_block_merge_config_selectorIiNS0_10empty_typeEEEZZNS1_27merge_sort_block_merge_implIS3_N6thrust23THRUST_200600_302600_NS6detail15normal_iteratorINS9_10device_ptrIiEEEEPS5_jNS1_19radix_merge_compareILb0ELb0EiNS0_19identity_decomposerEEEEE10hipError_tT0_T1_T2_jT3_P12ihipStream_tbPNSt15iterator_traitsISK_E10value_typeEPNSQ_ISL_E10value_typeEPSM_NS1_7vsmem_tEENKUlT_SK_SL_SM_E_clISE_PiSF_SF_EESJ_SZ_SK_SL_SM_EUlSZ_E_NS1_11comp_targetILNS1_3genE10ELNS1_11target_archE1201ELNS1_3gpuE5ELNS1_3repE0EEENS1_48merge_mergepath_partition_config_static_selectorELNS0_4arch9wavefront6targetE1EEEvSL_.num_agpr, 0
	.set _ZN7rocprim17ROCPRIM_400000_NS6detail17trampoline_kernelINS0_14default_configENS1_38merge_sort_block_merge_config_selectorIiNS0_10empty_typeEEEZZNS1_27merge_sort_block_merge_implIS3_N6thrust23THRUST_200600_302600_NS6detail15normal_iteratorINS9_10device_ptrIiEEEEPS5_jNS1_19radix_merge_compareILb0ELb0EiNS0_19identity_decomposerEEEEE10hipError_tT0_T1_T2_jT3_P12ihipStream_tbPNSt15iterator_traitsISK_E10value_typeEPNSQ_ISL_E10value_typeEPSM_NS1_7vsmem_tEENKUlT_SK_SL_SM_E_clISE_PiSF_SF_EESJ_SZ_SK_SL_SM_EUlSZ_E_NS1_11comp_targetILNS1_3genE10ELNS1_11target_archE1201ELNS1_3gpuE5ELNS1_3repE0EEENS1_48merge_mergepath_partition_config_static_selectorELNS0_4arch9wavefront6targetE1EEEvSL_.numbered_sgpr, 0
	.set _ZN7rocprim17ROCPRIM_400000_NS6detail17trampoline_kernelINS0_14default_configENS1_38merge_sort_block_merge_config_selectorIiNS0_10empty_typeEEEZZNS1_27merge_sort_block_merge_implIS3_N6thrust23THRUST_200600_302600_NS6detail15normal_iteratorINS9_10device_ptrIiEEEEPS5_jNS1_19radix_merge_compareILb0ELb0EiNS0_19identity_decomposerEEEEE10hipError_tT0_T1_T2_jT3_P12ihipStream_tbPNSt15iterator_traitsISK_E10value_typeEPNSQ_ISL_E10value_typeEPSM_NS1_7vsmem_tEENKUlT_SK_SL_SM_E_clISE_PiSF_SF_EESJ_SZ_SK_SL_SM_EUlSZ_E_NS1_11comp_targetILNS1_3genE10ELNS1_11target_archE1201ELNS1_3gpuE5ELNS1_3repE0EEENS1_48merge_mergepath_partition_config_static_selectorELNS0_4arch9wavefront6targetE1EEEvSL_.num_named_barrier, 0
	.set _ZN7rocprim17ROCPRIM_400000_NS6detail17trampoline_kernelINS0_14default_configENS1_38merge_sort_block_merge_config_selectorIiNS0_10empty_typeEEEZZNS1_27merge_sort_block_merge_implIS3_N6thrust23THRUST_200600_302600_NS6detail15normal_iteratorINS9_10device_ptrIiEEEEPS5_jNS1_19radix_merge_compareILb0ELb0EiNS0_19identity_decomposerEEEEE10hipError_tT0_T1_T2_jT3_P12ihipStream_tbPNSt15iterator_traitsISK_E10value_typeEPNSQ_ISL_E10value_typeEPSM_NS1_7vsmem_tEENKUlT_SK_SL_SM_E_clISE_PiSF_SF_EESJ_SZ_SK_SL_SM_EUlSZ_E_NS1_11comp_targetILNS1_3genE10ELNS1_11target_archE1201ELNS1_3gpuE5ELNS1_3repE0EEENS1_48merge_mergepath_partition_config_static_selectorELNS0_4arch9wavefront6targetE1EEEvSL_.private_seg_size, 0
	.set _ZN7rocprim17ROCPRIM_400000_NS6detail17trampoline_kernelINS0_14default_configENS1_38merge_sort_block_merge_config_selectorIiNS0_10empty_typeEEEZZNS1_27merge_sort_block_merge_implIS3_N6thrust23THRUST_200600_302600_NS6detail15normal_iteratorINS9_10device_ptrIiEEEEPS5_jNS1_19radix_merge_compareILb0ELb0EiNS0_19identity_decomposerEEEEE10hipError_tT0_T1_T2_jT3_P12ihipStream_tbPNSt15iterator_traitsISK_E10value_typeEPNSQ_ISL_E10value_typeEPSM_NS1_7vsmem_tEENKUlT_SK_SL_SM_E_clISE_PiSF_SF_EESJ_SZ_SK_SL_SM_EUlSZ_E_NS1_11comp_targetILNS1_3genE10ELNS1_11target_archE1201ELNS1_3gpuE5ELNS1_3repE0EEENS1_48merge_mergepath_partition_config_static_selectorELNS0_4arch9wavefront6targetE1EEEvSL_.uses_vcc, 0
	.set _ZN7rocprim17ROCPRIM_400000_NS6detail17trampoline_kernelINS0_14default_configENS1_38merge_sort_block_merge_config_selectorIiNS0_10empty_typeEEEZZNS1_27merge_sort_block_merge_implIS3_N6thrust23THRUST_200600_302600_NS6detail15normal_iteratorINS9_10device_ptrIiEEEEPS5_jNS1_19radix_merge_compareILb0ELb0EiNS0_19identity_decomposerEEEEE10hipError_tT0_T1_T2_jT3_P12ihipStream_tbPNSt15iterator_traitsISK_E10value_typeEPNSQ_ISL_E10value_typeEPSM_NS1_7vsmem_tEENKUlT_SK_SL_SM_E_clISE_PiSF_SF_EESJ_SZ_SK_SL_SM_EUlSZ_E_NS1_11comp_targetILNS1_3genE10ELNS1_11target_archE1201ELNS1_3gpuE5ELNS1_3repE0EEENS1_48merge_mergepath_partition_config_static_selectorELNS0_4arch9wavefront6targetE1EEEvSL_.uses_flat_scratch, 0
	.set _ZN7rocprim17ROCPRIM_400000_NS6detail17trampoline_kernelINS0_14default_configENS1_38merge_sort_block_merge_config_selectorIiNS0_10empty_typeEEEZZNS1_27merge_sort_block_merge_implIS3_N6thrust23THRUST_200600_302600_NS6detail15normal_iteratorINS9_10device_ptrIiEEEEPS5_jNS1_19radix_merge_compareILb0ELb0EiNS0_19identity_decomposerEEEEE10hipError_tT0_T1_T2_jT3_P12ihipStream_tbPNSt15iterator_traitsISK_E10value_typeEPNSQ_ISL_E10value_typeEPSM_NS1_7vsmem_tEENKUlT_SK_SL_SM_E_clISE_PiSF_SF_EESJ_SZ_SK_SL_SM_EUlSZ_E_NS1_11comp_targetILNS1_3genE10ELNS1_11target_archE1201ELNS1_3gpuE5ELNS1_3repE0EEENS1_48merge_mergepath_partition_config_static_selectorELNS0_4arch9wavefront6targetE1EEEvSL_.has_dyn_sized_stack, 0
	.set _ZN7rocprim17ROCPRIM_400000_NS6detail17trampoline_kernelINS0_14default_configENS1_38merge_sort_block_merge_config_selectorIiNS0_10empty_typeEEEZZNS1_27merge_sort_block_merge_implIS3_N6thrust23THRUST_200600_302600_NS6detail15normal_iteratorINS9_10device_ptrIiEEEEPS5_jNS1_19radix_merge_compareILb0ELb0EiNS0_19identity_decomposerEEEEE10hipError_tT0_T1_T2_jT3_P12ihipStream_tbPNSt15iterator_traitsISK_E10value_typeEPNSQ_ISL_E10value_typeEPSM_NS1_7vsmem_tEENKUlT_SK_SL_SM_E_clISE_PiSF_SF_EESJ_SZ_SK_SL_SM_EUlSZ_E_NS1_11comp_targetILNS1_3genE10ELNS1_11target_archE1201ELNS1_3gpuE5ELNS1_3repE0EEENS1_48merge_mergepath_partition_config_static_selectorELNS0_4arch9wavefront6targetE1EEEvSL_.has_recursion, 0
	.set _ZN7rocprim17ROCPRIM_400000_NS6detail17trampoline_kernelINS0_14default_configENS1_38merge_sort_block_merge_config_selectorIiNS0_10empty_typeEEEZZNS1_27merge_sort_block_merge_implIS3_N6thrust23THRUST_200600_302600_NS6detail15normal_iteratorINS9_10device_ptrIiEEEEPS5_jNS1_19radix_merge_compareILb0ELb0EiNS0_19identity_decomposerEEEEE10hipError_tT0_T1_T2_jT3_P12ihipStream_tbPNSt15iterator_traitsISK_E10value_typeEPNSQ_ISL_E10value_typeEPSM_NS1_7vsmem_tEENKUlT_SK_SL_SM_E_clISE_PiSF_SF_EESJ_SZ_SK_SL_SM_EUlSZ_E_NS1_11comp_targetILNS1_3genE10ELNS1_11target_archE1201ELNS1_3gpuE5ELNS1_3repE0EEENS1_48merge_mergepath_partition_config_static_selectorELNS0_4arch9wavefront6targetE1EEEvSL_.has_indirect_call, 0
	.section	.AMDGPU.csdata,"",@progbits
; Kernel info:
; codeLenInByte = 0
; TotalNumSgprs: 6
; NumVgprs: 0
; NumAgprs: 0
; TotalNumVgprs: 0
; ScratchSize: 0
; MemoryBound: 0
; FloatMode: 240
; IeeeMode: 1
; LDSByteSize: 0 bytes/workgroup (compile time only)
; SGPRBlocks: 0
; VGPRBlocks: 0
; NumSGPRsForWavesPerEU: 6
; NumVGPRsForWavesPerEU: 1
; AccumOffset: 4
; Occupancy: 8
; WaveLimiterHint : 0
; COMPUTE_PGM_RSRC2:SCRATCH_EN: 0
; COMPUTE_PGM_RSRC2:USER_SGPR: 2
; COMPUTE_PGM_RSRC2:TRAP_HANDLER: 0
; COMPUTE_PGM_RSRC2:TGID_X_EN: 1
; COMPUTE_PGM_RSRC2:TGID_Y_EN: 0
; COMPUTE_PGM_RSRC2:TGID_Z_EN: 0
; COMPUTE_PGM_RSRC2:TIDIG_COMP_CNT: 0
; COMPUTE_PGM_RSRC3_GFX90A:ACCUM_OFFSET: 0
; COMPUTE_PGM_RSRC3_GFX90A:TG_SPLIT: 0
	.section	.text._ZN7rocprim17ROCPRIM_400000_NS6detail17trampoline_kernelINS0_14default_configENS1_38merge_sort_block_merge_config_selectorIiNS0_10empty_typeEEEZZNS1_27merge_sort_block_merge_implIS3_N6thrust23THRUST_200600_302600_NS6detail15normal_iteratorINS9_10device_ptrIiEEEEPS5_jNS1_19radix_merge_compareILb0ELb0EiNS0_19identity_decomposerEEEEE10hipError_tT0_T1_T2_jT3_P12ihipStream_tbPNSt15iterator_traitsISK_E10value_typeEPNSQ_ISL_E10value_typeEPSM_NS1_7vsmem_tEENKUlT_SK_SL_SM_E_clISE_PiSF_SF_EESJ_SZ_SK_SL_SM_EUlSZ_E_NS1_11comp_targetILNS1_3genE5ELNS1_11target_archE942ELNS1_3gpuE9ELNS1_3repE0EEENS1_48merge_mergepath_partition_config_static_selectorELNS0_4arch9wavefront6targetE1EEEvSL_,"axG",@progbits,_ZN7rocprim17ROCPRIM_400000_NS6detail17trampoline_kernelINS0_14default_configENS1_38merge_sort_block_merge_config_selectorIiNS0_10empty_typeEEEZZNS1_27merge_sort_block_merge_implIS3_N6thrust23THRUST_200600_302600_NS6detail15normal_iteratorINS9_10device_ptrIiEEEEPS5_jNS1_19radix_merge_compareILb0ELb0EiNS0_19identity_decomposerEEEEE10hipError_tT0_T1_T2_jT3_P12ihipStream_tbPNSt15iterator_traitsISK_E10value_typeEPNSQ_ISL_E10value_typeEPSM_NS1_7vsmem_tEENKUlT_SK_SL_SM_E_clISE_PiSF_SF_EESJ_SZ_SK_SL_SM_EUlSZ_E_NS1_11comp_targetILNS1_3genE5ELNS1_11target_archE942ELNS1_3gpuE9ELNS1_3repE0EEENS1_48merge_mergepath_partition_config_static_selectorELNS0_4arch9wavefront6targetE1EEEvSL_,comdat
	.protected	_ZN7rocprim17ROCPRIM_400000_NS6detail17trampoline_kernelINS0_14default_configENS1_38merge_sort_block_merge_config_selectorIiNS0_10empty_typeEEEZZNS1_27merge_sort_block_merge_implIS3_N6thrust23THRUST_200600_302600_NS6detail15normal_iteratorINS9_10device_ptrIiEEEEPS5_jNS1_19radix_merge_compareILb0ELb0EiNS0_19identity_decomposerEEEEE10hipError_tT0_T1_T2_jT3_P12ihipStream_tbPNSt15iterator_traitsISK_E10value_typeEPNSQ_ISL_E10value_typeEPSM_NS1_7vsmem_tEENKUlT_SK_SL_SM_E_clISE_PiSF_SF_EESJ_SZ_SK_SL_SM_EUlSZ_E_NS1_11comp_targetILNS1_3genE5ELNS1_11target_archE942ELNS1_3gpuE9ELNS1_3repE0EEENS1_48merge_mergepath_partition_config_static_selectorELNS0_4arch9wavefront6targetE1EEEvSL_ ; -- Begin function _ZN7rocprim17ROCPRIM_400000_NS6detail17trampoline_kernelINS0_14default_configENS1_38merge_sort_block_merge_config_selectorIiNS0_10empty_typeEEEZZNS1_27merge_sort_block_merge_implIS3_N6thrust23THRUST_200600_302600_NS6detail15normal_iteratorINS9_10device_ptrIiEEEEPS5_jNS1_19radix_merge_compareILb0ELb0EiNS0_19identity_decomposerEEEEE10hipError_tT0_T1_T2_jT3_P12ihipStream_tbPNSt15iterator_traitsISK_E10value_typeEPNSQ_ISL_E10value_typeEPSM_NS1_7vsmem_tEENKUlT_SK_SL_SM_E_clISE_PiSF_SF_EESJ_SZ_SK_SL_SM_EUlSZ_E_NS1_11comp_targetILNS1_3genE5ELNS1_11target_archE942ELNS1_3gpuE9ELNS1_3repE0EEENS1_48merge_mergepath_partition_config_static_selectorELNS0_4arch9wavefront6targetE1EEEvSL_
	.globl	_ZN7rocprim17ROCPRIM_400000_NS6detail17trampoline_kernelINS0_14default_configENS1_38merge_sort_block_merge_config_selectorIiNS0_10empty_typeEEEZZNS1_27merge_sort_block_merge_implIS3_N6thrust23THRUST_200600_302600_NS6detail15normal_iteratorINS9_10device_ptrIiEEEEPS5_jNS1_19radix_merge_compareILb0ELb0EiNS0_19identity_decomposerEEEEE10hipError_tT0_T1_T2_jT3_P12ihipStream_tbPNSt15iterator_traitsISK_E10value_typeEPNSQ_ISL_E10value_typeEPSM_NS1_7vsmem_tEENKUlT_SK_SL_SM_E_clISE_PiSF_SF_EESJ_SZ_SK_SL_SM_EUlSZ_E_NS1_11comp_targetILNS1_3genE5ELNS1_11target_archE942ELNS1_3gpuE9ELNS1_3repE0EEENS1_48merge_mergepath_partition_config_static_selectorELNS0_4arch9wavefront6targetE1EEEvSL_
	.p2align	8
	.type	_ZN7rocprim17ROCPRIM_400000_NS6detail17trampoline_kernelINS0_14default_configENS1_38merge_sort_block_merge_config_selectorIiNS0_10empty_typeEEEZZNS1_27merge_sort_block_merge_implIS3_N6thrust23THRUST_200600_302600_NS6detail15normal_iteratorINS9_10device_ptrIiEEEEPS5_jNS1_19radix_merge_compareILb0ELb0EiNS0_19identity_decomposerEEEEE10hipError_tT0_T1_T2_jT3_P12ihipStream_tbPNSt15iterator_traitsISK_E10value_typeEPNSQ_ISL_E10value_typeEPSM_NS1_7vsmem_tEENKUlT_SK_SL_SM_E_clISE_PiSF_SF_EESJ_SZ_SK_SL_SM_EUlSZ_E_NS1_11comp_targetILNS1_3genE5ELNS1_11target_archE942ELNS1_3gpuE9ELNS1_3repE0EEENS1_48merge_mergepath_partition_config_static_selectorELNS0_4arch9wavefront6targetE1EEEvSL_,@function
_ZN7rocprim17ROCPRIM_400000_NS6detail17trampoline_kernelINS0_14default_configENS1_38merge_sort_block_merge_config_selectorIiNS0_10empty_typeEEEZZNS1_27merge_sort_block_merge_implIS3_N6thrust23THRUST_200600_302600_NS6detail15normal_iteratorINS9_10device_ptrIiEEEEPS5_jNS1_19radix_merge_compareILb0ELb0EiNS0_19identity_decomposerEEEEE10hipError_tT0_T1_T2_jT3_P12ihipStream_tbPNSt15iterator_traitsISK_E10value_typeEPNSQ_ISL_E10value_typeEPSM_NS1_7vsmem_tEENKUlT_SK_SL_SM_E_clISE_PiSF_SF_EESJ_SZ_SK_SL_SM_EUlSZ_E_NS1_11comp_targetILNS1_3genE5ELNS1_11target_archE942ELNS1_3gpuE9ELNS1_3repE0EEENS1_48merge_mergepath_partition_config_static_selectorELNS0_4arch9wavefront6targetE1EEEvSL_: ; @_ZN7rocprim17ROCPRIM_400000_NS6detail17trampoline_kernelINS0_14default_configENS1_38merge_sort_block_merge_config_selectorIiNS0_10empty_typeEEEZZNS1_27merge_sort_block_merge_implIS3_N6thrust23THRUST_200600_302600_NS6detail15normal_iteratorINS9_10device_ptrIiEEEEPS5_jNS1_19radix_merge_compareILb0ELb0EiNS0_19identity_decomposerEEEEE10hipError_tT0_T1_T2_jT3_P12ihipStream_tbPNSt15iterator_traitsISK_E10value_typeEPNSQ_ISL_E10value_typeEPSM_NS1_7vsmem_tEENKUlT_SK_SL_SM_E_clISE_PiSF_SF_EESJ_SZ_SK_SL_SM_EUlSZ_E_NS1_11comp_targetILNS1_3genE5ELNS1_11target_archE942ELNS1_3gpuE9ELNS1_3repE0EEENS1_48merge_mergepath_partition_config_static_selectorELNS0_4arch9wavefront6targetE1EEEvSL_
; %bb.0:
	.section	.rodata,"a",@progbits
	.p2align	6, 0x0
	.amdhsa_kernel _ZN7rocprim17ROCPRIM_400000_NS6detail17trampoline_kernelINS0_14default_configENS1_38merge_sort_block_merge_config_selectorIiNS0_10empty_typeEEEZZNS1_27merge_sort_block_merge_implIS3_N6thrust23THRUST_200600_302600_NS6detail15normal_iteratorINS9_10device_ptrIiEEEEPS5_jNS1_19radix_merge_compareILb0ELb0EiNS0_19identity_decomposerEEEEE10hipError_tT0_T1_T2_jT3_P12ihipStream_tbPNSt15iterator_traitsISK_E10value_typeEPNSQ_ISL_E10value_typeEPSM_NS1_7vsmem_tEENKUlT_SK_SL_SM_E_clISE_PiSF_SF_EESJ_SZ_SK_SL_SM_EUlSZ_E_NS1_11comp_targetILNS1_3genE5ELNS1_11target_archE942ELNS1_3gpuE9ELNS1_3repE0EEENS1_48merge_mergepath_partition_config_static_selectorELNS0_4arch9wavefront6targetE1EEEvSL_
		.amdhsa_group_segment_fixed_size 0
		.amdhsa_private_segment_fixed_size 0
		.amdhsa_kernarg_size 40
		.amdhsa_user_sgpr_count 2
		.amdhsa_user_sgpr_dispatch_ptr 0
		.amdhsa_user_sgpr_queue_ptr 0
		.amdhsa_user_sgpr_kernarg_segment_ptr 1
		.amdhsa_user_sgpr_dispatch_id 0
		.amdhsa_user_sgpr_kernarg_preload_length 0
		.amdhsa_user_sgpr_kernarg_preload_offset 0
		.amdhsa_user_sgpr_private_segment_size 0
		.amdhsa_uses_dynamic_stack 0
		.amdhsa_enable_private_segment 0
		.amdhsa_system_sgpr_workgroup_id_x 1
		.amdhsa_system_sgpr_workgroup_id_y 0
		.amdhsa_system_sgpr_workgroup_id_z 0
		.amdhsa_system_sgpr_workgroup_info 0
		.amdhsa_system_vgpr_workitem_id 0
		.amdhsa_next_free_vgpr 1
		.amdhsa_next_free_sgpr 0
		.amdhsa_accum_offset 4
		.amdhsa_reserve_vcc 0
		.amdhsa_float_round_mode_32 0
		.amdhsa_float_round_mode_16_64 0
		.amdhsa_float_denorm_mode_32 3
		.amdhsa_float_denorm_mode_16_64 3
		.amdhsa_dx10_clamp 1
		.amdhsa_ieee_mode 1
		.amdhsa_fp16_overflow 0
		.amdhsa_tg_split 0
		.amdhsa_exception_fp_ieee_invalid_op 0
		.amdhsa_exception_fp_denorm_src 0
		.amdhsa_exception_fp_ieee_div_zero 0
		.amdhsa_exception_fp_ieee_overflow 0
		.amdhsa_exception_fp_ieee_underflow 0
		.amdhsa_exception_fp_ieee_inexact 0
		.amdhsa_exception_int_div_zero 0
	.end_amdhsa_kernel
	.section	.text._ZN7rocprim17ROCPRIM_400000_NS6detail17trampoline_kernelINS0_14default_configENS1_38merge_sort_block_merge_config_selectorIiNS0_10empty_typeEEEZZNS1_27merge_sort_block_merge_implIS3_N6thrust23THRUST_200600_302600_NS6detail15normal_iteratorINS9_10device_ptrIiEEEEPS5_jNS1_19radix_merge_compareILb0ELb0EiNS0_19identity_decomposerEEEEE10hipError_tT0_T1_T2_jT3_P12ihipStream_tbPNSt15iterator_traitsISK_E10value_typeEPNSQ_ISL_E10value_typeEPSM_NS1_7vsmem_tEENKUlT_SK_SL_SM_E_clISE_PiSF_SF_EESJ_SZ_SK_SL_SM_EUlSZ_E_NS1_11comp_targetILNS1_3genE5ELNS1_11target_archE942ELNS1_3gpuE9ELNS1_3repE0EEENS1_48merge_mergepath_partition_config_static_selectorELNS0_4arch9wavefront6targetE1EEEvSL_,"axG",@progbits,_ZN7rocprim17ROCPRIM_400000_NS6detail17trampoline_kernelINS0_14default_configENS1_38merge_sort_block_merge_config_selectorIiNS0_10empty_typeEEEZZNS1_27merge_sort_block_merge_implIS3_N6thrust23THRUST_200600_302600_NS6detail15normal_iteratorINS9_10device_ptrIiEEEEPS5_jNS1_19radix_merge_compareILb0ELb0EiNS0_19identity_decomposerEEEEE10hipError_tT0_T1_T2_jT3_P12ihipStream_tbPNSt15iterator_traitsISK_E10value_typeEPNSQ_ISL_E10value_typeEPSM_NS1_7vsmem_tEENKUlT_SK_SL_SM_E_clISE_PiSF_SF_EESJ_SZ_SK_SL_SM_EUlSZ_E_NS1_11comp_targetILNS1_3genE5ELNS1_11target_archE942ELNS1_3gpuE9ELNS1_3repE0EEENS1_48merge_mergepath_partition_config_static_selectorELNS0_4arch9wavefront6targetE1EEEvSL_,comdat
.Lfunc_end45:
	.size	_ZN7rocprim17ROCPRIM_400000_NS6detail17trampoline_kernelINS0_14default_configENS1_38merge_sort_block_merge_config_selectorIiNS0_10empty_typeEEEZZNS1_27merge_sort_block_merge_implIS3_N6thrust23THRUST_200600_302600_NS6detail15normal_iteratorINS9_10device_ptrIiEEEEPS5_jNS1_19radix_merge_compareILb0ELb0EiNS0_19identity_decomposerEEEEE10hipError_tT0_T1_T2_jT3_P12ihipStream_tbPNSt15iterator_traitsISK_E10value_typeEPNSQ_ISL_E10value_typeEPSM_NS1_7vsmem_tEENKUlT_SK_SL_SM_E_clISE_PiSF_SF_EESJ_SZ_SK_SL_SM_EUlSZ_E_NS1_11comp_targetILNS1_3genE5ELNS1_11target_archE942ELNS1_3gpuE9ELNS1_3repE0EEENS1_48merge_mergepath_partition_config_static_selectorELNS0_4arch9wavefront6targetE1EEEvSL_, .Lfunc_end45-_ZN7rocprim17ROCPRIM_400000_NS6detail17trampoline_kernelINS0_14default_configENS1_38merge_sort_block_merge_config_selectorIiNS0_10empty_typeEEEZZNS1_27merge_sort_block_merge_implIS3_N6thrust23THRUST_200600_302600_NS6detail15normal_iteratorINS9_10device_ptrIiEEEEPS5_jNS1_19radix_merge_compareILb0ELb0EiNS0_19identity_decomposerEEEEE10hipError_tT0_T1_T2_jT3_P12ihipStream_tbPNSt15iterator_traitsISK_E10value_typeEPNSQ_ISL_E10value_typeEPSM_NS1_7vsmem_tEENKUlT_SK_SL_SM_E_clISE_PiSF_SF_EESJ_SZ_SK_SL_SM_EUlSZ_E_NS1_11comp_targetILNS1_3genE5ELNS1_11target_archE942ELNS1_3gpuE9ELNS1_3repE0EEENS1_48merge_mergepath_partition_config_static_selectorELNS0_4arch9wavefront6targetE1EEEvSL_
                                        ; -- End function
	.set _ZN7rocprim17ROCPRIM_400000_NS6detail17trampoline_kernelINS0_14default_configENS1_38merge_sort_block_merge_config_selectorIiNS0_10empty_typeEEEZZNS1_27merge_sort_block_merge_implIS3_N6thrust23THRUST_200600_302600_NS6detail15normal_iteratorINS9_10device_ptrIiEEEEPS5_jNS1_19radix_merge_compareILb0ELb0EiNS0_19identity_decomposerEEEEE10hipError_tT0_T1_T2_jT3_P12ihipStream_tbPNSt15iterator_traitsISK_E10value_typeEPNSQ_ISL_E10value_typeEPSM_NS1_7vsmem_tEENKUlT_SK_SL_SM_E_clISE_PiSF_SF_EESJ_SZ_SK_SL_SM_EUlSZ_E_NS1_11comp_targetILNS1_3genE5ELNS1_11target_archE942ELNS1_3gpuE9ELNS1_3repE0EEENS1_48merge_mergepath_partition_config_static_selectorELNS0_4arch9wavefront6targetE1EEEvSL_.num_vgpr, 0
	.set _ZN7rocprim17ROCPRIM_400000_NS6detail17trampoline_kernelINS0_14default_configENS1_38merge_sort_block_merge_config_selectorIiNS0_10empty_typeEEEZZNS1_27merge_sort_block_merge_implIS3_N6thrust23THRUST_200600_302600_NS6detail15normal_iteratorINS9_10device_ptrIiEEEEPS5_jNS1_19radix_merge_compareILb0ELb0EiNS0_19identity_decomposerEEEEE10hipError_tT0_T1_T2_jT3_P12ihipStream_tbPNSt15iterator_traitsISK_E10value_typeEPNSQ_ISL_E10value_typeEPSM_NS1_7vsmem_tEENKUlT_SK_SL_SM_E_clISE_PiSF_SF_EESJ_SZ_SK_SL_SM_EUlSZ_E_NS1_11comp_targetILNS1_3genE5ELNS1_11target_archE942ELNS1_3gpuE9ELNS1_3repE0EEENS1_48merge_mergepath_partition_config_static_selectorELNS0_4arch9wavefront6targetE1EEEvSL_.num_agpr, 0
	.set _ZN7rocprim17ROCPRIM_400000_NS6detail17trampoline_kernelINS0_14default_configENS1_38merge_sort_block_merge_config_selectorIiNS0_10empty_typeEEEZZNS1_27merge_sort_block_merge_implIS3_N6thrust23THRUST_200600_302600_NS6detail15normal_iteratorINS9_10device_ptrIiEEEEPS5_jNS1_19radix_merge_compareILb0ELb0EiNS0_19identity_decomposerEEEEE10hipError_tT0_T1_T2_jT3_P12ihipStream_tbPNSt15iterator_traitsISK_E10value_typeEPNSQ_ISL_E10value_typeEPSM_NS1_7vsmem_tEENKUlT_SK_SL_SM_E_clISE_PiSF_SF_EESJ_SZ_SK_SL_SM_EUlSZ_E_NS1_11comp_targetILNS1_3genE5ELNS1_11target_archE942ELNS1_3gpuE9ELNS1_3repE0EEENS1_48merge_mergepath_partition_config_static_selectorELNS0_4arch9wavefront6targetE1EEEvSL_.numbered_sgpr, 0
	.set _ZN7rocprim17ROCPRIM_400000_NS6detail17trampoline_kernelINS0_14default_configENS1_38merge_sort_block_merge_config_selectorIiNS0_10empty_typeEEEZZNS1_27merge_sort_block_merge_implIS3_N6thrust23THRUST_200600_302600_NS6detail15normal_iteratorINS9_10device_ptrIiEEEEPS5_jNS1_19radix_merge_compareILb0ELb0EiNS0_19identity_decomposerEEEEE10hipError_tT0_T1_T2_jT3_P12ihipStream_tbPNSt15iterator_traitsISK_E10value_typeEPNSQ_ISL_E10value_typeEPSM_NS1_7vsmem_tEENKUlT_SK_SL_SM_E_clISE_PiSF_SF_EESJ_SZ_SK_SL_SM_EUlSZ_E_NS1_11comp_targetILNS1_3genE5ELNS1_11target_archE942ELNS1_3gpuE9ELNS1_3repE0EEENS1_48merge_mergepath_partition_config_static_selectorELNS0_4arch9wavefront6targetE1EEEvSL_.num_named_barrier, 0
	.set _ZN7rocprim17ROCPRIM_400000_NS6detail17trampoline_kernelINS0_14default_configENS1_38merge_sort_block_merge_config_selectorIiNS0_10empty_typeEEEZZNS1_27merge_sort_block_merge_implIS3_N6thrust23THRUST_200600_302600_NS6detail15normal_iteratorINS9_10device_ptrIiEEEEPS5_jNS1_19radix_merge_compareILb0ELb0EiNS0_19identity_decomposerEEEEE10hipError_tT0_T1_T2_jT3_P12ihipStream_tbPNSt15iterator_traitsISK_E10value_typeEPNSQ_ISL_E10value_typeEPSM_NS1_7vsmem_tEENKUlT_SK_SL_SM_E_clISE_PiSF_SF_EESJ_SZ_SK_SL_SM_EUlSZ_E_NS1_11comp_targetILNS1_3genE5ELNS1_11target_archE942ELNS1_3gpuE9ELNS1_3repE0EEENS1_48merge_mergepath_partition_config_static_selectorELNS0_4arch9wavefront6targetE1EEEvSL_.private_seg_size, 0
	.set _ZN7rocprim17ROCPRIM_400000_NS6detail17trampoline_kernelINS0_14default_configENS1_38merge_sort_block_merge_config_selectorIiNS0_10empty_typeEEEZZNS1_27merge_sort_block_merge_implIS3_N6thrust23THRUST_200600_302600_NS6detail15normal_iteratorINS9_10device_ptrIiEEEEPS5_jNS1_19radix_merge_compareILb0ELb0EiNS0_19identity_decomposerEEEEE10hipError_tT0_T1_T2_jT3_P12ihipStream_tbPNSt15iterator_traitsISK_E10value_typeEPNSQ_ISL_E10value_typeEPSM_NS1_7vsmem_tEENKUlT_SK_SL_SM_E_clISE_PiSF_SF_EESJ_SZ_SK_SL_SM_EUlSZ_E_NS1_11comp_targetILNS1_3genE5ELNS1_11target_archE942ELNS1_3gpuE9ELNS1_3repE0EEENS1_48merge_mergepath_partition_config_static_selectorELNS0_4arch9wavefront6targetE1EEEvSL_.uses_vcc, 0
	.set _ZN7rocprim17ROCPRIM_400000_NS6detail17trampoline_kernelINS0_14default_configENS1_38merge_sort_block_merge_config_selectorIiNS0_10empty_typeEEEZZNS1_27merge_sort_block_merge_implIS3_N6thrust23THRUST_200600_302600_NS6detail15normal_iteratorINS9_10device_ptrIiEEEEPS5_jNS1_19radix_merge_compareILb0ELb0EiNS0_19identity_decomposerEEEEE10hipError_tT0_T1_T2_jT3_P12ihipStream_tbPNSt15iterator_traitsISK_E10value_typeEPNSQ_ISL_E10value_typeEPSM_NS1_7vsmem_tEENKUlT_SK_SL_SM_E_clISE_PiSF_SF_EESJ_SZ_SK_SL_SM_EUlSZ_E_NS1_11comp_targetILNS1_3genE5ELNS1_11target_archE942ELNS1_3gpuE9ELNS1_3repE0EEENS1_48merge_mergepath_partition_config_static_selectorELNS0_4arch9wavefront6targetE1EEEvSL_.uses_flat_scratch, 0
	.set _ZN7rocprim17ROCPRIM_400000_NS6detail17trampoline_kernelINS0_14default_configENS1_38merge_sort_block_merge_config_selectorIiNS0_10empty_typeEEEZZNS1_27merge_sort_block_merge_implIS3_N6thrust23THRUST_200600_302600_NS6detail15normal_iteratorINS9_10device_ptrIiEEEEPS5_jNS1_19radix_merge_compareILb0ELb0EiNS0_19identity_decomposerEEEEE10hipError_tT0_T1_T2_jT3_P12ihipStream_tbPNSt15iterator_traitsISK_E10value_typeEPNSQ_ISL_E10value_typeEPSM_NS1_7vsmem_tEENKUlT_SK_SL_SM_E_clISE_PiSF_SF_EESJ_SZ_SK_SL_SM_EUlSZ_E_NS1_11comp_targetILNS1_3genE5ELNS1_11target_archE942ELNS1_3gpuE9ELNS1_3repE0EEENS1_48merge_mergepath_partition_config_static_selectorELNS0_4arch9wavefront6targetE1EEEvSL_.has_dyn_sized_stack, 0
	.set _ZN7rocprim17ROCPRIM_400000_NS6detail17trampoline_kernelINS0_14default_configENS1_38merge_sort_block_merge_config_selectorIiNS0_10empty_typeEEEZZNS1_27merge_sort_block_merge_implIS3_N6thrust23THRUST_200600_302600_NS6detail15normal_iteratorINS9_10device_ptrIiEEEEPS5_jNS1_19radix_merge_compareILb0ELb0EiNS0_19identity_decomposerEEEEE10hipError_tT0_T1_T2_jT3_P12ihipStream_tbPNSt15iterator_traitsISK_E10value_typeEPNSQ_ISL_E10value_typeEPSM_NS1_7vsmem_tEENKUlT_SK_SL_SM_E_clISE_PiSF_SF_EESJ_SZ_SK_SL_SM_EUlSZ_E_NS1_11comp_targetILNS1_3genE5ELNS1_11target_archE942ELNS1_3gpuE9ELNS1_3repE0EEENS1_48merge_mergepath_partition_config_static_selectorELNS0_4arch9wavefront6targetE1EEEvSL_.has_recursion, 0
	.set _ZN7rocprim17ROCPRIM_400000_NS6detail17trampoline_kernelINS0_14default_configENS1_38merge_sort_block_merge_config_selectorIiNS0_10empty_typeEEEZZNS1_27merge_sort_block_merge_implIS3_N6thrust23THRUST_200600_302600_NS6detail15normal_iteratorINS9_10device_ptrIiEEEEPS5_jNS1_19radix_merge_compareILb0ELb0EiNS0_19identity_decomposerEEEEE10hipError_tT0_T1_T2_jT3_P12ihipStream_tbPNSt15iterator_traitsISK_E10value_typeEPNSQ_ISL_E10value_typeEPSM_NS1_7vsmem_tEENKUlT_SK_SL_SM_E_clISE_PiSF_SF_EESJ_SZ_SK_SL_SM_EUlSZ_E_NS1_11comp_targetILNS1_3genE5ELNS1_11target_archE942ELNS1_3gpuE9ELNS1_3repE0EEENS1_48merge_mergepath_partition_config_static_selectorELNS0_4arch9wavefront6targetE1EEEvSL_.has_indirect_call, 0
	.section	.AMDGPU.csdata,"",@progbits
; Kernel info:
; codeLenInByte = 0
; TotalNumSgprs: 6
; NumVgprs: 0
; NumAgprs: 0
; TotalNumVgprs: 0
; ScratchSize: 0
; MemoryBound: 0
; FloatMode: 240
; IeeeMode: 1
; LDSByteSize: 0 bytes/workgroup (compile time only)
; SGPRBlocks: 0
; VGPRBlocks: 0
; NumSGPRsForWavesPerEU: 6
; NumVGPRsForWavesPerEU: 1
; AccumOffset: 4
; Occupancy: 8
; WaveLimiterHint : 0
; COMPUTE_PGM_RSRC2:SCRATCH_EN: 0
; COMPUTE_PGM_RSRC2:USER_SGPR: 2
; COMPUTE_PGM_RSRC2:TRAP_HANDLER: 0
; COMPUTE_PGM_RSRC2:TGID_X_EN: 1
; COMPUTE_PGM_RSRC2:TGID_Y_EN: 0
; COMPUTE_PGM_RSRC2:TGID_Z_EN: 0
; COMPUTE_PGM_RSRC2:TIDIG_COMP_CNT: 0
; COMPUTE_PGM_RSRC3_GFX90A:ACCUM_OFFSET: 0
; COMPUTE_PGM_RSRC3_GFX90A:TG_SPLIT: 0
	.section	.text._ZN7rocprim17ROCPRIM_400000_NS6detail17trampoline_kernelINS0_14default_configENS1_38merge_sort_block_merge_config_selectorIiNS0_10empty_typeEEEZZNS1_27merge_sort_block_merge_implIS3_N6thrust23THRUST_200600_302600_NS6detail15normal_iteratorINS9_10device_ptrIiEEEEPS5_jNS1_19radix_merge_compareILb0ELb0EiNS0_19identity_decomposerEEEEE10hipError_tT0_T1_T2_jT3_P12ihipStream_tbPNSt15iterator_traitsISK_E10value_typeEPNSQ_ISL_E10value_typeEPSM_NS1_7vsmem_tEENKUlT_SK_SL_SM_E_clISE_PiSF_SF_EESJ_SZ_SK_SL_SM_EUlSZ_E_NS1_11comp_targetILNS1_3genE4ELNS1_11target_archE910ELNS1_3gpuE8ELNS1_3repE0EEENS1_48merge_mergepath_partition_config_static_selectorELNS0_4arch9wavefront6targetE1EEEvSL_,"axG",@progbits,_ZN7rocprim17ROCPRIM_400000_NS6detail17trampoline_kernelINS0_14default_configENS1_38merge_sort_block_merge_config_selectorIiNS0_10empty_typeEEEZZNS1_27merge_sort_block_merge_implIS3_N6thrust23THRUST_200600_302600_NS6detail15normal_iteratorINS9_10device_ptrIiEEEEPS5_jNS1_19radix_merge_compareILb0ELb0EiNS0_19identity_decomposerEEEEE10hipError_tT0_T1_T2_jT3_P12ihipStream_tbPNSt15iterator_traitsISK_E10value_typeEPNSQ_ISL_E10value_typeEPSM_NS1_7vsmem_tEENKUlT_SK_SL_SM_E_clISE_PiSF_SF_EESJ_SZ_SK_SL_SM_EUlSZ_E_NS1_11comp_targetILNS1_3genE4ELNS1_11target_archE910ELNS1_3gpuE8ELNS1_3repE0EEENS1_48merge_mergepath_partition_config_static_selectorELNS0_4arch9wavefront6targetE1EEEvSL_,comdat
	.protected	_ZN7rocprim17ROCPRIM_400000_NS6detail17trampoline_kernelINS0_14default_configENS1_38merge_sort_block_merge_config_selectorIiNS0_10empty_typeEEEZZNS1_27merge_sort_block_merge_implIS3_N6thrust23THRUST_200600_302600_NS6detail15normal_iteratorINS9_10device_ptrIiEEEEPS5_jNS1_19radix_merge_compareILb0ELb0EiNS0_19identity_decomposerEEEEE10hipError_tT0_T1_T2_jT3_P12ihipStream_tbPNSt15iterator_traitsISK_E10value_typeEPNSQ_ISL_E10value_typeEPSM_NS1_7vsmem_tEENKUlT_SK_SL_SM_E_clISE_PiSF_SF_EESJ_SZ_SK_SL_SM_EUlSZ_E_NS1_11comp_targetILNS1_3genE4ELNS1_11target_archE910ELNS1_3gpuE8ELNS1_3repE0EEENS1_48merge_mergepath_partition_config_static_selectorELNS0_4arch9wavefront6targetE1EEEvSL_ ; -- Begin function _ZN7rocprim17ROCPRIM_400000_NS6detail17trampoline_kernelINS0_14default_configENS1_38merge_sort_block_merge_config_selectorIiNS0_10empty_typeEEEZZNS1_27merge_sort_block_merge_implIS3_N6thrust23THRUST_200600_302600_NS6detail15normal_iteratorINS9_10device_ptrIiEEEEPS5_jNS1_19radix_merge_compareILb0ELb0EiNS0_19identity_decomposerEEEEE10hipError_tT0_T1_T2_jT3_P12ihipStream_tbPNSt15iterator_traitsISK_E10value_typeEPNSQ_ISL_E10value_typeEPSM_NS1_7vsmem_tEENKUlT_SK_SL_SM_E_clISE_PiSF_SF_EESJ_SZ_SK_SL_SM_EUlSZ_E_NS1_11comp_targetILNS1_3genE4ELNS1_11target_archE910ELNS1_3gpuE8ELNS1_3repE0EEENS1_48merge_mergepath_partition_config_static_selectorELNS0_4arch9wavefront6targetE1EEEvSL_
	.globl	_ZN7rocprim17ROCPRIM_400000_NS6detail17trampoline_kernelINS0_14default_configENS1_38merge_sort_block_merge_config_selectorIiNS0_10empty_typeEEEZZNS1_27merge_sort_block_merge_implIS3_N6thrust23THRUST_200600_302600_NS6detail15normal_iteratorINS9_10device_ptrIiEEEEPS5_jNS1_19radix_merge_compareILb0ELb0EiNS0_19identity_decomposerEEEEE10hipError_tT0_T1_T2_jT3_P12ihipStream_tbPNSt15iterator_traitsISK_E10value_typeEPNSQ_ISL_E10value_typeEPSM_NS1_7vsmem_tEENKUlT_SK_SL_SM_E_clISE_PiSF_SF_EESJ_SZ_SK_SL_SM_EUlSZ_E_NS1_11comp_targetILNS1_3genE4ELNS1_11target_archE910ELNS1_3gpuE8ELNS1_3repE0EEENS1_48merge_mergepath_partition_config_static_selectorELNS0_4arch9wavefront6targetE1EEEvSL_
	.p2align	8
	.type	_ZN7rocprim17ROCPRIM_400000_NS6detail17trampoline_kernelINS0_14default_configENS1_38merge_sort_block_merge_config_selectorIiNS0_10empty_typeEEEZZNS1_27merge_sort_block_merge_implIS3_N6thrust23THRUST_200600_302600_NS6detail15normal_iteratorINS9_10device_ptrIiEEEEPS5_jNS1_19radix_merge_compareILb0ELb0EiNS0_19identity_decomposerEEEEE10hipError_tT0_T1_T2_jT3_P12ihipStream_tbPNSt15iterator_traitsISK_E10value_typeEPNSQ_ISL_E10value_typeEPSM_NS1_7vsmem_tEENKUlT_SK_SL_SM_E_clISE_PiSF_SF_EESJ_SZ_SK_SL_SM_EUlSZ_E_NS1_11comp_targetILNS1_3genE4ELNS1_11target_archE910ELNS1_3gpuE8ELNS1_3repE0EEENS1_48merge_mergepath_partition_config_static_selectorELNS0_4arch9wavefront6targetE1EEEvSL_,@function
_ZN7rocprim17ROCPRIM_400000_NS6detail17trampoline_kernelINS0_14default_configENS1_38merge_sort_block_merge_config_selectorIiNS0_10empty_typeEEEZZNS1_27merge_sort_block_merge_implIS3_N6thrust23THRUST_200600_302600_NS6detail15normal_iteratorINS9_10device_ptrIiEEEEPS5_jNS1_19radix_merge_compareILb0ELb0EiNS0_19identity_decomposerEEEEE10hipError_tT0_T1_T2_jT3_P12ihipStream_tbPNSt15iterator_traitsISK_E10value_typeEPNSQ_ISL_E10value_typeEPSM_NS1_7vsmem_tEENKUlT_SK_SL_SM_E_clISE_PiSF_SF_EESJ_SZ_SK_SL_SM_EUlSZ_E_NS1_11comp_targetILNS1_3genE4ELNS1_11target_archE910ELNS1_3gpuE8ELNS1_3repE0EEENS1_48merge_mergepath_partition_config_static_selectorELNS0_4arch9wavefront6targetE1EEEvSL_: ; @_ZN7rocprim17ROCPRIM_400000_NS6detail17trampoline_kernelINS0_14default_configENS1_38merge_sort_block_merge_config_selectorIiNS0_10empty_typeEEEZZNS1_27merge_sort_block_merge_implIS3_N6thrust23THRUST_200600_302600_NS6detail15normal_iteratorINS9_10device_ptrIiEEEEPS5_jNS1_19radix_merge_compareILb0ELb0EiNS0_19identity_decomposerEEEEE10hipError_tT0_T1_T2_jT3_P12ihipStream_tbPNSt15iterator_traitsISK_E10value_typeEPNSQ_ISL_E10value_typeEPSM_NS1_7vsmem_tEENKUlT_SK_SL_SM_E_clISE_PiSF_SF_EESJ_SZ_SK_SL_SM_EUlSZ_E_NS1_11comp_targetILNS1_3genE4ELNS1_11target_archE910ELNS1_3gpuE8ELNS1_3repE0EEENS1_48merge_mergepath_partition_config_static_selectorELNS0_4arch9wavefront6targetE1EEEvSL_
; %bb.0:
	.section	.rodata,"a",@progbits
	.p2align	6, 0x0
	.amdhsa_kernel _ZN7rocprim17ROCPRIM_400000_NS6detail17trampoline_kernelINS0_14default_configENS1_38merge_sort_block_merge_config_selectorIiNS0_10empty_typeEEEZZNS1_27merge_sort_block_merge_implIS3_N6thrust23THRUST_200600_302600_NS6detail15normal_iteratorINS9_10device_ptrIiEEEEPS5_jNS1_19radix_merge_compareILb0ELb0EiNS0_19identity_decomposerEEEEE10hipError_tT0_T1_T2_jT3_P12ihipStream_tbPNSt15iterator_traitsISK_E10value_typeEPNSQ_ISL_E10value_typeEPSM_NS1_7vsmem_tEENKUlT_SK_SL_SM_E_clISE_PiSF_SF_EESJ_SZ_SK_SL_SM_EUlSZ_E_NS1_11comp_targetILNS1_3genE4ELNS1_11target_archE910ELNS1_3gpuE8ELNS1_3repE0EEENS1_48merge_mergepath_partition_config_static_selectorELNS0_4arch9wavefront6targetE1EEEvSL_
		.amdhsa_group_segment_fixed_size 0
		.amdhsa_private_segment_fixed_size 0
		.amdhsa_kernarg_size 40
		.amdhsa_user_sgpr_count 2
		.amdhsa_user_sgpr_dispatch_ptr 0
		.amdhsa_user_sgpr_queue_ptr 0
		.amdhsa_user_sgpr_kernarg_segment_ptr 1
		.amdhsa_user_sgpr_dispatch_id 0
		.amdhsa_user_sgpr_kernarg_preload_length 0
		.amdhsa_user_sgpr_kernarg_preload_offset 0
		.amdhsa_user_sgpr_private_segment_size 0
		.amdhsa_uses_dynamic_stack 0
		.amdhsa_enable_private_segment 0
		.amdhsa_system_sgpr_workgroup_id_x 1
		.amdhsa_system_sgpr_workgroup_id_y 0
		.amdhsa_system_sgpr_workgroup_id_z 0
		.amdhsa_system_sgpr_workgroup_info 0
		.amdhsa_system_vgpr_workitem_id 0
		.amdhsa_next_free_vgpr 1
		.amdhsa_next_free_sgpr 0
		.amdhsa_accum_offset 4
		.amdhsa_reserve_vcc 0
		.amdhsa_float_round_mode_32 0
		.amdhsa_float_round_mode_16_64 0
		.amdhsa_float_denorm_mode_32 3
		.amdhsa_float_denorm_mode_16_64 3
		.amdhsa_dx10_clamp 1
		.amdhsa_ieee_mode 1
		.amdhsa_fp16_overflow 0
		.amdhsa_tg_split 0
		.amdhsa_exception_fp_ieee_invalid_op 0
		.amdhsa_exception_fp_denorm_src 0
		.amdhsa_exception_fp_ieee_div_zero 0
		.amdhsa_exception_fp_ieee_overflow 0
		.amdhsa_exception_fp_ieee_underflow 0
		.amdhsa_exception_fp_ieee_inexact 0
		.amdhsa_exception_int_div_zero 0
	.end_amdhsa_kernel
	.section	.text._ZN7rocprim17ROCPRIM_400000_NS6detail17trampoline_kernelINS0_14default_configENS1_38merge_sort_block_merge_config_selectorIiNS0_10empty_typeEEEZZNS1_27merge_sort_block_merge_implIS3_N6thrust23THRUST_200600_302600_NS6detail15normal_iteratorINS9_10device_ptrIiEEEEPS5_jNS1_19radix_merge_compareILb0ELb0EiNS0_19identity_decomposerEEEEE10hipError_tT0_T1_T2_jT3_P12ihipStream_tbPNSt15iterator_traitsISK_E10value_typeEPNSQ_ISL_E10value_typeEPSM_NS1_7vsmem_tEENKUlT_SK_SL_SM_E_clISE_PiSF_SF_EESJ_SZ_SK_SL_SM_EUlSZ_E_NS1_11comp_targetILNS1_3genE4ELNS1_11target_archE910ELNS1_3gpuE8ELNS1_3repE0EEENS1_48merge_mergepath_partition_config_static_selectorELNS0_4arch9wavefront6targetE1EEEvSL_,"axG",@progbits,_ZN7rocprim17ROCPRIM_400000_NS6detail17trampoline_kernelINS0_14default_configENS1_38merge_sort_block_merge_config_selectorIiNS0_10empty_typeEEEZZNS1_27merge_sort_block_merge_implIS3_N6thrust23THRUST_200600_302600_NS6detail15normal_iteratorINS9_10device_ptrIiEEEEPS5_jNS1_19radix_merge_compareILb0ELb0EiNS0_19identity_decomposerEEEEE10hipError_tT0_T1_T2_jT3_P12ihipStream_tbPNSt15iterator_traitsISK_E10value_typeEPNSQ_ISL_E10value_typeEPSM_NS1_7vsmem_tEENKUlT_SK_SL_SM_E_clISE_PiSF_SF_EESJ_SZ_SK_SL_SM_EUlSZ_E_NS1_11comp_targetILNS1_3genE4ELNS1_11target_archE910ELNS1_3gpuE8ELNS1_3repE0EEENS1_48merge_mergepath_partition_config_static_selectorELNS0_4arch9wavefront6targetE1EEEvSL_,comdat
.Lfunc_end46:
	.size	_ZN7rocprim17ROCPRIM_400000_NS6detail17trampoline_kernelINS0_14default_configENS1_38merge_sort_block_merge_config_selectorIiNS0_10empty_typeEEEZZNS1_27merge_sort_block_merge_implIS3_N6thrust23THRUST_200600_302600_NS6detail15normal_iteratorINS9_10device_ptrIiEEEEPS5_jNS1_19radix_merge_compareILb0ELb0EiNS0_19identity_decomposerEEEEE10hipError_tT0_T1_T2_jT3_P12ihipStream_tbPNSt15iterator_traitsISK_E10value_typeEPNSQ_ISL_E10value_typeEPSM_NS1_7vsmem_tEENKUlT_SK_SL_SM_E_clISE_PiSF_SF_EESJ_SZ_SK_SL_SM_EUlSZ_E_NS1_11comp_targetILNS1_3genE4ELNS1_11target_archE910ELNS1_3gpuE8ELNS1_3repE0EEENS1_48merge_mergepath_partition_config_static_selectorELNS0_4arch9wavefront6targetE1EEEvSL_, .Lfunc_end46-_ZN7rocprim17ROCPRIM_400000_NS6detail17trampoline_kernelINS0_14default_configENS1_38merge_sort_block_merge_config_selectorIiNS0_10empty_typeEEEZZNS1_27merge_sort_block_merge_implIS3_N6thrust23THRUST_200600_302600_NS6detail15normal_iteratorINS9_10device_ptrIiEEEEPS5_jNS1_19radix_merge_compareILb0ELb0EiNS0_19identity_decomposerEEEEE10hipError_tT0_T1_T2_jT3_P12ihipStream_tbPNSt15iterator_traitsISK_E10value_typeEPNSQ_ISL_E10value_typeEPSM_NS1_7vsmem_tEENKUlT_SK_SL_SM_E_clISE_PiSF_SF_EESJ_SZ_SK_SL_SM_EUlSZ_E_NS1_11comp_targetILNS1_3genE4ELNS1_11target_archE910ELNS1_3gpuE8ELNS1_3repE0EEENS1_48merge_mergepath_partition_config_static_selectorELNS0_4arch9wavefront6targetE1EEEvSL_
                                        ; -- End function
	.set _ZN7rocprim17ROCPRIM_400000_NS6detail17trampoline_kernelINS0_14default_configENS1_38merge_sort_block_merge_config_selectorIiNS0_10empty_typeEEEZZNS1_27merge_sort_block_merge_implIS3_N6thrust23THRUST_200600_302600_NS6detail15normal_iteratorINS9_10device_ptrIiEEEEPS5_jNS1_19radix_merge_compareILb0ELb0EiNS0_19identity_decomposerEEEEE10hipError_tT0_T1_T2_jT3_P12ihipStream_tbPNSt15iterator_traitsISK_E10value_typeEPNSQ_ISL_E10value_typeEPSM_NS1_7vsmem_tEENKUlT_SK_SL_SM_E_clISE_PiSF_SF_EESJ_SZ_SK_SL_SM_EUlSZ_E_NS1_11comp_targetILNS1_3genE4ELNS1_11target_archE910ELNS1_3gpuE8ELNS1_3repE0EEENS1_48merge_mergepath_partition_config_static_selectorELNS0_4arch9wavefront6targetE1EEEvSL_.num_vgpr, 0
	.set _ZN7rocprim17ROCPRIM_400000_NS6detail17trampoline_kernelINS0_14default_configENS1_38merge_sort_block_merge_config_selectorIiNS0_10empty_typeEEEZZNS1_27merge_sort_block_merge_implIS3_N6thrust23THRUST_200600_302600_NS6detail15normal_iteratorINS9_10device_ptrIiEEEEPS5_jNS1_19radix_merge_compareILb0ELb0EiNS0_19identity_decomposerEEEEE10hipError_tT0_T1_T2_jT3_P12ihipStream_tbPNSt15iterator_traitsISK_E10value_typeEPNSQ_ISL_E10value_typeEPSM_NS1_7vsmem_tEENKUlT_SK_SL_SM_E_clISE_PiSF_SF_EESJ_SZ_SK_SL_SM_EUlSZ_E_NS1_11comp_targetILNS1_3genE4ELNS1_11target_archE910ELNS1_3gpuE8ELNS1_3repE0EEENS1_48merge_mergepath_partition_config_static_selectorELNS0_4arch9wavefront6targetE1EEEvSL_.num_agpr, 0
	.set _ZN7rocprim17ROCPRIM_400000_NS6detail17trampoline_kernelINS0_14default_configENS1_38merge_sort_block_merge_config_selectorIiNS0_10empty_typeEEEZZNS1_27merge_sort_block_merge_implIS3_N6thrust23THRUST_200600_302600_NS6detail15normal_iteratorINS9_10device_ptrIiEEEEPS5_jNS1_19radix_merge_compareILb0ELb0EiNS0_19identity_decomposerEEEEE10hipError_tT0_T1_T2_jT3_P12ihipStream_tbPNSt15iterator_traitsISK_E10value_typeEPNSQ_ISL_E10value_typeEPSM_NS1_7vsmem_tEENKUlT_SK_SL_SM_E_clISE_PiSF_SF_EESJ_SZ_SK_SL_SM_EUlSZ_E_NS1_11comp_targetILNS1_3genE4ELNS1_11target_archE910ELNS1_3gpuE8ELNS1_3repE0EEENS1_48merge_mergepath_partition_config_static_selectorELNS0_4arch9wavefront6targetE1EEEvSL_.numbered_sgpr, 0
	.set _ZN7rocprim17ROCPRIM_400000_NS6detail17trampoline_kernelINS0_14default_configENS1_38merge_sort_block_merge_config_selectorIiNS0_10empty_typeEEEZZNS1_27merge_sort_block_merge_implIS3_N6thrust23THRUST_200600_302600_NS6detail15normal_iteratorINS9_10device_ptrIiEEEEPS5_jNS1_19radix_merge_compareILb0ELb0EiNS0_19identity_decomposerEEEEE10hipError_tT0_T1_T2_jT3_P12ihipStream_tbPNSt15iterator_traitsISK_E10value_typeEPNSQ_ISL_E10value_typeEPSM_NS1_7vsmem_tEENKUlT_SK_SL_SM_E_clISE_PiSF_SF_EESJ_SZ_SK_SL_SM_EUlSZ_E_NS1_11comp_targetILNS1_3genE4ELNS1_11target_archE910ELNS1_3gpuE8ELNS1_3repE0EEENS1_48merge_mergepath_partition_config_static_selectorELNS0_4arch9wavefront6targetE1EEEvSL_.num_named_barrier, 0
	.set _ZN7rocprim17ROCPRIM_400000_NS6detail17trampoline_kernelINS0_14default_configENS1_38merge_sort_block_merge_config_selectorIiNS0_10empty_typeEEEZZNS1_27merge_sort_block_merge_implIS3_N6thrust23THRUST_200600_302600_NS6detail15normal_iteratorINS9_10device_ptrIiEEEEPS5_jNS1_19radix_merge_compareILb0ELb0EiNS0_19identity_decomposerEEEEE10hipError_tT0_T1_T2_jT3_P12ihipStream_tbPNSt15iterator_traitsISK_E10value_typeEPNSQ_ISL_E10value_typeEPSM_NS1_7vsmem_tEENKUlT_SK_SL_SM_E_clISE_PiSF_SF_EESJ_SZ_SK_SL_SM_EUlSZ_E_NS1_11comp_targetILNS1_3genE4ELNS1_11target_archE910ELNS1_3gpuE8ELNS1_3repE0EEENS1_48merge_mergepath_partition_config_static_selectorELNS0_4arch9wavefront6targetE1EEEvSL_.private_seg_size, 0
	.set _ZN7rocprim17ROCPRIM_400000_NS6detail17trampoline_kernelINS0_14default_configENS1_38merge_sort_block_merge_config_selectorIiNS0_10empty_typeEEEZZNS1_27merge_sort_block_merge_implIS3_N6thrust23THRUST_200600_302600_NS6detail15normal_iteratorINS9_10device_ptrIiEEEEPS5_jNS1_19radix_merge_compareILb0ELb0EiNS0_19identity_decomposerEEEEE10hipError_tT0_T1_T2_jT3_P12ihipStream_tbPNSt15iterator_traitsISK_E10value_typeEPNSQ_ISL_E10value_typeEPSM_NS1_7vsmem_tEENKUlT_SK_SL_SM_E_clISE_PiSF_SF_EESJ_SZ_SK_SL_SM_EUlSZ_E_NS1_11comp_targetILNS1_3genE4ELNS1_11target_archE910ELNS1_3gpuE8ELNS1_3repE0EEENS1_48merge_mergepath_partition_config_static_selectorELNS0_4arch9wavefront6targetE1EEEvSL_.uses_vcc, 0
	.set _ZN7rocprim17ROCPRIM_400000_NS6detail17trampoline_kernelINS0_14default_configENS1_38merge_sort_block_merge_config_selectorIiNS0_10empty_typeEEEZZNS1_27merge_sort_block_merge_implIS3_N6thrust23THRUST_200600_302600_NS6detail15normal_iteratorINS9_10device_ptrIiEEEEPS5_jNS1_19radix_merge_compareILb0ELb0EiNS0_19identity_decomposerEEEEE10hipError_tT0_T1_T2_jT3_P12ihipStream_tbPNSt15iterator_traitsISK_E10value_typeEPNSQ_ISL_E10value_typeEPSM_NS1_7vsmem_tEENKUlT_SK_SL_SM_E_clISE_PiSF_SF_EESJ_SZ_SK_SL_SM_EUlSZ_E_NS1_11comp_targetILNS1_3genE4ELNS1_11target_archE910ELNS1_3gpuE8ELNS1_3repE0EEENS1_48merge_mergepath_partition_config_static_selectorELNS0_4arch9wavefront6targetE1EEEvSL_.uses_flat_scratch, 0
	.set _ZN7rocprim17ROCPRIM_400000_NS6detail17trampoline_kernelINS0_14default_configENS1_38merge_sort_block_merge_config_selectorIiNS0_10empty_typeEEEZZNS1_27merge_sort_block_merge_implIS3_N6thrust23THRUST_200600_302600_NS6detail15normal_iteratorINS9_10device_ptrIiEEEEPS5_jNS1_19radix_merge_compareILb0ELb0EiNS0_19identity_decomposerEEEEE10hipError_tT0_T1_T2_jT3_P12ihipStream_tbPNSt15iterator_traitsISK_E10value_typeEPNSQ_ISL_E10value_typeEPSM_NS1_7vsmem_tEENKUlT_SK_SL_SM_E_clISE_PiSF_SF_EESJ_SZ_SK_SL_SM_EUlSZ_E_NS1_11comp_targetILNS1_3genE4ELNS1_11target_archE910ELNS1_3gpuE8ELNS1_3repE0EEENS1_48merge_mergepath_partition_config_static_selectorELNS0_4arch9wavefront6targetE1EEEvSL_.has_dyn_sized_stack, 0
	.set _ZN7rocprim17ROCPRIM_400000_NS6detail17trampoline_kernelINS0_14default_configENS1_38merge_sort_block_merge_config_selectorIiNS0_10empty_typeEEEZZNS1_27merge_sort_block_merge_implIS3_N6thrust23THRUST_200600_302600_NS6detail15normal_iteratorINS9_10device_ptrIiEEEEPS5_jNS1_19radix_merge_compareILb0ELb0EiNS0_19identity_decomposerEEEEE10hipError_tT0_T1_T2_jT3_P12ihipStream_tbPNSt15iterator_traitsISK_E10value_typeEPNSQ_ISL_E10value_typeEPSM_NS1_7vsmem_tEENKUlT_SK_SL_SM_E_clISE_PiSF_SF_EESJ_SZ_SK_SL_SM_EUlSZ_E_NS1_11comp_targetILNS1_3genE4ELNS1_11target_archE910ELNS1_3gpuE8ELNS1_3repE0EEENS1_48merge_mergepath_partition_config_static_selectorELNS0_4arch9wavefront6targetE1EEEvSL_.has_recursion, 0
	.set _ZN7rocprim17ROCPRIM_400000_NS6detail17trampoline_kernelINS0_14default_configENS1_38merge_sort_block_merge_config_selectorIiNS0_10empty_typeEEEZZNS1_27merge_sort_block_merge_implIS3_N6thrust23THRUST_200600_302600_NS6detail15normal_iteratorINS9_10device_ptrIiEEEEPS5_jNS1_19radix_merge_compareILb0ELb0EiNS0_19identity_decomposerEEEEE10hipError_tT0_T1_T2_jT3_P12ihipStream_tbPNSt15iterator_traitsISK_E10value_typeEPNSQ_ISL_E10value_typeEPSM_NS1_7vsmem_tEENKUlT_SK_SL_SM_E_clISE_PiSF_SF_EESJ_SZ_SK_SL_SM_EUlSZ_E_NS1_11comp_targetILNS1_3genE4ELNS1_11target_archE910ELNS1_3gpuE8ELNS1_3repE0EEENS1_48merge_mergepath_partition_config_static_selectorELNS0_4arch9wavefront6targetE1EEEvSL_.has_indirect_call, 0
	.section	.AMDGPU.csdata,"",@progbits
; Kernel info:
; codeLenInByte = 0
; TotalNumSgprs: 6
; NumVgprs: 0
; NumAgprs: 0
; TotalNumVgprs: 0
; ScratchSize: 0
; MemoryBound: 0
; FloatMode: 240
; IeeeMode: 1
; LDSByteSize: 0 bytes/workgroup (compile time only)
; SGPRBlocks: 0
; VGPRBlocks: 0
; NumSGPRsForWavesPerEU: 6
; NumVGPRsForWavesPerEU: 1
; AccumOffset: 4
; Occupancy: 8
; WaveLimiterHint : 0
; COMPUTE_PGM_RSRC2:SCRATCH_EN: 0
; COMPUTE_PGM_RSRC2:USER_SGPR: 2
; COMPUTE_PGM_RSRC2:TRAP_HANDLER: 0
; COMPUTE_PGM_RSRC2:TGID_X_EN: 1
; COMPUTE_PGM_RSRC2:TGID_Y_EN: 0
; COMPUTE_PGM_RSRC2:TGID_Z_EN: 0
; COMPUTE_PGM_RSRC2:TIDIG_COMP_CNT: 0
; COMPUTE_PGM_RSRC3_GFX90A:ACCUM_OFFSET: 0
; COMPUTE_PGM_RSRC3_GFX90A:TG_SPLIT: 0
	.section	.text._ZN7rocprim17ROCPRIM_400000_NS6detail17trampoline_kernelINS0_14default_configENS1_38merge_sort_block_merge_config_selectorIiNS0_10empty_typeEEEZZNS1_27merge_sort_block_merge_implIS3_N6thrust23THRUST_200600_302600_NS6detail15normal_iteratorINS9_10device_ptrIiEEEEPS5_jNS1_19radix_merge_compareILb0ELb0EiNS0_19identity_decomposerEEEEE10hipError_tT0_T1_T2_jT3_P12ihipStream_tbPNSt15iterator_traitsISK_E10value_typeEPNSQ_ISL_E10value_typeEPSM_NS1_7vsmem_tEENKUlT_SK_SL_SM_E_clISE_PiSF_SF_EESJ_SZ_SK_SL_SM_EUlSZ_E_NS1_11comp_targetILNS1_3genE3ELNS1_11target_archE908ELNS1_3gpuE7ELNS1_3repE0EEENS1_48merge_mergepath_partition_config_static_selectorELNS0_4arch9wavefront6targetE1EEEvSL_,"axG",@progbits,_ZN7rocprim17ROCPRIM_400000_NS6detail17trampoline_kernelINS0_14default_configENS1_38merge_sort_block_merge_config_selectorIiNS0_10empty_typeEEEZZNS1_27merge_sort_block_merge_implIS3_N6thrust23THRUST_200600_302600_NS6detail15normal_iteratorINS9_10device_ptrIiEEEEPS5_jNS1_19radix_merge_compareILb0ELb0EiNS0_19identity_decomposerEEEEE10hipError_tT0_T1_T2_jT3_P12ihipStream_tbPNSt15iterator_traitsISK_E10value_typeEPNSQ_ISL_E10value_typeEPSM_NS1_7vsmem_tEENKUlT_SK_SL_SM_E_clISE_PiSF_SF_EESJ_SZ_SK_SL_SM_EUlSZ_E_NS1_11comp_targetILNS1_3genE3ELNS1_11target_archE908ELNS1_3gpuE7ELNS1_3repE0EEENS1_48merge_mergepath_partition_config_static_selectorELNS0_4arch9wavefront6targetE1EEEvSL_,comdat
	.protected	_ZN7rocprim17ROCPRIM_400000_NS6detail17trampoline_kernelINS0_14default_configENS1_38merge_sort_block_merge_config_selectorIiNS0_10empty_typeEEEZZNS1_27merge_sort_block_merge_implIS3_N6thrust23THRUST_200600_302600_NS6detail15normal_iteratorINS9_10device_ptrIiEEEEPS5_jNS1_19radix_merge_compareILb0ELb0EiNS0_19identity_decomposerEEEEE10hipError_tT0_T1_T2_jT3_P12ihipStream_tbPNSt15iterator_traitsISK_E10value_typeEPNSQ_ISL_E10value_typeEPSM_NS1_7vsmem_tEENKUlT_SK_SL_SM_E_clISE_PiSF_SF_EESJ_SZ_SK_SL_SM_EUlSZ_E_NS1_11comp_targetILNS1_3genE3ELNS1_11target_archE908ELNS1_3gpuE7ELNS1_3repE0EEENS1_48merge_mergepath_partition_config_static_selectorELNS0_4arch9wavefront6targetE1EEEvSL_ ; -- Begin function _ZN7rocprim17ROCPRIM_400000_NS6detail17trampoline_kernelINS0_14default_configENS1_38merge_sort_block_merge_config_selectorIiNS0_10empty_typeEEEZZNS1_27merge_sort_block_merge_implIS3_N6thrust23THRUST_200600_302600_NS6detail15normal_iteratorINS9_10device_ptrIiEEEEPS5_jNS1_19radix_merge_compareILb0ELb0EiNS0_19identity_decomposerEEEEE10hipError_tT0_T1_T2_jT3_P12ihipStream_tbPNSt15iterator_traitsISK_E10value_typeEPNSQ_ISL_E10value_typeEPSM_NS1_7vsmem_tEENKUlT_SK_SL_SM_E_clISE_PiSF_SF_EESJ_SZ_SK_SL_SM_EUlSZ_E_NS1_11comp_targetILNS1_3genE3ELNS1_11target_archE908ELNS1_3gpuE7ELNS1_3repE0EEENS1_48merge_mergepath_partition_config_static_selectorELNS0_4arch9wavefront6targetE1EEEvSL_
	.globl	_ZN7rocprim17ROCPRIM_400000_NS6detail17trampoline_kernelINS0_14default_configENS1_38merge_sort_block_merge_config_selectorIiNS0_10empty_typeEEEZZNS1_27merge_sort_block_merge_implIS3_N6thrust23THRUST_200600_302600_NS6detail15normal_iteratorINS9_10device_ptrIiEEEEPS5_jNS1_19radix_merge_compareILb0ELb0EiNS0_19identity_decomposerEEEEE10hipError_tT0_T1_T2_jT3_P12ihipStream_tbPNSt15iterator_traitsISK_E10value_typeEPNSQ_ISL_E10value_typeEPSM_NS1_7vsmem_tEENKUlT_SK_SL_SM_E_clISE_PiSF_SF_EESJ_SZ_SK_SL_SM_EUlSZ_E_NS1_11comp_targetILNS1_3genE3ELNS1_11target_archE908ELNS1_3gpuE7ELNS1_3repE0EEENS1_48merge_mergepath_partition_config_static_selectorELNS0_4arch9wavefront6targetE1EEEvSL_
	.p2align	8
	.type	_ZN7rocprim17ROCPRIM_400000_NS6detail17trampoline_kernelINS0_14default_configENS1_38merge_sort_block_merge_config_selectorIiNS0_10empty_typeEEEZZNS1_27merge_sort_block_merge_implIS3_N6thrust23THRUST_200600_302600_NS6detail15normal_iteratorINS9_10device_ptrIiEEEEPS5_jNS1_19radix_merge_compareILb0ELb0EiNS0_19identity_decomposerEEEEE10hipError_tT0_T1_T2_jT3_P12ihipStream_tbPNSt15iterator_traitsISK_E10value_typeEPNSQ_ISL_E10value_typeEPSM_NS1_7vsmem_tEENKUlT_SK_SL_SM_E_clISE_PiSF_SF_EESJ_SZ_SK_SL_SM_EUlSZ_E_NS1_11comp_targetILNS1_3genE3ELNS1_11target_archE908ELNS1_3gpuE7ELNS1_3repE0EEENS1_48merge_mergepath_partition_config_static_selectorELNS0_4arch9wavefront6targetE1EEEvSL_,@function
_ZN7rocprim17ROCPRIM_400000_NS6detail17trampoline_kernelINS0_14default_configENS1_38merge_sort_block_merge_config_selectorIiNS0_10empty_typeEEEZZNS1_27merge_sort_block_merge_implIS3_N6thrust23THRUST_200600_302600_NS6detail15normal_iteratorINS9_10device_ptrIiEEEEPS5_jNS1_19radix_merge_compareILb0ELb0EiNS0_19identity_decomposerEEEEE10hipError_tT0_T1_T2_jT3_P12ihipStream_tbPNSt15iterator_traitsISK_E10value_typeEPNSQ_ISL_E10value_typeEPSM_NS1_7vsmem_tEENKUlT_SK_SL_SM_E_clISE_PiSF_SF_EESJ_SZ_SK_SL_SM_EUlSZ_E_NS1_11comp_targetILNS1_3genE3ELNS1_11target_archE908ELNS1_3gpuE7ELNS1_3repE0EEENS1_48merge_mergepath_partition_config_static_selectorELNS0_4arch9wavefront6targetE1EEEvSL_: ; @_ZN7rocprim17ROCPRIM_400000_NS6detail17trampoline_kernelINS0_14default_configENS1_38merge_sort_block_merge_config_selectorIiNS0_10empty_typeEEEZZNS1_27merge_sort_block_merge_implIS3_N6thrust23THRUST_200600_302600_NS6detail15normal_iteratorINS9_10device_ptrIiEEEEPS5_jNS1_19radix_merge_compareILb0ELb0EiNS0_19identity_decomposerEEEEE10hipError_tT0_T1_T2_jT3_P12ihipStream_tbPNSt15iterator_traitsISK_E10value_typeEPNSQ_ISL_E10value_typeEPSM_NS1_7vsmem_tEENKUlT_SK_SL_SM_E_clISE_PiSF_SF_EESJ_SZ_SK_SL_SM_EUlSZ_E_NS1_11comp_targetILNS1_3genE3ELNS1_11target_archE908ELNS1_3gpuE7ELNS1_3repE0EEENS1_48merge_mergepath_partition_config_static_selectorELNS0_4arch9wavefront6targetE1EEEvSL_
; %bb.0:
	.section	.rodata,"a",@progbits
	.p2align	6, 0x0
	.amdhsa_kernel _ZN7rocprim17ROCPRIM_400000_NS6detail17trampoline_kernelINS0_14default_configENS1_38merge_sort_block_merge_config_selectorIiNS0_10empty_typeEEEZZNS1_27merge_sort_block_merge_implIS3_N6thrust23THRUST_200600_302600_NS6detail15normal_iteratorINS9_10device_ptrIiEEEEPS5_jNS1_19radix_merge_compareILb0ELb0EiNS0_19identity_decomposerEEEEE10hipError_tT0_T1_T2_jT3_P12ihipStream_tbPNSt15iterator_traitsISK_E10value_typeEPNSQ_ISL_E10value_typeEPSM_NS1_7vsmem_tEENKUlT_SK_SL_SM_E_clISE_PiSF_SF_EESJ_SZ_SK_SL_SM_EUlSZ_E_NS1_11comp_targetILNS1_3genE3ELNS1_11target_archE908ELNS1_3gpuE7ELNS1_3repE0EEENS1_48merge_mergepath_partition_config_static_selectorELNS0_4arch9wavefront6targetE1EEEvSL_
		.amdhsa_group_segment_fixed_size 0
		.amdhsa_private_segment_fixed_size 0
		.amdhsa_kernarg_size 40
		.amdhsa_user_sgpr_count 2
		.amdhsa_user_sgpr_dispatch_ptr 0
		.amdhsa_user_sgpr_queue_ptr 0
		.amdhsa_user_sgpr_kernarg_segment_ptr 1
		.amdhsa_user_sgpr_dispatch_id 0
		.amdhsa_user_sgpr_kernarg_preload_length 0
		.amdhsa_user_sgpr_kernarg_preload_offset 0
		.amdhsa_user_sgpr_private_segment_size 0
		.amdhsa_uses_dynamic_stack 0
		.amdhsa_enable_private_segment 0
		.amdhsa_system_sgpr_workgroup_id_x 1
		.amdhsa_system_sgpr_workgroup_id_y 0
		.amdhsa_system_sgpr_workgroup_id_z 0
		.amdhsa_system_sgpr_workgroup_info 0
		.amdhsa_system_vgpr_workitem_id 0
		.amdhsa_next_free_vgpr 1
		.amdhsa_next_free_sgpr 0
		.amdhsa_accum_offset 4
		.amdhsa_reserve_vcc 0
		.amdhsa_float_round_mode_32 0
		.amdhsa_float_round_mode_16_64 0
		.amdhsa_float_denorm_mode_32 3
		.amdhsa_float_denorm_mode_16_64 3
		.amdhsa_dx10_clamp 1
		.amdhsa_ieee_mode 1
		.amdhsa_fp16_overflow 0
		.amdhsa_tg_split 0
		.amdhsa_exception_fp_ieee_invalid_op 0
		.amdhsa_exception_fp_denorm_src 0
		.amdhsa_exception_fp_ieee_div_zero 0
		.amdhsa_exception_fp_ieee_overflow 0
		.amdhsa_exception_fp_ieee_underflow 0
		.amdhsa_exception_fp_ieee_inexact 0
		.amdhsa_exception_int_div_zero 0
	.end_amdhsa_kernel
	.section	.text._ZN7rocprim17ROCPRIM_400000_NS6detail17trampoline_kernelINS0_14default_configENS1_38merge_sort_block_merge_config_selectorIiNS0_10empty_typeEEEZZNS1_27merge_sort_block_merge_implIS3_N6thrust23THRUST_200600_302600_NS6detail15normal_iteratorINS9_10device_ptrIiEEEEPS5_jNS1_19radix_merge_compareILb0ELb0EiNS0_19identity_decomposerEEEEE10hipError_tT0_T1_T2_jT3_P12ihipStream_tbPNSt15iterator_traitsISK_E10value_typeEPNSQ_ISL_E10value_typeEPSM_NS1_7vsmem_tEENKUlT_SK_SL_SM_E_clISE_PiSF_SF_EESJ_SZ_SK_SL_SM_EUlSZ_E_NS1_11comp_targetILNS1_3genE3ELNS1_11target_archE908ELNS1_3gpuE7ELNS1_3repE0EEENS1_48merge_mergepath_partition_config_static_selectorELNS0_4arch9wavefront6targetE1EEEvSL_,"axG",@progbits,_ZN7rocprim17ROCPRIM_400000_NS6detail17trampoline_kernelINS0_14default_configENS1_38merge_sort_block_merge_config_selectorIiNS0_10empty_typeEEEZZNS1_27merge_sort_block_merge_implIS3_N6thrust23THRUST_200600_302600_NS6detail15normal_iteratorINS9_10device_ptrIiEEEEPS5_jNS1_19radix_merge_compareILb0ELb0EiNS0_19identity_decomposerEEEEE10hipError_tT0_T1_T2_jT3_P12ihipStream_tbPNSt15iterator_traitsISK_E10value_typeEPNSQ_ISL_E10value_typeEPSM_NS1_7vsmem_tEENKUlT_SK_SL_SM_E_clISE_PiSF_SF_EESJ_SZ_SK_SL_SM_EUlSZ_E_NS1_11comp_targetILNS1_3genE3ELNS1_11target_archE908ELNS1_3gpuE7ELNS1_3repE0EEENS1_48merge_mergepath_partition_config_static_selectorELNS0_4arch9wavefront6targetE1EEEvSL_,comdat
.Lfunc_end47:
	.size	_ZN7rocprim17ROCPRIM_400000_NS6detail17trampoline_kernelINS0_14default_configENS1_38merge_sort_block_merge_config_selectorIiNS0_10empty_typeEEEZZNS1_27merge_sort_block_merge_implIS3_N6thrust23THRUST_200600_302600_NS6detail15normal_iteratorINS9_10device_ptrIiEEEEPS5_jNS1_19radix_merge_compareILb0ELb0EiNS0_19identity_decomposerEEEEE10hipError_tT0_T1_T2_jT3_P12ihipStream_tbPNSt15iterator_traitsISK_E10value_typeEPNSQ_ISL_E10value_typeEPSM_NS1_7vsmem_tEENKUlT_SK_SL_SM_E_clISE_PiSF_SF_EESJ_SZ_SK_SL_SM_EUlSZ_E_NS1_11comp_targetILNS1_3genE3ELNS1_11target_archE908ELNS1_3gpuE7ELNS1_3repE0EEENS1_48merge_mergepath_partition_config_static_selectorELNS0_4arch9wavefront6targetE1EEEvSL_, .Lfunc_end47-_ZN7rocprim17ROCPRIM_400000_NS6detail17trampoline_kernelINS0_14default_configENS1_38merge_sort_block_merge_config_selectorIiNS0_10empty_typeEEEZZNS1_27merge_sort_block_merge_implIS3_N6thrust23THRUST_200600_302600_NS6detail15normal_iteratorINS9_10device_ptrIiEEEEPS5_jNS1_19radix_merge_compareILb0ELb0EiNS0_19identity_decomposerEEEEE10hipError_tT0_T1_T2_jT3_P12ihipStream_tbPNSt15iterator_traitsISK_E10value_typeEPNSQ_ISL_E10value_typeEPSM_NS1_7vsmem_tEENKUlT_SK_SL_SM_E_clISE_PiSF_SF_EESJ_SZ_SK_SL_SM_EUlSZ_E_NS1_11comp_targetILNS1_3genE3ELNS1_11target_archE908ELNS1_3gpuE7ELNS1_3repE0EEENS1_48merge_mergepath_partition_config_static_selectorELNS0_4arch9wavefront6targetE1EEEvSL_
                                        ; -- End function
	.set _ZN7rocprim17ROCPRIM_400000_NS6detail17trampoline_kernelINS0_14default_configENS1_38merge_sort_block_merge_config_selectorIiNS0_10empty_typeEEEZZNS1_27merge_sort_block_merge_implIS3_N6thrust23THRUST_200600_302600_NS6detail15normal_iteratorINS9_10device_ptrIiEEEEPS5_jNS1_19radix_merge_compareILb0ELb0EiNS0_19identity_decomposerEEEEE10hipError_tT0_T1_T2_jT3_P12ihipStream_tbPNSt15iterator_traitsISK_E10value_typeEPNSQ_ISL_E10value_typeEPSM_NS1_7vsmem_tEENKUlT_SK_SL_SM_E_clISE_PiSF_SF_EESJ_SZ_SK_SL_SM_EUlSZ_E_NS1_11comp_targetILNS1_3genE3ELNS1_11target_archE908ELNS1_3gpuE7ELNS1_3repE0EEENS1_48merge_mergepath_partition_config_static_selectorELNS0_4arch9wavefront6targetE1EEEvSL_.num_vgpr, 0
	.set _ZN7rocprim17ROCPRIM_400000_NS6detail17trampoline_kernelINS0_14default_configENS1_38merge_sort_block_merge_config_selectorIiNS0_10empty_typeEEEZZNS1_27merge_sort_block_merge_implIS3_N6thrust23THRUST_200600_302600_NS6detail15normal_iteratorINS9_10device_ptrIiEEEEPS5_jNS1_19radix_merge_compareILb0ELb0EiNS0_19identity_decomposerEEEEE10hipError_tT0_T1_T2_jT3_P12ihipStream_tbPNSt15iterator_traitsISK_E10value_typeEPNSQ_ISL_E10value_typeEPSM_NS1_7vsmem_tEENKUlT_SK_SL_SM_E_clISE_PiSF_SF_EESJ_SZ_SK_SL_SM_EUlSZ_E_NS1_11comp_targetILNS1_3genE3ELNS1_11target_archE908ELNS1_3gpuE7ELNS1_3repE0EEENS1_48merge_mergepath_partition_config_static_selectorELNS0_4arch9wavefront6targetE1EEEvSL_.num_agpr, 0
	.set _ZN7rocprim17ROCPRIM_400000_NS6detail17trampoline_kernelINS0_14default_configENS1_38merge_sort_block_merge_config_selectorIiNS0_10empty_typeEEEZZNS1_27merge_sort_block_merge_implIS3_N6thrust23THRUST_200600_302600_NS6detail15normal_iteratorINS9_10device_ptrIiEEEEPS5_jNS1_19radix_merge_compareILb0ELb0EiNS0_19identity_decomposerEEEEE10hipError_tT0_T1_T2_jT3_P12ihipStream_tbPNSt15iterator_traitsISK_E10value_typeEPNSQ_ISL_E10value_typeEPSM_NS1_7vsmem_tEENKUlT_SK_SL_SM_E_clISE_PiSF_SF_EESJ_SZ_SK_SL_SM_EUlSZ_E_NS1_11comp_targetILNS1_3genE3ELNS1_11target_archE908ELNS1_3gpuE7ELNS1_3repE0EEENS1_48merge_mergepath_partition_config_static_selectorELNS0_4arch9wavefront6targetE1EEEvSL_.numbered_sgpr, 0
	.set _ZN7rocprim17ROCPRIM_400000_NS6detail17trampoline_kernelINS0_14default_configENS1_38merge_sort_block_merge_config_selectorIiNS0_10empty_typeEEEZZNS1_27merge_sort_block_merge_implIS3_N6thrust23THRUST_200600_302600_NS6detail15normal_iteratorINS9_10device_ptrIiEEEEPS5_jNS1_19radix_merge_compareILb0ELb0EiNS0_19identity_decomposerEEEEE10hipError_tT0_T1_T2_jT3_P12ihipStream_tbPNSt15iterator_traitsISK_E10value_typeEPNSQ_ISL_E10value_typeEPSM_NS1_7vsmem_tEENKUlT_SK_SL_SM_E_clISE_PiSF_SF_EESJ_SZ_SK_SL_SM_EUlSZ_E_NS1_11comp_targetILNS1_3genE3ELNS1_11target_archE908ELNS1_3gpuE7ELNS1_3repE0EEENS1_48merge_mergepath_partition_config_static_selectorELNS0_4arch9wavefront6targetE1EEEvSL_.num_named_barrier, 0
	.set _ZN7rocprim17ROCPRIM_400000_NS6detail17trampoline_kernelINS0_14default_configENS1_38merge_sort_block_merge_config_selectorIiNS0_10empty_typeEEEZZNS1_27merge_sort_block_merge_implIS3_N6thrust23THRUST_200600_302600_NS6detail15normal_iteratorINS9_10device_ptrIiEEEEPS5_jNS1_19radix_merge_compareILb0ELb0EiNS0_19identity_decomposerEEEEE10hipError_tT0_T1_T2_jT3_P12ihipStream_tbPNSt15iterator_traitsISK_E10value_typeEPNSQ_ISL_E10value_typeEPSM_NS1_7vsmem_tEENKUlT_SK_SL_SM_E_clISE_PiSF_SF_EESJ_SZ_SK_SL_SM_EUlSZ_E_NS1_11comp_targetILNS1_3genE3ELNS1_11target_archE908ELNS1_3gpuE7ELNS1_3repE0EEENS1_48merge_mergepath_partition_config_static_selectorELNS0_4arch9wavefront6targetE1EEEvSL_.private_seg_size, 0
	.set _ZN7rocprim17ROCPRIM_400000_NS6detail17trampoline_kernelINS0_14default_configENS1_38merge_sort_block_merge_config_selectorIiNS0_10empty_typeEEEZZNS1_27merge_sort_block_merge_implIS3_N6thrust23THRUST_200600_302600_NS6detail15normal_iteratorINS9_10device_ptrIiEEEEPS5_jNS1_19radix_merge_compareILb0ELb0EiNS0_19identity_decomposerEEEEE10hipError_tT0_T1_T2_jT3_P12ihipStream_tbPNSt15iterator_traitsISK_E10value_typeEPNSQ_ISL_E10value_typeEPSM_NS1_7vsmem_tEENKUlT_SK_SL_SM_E_clISE_PiSF_SF_EESJ_SZ_SK_SL_SM_EUlSZ_E_NS1_11comp_targetILNS1_3genE3ELNS1_11target_archE908ELNS1_3gpuE7ELNS1_3repE0EEENS1_48merge_mergepath_partition_config_static_selectorELNS0_4arch9wavefront6targetE1EEEvSL_.uses_vcc, 0
	.set _ZN7rocprim17ROCPRIM_400000_NS6detail17trampoline_kernelINS0_14default_configENS1_38merge_sort_block_merge_config_selectorIiNS0_10empty_typeEEEZZNS1_27merge_sort_block_merge_implIS3_N6thrust23THRUST_200600_302600_NS6detail15normal_iteratorINS9_10device_ptrIiEEEEPS5_jNS1_19radix_merge_compareILb0ELb0EiNS0_19identity_decomposerEEEEE10hipError_tT0_T1_T2_jT3_P12ihipStream_tbPNSt15iterator_traitsISK_E10value_typeEPNSQ_ISL_E10value_typeEPSM_NS1_7vsmem_tEENKUlT_SK_SL_SM_E_clISE_PiSF_SF_EESJ_SZ_SK_SL_SM_EUlSZ_E_NS1_11comp_targetILNS1_3genE3ELNS1_11target_archE908ELNS1_3gpuE7ELNS1_3repE0EEENS1_48merge_mergepath_partition_config_static_selectorELNS0_4arch9wavefront6targetE1EEEvSL_.uses_flat_scratch, 0
	.set _ZN7rocprim17ROCPRIM_400000_NS6detail17trampoline_kernelINS0_14default_configENS1_38merge_sort_block_merge_config_selectorIiNS0_10empty_typeEEEZZNS1_27merge_sort_block_merge_implIS3_N6thrust23THRUST_200600_302600_NS6detail15normal_iteratorINS9_10device_ptrIiEEEEPS5_jNS1_19radix_merge_compareILb0ELb0EiNS0_19identity_decomposerEEEEE10hipError_tT0_T1_T2_jT3_P12ihipStream_tbPNSt15iterator_traitsISK_E10value_typeEPNSQ_ISL_E10value_typeEPSM_NS1_7vsmem_tEENKUlT_SK_SL_SM_E_clISE_PiSF_SF_EESJ_SZ_SK_SL_SM_EUlSZ_E_NS1_11comp_targetILNS1_3genE3ELNS1_11target_archE908ELNS1_3gpuE7ELNS1_3repE0EEENS1_48merge_mergepath_partition_config_static_selectorELNS0_4arch9wavefront6targetE1EEEvSL_.has_dyn_sized_stack, 0
	.set _ZN7rocprim17ROCPRIM_400000_NS6detail17trampoline_kernelINS0_14default_configENS1_38merge_sort_block_merge_config_selectorIiNS0_10empty_typeEEEZZNS1_27merge_sort_block_merge_implIS3_N6thrust23THRUST_200600_302600_NS6detail15normal_iteratorINS9_10device_ptrIiEEEEPS5_jNS1_19radix_merge_compareILb0ELb0EiNS0_19identity_decomposerEEEEE10hipError_tT0_T1_T2_jT3_P12ihipStream_tbPNSt15iterator_traitsISK_E10value_typeEPNSQ_ISL_E10value_typeEPSM_NS1_7vsmem_tEENKUlT_SK_SL_SM_E_clISE_PiSF_SF_EESJ_SZ_SK_SL_SM_EUlSZ_E_NS1_11comp_targetILNS1_3genE3ELNS1_11target_archE908ELNS1_3gpuE7ELNS1_3repE0EEENS1_48merge_mergepath_partition_config_static_selectorELNS0_4arch9wavefront6targetE1EEEvSL_.has_recursion, 0
	.set _ZN7rocprim17ROCPRIM_400000_NS6detail17trampoline_kernelINS0_14default_configENS1_38merge_sort_block_merge_config_selectorIiNS0_10empty_typeEEEZZNS1_27merge_sort_block_merge_implIS3_N6thrust23THRUST_200600_302600_NS6detail15normal_iteratorINS9_10device_ptrIiEEEEPS5_jNS1_19radix_merge_compareILb0ELb0EiNS0_19identity_decomposerEEEEE10hipError_tT0_T1_T2_jT3_P12ihipStream_tbPNSt15iterator_traitsISK_E10value_typeEPNSQ_ISL_E10value_typeEPSM_NS1_7vsmem_tEENKUlT_SK_SL_SM_E_clISE_PiSF_SF_EESJ_SZ_SK_SL_SM_EUlSZ_E_NS1_11comp_targetILNS1_3genE3ELNS1_11target_archE908ELNS1_3gpuE7ELNS1_3repE0EEENS1_48merge_mergepath_partition_config_static_selectorELNS0_4arch9wavefront6targetE1EEEvSL_.has_indirect_call, 0
	.section	.AMDGPU.csdata,"",@progbits
; Kernel info:
; codeLenInByte = 0
; TotalNumSgprs: 6
; NumVgprs: 0
; NumAgprs: 0
; TotalNumVgprs: 0
; ScratchSize: 0
; MemoryBound: 0
; FloatMode: 240
; IeeeMode: 1
; LDSByteSize: 0 bytes/workgroup (compile time only)
; SGPRBlocks: 0
; VGPRBlocks: 0
; NumSGPRsForWavesPerEU: 6
; NumVGPRsForWavesPerEU: 1
; AccumOffset: 4
; Occupancy: 8
; WaveLimiterHint : 0
; COMPUTE_PGM_RSRC2:SCRATCH_EN: 0
; COMPUTE_PGM_RSRC2:USER_SGPR: 2
; COMPUTE_PGM_RSRC2:TRAP_HANDLER: 0
; COMPUTE_PGM_RSRC2:TGID_X_EN: 1
; COMPUTE_PGM_RSRC2:TGID_Y_EN: 0
; COMPUTE_PGM_RSRC2:TGID_Z_EN: 0
; COMPUTE_PGM_RSRC2:TIDIG_COMP_CNT: 0
; COMPUTE_PGM_RSRC3_GFX90A:ACCUM_OFFSET: 0
; COMPUTE_PGM_RSRC3_GFX90A:TG_SPLIT: 0
	.section	.text._ZN7rocprim17ROCPRIM_400000_NS6detail17trampoline_kernelINS0_14default_configENS1_38merge_sort_block_merge_config_selectorIiNS0_10empty_typeEEEZZNS1_27merge_sort_block_merge_implIS3_N6thrust23THRUST_200600_302600_NS6detail15normal_iteratorINS9_10device_ptrIiEEEEPS5_jNS1_19radix_merge_compareILb0ELb0EiNS0_19identity_decomposerEEEEE10hipError_tT0_T1_T2_jT3_P12ihipStream_tbPNSt15iterator_traitsISK_E10value_typeEPNSQ_ISL_E10value_typeEPSM_NS1_7vsmem_tEENKUlT_SK_SL_SM_E_clISE_PiSF_SF_EESJ_SZ_SK_SL_SM_EUlSZ_E_NS1_11comp_targetILNS1_3genE2ELNS1_11target_archE906ELNS1_3gpuE6ELNS1_3repE0EEENS1_48merge_mergepath_partition_config_static_selectorELNS0_4arch9wavefront6targetE1EEEvSL_,"axG",@progbits,_ZN7rocprim17ROCPRIM_400000_NS6detail17trampoline_kernelINS0_14default_configENS1_38merge_sort_block_merge_config_selectorIiNS0_10empty_typeEEEZZNS1_27merge_sort_block_merge_implIS3_N6thrust23THRUST_200600_302600_NS6detail15normal_iteratorINS9_10device_ptrIiEEEEPS5_jNS1_19radix_merge_compareILb0ELb0EiNS0_19identity_decomposerEEEEE10hipError_tT0_T1_T2_jT3_P12ihipStream_tbPNSt15iterator_traitsISK_E10value_typeEPNSQ_ISL_E10value_typeEPSM_NS1_7vsmem_tEENKUlT_SK_SL_SM_E_clISE_PiSF_SF_EESJ_SZ_SK_SL_SM_EUlSZ_E_NS1_11comp_targetILNS1_3genE2ELNS1_11target_archE906ELNS1_3gpuE6ELNS1_3repE0EEENS1_48merge_mergepath_partition_config_static_selectorELNS0_4arch9wavefront6targetE1EEEvSL_,comdat
	.protected	_ZN7rocprim17ROCPRIM_400000_NS6detail17trampoline_kernelINS0_14default_configENS1_38merge_sort_block_merge_config_selectorIiNS0_10empty_typeEEEZZNS1_27merge_sort_block_merge_implIS3_N6thrust23THRUST_200600_302600_NS6detail15normal_iteratorINS9_10device_ptrIiEEEEPS5_jNS1_19radix_merge_compareILb0ELb0EiNS0_19identity_decomposerEEEEE10hipError_tT0_T1_T2_jT3_P12ihipStream_tbPNSt15iterator_traitsISK_E10value_typeEPNSQ_ISL_E10value_typeEPSM_NS1_7vsmem_tEENKUlT_SK_SL_SM_E_clISE_PiSF_SF_EESJ_SZ_SK_SL_SM_EUlSZ_E_NS1_11comp_targetILNS1_3genE2ELNS1_11target_archE906ELNS1_3gpuE6ELNS1_3repE0EEENS1_48merge_mergepath_partition_config_static_selectorELNS0_4arch9wavefront6targetE1EEEvSL_ ; -- Begin function _ZN7rocprim17ROCPRIM_400000_NS6detail17trampoline_kernelINS0_14default_configENS1_38merge_sort_block_merge_config_selectorIiNS0_10empty_typeEEEZZNS1_27merge_sort_block_merge_implIS3_N6thrust23THRUST_200600_302600_NS6detail15normal_iteratorINS9_10device_ptrIiEEEEPS5_jNS1_19radix_merge_compareILb0ELb0EiNS0_19identity_decomposerEEEEE10hipError_tT0_T1_T2_jT3_P12ihipStream_tbPNSt15iterator_traitsISK_E10value_typeEPNSQ_ISL_E10value_typeEPSM_NS1_7vsmem_tEENKUlT_SK_SL_SM_E_clISE_PiSF_SF_EESJ_SZ_SK_SL_SM_EUlSZ_E_NS1_11comp_targetILNS1_3genE2ELNS1_11target_archE906ELNS1_3gpuE6ELNS1_3repE0EEENS1_48merge_mergepath_partition_config_static_selectorELNS0_4arch9wavefront6targetE1EEEvSL_
	.globl	_ZN7rocprim17ROCPRIM_400000_NS6detail17trampoline_kernelINS0_14default_configENS1_38merge_sort_block_merge_config_selectorIiNS0_10empty_typeEEEZZNS1_27merge_sort_block_merge_implIS3_N6thrust23THRUST_200600_302600_NS6detail15normal_iteratorINS9_10device_ptrIiEEEEPS5_jNS1_19radix_merge_compareILb0ELb0EiNS0_19identity_decomposerEEEEE10hipError_tT0_T1_T2_jT3_P12ihipStream_tbPNSt15iterator_traitsISK_E10value_typeEPNSQ_ISL_E10value_typeEPSM_NS1_7vsmem_tEENKUlT_SK_SL_SM_E_clISE_PiSF_SF_EESJ_SZ_SK_SL_SM_EUlSZ_E_NS1_11comp_targetILNS1_3genE2ELNS1_11target_archE906ELNS1_3gpuE6ELNS1_3repE0EEENS1_48merge_mergepath_partition_config_static_selectorELNS0_4arch9wavefront6targetE1EEEvSL_
	.p2align	8
	.type	_ZN7rocprim17ROCPRIM_400000_NS6detail17trampoline_kernelINS0_14default_configENS1_38merge_sort_block_merge_config_selectorIiNS0_10empty_typeEEEZZNS1_27merge_sort_block_merge_implIS3_N6thrust23THRUST_200600_302600_NS6detail15normal_iteratorINS9_10device_ptrIiEEEEPS5_jNS1_19radix_merge_compareILb0ELb0EiNS0_19identity_decomposerEEEEE10hipError_tT0_T1_T2_jT3_P12ihipStream_tbPNSt15iterator_traitsISK_E10value_typeEPNSQ_ISL_E10value_typeEPSM_NS1_7vsmem_tEENKUlT_SK_SL_SM_E_clISE_PiSF_SF_EESJ_SZ_SK_SL_SM_EUlSZ_E_NS1_11comp_targetILNS1_3genE2ELNS1_11target_archE906ELNS1_3gpuE6ELNS1_3repE0EEENS1_48merge_mergepath_partition_config_static_selectorELNS0_4arch9wavefront6targetE1EEEvSL_,@function
_ZN7rocprim17ROCPRIM_400000_NS6detail17trampoline_kernelINS0_14default_configENS1_38merge_sort_block_merge_config_selectorIiNS0_10empty_typeEEEZZNS1_27merge_sort_block_merge_implIS3_N6thrust23THRUST_200600_302600_NS6detail15normal_iteratorINS9_10device_ptrIiEEEEPS5_jNS1_19radix_merge_compareILb0ELb0EiNS0_19identity_decomposerEEEEE10hipError_tT0_T1_T2_jT3_P12ihipStream_tbPNSt15iterator_traitsISK_E10value_typeEPNSQ_ISL_E10value_typeEPSM_NS1_7vsmem_tEENKUlT_SK_SL_SM_E_clISE_PiSF_SF_EESJ_SZ_SK_SL_SM_EUlSZ_E_NS1_11comp_targetILNS1_3genE2ELNS1_11target_archE906ELNS1_3gpuE6ELNS1_3repE0EEENS1_48merge_mergepath_partition_config_static_selectorELNS0_4arch9wavefront6targetE1EEEvSL_: ; @_ZN7rocprim17ROCPRIM_400000_NS6detail17trampoline_kernelINS0_14default_configENS1_38merge_sort_block_merge_config_selectorIiNS0_10empty_typeEEEZZNS1_27merge_sort_block_merge_implIS3_N6thrust23THRUST_200600_302600_NS6detail15normal_iteratorINS9_10device_ptrIiEEEEPS5_jNS1_19radix_merge_compareILb0ELb0EiNS0_19identity_decomposerEEEEE10hipError_tT0_T1_T2_jT3_P12ihipStream_tbPNSt15iterator_traitsISK_E10value_typeEPNSQ_ISL_E10value_typeEPSM_NS1_7vsmem_tEENKUlT_SK_SL_SM_E_clISE_PiSF_SF_EESJ_SZ_SK_SL_SM_EUlSZ_E_NS1_11comp_targetILNS1_3genE2ELNS1_11target_archE906ELNS1_3gpuE6ELNS1_3repE0EEENS1_48merge_mergepath_partition_config_static_selectorELNS0_4arch9wavefront6targetE1EEEvSL_
; %bb.0:
	.section	.rodata,"a",@progbits
	.p2align	6, 0x0
	.amdhsa_kernel _ZN7rocprim17ROCPRIM_400000_NS6detail17trampoline_kernelINS0_14default_configENS1_38merge_sort_block_merge_config_selectorIiNS0_10empty_typeEEEZZNS1_27merge_sort_block_merge_implIS3_N6thrust23THRUST_200600_302600_NS6detail15normal_iteratorINS9_10device_ptrIiEEEEPS5_jNS1_19radix_merge_compareILb0ELb0EiNS0_19identity_decomposerEEEEE10hipError_tT0_T1_T2_jT3_P12ihipStream_tbPNSt15iterator_traitsISK_E10value_typeEPNSQ_ISL_E10value_typeEPSM_NS1_7vsmem_tEENKUlT_SK_SL_SM_E_clISE_PiSF_SF_EESJ_SZ_SK_SL_SM_EUlSZ_E_NS1_11comp_targetILNS1_3genE2ELNS1_11target_archE906ELNS1_3gpuE6ELNS1_3repE0EEENS1_48merge_mergepath_partition_config_static_selectorELNS0_4arch9wavefront6targetE1EEEvSL_
		.amdhsa_group_segment_fixed_size 0
		.amdhsa_private_segment_fixed_size 0
		.amdhsa_kernarg_size 40
		.amdhsa_user_sgpr_count 2
		.amdhsa_user_sgpr_dispatch_ptr 0
		.amdhsa_user_sgpr_queue_ptr 0
		.amdhsa_user_sgpr_kernarg_segment_ptr 1
		.amdhsa_user_sgpr_dispatch_id 0
		.amdhsa_user_sgpr_kernarg_preload_length 0
		.amdhsa_user_sgpr_kernarg_preload_offset 0
		.amdhsa_user_sgpr_private_segment_size 0
		.amdhsa_uses_dynamic_stack 0
		.amdhsa_enable_private_segment 0
		.amdhsa_system_sgpr_workgroup_id_x 1
		.amdhsa_system_sgpr_workgroup_id_y 0
		.amdhsa_system_sgpr_workgroup_id_z 0
		.amdhsa_system_sgpr_workgroup_info 0
		.amdhsa_system_vgpr_workitem_id 0
		.amdhsa_next_free_vgpr 1
		.amdhsa_next_free_sgpr 0
		.amdhsa_accum_offset 4
		.amdhsa_reserve_vcc 0
		.amdhsa_float_round_mode_32 0
		.amdhsa_float_round_mode_16_64 0
		.amdhsa_float_denorm_mode_32 3
		.amdhsa_float_denorm_mode_16_64 3
		.amdhsa_dx10_clamp 1
		.amdhsa_ieee_mode 1
		.amdhsa_fp16_overflow 0
		.amdhsa_tg_split 0
		.amdhsa_exception_fp_ieee_invalid_op 0
		.amdhsa_exception_fp_denorm_src 0
		.amdhsa_exception_fp_ieee_div_zero 0
		.amdhsa_exception_fp_ieee_overflow 0
		.amdhsa_exception_fp_ieee_underflow 0
		.amdhsa_exception_fp_ieee_inexact 0
		.amdhsa_exception_int_div_zero 0
	.end_amdhsa_kernel
	.section	.text._ZN7rocprim17ROCPRIM_400000_NS6detail17trampoline_kernelINS0_14default_configENS1_38merge_sort_block_merge_config_selectorIiNS0_10empty_typeEEEZZNS1_27merge_sort_block_merge_implIS3_N6thrust23THRUST_200600_302600_NS6detail15normal_iteratorINS9_10device_ptrIiEEEEPS5_jNS1_19radix_merge_compareILb0ELb0EiNS0_19identity_decomposerEEEEE10hipError_tT0_T1_T2_jT3_P12ihipStream_tbPNSt15iterator_traitsISK_E10value_typeEPNSQ_ISL_E10value_typeEPSM_NS1_7vsmem_tEENKUlT_SK_SL_SM_E_clISE_PiSF_SF_EESJ_SZ_SK_SL_SM_EUlSZ_E_NS1_11comp_targetILNS1_3genE2ELNS1_11target_archE906ELNS1_3gpuE6ELNS1_3repE0EEENS1_48merge_mergepath_partition_config_static_selectorELNS0_4arch9wavefront6targetE1EEEvSL_,"axG",@progbits,_ZN7rocprim17ROCPRIM_400000_NS6detail17trampoline_kernelINS0_14default_configENS1_38merge_sort_block_merge_config_selectorIiNS0_10empty_typeEEEZZNS1_27merge_sort_block_merge_implIS3_N6thrust23THRUST_200600_302600_NS6detail15normal_iteratorINS9_10device_ptrIiEEEEPS5_jNS1_19radix_merge_compareILb0ELb0EiNS0_19identity_decomposerEEEEE10hipError_tT0_T1_T2_jT3_P12ihipStream_tbPNSt15iterator_traitsISK_E10value_typeEPNSQ_ISL_E10value_typeEPSM_NS1_7vsmem_tEENKUlT_SK_SL_SM_E_clISE_PiSF_SF_EESJ_SZ_SK_SL_SM_EUlSZ_E_NS1_11comp_targetILNS1_3genE2ELNS1_11target_archE906ELNS1_3gpuE6ELNS1_3repE0EEENS1_48merge_mergepath_partition_config_static_selectorELNS0_4arch9wavefront6targetE1EEEvSL_,comdat
.Lfunc_end48:
	.size	_ZN7rocprim17ROCPRIM_400000_NS6detail17trampoline_kernelINS0_14default_configENS1_38merge_sort_block_merge_config_selectorIiNS0_10empty_typeEEEZZNS1_27merge_sort_block_merge_implIS3_N6thrust23THRUST_200600_302600_NS6detail15normal_iteratorINS9_10device_ptrIiEEEEPS5_jNS1_19radix_merge_compareILb0ELb0EiNS0_19identity_decomposerEEEEE10hipError_tT0_T1_T2_jT3_P12ihipStream_tbPNSt15iterator_traitsISK_E10value_typeEPNSQ_ISL_E10value_typeEPSM_NS1_7vsmem_tEENKUlT_SK_SL_SM_E_clISE_PiSF_SF_EESJ_SZ_SK_SL_SM_EUlSZ_E_NS1_11comp_targetILNS1_3genE2ELNS1_11target_archE906ELNS1_3gpuE6ELNS1_3repE0EEENS1_48merge_mergepath_partition_config_static_selectorELNS0_4arch9wavefront6targetE1EEEvSL_, .Lfunc_end48-_ZN7rocprim17ROCPRIM_400000_NS6detail17trampoline_kernelINS0_14default_configENS1_38merge_sort_block_merge_config_selectorIiNS0_10empty_typeEEEZZNS1_27merge_sort_block_merge_implIS3_N6thrust23THRUST_200600_302600_NS6detail15normal_iteratorINS9_10device_ptrIiEEEEPS5_jNS1_19radix_merge_compareILb0ELb0EiNS0_19identity_decomposerEEEEE10hipError_tT0_T1_T2_jT3_P12ihipStream_tbPNSt15iterator_traitsISK_E10value_typeEPNSQ_ISL_E10value_typeEPSM_NS1_7vsmem_tEENKUlT_SK_SL_SM_E_clISE_PiSF_SF_EESJ_SZ_SK_SL_SM_EUlSZ_E_NS1_11comp_targetILNS1_3genE2ELNS1_11target_archE906ELNS1_3gpuE6ELNS1_3repE0EEENS1_48merge_mergepath_partition_config_static_selectorELNS0_4arch9wavefront6targetE1EEEvSL_
                                        ; -- End function
	.set _ZN7rocprim17ROCPRIM_400000_NS6detail17trampoline_kernelINS0_14default_configENS1_38merge_sort_block_merge_config_selectorIiNS0_10empty_typeEEEZZNS1_27merge_sort_block_merge_implIS3_N6thrust23THRUST_200600_302600_NS6detail15normal_iteratorINS9_10device_ptrIiEEEEPS5_jNS1_19radix_merge_compareILb0ELb0EiNS0_19identity_decomposerEEEEE10hipError_tT0_T1_T2_jT3_P12ihipStream_tbPNSt15iterator_traitsISK_E10value_typeEPNSQ_ISL_E10value_typeEPSM_NS1_7vsmem_tEENKUlT_SK_SL_SM_E_clISE_PiSF_SF_EESJ_SZ_SK_SL_SM_EUlSZ_E_NS1_11comp_targetILNS1_3genE2ELNS1_11target_archE906ELNS1_3gpuE6ELNS1_3repE0EEENS1_48merge_mergepath_partition_config_static_selectorELNS0_4arch9wavefront6targetE1EEEvSL_.num_vgpr, 0
	.set _ZN7rocprim17ROCPRIM_400000_NS6detail17trampoline_kernelINS0_14default_configENS1_38merge_sort_block_merge_config_selectorIiNS0_10empty_typeEEEZZNS1_27merge_sort_block_merge_implIS3_N6thrust23THRUST_200600_302600_NS6detail15normal_iteratorINS9_10device_ptrIiEEEEPS5_jNS1_19radix_merge_compareILb0ELb0EiNS0_19identity_decomposerEEEEE10hipError_tT0_T1_T2_jT3_P12ihipStream_tbPNSt15iterator_traitsISK_E10value_typeEPNSQ_ISL_E10value_typeEPSM_NS1_7vsmem_tEENKUlT_SK_SL_SM_E_clISE_PiSF_SF_EESJ_SZ_SK_SL_SM_EUlSZ_E_NS1_11comp_targetILNS1_3genE2ELNS1_11target_archE906ELNS1_3gpuE6ELNS1_3repE0EEENS1_48merge_mergepath_partition_config_static_selectorELNS0_4arch9wavefront6targetE1EEEvSL_.num_agpr, 0
	.set _ZN7rocprim17ROCPRIM_400000_NS6detail17trampoline_kernelINS0_14default_configENS1_38merge_sort_block_merge_config_selectorIiNS0_10empty_typeEEEZZNS1_27merge_sort_block_merge_implIS3_N6thrust23THRUST_200600_302600_NS6detail15normal_iteratorINS9_10device_ptrIiEEEEPS5_jNS1_19radix_merge_compareILb0ELb0EiNS0_19identity_decomposerEEEEE10hipError_tT0_T1_T2_jT3_P12ihipStream_tbPNSt15iterator_traitsISK_E10value_typeEPNSQ_ISL_E10value_typeEPSM_NS1_7vsmem_tEENKUlT_SK_SL_SM_E_clISE_PiSF_SF_EESJ_SZ_SK_SL_SM_EUlSZ_E_NS1_11comp_targetILNS1_3genE2ELNS1_11target_archE906ELNS1_3gpuE6ELNS1_3repE0EEENS1_48merge_mergepath_partition_config_static_selectorELNS0_4arch9wavefront6targetE1EEEvSL_.numbered_sgpr, 0
	.set _ZN7rocprim17ROCPRIM_400000_NS6detail17trampoline_kernelINS0_14default_configENS1_38merge_sort_block_merge_config_selectorIiNS0_10empty_typeEEEZZNS1_27merge_sort_block_merge_implIS3_N6thrust23THRUST_200600_302600_NS6detail15normal_iteratorINS9_10device_ptrIiEEEEPS5_jNS1_19radix_merge_compareILb0ELb0EiNS0_19identity_decomposerEEEEE10hipError_tT0_T1_T2_jT3_P12ihipStream_tbPNSt15iterator_traitsISK_E10value_typeEPNSQ_ISL_E10value_typeEPSM_NS1_7vsmem_tEENKUlT_SK_SL_SM_E_clISE_PiSF_SF_EESJ_SZ_SK_SL_SM_EUlSZ_E_NS1_11comp_targetILNS1_3genE2ELNS1_11target_archE906ELNS1_3gpuE6ELNS1_3repE0EEENS1_48merge_mergepath_partition_config_static_selectorELNS0_4arch9wavefront6targetE1EEEvSL_.num_named_barrier, 0
	.set _ZN7rocprim17ROCPRIM_400000_NS6detail17trampoline_kernelINS0_14default_configENS1_38merge_sort_block_merge_config_selectorIiNS0_10empty_typeEEEZZNS1_27merge_sort_block_merge_implIS3_N6thrust23THRUST_200600_302600_NS6detail15normal_iteratorINS9_10device_ptrIiEEEEPS5_jNS1_19radix_merge_compareILb0ELb0EiNS0_19identity_decomposerEEEEE10hipError_tT0_T1_T2_jT3_P12ihipStream_tbPNSt15iterator_traitsISK_E10value_typeEPNSQ_ISL_E10value_typeEPSM_NS1_7vsmem_tEENKUlT_SK_SL_SM_E_clISE_PiSF_SF_EESJ_SZ_SK_SL_SM_EUlSZ_E_NS1_11comp_targetILNS1_3genE2ELNS1_11target_archE906ELNS1_3gpuE6ELNS1_3repE0EEENS1_48merge_mergepath_partition_config_static_selectorELNS0_4arch9wavefront6targetE1EEEvSL_.private_seg_size, 0
	.set _ZN7rocprim17ROCPRIM_400000_NS6detail17trampoline_kernelINS0_14default_configENS1_38merge_sort_block_merge_config_selectorIiNS0_10empty_typeEEEZZNS1_27merge_sort_block_merge_implIS3_N6thrust23THRUST_200600_302600_NS6detail15normal_iteratorINS9_10device_ptrIiEEEEPS5_jNS1_19radix_merge_compareILb0ELb0EiNS0_19identity_decomposerEEEEE10hipError_tT0_T1_T2_jT3_P12ihipStream_tbPNSt15iterator_traitsISK_E10value_typeEPNSQ_ISL_E10value_typeEPSM_NS1_7vsmem_tEENKUlT_SK_SL_SM_E_clISE_PiSF_SF_EESJ_SZ_SK_SL_SM_EUlSZ_E_NS1_11comp_targetILNS1_3genE2ELNS1_11target_archE906ELNS1_3gpuE6ELNS1_3repE0EEENS1_48merge_mergepath_partition_config_static_selectorELNS0_4arch9wavefront6targetE1EEEvSL_.uses_vcc, 0
	.set _ZN7rocprim17ROCPRIM_400000_NS6detail17trampoline_kernelINS0_14default_configENS1_38merge_sort_block_merge_config_selectorIiNS0_10empty_typeEEEZZNS1_27merge_sort_block_merge_implIS3_N6thrust23THRUST_200600_302600_NS6detail15normal_iteratorINS9_10device_ptrIiEEEEPS5_jNS1_19radix_merge_compareILb0ELb0EiNS0_19identity_decomposerEEEEE10hipError_tT0_T1_T2_jT3_P12ihipStream_tbPNSt15iterator_traitsISK_E10value_typeEPNSQ_ISL_E10value_typeEPSM_NS1_7vsmem_tEENKUlT_SK_SL_SM_E_clISE_PiSF_SF_EESJ_SZ_SK_SL_SM_EUlSZ_E_NS1_11comp_targetILNS1_3genE2ELNS1_11target_archE906ELNS1_3gpuE6ELNS1_3repE0EEENS1_48merge_mergepath_partition_config_static_selectorELNS0_4arch9wavefront6targetE1EEEvSL_.uses_flat_scratch, 0
	.set _ZN7rocprim17ROCPRIM_400000_NS6detail17trampoline_kernelINS0_14default_configENS1_38merge_sort_block_merge_config_selectorIiNS0_10empty_typeEEEZZNS1_27merge_sort_block_merge_implIS3_N6thrust23THRUST_200600_302600_NS6detail15normal_iteratorINS9_10device_ptrIiEEEEPS5_jNS1_19radix_merge_compareILb0ELb0EiNS0_19identity_decomposerEEEEE10hipError_tT0_T1_T2_jT3_P12ihipStream_tbPNSt15iterator_traitsISK_E10value_typeEPNSQ_ISL_E10value_typeEPSM_NS1_7vsmem_tEENKUlT_SK_SL_SM_E_clISE_PiSF_SF_EESJ_SZ_SK_SL_SM_EUlSZ_E_NS1_11comp_targetILNS1_3genE2ELNS1_11target_archE906ELNS1_3gpuE6ELNS1_3repE0EEENS1_48merge_mergepath_partition_config_static_selectorELNS0_4arch9wavefront6targetE1EEEvSL_.has_dyn_sized_stack, 0
	.set _ZN7rocprim17ROCPRIM_400000_NS6detail17trampoline_kernelINS0_14default_configENS1_38merge_sort_block_merge_config_selectorIiNS0_10empty_typeEEEZZNS1_27merge_sort_block_merge_implIS3_N6thrust23THRUST_200600_302600_NS6detail15normal_iteratorINS9_10device_ptrIiEEEEPS5_jNS1_19radix_merge_compareILb0ELb0EiNS0_19identity_decomposerEEEEE10hipError_tT0_T1_T2_jT3_P12ihipStream_tbPNSt15iterator_traitsISK_E10value_typeEPNSQ_ISL_E10value_typeEPSM_NS1_7vsmem_tEENKUlT_SK_SL_SM_E_clISE_PiSF_SF_EESJ_SZ_SK_SL_SM_EUlSZ_E_NS1_11comp_targetILNS1_3genE2ELNS1_11target_archE906ELNS1_3gpuE6ELNS1_3repE0EEENS1_48merge_mergepath_partition_config_static_selectorELNS0_4arch9wavefront6targetE1EEEvSL_.has_recursion, 0
	.set _ZN7rocprim17ROCPRIM_400000_NS6detail17trampoline_kernelINS0_14default_configENS1_38merge_sort_block_merge_config_selectorIiNS0_10empty_typeEEEZZNS1_27merge_sort_block_merge_implIS3_N6thrust23THRUST_200600_302600_NS6detail15normal_iteratorINS9_10device_ptrIiEEEEPS5_jNS1_19radix_merge_compareILb0ELb0EiNS0_19identity_decomposerEEEEE10hipError_tT0_T1_T2_jT3_P12ihipStream_tbPNSt15iterator_traitsISK_E10value_typeEPNSQ_ISL_E10value_typeEPSM_NS1_7vsmem_tEENKUlT_SK_SL_SM_E_clISE_PiSF_SF_EESJ_SZ_SK_SL_SM_EUlSZ_E_NS1_11comp_targetILNS1_3genE2ELNS1_11target_archE906ELNS1_3gpuE6ELNS1_3repE0EEENS1_48merge_mergepath_partition_config_static_selectorELNS0_4arch9wavefront6targetE1EEEvSL_.has_indirect_call, 0
	.section	.AMDGPU.csdata,"",@progbits
; Kernel info:
; codeLenInByte = 0
; TotalNumSgprs: 6
; NumVgprs: 0
; NumAgprs: 0
; TotalNumVgprs: 0
; ScratchSize: 0
; MemoryBound: 0
; FloatMode: 240
; IeeeMode: 1
; LDSByteSize: 0 bytes/workgroup (compile time only)
; SGPRBlocks: 0
; VGPRBlocks: 0
; NumSGPRsForWavesPerEU: 6
; NumVGPRsForWavesPerEU: 1
; AccumOffset: 4
; Occupancy: 8
; WaveLimiterHint : 0
; COMPUTE_PGM_RSRC2:SCRATCH_EN: 0
; COMPUTE_PGM_RSRC2:USER_SGPR: 2
; COMPUTE_PGM_RSRC2:TRAP_HANDLER: 0
; COMPUTE_PGM_RSRC2:TGID_X_EN: 1
; COMPUTE_PGM_RSRC2:TGID_Y_EN: 0
; COMPUTE_PGM_RSRC2:TGID_Z_EN: 0
; COMPUTE_PGM_RSRC2:TIDIG_COMP_CNT: 0
; COMPUTE_PGM_RSRC3_GFX90A:ACCUM_OFFSET: 0
; COMPUTE_PGM_RSRC3_GFX90A:TG_SPLIT: 0
	.section	.text._ZN7rocprim17ROCPRIM_400000_NS6detail17trampoline_kernelINS0_14default_configENS1_38merge_sort_block_merge_config_selectorIiNS0_10empty_typeEEEZZNS1_27merge_sort_block_merge_implIS3_N6thrust23THRUST_200600_302600_NS6detail15normal_iteratorINS9_10device_ptrIiEEEEPS5_jNS1_19radix_merge_compareILb0ELb0EiNS0_19identity_decomposerEEEEE10hipError_tT0_T1_T2_jT3_P12ihipStream_tbPNSt15iterator_traitsISK_E10value_typeEPNSQ_ISL_E10value_typeEPSM_NS1_7vsmem_tEENKUlT_SK_SL_SM_E_clISE_PiSF_SF_EESJ_SZ_SK_SL_SM_EUlSZ_E_NS1_11comp_targetILNS1_3genE9ELNS1_11target_archE1100ELNS1_3gpuE3ELNS1_3repE0EEENS1_48merge_mergepath_partition_config_static_selectorELNS0_4arch9wavefront6targetE1EEEvSL_,"axG",@progbits,_ZN7rocprim17ROCPRIM_400000_NS6detail17trampoline_kernelINS0_14default_configENS1_38merge_sort_block_merge_config_selectorIiNS0_10empty_typeEEEZZNS1_27merge_sort_block_merge_implIS3_N6thrust23THRUST_200600_302600_NS6detail15normal_iteratorINS9_10device_ptrIiEEEEPS5_jNS1_19radix_merge_compareILb0ELb0EiNS0_19identity_decomposerEEEEE10hipError_tT0_T1_T2_jT3_P12ihipStream_tbPNSt15iterator_traitsISK_E10value_typeEPNSQ_ISL_E10value_typeEPSM_NS1_7vsmem_tEENKUlT_SK_SL_SM_E_clISE_PiSF_SF_EESJ_SZ_SK_SL_SM_EUlSZ_E_NS1_11comp_targetILNS1_3genE9ELNS1_11target_archE1100ELNS1_3gpuE3ELNS1_3repE0EEENS1_48merge_mergepath_partition_config_static_selectorELNS0_4arch9wavefront6targetE1EEEvSL_,comdat
	.protected	_ZN7rocprim17ROCPRIM_400000_NS6detail17trampoline_kernelINS0_14default_configENS1_38merge_sort_block_merge_config_selectorIiNS0_10empty_typeEEEZZNS1_27merge_sort_block_merge_implIS3_N6thrust23THRUST_200600_302600_NS6detail15normal_iteratorINS9_10device_ptrIiEEEEPS5_jNS1_19radix_merge_compareILb0ELb0EiNS0_19identity_decomposerEEEEE10hipError_tT0_T1_T2_jT3_P12ihipStream_tbPNSt15iterator_traitsISK_E10value_typeEPNSQ_ISL_E10value_typeEPSM_NS1_7vsmem_tEENKUlT_SK_SL_SM_E_clISE_PiSF_SF_EESJ_SZ_SK_SL_SM_EUlSZ_E_NS1_11comp_targetILNS1_3genE9ELNS1_11target_archE1100ELNS1_3gpuE3ELNS1_3repE0EEENS1_48merge_mergepath_partition_config_static_selectorELNS0_4arch9wavefront6targetE1EEEvSL_ ; -- Begin function _ZN7rocprim17ROCPRIM_400000_NS6detail17trampoline_kernelINS0_14default_configENS1_38merge_sort_block_merge_config_selectorIiNS0_10empty_typeEEEZZNS1_27merge_sort_block_merge_implIS3_N6thrust23THRUST_200600_302600_NS6detail15normal_iteratorINS9_10device_ptrIiEEEEPS5_jNS1_19radix_merge_compareILb0ELb0EiNS0_19identity_decomposerEEEEE10hipError_tT0_T1_T2_jT3_P12ihipStream_tbPNSt15iterator_traitsISK_E10value_typeEPNSQ_ISL_E10value_typeEPSM_NS1_7vsmem_tEENKUlT_SK_SL_SM_E_clISE_PiSF_SF_EESJ_SZ_SK_SL_SM_EUlSZ_E_NS1_11comp_targetILNS1_3genE9ELNS1_11target_archE1100ELNS1_3gpuE3ELNS1_3repE0EEENS1_48merge_mergepath_partition_config_static_selectorELNS0_4arch9wavefront6targetE1EEEvSL_
	.globl	_ZN7rocprim17ROCPRIM_400000_NS6detail17trampoline_kernelINS0_14default_configENS1_38merge_sort_block_merge_config_selectorIiNS0_10empty_typeEEEZZNS1_27merge_sort_block_merge_implIS3_N6thrust23THRUST_200600_302600_NS6detail15normal_iteratorINS9_10device_ptrIiEEEEPS5_jNS1_19radix_merge_compareILb0ELb0EiNS0_19identity_decomposerEEEEE10hipError_tT0_T1_T2_jT3_P12ihipStream_tbPNSt15iterator_traitsISK_E10value_typeEPNSQ_ISL_E10value_typeEPSM_NS1_7vsmem_tEENKUlT_SK_SL_SM_E_clISE_PiSF_SF_EESJ_SZ_SK_SL_SM_EUlSZ_E_NS1_11comp_targetILNS1_3genE9ELNS1_11target_archE1100ELNS1_3gpuE3ELNS1_3repE0EEENS1_48merge_mergepath_partition_config_static_selectorELNS0_4arch9wavefront6targetE1EEEvSL_
	.p2align	8
	.type	_ZN7rocprim17ROCPRIM_400000_NS6detail17trampoline_kernelINS0_14default_configENS1_38merge_sort_block_merge_config_selectorIiNS0_10empty_typeEEEZZNS1_27merge_sort_block_merge_implIS3_N6thrust23THRUST_200600_302600_NS6detail15normal_iteratorINS9_10device_ptrIiEEEEPS5_jNS1_19radix_merge_compareILb0ELb0EiNS0_19identity_decomposerEEEEE10hipError_tT0_T1_T2_jT3_P12ihipStream_tbPNSt15iterator_traitsISK_E10value_typeEPNSQ_ISL_E10value_typeEPSM_NS1_7vsmem_tEENKUlT_SK_SL_SM_E_clISE_PiSF_SF_EESJ_SZ_SK_SL_SM_EUlSZ_E_NS1_11comp_targetILNS1_3genE9ELNS1_11target_archE1100ELNS1_3gpuE3ELNS1_3repE0EEENS1_48merge_mergepath_partition_config_static_selectorELNS0_4arch9wavefront6targetE1EEEvSL_,@function
_ZN7rocprim17ROCPRIM_400000_NS6detail17trampoline_kernelINS0_14default_configENS1_38merge_sort_block_merge_config_selectorIiNS0_10empty_typeEEEZZNS1_27merge_sort_block_merge_implIS3_N6thrust23THRUST_200600_302600_NS6detail15normal_iteratorINS9_10device_ptrIiEEEEPS5_jNS1_19radix_merge_compareILb0ELb0EiNS0_19identity_decomposerEEEEE10hipError_tT0_T1_T2_jT3_P12ihipStream_tbPNSt15iterator_traitsISK_E10value_typeEPNSQ_ISL_E10value_typeEPSM_NS1_7vsmem_tEENKUlT_SK_SL_SM_E_clISE_PiSF_SF_EESJ_SZ_SK_SL_SM_EUlSZ_E_NS1_11comp_targetILNS1_3genE9ELNS1_11target_archE1100ELNS1_3gpuE3ELNS1_3repE0EEENS1_48merge_mergepath_partition_config_static_selectorELNS0_4arch9wavefront6targetE1EEEvSL_: ; @_ZN7rocprim17ROCPRIM_400000_NS6detail17trampoline_kernelINS0_14default_configENS1_38merge_sort_block_merge_config_selectorIiNS0_10empty_typeEEEZZNS1_27merge_sort_block_merge_implIS3_N6thrust23THRUST_200600_302600_NS6detail15normal_iteratorINS9_10device_ptrIiEEEEPS5_jNS1_19radix_merge_compareILb0ELb0EiNS0_19identity_decomposerEEEEE10hipError_tT0_T1_T2_jT3_P12ihipStream_tbPNSt15iterator_traitsISK_E10value_typeEPNSQ_ISL_E10value_typeEPSM_NS1_7vsmem_tEENKUlT_SK_SL_SM_E_clISE_PiSF_SF_EESJ_SZ_SK_SL_SM_EUlSZ_E_NS1_11comp_targetILNS1_3genE9ELNS1_11target_archE1100ELNS1_3gpuE3ELNS1_3repE0EEENS1_48merge_mergepath_partition_config_static_selectorELNS0_4arch9wavefront6targetE1EEEvSL_
; %bb.0:
	.section	.rodata,"a",@progbits
	.p2align	6, 0x0
	.amdhsa_kernel _ZN7rocprim17ROCPRIM_400000_NS6detail17trampoline_kernelINS0_14default_configENS1_38merge_sort_block_merge_config_selectorIiNS0_10empty_typeEEEZZNS1_27merge_sort_block_merge_implIS3_N6thrust23THRUST_200600_302600_NS6detail15normal_iteratorINS9_10device_ptrIiEEEEPS5_jNS1_19radix_merge_compareILb0ELb0EiNS0_19identity_decomposerEEEEE10hipError_tT0_T1_T2_jT3_P12ihipStream_tbPNSt15iterator_traitsISK_E10value_typeEPNSQ_ISL_E10value_typeEPSM_NS1_7vsmem_tEENKUlT_SK_SL_SM_E_clISE_PiSF_SF_EESJ_SZ_SK_SL_SM_EUlSZ_E_NS1_11comp_targetILNS1_3genE9ELNS1_11target_archE1100ELNS1_3gpuE3ELNS1_3repE0EEENS1_48merge_mergepath_partition_config_static_selectorELNS0_4arch9wavefront6targetE1EEEvSL_
		.amdhsa_group_segment_fixed_size 0
		.amdhsa_private_segment_fixed_size 0
		.amdhsa_kernarg_size 40
		.amdhsa_user_sgpr_count 2
		.amdhsa_user_sgpr_dispatch_ptr 0
		.amdhsa_user_sgpr_queue_ptr 0
		.amdhsa_user_sgpr_kernarg_segment_ptr 1
		.amdhsa_user_sgpr_dispatch_id 0
		.amdhsa_user_sgpr_kernarg_preload_length 0
		.amdhsa_user_sgpr_kernarg_preload_offset 0
		.amdhsa_user_sgpr_private_segment_size 0
		.amdhsa_uses_dynamic_stack 0
		.amdhsa_enable_private_segment 0
		.amdhsa_system_sgpr_workgroup_id_x 1
		.amdhsa_system_sgpr_workgroup_id_y 0
		.amdhsa_system_sgpr_workgroup_id_z 0
		.amdhsa_system_sgpr_workgroup_info 0
		.amdhsa_system_vgpr_workitem_id 0
		.amdhsa_next_free_vgpr 1
		.amdhsa_next_free_sgpr 0
		.amdhsa_accum_offset 4
		.amdhsa_reserve_vcc 0
		.amdhsa_float_round_mode_32 0
		.amdhsa_float_round_mode_16_64 0
		.amdhsa_float_denorm_mode_32 3
		.amdhsa_float_denorm_mode_16_64 3
		.amdhsa_dx10_clamp 1
		.amdhsa_ieee_mode 1
		.amdhsa_fp16_overflow 0
		.amdhsa_tg_split 0
		.amdhsa_exception_fp_ieee_invalid_op 0
		.amdhsa_exception_fp_denorm_src 0
		.amdhsa_exception_fp_ieee_div_zero 0
		.amdhsa_exception_fp_ieee_overflow 0
		.amdhsa_exception_fp_ieee_underflow 0
		.amdhsa_exception_fp_ieee_inexact 0
		.amdhsa_exception_int_div_zero 0
	.end_amdhsa_kernel
	.section	.text._ZN7rocprim17ROCPRIM_400000_NS6detail17trampoline_kernelINS0_14default_configENS1_38merge_sort_block_merge_config_selectorIiNS0_10empty_typeEEEZZNS1_27merge_sort_block_merge_implIS3_N6thrust23THRUST_200600_302600_NS6detail15normal_iteratorINS9_10device_ptrIiEEEEPS5_jNS1_19radix_merge_compareILb0ELb0EiNS0_19identity_decomposerEEEEE10hipError_tT0_T1_T2_jT3_P12ihipStream_tbPNSt15iterator_traitsISK_E10value_typeEPNSQ_ISL_E10value_typeEPSM_NS1_7vsmem_tEENKUlT_SK_SL_SM_E_clISE_PiSF_SF_EESJ_SZ_SK_SL_SM_EUlSZ_E_NS1_11comp_targetILNS1_3genE9ELNS1_11target_archE1100ELNS1_3gpuE3ELNS1_3repE0EEENS1_48merge_mergepath_partition_config_static_selectorELNS0_4arch9wavefront6targetE1EEEvSL_,"axG",@progbits,_ZN7rocprim17ROCPRIM_400000_NS6detail17trampoline_kernelINS0_14default_configENS1_38merge_sort_block_merge_config_selectorIiNS0_10empty_typeEEEZZNS1_27merge_sort_block_merge_implIS3_N6thrust23THRUST_200600_302600_NS6detail15normal_iteratorINS9_10device_ptrIiEEEEPS5_jNS1_19radix_merge_compareILb0ELb0EiNS0_19identity_decomposerEEEEE10hipError_tT0_T1_T2_jT3_P12ihipStream_tbPNSt15iterator_traitsISK_E10value_typeEPNSQ_ISL_E10value_typeEPSM_NS1_7vsmem_tEENKUlT_SK_SL_SM_E_clISE_PiSF_SF_EESJ_SZ_SK_SL_SM_EUlSZ_E_NS1_11comp_targetILNS1_3genE9ELNS1_11target_archE1100ELNS1_3gpuE3ELNS1_3repE0EEENS1_48merge_mergepath_partition_config_static_selectorELNS0_4arch9wavefront6targetE1EEEvSL_,comdat
.Lfunc_end49:
	.size	_ZN7rocprim17ROCPRIM_400000_NS6detail17trampoline_kernelINS0_14default_configENS1_38merge_sort_block_merge_config_selectorIiNS0_10empty_typeEEEZZNS1_27merge_sort_block_merge_implIS3_N6thrust23THRUST_200600_302600_NS6detail15normal_iteratorINS9_10device_ptrIiEEEEPS5_jNS1_19radix_merge_compareILb0ELb0EiNS0_19identity_decomposerEEEEE10hipError_tT0_T1_T2_jT3_P12ihipStream_tbPNSt15iterator_traitsISK_E10value_typeEPNSQ_ISL_E10value_typeEPSM_NS1_7vsmem_tEENKUlT_SK_SL_SM_E_clISE_PiSF_SF_EESJ_SZ_SK_SL_SM_EUlSZ_E_NS1_11comp_targetILNS1_3genE9ELNS1_11target_archE1100ELNS1_3gpuE3ELNS1_3repE0EEENS1_48merge_mergepath_partition_config_static_selectorELNS0_4arch9wavefront6targetE1EEEvSL_, .Lfunc_end49-_ZN7rocprim17ROCPRIM_400000_NS6detail17trampoline_kernelINS0_14default_configENS1_38merge_sort_block_merge_config_selectorIiNS0_10empty_typeEEEZZNS1_27merge_sort_block_merge_implIS3_N6thrust23THRUST_200600_302600_NS6detail15normal_iteratorINS9_10device_ptrIiEEEEPS5_jNS1_19radix_merge_compareILb0ELb0EiNS0_19identity_decomposerEEEEE10hipError_tT0_T1_T2_jT3_P12ihipStream_tbPNSt15iterator_traitsISK_E10value_typeEPNSQ_ISL_E10value_typeEPSM_NS1_7vsmem_tEENKUlT_SK_SL_SM_E_clISE_PiSF_SF_EESJ_SZ_SK_SL_SM_EUlSZ_E_NS1_11comp_targetILNS1_3genE9ELNS1_11target_archE1100ELNS1_3gpuE3ELNS1_3repE0EEENS1_48merge_mergepath_partition_config_static_selectorELNS0_4arch9wavefront6targetE1EEEvSL_
                                        ; -- End function
	.set _ZN7rocprim17ROCPRIM_400000_NS6detail17trampoline_kernelINS0_14default_configENS1_38merge_sort_block_merge_config_selectorIiNS0_10empty_typeEEEZZNS1_27merge_sort_block_merge_implIS3_N6thrust23THRUST_200600_302600_NS6detail15normal_iteratorINS9_10device_ptrIiEEEEPS5_jNS1_19radix_merge_compareILb0ELb0EiNS0_19identity_decomposerEEEEE10hipError_tT0_T1_T2_jT3_P12ihipStream_tbPNSt15iterator_traitsISK_E10value_typeEPNSQ_ISL_E10value_typeEPSM_NS1_7vsmem_tEENKUlT_SK_SL_SM_E_clISE_PiSF_SF_EESJ_SZ_SK_SL_SM_EUlSZ_E_NS1_11comp_targetILNS1_3genE9ELNS1_11target_archE1100ELNS1_3gpuE3ELNS1_3repE0EEENS1_48merge_mergepath_partition_config_static_selectorELNS0_4arch9wavefront6targetE1EEEvSL_.num_vgpr, 0
	.set _ZN7rocprim17ROCPRIM_400000_NS6detail17trampoline_kernelINS0_14default_configENS1_38merge_sort_block_merge_config_selectorIiNS0_10empty_typeEEEZZNS1_27merge_sort_block_merge_implIS3_N6thrust23THRUST_200600_302600_NS6detail15normal_iteratorINS9_10device_ptrIiEEEEPS5_jNS1_19radix_merge_compareILb0ELb0EiNS0_19identity_decomposerEEEEE10hipError_tT0_T1_T2_jT3_P12ihipStream_tbPNSt15iterator_traitsISK_E10value_typeEPNSQ_ISL_E10value_typeEPSM_NS1_7vsmem_tEENKUlT_SK_SL_SM_E_clISE_PiSF_SF_EESJ_SZ_SK_SL_SM_EUlSZ_E_NS1_11comp_targetILNS1_3genE9ELNS1_11target_archE1100ELNS1_3gpuE3ELNS1_3repE0EEENS1_48merge_mergepath_partition_config_static_selectorELNS0_4arch9wavefront6targetE1EEEvSL_.num_agpr, 0
	.set _ZN7rocprim17ROCPRIM_400000_NS6detail17trampoline_kernelINS0_14default_configENS1_38merge_sort_block_merge_config_selectorIiNS0_10empty_typeEEEZZNS1_27merge_sort_block_merge_implIS3_N6thrust23THRUST_200600_302600_NS6detail15normal_iteratorINS9_10device_ptrIiEEEEPS5_jNS1_19radix_merge_compareILb0ELb0EiNS0_19identity_decomposerEEEEE10hipError_tT0_T1_T2_jT3_P12ihipStream_tbPNSt15iterator_traitsISK_E10value_typeEPNSQ_ISL_E10value_typeEPSM_NS1_7vsmem_tEENKUlT_SK_SL_SM_E_clISE_PiSF_SF_EESJ_SZ_SK_SL_SM_EUlSZ_E_NS1_11comp_targetILNS1_3genE9ELNS1_11target_archE1100ELNS1_3gpuE3ELNS1_3repE0EEENS1_48merge_mergepath_partition_config_static_selectorELNS0_4arch9wavefront6targetE1EEEvSL_.numbered_sgpr, 0
	.set _ZN7rocprim17ROCPRIM_400000_NS6detail17trampoline_kernelINS0_14default_configENS1_38merge_sort_block_merge_config_selectorIiNS0_10empty_typeEEEZZNS1_27merge_sort_block_merge_implIS3_N6thrust23THRUST_200600_302600_NS6detail15normal_iteratorINS9_10device_ptrIiEEEEPS5_jNS1_19radix_merge_compareILb0ELb0EiNS0_19identity_decomposerEEEEE10hipError_tT0_T1_T2_jT3_P12ihipStream_tbPNSt15iterator_traitsISK_E10value_typeEPNSQ_ISL_E10value_typeEPSM_NS1_7vsmem_tEENKUlT_SK_SL_SM_E_clISE_PiSF_SF_EESJ_SZ_SK_SL_SM_EUlSZ_E_NS1_11comp_targetILNS1_3genE9ELNS1_11target_archE1100ELNS1_3gpuE3ELNS1_3repE0EEENS1_48merge_mergepath_partition_config_static_selectorELNS0_4arch9wavefront6targetE1EEEvSL_.num_named_barrier, 0
	.set _ZN7rocprim17ROCPRIM_400000_NS6detail17trampoline_kernelINS0_14default_configENS1_38merge_sort_block_merge_config_selectorIiNS0_10empty_typeEEEZZNS1_27merge_sort_block_merge_implIS3_N6thrust23THRUST_200600_302600_NS6detail15normal_iteratorINS9_10device_ptrIiEEEEPS5_jNS1_19radix_merge_compareILb0ELb0EiNS0_19identity_decomposerEEEEE10hipError_tT0_T1_T2_jT3_P12ihipStream_tbPNSt15iterator_traitsISK_E10value_typeEPNSQ_ISL_E10value_typeEPSM_NS1_7vsmem_tEENKUlT_SK_SL_SM_E_clISE_PiSF_SF_EESJ_SZ_SK_SL_SM_EUlSZ_E_NS1_11comp_targetILNS1_3genE9ELNS1_11target_archE1100ELNS1_3gpuE3ELNS1_3repE0EEENS1_48merge_mergepath_partition_config_static_selectorELNS0_4arch9wavefront6targetE1EEEvSL_.private_seg_size, 0
	.set _ZN7rocprim17ROCPRIM_400000_NS6detail17trampoline_kernelINS0_14default_configENS1_38merge_sort_block_merge_config_selectorIiNS0_10empty_typeEEEZZNS1_27merge_sort_block_merge_implIS3_N6thrust23THRUST_200600_302600_NS6detail15normal_iteratorINS9_10device_ptrIiEEEEPS5_jNS1_19radix_merge_compareILb0ELb0EiNS0_19identity_decomposerEEEEE10hipError_tT0_T1_T2_jT3_P12ihipStream_tbPNSt15iterator_traitsISK_E10value_typeEPNSQ_ISL_E10value_typeEPSM_NS1_7vsmem_tEENKUlT_SK_SL_SM_E_clISE_PiSF_SF_EESJ_SZ_SK_SL_SM_EUlSZ_E_NS1_11comp_targetILNS1_3genE9ELNS1_11target_archE1100ELNS1_3gpuE3ELNS1_3repE0EEENS1_48merge_mergepath_partition_config_static_selectorELNS0_4arch9wavefront6targetE1EEEvSL_.uses_vcc, 0
	.set _ZN7rocprim17ROCPRIM_400000_NS6detail17trampoline_kernelINS0_14default_configENS1_38merge_sort_block_merge_config_selectorIiNS0_10empty_typeEEEZZNS1_27merge_sort_block_merge_implIS3_N6thrust23THRUST_200600_302600_NS6detail15normal_iteratorINS9_10device_ptrIiEEEEPS5_jNS1_19radix_merge_compareILb0ELb0EiNS0_19identity_decomposerEEEEE10hipError_tT0_T1_T2_jT3_P12ihipStream_tbPNSt15iterator_traitsISK_E10value_typeEPNSQ_ISL_E10value_typeEPSM_NS1_7vsmem_tEENKUlT_SK_SL_SM_E_clISE_PiSF_SF_EESJ_SZ_SK_SL_SM_EUlSZ_E_NS1_11comp_targetILNS1_3genE9ELNS1_11target_archE1100ELNS1_3gpuE3ELNS1_3repE0EEENS1_48merge_mergepath_partition_config_static_selectorELNS0_4arch9wavefront6targetE1EEEvSL_.uses_flat_scratch, 0
	.set _ZN7rocprim17ROCPRIM_400000_NS6detail17trampoline_kernelINS0_14default_configENS1_38merge_sort_block_merge_config_selectorIiNS0_10empty_typeEEEZZNS1_27merge_sort_block_merge_implIS3_N6thrust23THRUST_200600_302600_NS6detail15normal_iteratorINS9_10device_ptrIiEEEEPS5_jNS1_19radix_merge_compareILb0ELb0EiNS0_19identity_decomposerEEEEE10hipError_tT0_T1_T2_jT3_P12ihipStream_tbPNSt15iterator_traitsISK_E10value_typeEPNSQ_ISL_E10value_typeEPSM_NS1_7vsmem_tEENKUlT_SK_SL_SM_E_clISE_PiSF_SF_EESJ_SZ_SK_SL_SM_EUlSZ_E_NS1_11comp_targetILNS1_3genE9ELNS1_11target_archE1100ELNS1_3gpuE3ELNS1_3repE0EEENS1_48merge_mergepath_partition_config_static_selectorELNS0_4arch9wavefront6targetE1EEEvSL_.has_dyn_sized_stack, 0
	.set _ZN7rocprim17ROCPRIM_400000_NS6detail17trampoline_kernelINS0_14default_configENS1_38merge_sort_block_merge_config_selectorIiNS0_10empty_typeEEEZZNS1_27merge_sort_block_merge_implIS3_N6thrust23THRUST_200600_302600_NS6detail15normal_iteratorINS9_10device_ptrIiEEEEPS5_jNS1_19radix_merge_compareILb0ELb0EiNS0_19identity_decomposerEEEEE10hipError_tT0_T1_T2_jT3_P12ihipStream_tbPNSt15iterator_traitsISK_E10value_typeEPNSQ_ISL_E10value_typeEPSM_NS1_7vsmem_tEENKUlT_SK_SL_SM_E_clISE_PiSF_SF_EESJ_SZ_SK_SL_SM_EUlSZ_E_NS1_11comp_targetILNS1_3genE9ELNS1_11target_archE1100ELNS1_3gpuE3ELNS1_3repE0EEENS1_48merge_mergepath_partition_config_static_selectorELNS0_4arch9wavefront6targetE1EEEvSL_.has_recursion, 0
	.set _ZN7rocprim17ROCPRIM_400000_NS6detail17trampoline_kernelINS0_14default_configENS1_38merge_sort_block_merge_config_selectorIiNS0_10empty_typeEEEZZNS1_27merge_sort_block_merge_implIS3_N6thrust23THRUST_200600_302600_NS6detail15normal_iteratorINS9_10device_ptrIiEEEEPS5_jNS1_19radix_merge_compareILb0ELb0EiNS0_19identity_decomposerEEEEE10hipError_tT0_T1_T2_jT3_P12ihipStream_tbPNSt15iterator_traitsISK_E10value_typeEPNSQ_ISL_E10value_typeEPSM_NS1_7vsmem_tEENKUlT_SK_SL_SM_E_clISE_PiSF_SF_EESJ_SZ_SK_SL_SM_EUlSZ_E_NS1_11comp_targetILNS1_3genE9ELNS1_11target_archE1100ELNS1_3gpuE3ELNS1_3repE0EEENS1_48merge_mergepath_partition_config_static_selectorELNS0_4arch9wavefront6targetE1EEEvSL_.has_indirect_call, 0
	.section	.AMDGPU.csdata,"",@progbits
; Kernel info:
; codeLenInByte = 0
; TotalNumSgprs: 6
; NumVgprs: 0
; NumAgprs: 0
; TotalNumVgprs: 0
; ScratchSize: 0
; MemoryBound: 0
; FloatMode: 240
; IeeeMode: 1
; LDSByteSize: 0 bytes/workgroup (compile time only)
; SGPRBlocks: 0
; VGPRBlocks: 0
; NumSGPRsForWavesPerEU: 6
; NumVGPRsForWavesPerEU: 1
; AccumOffset: 4
; Occupancy: 8
; WaveLimiterHint : 0
; COMPUTE_PGM_RSRC2:SCRATCH_EN: 0
; COMPUTE_PGM_RSRC2:USER_SGPR: 2
; COMPUTE_PGM_RSRC2:TRAP_HANDLER: 0
; COMPUTE_PGM_RSRC2:TGID_X_EN: 1
; COMPUTE_PGM_RSRC2:TGID_Y_EN: 0
; COMPUTE_PGM_RSRC2:TGID_Z_EN: 0
; COMPUTE_PGM_RSRC2:TIDIG_COMP_CNT: 0
; COMPUTE_PGM_RSRC3_GFX90A:ACCUM_OFFSET: 0
; COMPUTE_PGM_RSRC3_GFX90A:TG_SPLIT: 0
	.section	.text._ZN7rocprim17ROCPRIM_400000_NS6detail17trampoline_kernelINS0_14default_configENS1_38merge_sort_block_merge_config_selectorIiNS0_10empty_typeEEEZZNS1_27merge_sort_block_merge_implIS3_N6thrust23THRUST_200600_302600_NS6detail15normal_iteratorINS9_10device_ptrIiEEEEPS5_jNS1_19radix_merge_compareILb0ELb0EiNS0_19identity_decomposerEEEEE10hipError_tT0_T1_T2_jT3_P12ihipStream_tbPNSt15iterator_traitsISK_E10value_typeEPNSQ_ISL_E10value_typeEPSM_NS1_7vsmem_tEENKUlT_SK_SL_SM_E_clISE_PiSF_SF_EESJ_SZ_SK_SL_SM_EUlSZ_E_NS1_11comp_targetILNS1_3genE8ELNS1_11target_archE1030ELNS1_3gpuE2ELNS1_3repE0EEENS1_48merge_mergepath_partition_config_static_selectorELNS0_4arch9wavefront6targetE1EEEvSL_,"axG",@progbits,_ZN7rocprim17ROCPRIM_400000_NS6detail17trampoline_kernelINS0_14default_configENS1_38merge_sort_block_merge_config_selectorIiNS0_10empty_typeEEEZZNS1_27merge_sort_block_merge_implIS3_N6thrust23THRUST_200600_302600_NS6detail15normal_iteratorINS9_10device_ptrIiEEEEPS5_jNS1_19radix_merge_compareILb0ELb0EiNS0_19identity_decomposerEEEEE10hipError_tT0_T1_T2_jT3_P12ihipStream_tbPNSt15iterator_traitsISK_E10value_typeEPNSQ_ISL_E10value_typeEPSM_NS1_7vsmem_tEENKUlT_SK_SL_SM_E_clISE_PiSF_SF_EESJ_SZ_SK_SL_SM_EUlSZ_E_NS1_11comp_targetILNS1_3genE8ELNS1_11target_archE1030ELNS1_3gpuE2ELNS1_3repE0EEENS1_48merge_mergepath_partition_config_static_selectorELNS0_4arch9wavefront6targetE1EEEvSL_,comdat
	.protected	_ZN7rocprim17ROCPRIM_400000_NS6detail17trampoline_kernelINS0_14default_configENS1_38merge_sort_block_merge_config_selectorIiNS0_10empty_typeEEEZZNS1_27merge_sort_block_merge_implIS3_N6thrust23THRUST_200600_302600_NS6detail15normal_iteratorINS9_10device_ptrIiEEEEPS5_jNS1_19radix_merge_compareILb0ELb0EiNS0_19identity_decomposerEEEEE10hipError_tT0_T1_T2_jT3_P12ihipStream_tbPNSt15iterator_traitsISK_E10value_typeEPNSQ_ISL_E10value_typeEPSM_NS1_7vsmem_tEENKUlT_SK_SL_SM_E_clISE_PiSF_SF_EESJ_SZ_SK_SL_SM_EUlSZ_E_NS1_11comp_targetILNS1_3genE8ELNS1_11target_archE1030ELNS1_3gpuE2ELNS1_3repE0EEENS1_48merge_mergepath_partition_config_static_selectorELNS0_4arch9wavefront6targetE1EEEvSL_ ; -- Begin function _ZN7rocprim17ROCPRIM_400000_NS6detail17trampoline_kernelINS0_14default_configENS1_38merge_sort_block_merge_config_selectorIiNS0_10empty_typeEEEZZNS1_27merge_sort_block_merge_implIS3_N6thrust23THRUST_200600_302600_NS6detail15normal_iteratorINS9_10device_ptrIiEEEEPS5_jNS1_19radix_merge_compareILb0ELb0EiNS0_19identity_decomposerEEEEE10hipError_tT0_T1_T2_jT3_P12ihipStream_tbPNSt15iterator_traitsISK_E10value_typeEPNSQ_ISL_E10value_typeEPSM_NS1_7vsmem_tEENKUlT_SK_SL_SM_E_clISE_PiSF_SF_EESJ_SZ_SK_SL_SM_EUlSZ_E_NS1_11comp_targetILNS1_3genE8ELNS1_11target_archE1030ELNS1_3gpuE2ELNS1_3repE0EEENS1_48merge_mergepath_partition_config_static_selectorELNS0_4arch9wavefront6targetE1EEEvSL_
	.globl	_ZN7rocprim17ROCPRIM_400000_NS6detail17trampoline_kernelINS0_14default_configENS1_38merge_sort_block_merge_config_selectorIiNS0_10empty_typeEEEZZNS1_27merge_sort_block_merge_implIS3_N6thrust23THRUST_200600_302600_NS6detail15normal_iteratorINS9_10device_ptrIiEEEEPS5_jNS1_19radix_merge_compareILb0ELb0EiNS0_19identity_decomposerEEEEE10hipError_tT0_T1_T2_jT3_P12ihipStream_tbPNSt15iterator_traitsISK_E10value_typeEPNSQ_ISL_E10value_typeEPSM_NS1_7vsmem_tEENKUlT_SK_SL_SM_E_clISE_PiSF_SF_EESJ_SZ_SK_SL_SM_EUlSZ_E_NS1_11comp_targetILNS1_3genE8ELNS1_11target_archE1030ELNS1_3gpuE2ELNS1_3repE0EEENS1_48merge_mergepath_partition_config_static_selectorELNS0_4arch9wavefront6targetE1EEEvSL_
	.p2align	8
	.type	_ZN7rocprim17ROCPRIM_400000_NS6detail17trampoline_kernelINS0_14default_configENS1_38merge_sort_block_merge_config_selectorIiNS0_10empty_typeEEEZZNS1_27merge_sort_block_merge_implIS3_N6thrust23THRUST_200600_302600_NS6detail15normal_iteratorINS9_10device_ptrIiEEEEPS5_jNS1_19radix_merge_compareILb0ELb0EiNS0_19identity_decomposerEEEEE10hipError_tT0_T1_T2_jT3_P12ihipStream_tbPNSt15iterator_traitsISK_E10value_typeEPNSQ_ISL_E10value_typeEPSM_NS1_7vsmem_tEENKUlT_SK_SL_SM_E_clISE_PiSF_SF_EESJ_SZ_SK_SL_SM_EUlSZ_E_NS1_11comp_targetILNS1_3genE8ELNS1_11target_archE1030ELNS1_3gpuE2ELNS1_3repE0EEENS1_48merge_mergepath_partition_config_static_selectorELNS0_4arch9wavefront6targetE1EEEvSL_,@function
_ZN7rocprim17ROCPRIM_400000_NS6detail17trampoline_kernelINS0_14default_configENS1_38merge_sort_block_merge_config_selectorIiNS0_10empty_typeEEEZZNS1_27merge_sort_block_merge_implIS3_N6thrust23THRUST_200600_302600_NS6detail15normal_iteratorINS9_10device_ptrIiEEEEPS5_jNS1_19radix_merge_compareILb0ELb0EiNS0_19identity_decomposerEEEEE10hipError_tT0_T1_T2_jT3_P12ihipStream_tbPNSt15iterator_traitsISK_E10value_typeEPNSQ_ISL_E10value_typeEPSM_NS1_7vsmem_tEENKUlT_SK_SL_SM_E_clISE_PiSF_SF_EESJ_SZ_SK_SL_SM_EUlSZ_E_NS1_11comp_targetILNS1_3genE8ELNS1_11target_archE1030ELNS1_3gpuE2ELNS1_3repE0EEENS1_48merge_mergepath_partition_config_static_selectorELNS0_4arch9wavefront6targetE1EEEvSL_: ; @_ZN7rocprim17ROCPRIM_400000_NS6detail17trampoline_kernelINS0_14default_configENS1_38merge_sort_block_merge_config_selectorIiNS0_10empty_typeEEEZZNS1_27merge_sort_block_merge_implIS3_N6thrust23THRUST_200600_302600_NS6detail15normal_iteratorINS9_10device_ptrIiEEEEPS5_jNS1_19radix_merge_compareILb0ELb0EiNS0_19identity_decomposerEEEEE10hipError_tT0_T1_T2_jT3_P12ihipStream_tbPNSt15iterator_traitsISK_E10value_typeEPNSQ_ISL_E10value_typeEPSM_NS1_7vsmem_tEENKUlT_SK_SL_SM_E_clISE_PiSF_SF_EESJ_SZ_SK_SL_SM_EUlSZ_E_NS1_11comp_targetILNS1_3genE8ELNS1_11target_archE1030ELNS1_3gpuE2ELNS1_3repE0EEENS1_48merge_mergepath_partition_config_static_selectorELNS0_4arch9wavefront6targetE1EEEvSL_
; %bb.0:
	.section	.rodata,"a",@progbits
	.p2align	6, 0x0
	.amdhsa_kernel _ZN7rocprim17ROCPRIM_400000_NS6detail17trampoline_kernelINS0_14default_configENS1_38merge_sort_block_merge_config_selectorIiNS0_10empty_typeEEEZZNS1_27merge_sort_block_merge_implIS3_N6thrust23THRUST_200600_302600_NS6detail15normal_iteratorINS9_10device_ptrIiEEEEPS5_jNS1_19radix_merge_compareILb0ELb0EiNS0_19identity_decomposerEEEEE10hipError_tT0_T1_T2_jT3_P12ihipStream_tbPNSt15iterator_traitsISK_E10value_typeEPNSQ_ISL_E10value_typeEPSM_NS1_7vsmem_tEENKUlT_SK_SL_SM_E_clISE_PiSF_SF_EESJ_SZ_SK_SL_SM_EUlSZ_E_NS1_11comp_targetILNS1_3genE8ELNS1_11target_archE1030ELNS1_3gpuE2ELNS1_3repE0EEENS1_48merge_mergepath_partition_config_static_selectorELNS0_4arch9wavefront6targetE1EEEvSL_
		.amdhsa_group_segment_fixed_size 0
		.amdhsa_private_segment_fixed_size 0
		.amdhsa_kernarg_size 40
		.amdhsa_user_sgpr_count 2
		.amdhsa_user_sgpr_dispatch_ptr 0
		.amdhsa_user_sgpr_queue_ptr 0
		.amdhsa_user_sgpr_kernarg_segment_ptr 1
		.amdhsa_user_sgpr_dispatch_id 0
		.amdhsa_user_sgpr_kernarg_preload_length 0
		.amdhsa_user_sgpr_kernarg_preload_offset 0
		.amdhsa_user_sgpr_private_segment_size 0
		.amdhsa_uses_dynamic_stack 0
		.amdhsa_enable_private_segment 0
		.amdhsa_system_sgpr_workgroup_id_x 1
		.amdhsa_system_sgpr_workgroup_id_y 0
		.amdhsa_system_sgpr_workgroup_id_z 0
		.amdhsa_system_sgpr_workgroup_info 0
		.amdhsa_system_vgpr_workitem_id 0
		.amdhsa_next_free_vgpr 1
		.amdhsa_next_free_sgpr 0
		.amdhsa_accum_offset 4
		.amdhsa_reserve_vcc 0
		.amdhsa_float_round_mode_32 0
		.amdhsa_float_round_mode_16_64 0
		.amdhsa_float_denorm_mode_32 3
		.amdhsa_float_denorm_mode_16_64 3
		.amdhsa_dx10_clamp 1
		.amdhsa_ieee_mode 1
		.amdhsa_fp16_overflow 0
		.amdhsa_tg_split 0
		.amdhsa_exception_fp_ieee_invalid_op 0
		.amdhsa_exception_fp_denorm_src 0
		.amdhsa_exception_fp_ieee_div_zero 0
		.amdhsa_exception_fp_ieee_overflow 0
		.amdhsa_exception_fp_ieee_underflow 0
		.amdhsa_exception_fp_ieee_inexact 0
		.amdhsa_exception_int_div_zero 0
	.end_amdhsa_kernel
	.section	.text._ZN7rocprim17ROCPRIM_400000_NS6detail17trampoline_kernelINS0_14default_configENS1_38merge_sort_block_merge_config_selectorIiNS0_10empty_typeEEEZZNS1_27merge_sort_block_merge_implIS3_N6thrust23THRUST_200600_302600_NS6detail15normal_iteratorINS9_10device_ptrIiEEEEPS5_jNS1_19radix_merge_compareILb0ELb0EiNS0_19identity_decomposerEEEEE10hipError_tT0_T1_T2_jT3_P12ihipStream_tbPNSt15iterator_traitsISK_E10value_typeEPNSQ_ISL_E10value_typeEPSM_NS1_7vsmem_tEENKUlT_SK_SL_SM_E_clISE_PiSF_SF_EESJ_SZ_SK_SL_SM_EUlSZ_E_NS1_11comp_targetILNS1_3genE8ELNS1_11target_archE1030ELNS1_3gpuE2ELNS1_3repE0EEENS1_48merge_mergepath_partition_config_static_selectorELNS0_4arch9wavefront6targetE1EEEvSL_,"axG",@progbits,_ZN7rocprim17ROCPRIM_400000_NS6detail17trampoline_kernelINS0_14default_configENS1_38merge_sort_block_merge_config_selectorIiNS0_10empty_typeEEEZZNS1_27merge_sort_block_merge_implIS3_N6thrust23THRUST_200600_302600_NS6detail15normal_iteratorINS9_10device_ptrIiEEEEPS5_jNS1_19radix_merge_compareILb0ELb0EiNS0_19identity_decomposerEEEEE10hipError_tT0_T1_T2_jT3_P12ihipStream_tbPNSt15iterator_traitsISK_E10value_typeEPNSQ_ISL_E10value_typeEPSM_NS1_7vsmem_tEENKUlT_SK_SL_SM_E_clISE_PiSF_SF_EESJ_SZ_SK_SL_SM_EUlSZ_E_NS1_11comp_targetILNS1_3genE8ELNS1_11target_archE1030ELNS1_3gpuE2ELNS1_3repE0EEENS1_48merge_mergepath_partition_config_static_selectorELNS0_4arch9wavefront6targetE1EEEvSL_,comdat
.Lfunc_end50:
	.size	_ZN7rocprim17ROCPRIM_400000_NS6detail17trampoline_kernelINS0_14default_configENS1_38merge_sort_block_merge_config_selectorIiNS0_10empty_typeEEEZZNS1_27merge_sort_block_merge_implIS3_N6thrust23THRUST_200600_302600_NS6detail15normal_iteratorINS9_10device_ptrIiEEEEPS5_jNS1_19radix_merge_compareILb0ELb0EiNS0_19identity_decomposerEEEEE10hipError_tT0_T1_T2_jT3_P12ihipStream_tbPNSt15iterator_traitsISK_E10value_typeEPNSQ_ISL_E10value_typeEPSM_NS1_7vsmem_tEENKUlT_SK_SL_SM_E_clISE_PiSF_SF_EESJ_SZ_SK_SL_SM_EUlSZ_E_NS1_11comp_targetILNS1_3genE8ELNS1_11target_archE1030ELNS1_3gpuE2ELNS1_3repE0EEENS1_48merge_mergepath_partition_config_static_selectorELNS0_4arch9wavefront6targetE1EEEvSL_, .Lfunc_end50-_ZN7rocprim17ROCPRIM_400000_NS6detail17trampoline_kernelINS0_14default_configENS1_38merge_sort_block_merge_config_selectorIiNS0_10empty_typeEEEZZNS1_27merge_sort_block_merge_implIS3_N6thrust23THRUST_200600_302600_NS6detail15normal_iteratorINS9_10device_ptrIiEEEEPS5_jNS1_19radix_merge_compareILb0ELb0EiNS0_19identity_decomposerEEEEE10hipError_tT0_T1_T2_jT3_P12ihipStream_tbPNSt15iterator_traitsISK_E10value_typeEPNSQ_ISL_E10value_typeEPSM_NS1_7vsmem_tEENKUlT_SK_SL_SM_E_clISE_PiSF_SF_EESJ_SZ_SK_SL_SM_EUlSZ_E_NS1_11comp_targetILNS1_3genE8ELNS1_11target_archE1030ELNS1_3gpuE2ELNS1_3repE0EEENS1_48merge_mergepath_partition_config_static_selectorELNS0_4arch9wavefront6targetE1EEEvSL_
                                        ; -- End function
	.set _ZN7rocprim17ROCPRIM_400000_NS6detail17trampoline_kernelINS0_14default_configENS1_38merge_sort_block_merge_config_selectorIiNS0_10empty_typeEEEZZNS1_27merge_sort_block_merge_implIS3_N6thrust23THRUST_200600_302600_NS6detail15normal_iteratorINS9_10device_ptrIiEEEEPS5_jNS1_19radix_merge_compareILb0ELb0EiNS0_19identity_decomposerEEEEE10hipError_tT0_T1_T2_jT3_P12ihipStream_tbPNSt15iterator_traitsISK_E10value_typeEPNSQ_ISL_E10value_typeEPSM_NS1_7vsmem_tEENKUlT_SK_SL_SM_E_clISE_PiSF_SF_EESJ_SZ_SK_SL_SM_EUlSZ_E_NS1_11comp_targetILNS1_3genE8ELNS1_11target_archE1030ELNS1_3gpuE2ELNS1_3repE0EEENS1_48merge_mergepath_partition_config_static_selectorELNS0_4arch9wavefront6targetE1EEEvSL_.num_vgpr, 0
	.set _ZN7rocprim17ROCPRIM_400000_NS6detail17trampoline_kernelINS0_14default_configENS1_38merge_sort_block_merge_config_selectorIiNS0_10empty_typeEEEZZNS1_27merge_sort_block_merge_implIS3_N6thrust23THRUST_200600_302600_NS6detail15normal_iteratorINS9_10device_ptrIiEEEEPS5_jNS1_19radix_merge_compareILb0ELb0EiNS0_19identity_decomposerEEEEE10hipError_tT0_T1_T2_jT3_P12ihipStream_tbPNSt15iterator_traitsISK_E10value_typeEPNSQ_ISL_E10value_typeEPSM_NS1_7vsmem_tEENKUlT_SK_SL_SM_E_clISE_PiSF_SF_EESJ_SZ_SK_SL_SM_EUlSZ_E_NS1_11comp_targetILNS1_3genE8ELNS1_11target_archE1030ELNS1_3gpuE2ELNS1_3repE0EEENS1_48merge_mergepath_partition_config_static_selectorELNS0_4arch9wavefront6targetE1EEEvSL_.num_agpr, 0
	.set _ZN7rocprim17ROCPRIM_400000_NS6detail17trampoline_kernelINS0_14default_configENS1_38merge_sort_block_merge_config_selectorIiNS0_10empty_typeEEEZZNS1_27merge_sort_block_merge_implIS3_N6thrust23THRUST_200600_302600_NS6detail15normal_iteratorINS9_10device_ptrIiEEEEPS5_jNS1_19radix_merge_compareILb0ELb0EiNS0_19identity_decomposerEEEEE10hipError_tT0_T1_T2_jT3_P12ihipStream_tbPNSt15iterator_traitsISK_E10value_typeEPNSQ_ISL_E10value_typeEPSM_NS1_7vsmem_tEENKUlT_SK_SL_SM_E_clISE_PiSF_SF_EESJ_SZ_SK_SL_SM_EUlSZ_E_NS1_11comp_targetILNS1_3genE8ELNS1_11target_archE1030ELNS1_3gpuE2ELNS1_3repE0EEENS1_48merge_mergepath_partition_config_static_selectorELNS0_4arch9wavefront6targetE1EEEvSL_.numbered_sgpr, 0
	.set _ZN7rocprim17ROCPRIM_400000_NS6detail17trampoline_kernelINS0_14default_configENS1_38merge_sort_block_merge_config_selectorIiNS0_10empty_typeEEEZZNS1_27merge_sort_block_merge_implIS3_N6thrust23THRUST_200600_302600_NS6detail15normal_iteratorINS9_10device_ptrIiEEEEPS5_jNS1_19radix_merge_compareILb0ELb0EiNS0_19identity_decomposerEEEEE10hipError_tT0_T1_T2_jT3_P12ihipStream_tbPNSt15iterator_traitsISK_E10value_typeEPNSQ_ISL_E10value_typeEPSM_NS1_7vsmem_tEENKUlT_SK_SL_SM_E_clISE_PiSF_SF_EESJ_SZ_SK_SL_SM_EUlSZ_E_NS1_11comp_targetILNS1_3genE8ELNS1_11target_archE1030ELNS1_3gpuE2ELNS1_3repE0EEENS1_48merge_mergepath_partition_config_static_selectorELNS0_4arch9wavefront6targetE1EEEvSL_.num_named_barrier, 0
	.set _ZN7rocprim17ROCPRIM_400000_NS6detail17trampoline_kernelINS0_14default_configENS1_38merge_sort_block_merge_config_selectorIiNS0_10empty_typeEEEZZNS1_27merge_sort_block_merge_implIS3_N6thrust23THRUST_200600_302600_NS6detail15normal_iteratorINS9_10device_ptrIiEEEEPS5_jNS1_19radix_merge_compareILb0ELb0EiNS0_19identity_decomposerEEEEE10hipError_tT0_T1_T2_jT3_P12ihipStream_tbPNSt15iterator_traitsISK_E10value_typeEPNSQ_ISL_E10value_typeEPSM_NS1_7vsmem_tEENKUlT_SK_SL_SM_E_clISE_PiSF_SF_EESJ_SZ_SK_SL_SM_EUlSZ_E_NS1_11comp_targetILNS1_3genE8ELNS1_11target_archE1030ELNS1_3gpuE2ELNS1_3repE0EEENS1_48merge_mergepath_partition_config_static_selectorELNS0_4arch9wavefront6targetE1EEEvSL_.private_seg_size, 0
	.set _ZN7rocprim17ROCPRIM_400000_NS6detail17trampoline_kernelINS0_14default_configENS1_38merge_sort_block_merge_config_selectorIiNS0_10empty_typeEEEZZNS1_27merge_sort_block_merge_implIS3_N6thrust23THRUST_200600_302600_NS6detail15normal_iteratorINS9_10device_ptrIiEEEEPS5_jNS1_19radix_merge_compareILb0ELb0EiNS0_19identity_decomposerEEEEE10hipError_tT0_T1_T2_jT3_P12ihipStream_tbPNSt15iterator_traitsISK_E10value_typeEPNSQ_ISL_E10value_typeEPSM_NS1_7vsmem_tEENKUlT_SK_SL_SM_E_clISE_PiSF_SF_EESJ_SZ_SK_SL_SM_EUlSZ_E_NS1_11comp_targetILNS1_3genE8ELNS1_11target_archE1030ELNS1_3gpuE2ELNS1_3repE0EEENS1_48merge_mergepath_partition_config_static_selectorELNS0_4arch9wavefront6targetE1EEEvSL_.uses_vcc, 0
	.set _ZN7rocprim17ROCPRIM_400000_NS6detail17trampoline_kernelINS0_14default_configENS1_38merge_sort_block_merge_config_selectorIiNS0_10empty_typeEEEZZNS1_27merge_sort_block_merge_implIS3_N6thrust23THRUST_200600_302600_NS6detail15normal_iteratorINS9_10device_ptrIiEEEEPS5_jNS1_19radix_merge_compareILb0ELb0EiNS0_19identity_decomposerEEEEE10hipError_tT0_T1_T2_jT3_P12ihipStream_tbPNSt15iterator_traitsISK_E10value_typeEPNSQ_ISL_E10value_typeEPSM_NS1_7vsmem_tEENKUlT_SK_SL_SM_E_clISE_PiSF_SF_EESJ_SZ_SK_SL_SM_EUlSZ_E_NS1_11comp_targetILNS1_3genE8ELNS1_11target_archE1030ELNS1_3gpuE2ELNS1_3repE0EEENS1_48merge_mergepath_partition_config_static_selectorELNS0_4arch9wavefront6targetE1EEEvSL_.uses_flat_scratch, 0
	.set _ZN7rocprim17ROCPRIM_400000_NS6detail17trampoline_kernelINS0_14default_configENS1_38merge_sort_block_merge_config_selectorIiNS0_10empty_typeEEEZZNS1_27merge_sort_block_merge_implIS3_N6thrust23THRUST_200600_302600_NS6detail15normal_iteratorINS9_10device_ptrIiEEEEPS5_jNS1_19radix_merge_compareILb0ELb0EiNS0_19identity_decomposerEEEEE10hipError_tT0_T1_T2_jT3_P12ihipStream_tbPNSt15iterator_traitsISK_E10value_typeEPNSQ_ISL_E10value_typeEPSM_NS1_7vsmem_tEENKUlT_SK_SL_SM_E_clISE_PiSF_SF_EESJ_SZ_SK_SL_SM_EUlSZ_E_NS1_11comp_targetILNS1_3genE8ELNS1_11target_archE1030ELNS1_3gpuE2ELNS1_3repE0EEENS1_48merge_mergepath_partition_config_static_selectorELNS0_4arch9wavefront6targetE1EEEvSL_.has_dyn_sized_stack, 0
	.set _ZN7rocprim17ROCPRIM_400000_NS6detail17trampoline_kernelINS0_14default_configENS1_38merge_sort_block_merge_config_selectorIiNS0_10empty_typeEEEZZNS1_27merge_sort_block_merge_implIS3_N6thrust23THRUST_200600_302600_NS6detail15normal_iteratorINS9_10device_ptrIiEEEEPS5_jNS1_19radix_merge_compareILb0ELb0EiNS0_19identity_decomposerEEEEE10hipError_tT0_T1_T2_jT3_P12ihipStream_tbPNSt15iterator_traitsISK_E10value_typeEPNSQ_ISL_E10value_typeEPSM_NS1_7vsmem_tEENKUlT_SK_SL_SM_E_clISE_PiSF_SF_EESJ_SZ_SK_SL_SM_EUlSZ_E_NS1_11comp_targetILNS1_3genE8ELNS1_11target_archE1030ELNS1_3gpuE2ELNS1_3repE0EEENS1_48merge_mergepath_partition_config_static_selectorELNS0_4arch9wavefront6targetE1EEEvSL_.has_recursion, 0
	.set _ZN7rocprim17ROCPRIM_400000_NS6detail17trampoline_kernelINS0_14default_configENS1_38merge_sort_block_merge_config_selectorIiNS0_10empty_typeEEEZZNS1_27merge_sort_block_merge_implIS3_N6thrust23THRUST_200600_302600_NS6detail15normal_iteratorINS9_10device_ptrIiEEEEPS5_jNS1_19radix_merge_compareILb0ELb0EiNS0_19identity_decomposerEEEEE10hipError_tT0_T1_T2_jT3_P12ihipStream_tbPNSt15iterator_traitsISK_E10value_typeEPNSQ_ISL_E10value_typeEPSM_NS1_7vsmem_tEENKUlT_SK_SL_SM_E_clISE_PiSF_SF_EESJ_SZ_SK_SL_SM_EUlSZ_E_NS1_11comp_targetILNS1_3genE8ELNS1_11target_archE1030ELNS1_3gpuE2ELNS1_3repE0EEENS1_48merge_mergepath_partition_config_static_selectorELNS0_4arch9wavefront6targetE1EEEvSL_.has_indirect_call, 0
	.section	.AMDGPU.csdata,"",@progbits
; Kernel info:
; codeLenInByte = 0
; TotalNumSgprs: 6
; NumVgprs: 0
; NumAgprs: 0
; TotalNumVgprs: 0
; ScratchSize: 0
; MemoryBound: 0
; FloatMode: 240
; IeeeMode: 1
; LDSByteSize: 0 bytes/workgroup (compile time only)
; SGPRBlocks: 0
; VGPRBlocks: 0
; NumSGPRsForWavesPerEU: 6
; NumVGPRsForWavesPerEU: 1
; AccumOffset: 4
; Occupancy: 8
; WaveLimiterHint : 0
; COMPUTE_PGM_RSRC2:SCRATCH_EN: 0
; COMPUTE_PGM_RSRC2:USER_SGPR: 2
; COMPUTE_PGM_RSRC2:TRAP_HANDLER: 0
; COMPUTE_PGM_RSRC2:TGID_X_EN: 1
; COMPUTE_PGM_RSRC2:TGID_Y_EN: 0
; COMPUTE_PGM_RSRC2:TGID_Z_EN: 0
; COMPUTE_PGM_RSRC2:TIDIG_COMP_CNT: 0
; COMPUTE_PGM_RSRC3_GFX90A:ACCUM_OFFSET: 0
; COMPUTE_PGM_RSRC3_GFX90A:TG_SPLIT: 0
	.section	.text._ZN7rocprim17ROCPRIM_400000_NS6detail17trampoline_kernelINS0_14default_configENS1_38merge_sort_block_merge_config_selectorIiNS0_10empty_typeEEEZZNS1_27merge_sort_block_merge_implIS3_N6thrust23THRUST_200600_302600_NS6detail15normal_iteratorINS9_10device_ptrIiEEEEPS5_jNS1_19radix_merge_compareILb0ELb0EiNS0_19identity_decomposerEEEEE10hipError_tT0_T1_T2_jT3_P12ihipStream_tbPNSt15iterator_traitsISK_E10value_typeEPNSQ_ISL_E10value_typeEPSM_NS1_7vsmem_tEENKUlT_SK_SL_SM_E_clISE_PiSF_SF_EESJ_SZ_SK_SL_SM_EUlSZ_E0_NS1_11comp_targetILNS1_3genE0ELNS1_11target_archE4294967295ELNS1_3gpuE0ELNS1_3repE0EEENS1_38merge_mergepath_config_static_selectorELNS0_4arch9wavefront6targetE1EEEvSL_,"axG",@progbits,_ZN7rocprim17ROCPRIM_400000_NS6detail17trampoline_kernelINS0_14default_configENS1_38merge_sort_block_merge_config_selectorIiNS0_10empty_typeEEEZZNS1_27merge_sort_block_merge_implIS3_N6thrust23THRUST_200600_302600_NS6detail15normal_iteratorINS9_10device_ptrIiEEEEPS5_jNS1_19radix_merge_compareILb0ELb0EiNS0_19identity_decomposerEEEEE10hipError_tT0_T1_T2_jT3_P12ihipStream_tbPNSt15iterator_traitsISK_E10value_typeEPNSQ_ISL_E10value_typeEPSM_NS1_7vsmem_tEENKUlT_SK_SL_SM_E_clISE_PiSF_SF_EESJ_SZ_SK_SL_SM_EUlSZ_E0_NS1_11comp_targetILNS1_3genE0ELNS1_11target_archE4294967295ELNS1_3gpuE0ELNS1_3repE0EEENS1_38merge_mergepath_config_static_selectorELNS0_4arch9wavefront6targetE1EEEvSL_,comdat
	.protected	_ZN7rocprim17ROCPRIM_400000_NS6detail17trampoline_kernelINS0_14default_configENS1_38merge_sort_block_merge_config_selectorIiNS0_10empty_typeEEEZZNS1_27merge_sort_block_merge_implIS3_N6thrust23THRUST_200600_302600_NS6detail15normal_iteratorINS9_10device_ptrIiEEEEPS5_jNS1_19radix_merge_compareILb0ELb0EiNS0_19identity_decomposerEEEEE10hipError_tT0_T1_T2_jT3_P12ihipStream_tbPNSt15iterator_traitsISK_E10value_typeEPNSQ_ISL_E10value_typeEPSM_NS1_7vsmem_tEENKUlT_SK_SL_SM_E_clISE_PiSF_SF_EESJ_SZ_SK_SL_SM_EUlSZ_E0_NS1_11comp_targetILNS1_3genE0ELNS1_11target_archE4294967295ELNS1_3gpuE0ELNS1_3repE0EEENS1_38merge_mergepath_config_static_selectorELNS0_4arch9wavefront6targetE1EEEvSL_ ; -- Begin function _ZN7rocprim17ROCPRIM_400000_NS6detail17trampoline_kernelINS0_14default_configENS1_38merge_sort_block_merge_config_selectorIiNS0_10empty_typeEEEZZNS1_27merge_sort_block_merge_implIS3_N6thrust23THRUST_200600_302600_NS6detail15normal_iteratorINS9_10device_ptrIiEEEEPS5_jNS1_19radix_merge_compareILb0ELb0EiNS0_19identity_decomposerEEEEE10hipError_tT0_T1_T2_jT3_P12ihipStream_tbPNSt15iterator_traitsISK_E10value_typeEPNSQ_ISL_E10value_typeEPSM_NS1_7vsmem_tEENKUlT_SK_SL_SM_E_clISE_PiSF_SF_EESJ_SZ_SK_SL_SM_EUlSZ_E0_NS1_11comp_targetILNS1_3genE0ELNS1_11target_archE4294967295ELNS1_3gpuE0ELNS1_3repE0EEENS1_38merge_mergepath_config_static_selectorELNS0_4arch9wavefront6targetE1EEEvSL_
	.globl	_ZN7rocprim17ROCPRIM_400000_NS6detail17trampoline_kernelINS0_14default_configENS1_38merge_sort_block_merge_config_selectorIiNS0_10empty_typeEEEZZNS1_27merge_sort_block_merge_implIS3_N6thrust23THRUST_200600_302600_NS6detail15normal_iteratorINS9_10device_ptrIiEEEEPS5_jNS1_19radix_merge_compareILb0ELb0EiNS0_19identity_decomposerEEEEE10hipError_tT0_T1_T2_jT3_P12ihipStream_tbPNSt15iterator_traitsISK_E10value_typeEPNSQ_ISL_E10value_typeEPSM_NS1_7vsmem_tEENKUlT_SK_SL_SM_E_clISE_PiSF_SF_EESJ_SZ_SK_SL_SM_EUlSZ_E0_NS1_11comp_targetILNS1_3genE0ELNS1_11target_archE4294967295ELNS1_3gpuE0ELNS1_3repE0EEENS1_38merge_mergepath_config_static_selectorELNS0_4arch9wavefront6targetE1EEEvSL_
	.p2align	8
	.type	_ZN7rocprim17ROCPRIM_400000_NS6detail17trampoline_kernelINS0_14default_configENS1_38merge_sort_block_merge_config_selectorIiNS0_10empty_typeEEEZZNS1_27merge_sort_block_merge_implIS3_N6thrust23THRUST_200600_302600_NS6detail15normal_iteratorINS9_10device_ptrIiEEEEPS5_jNS1_19radix_merge_compareILb0ELb0EiNS0_19identity_decomposerEEEEE10hipError_tT0_T1_T2_jT3_P12ihipStream_tbPNSt15iterator_traitsISK_E10value_typeEPNSQ_ISL_E10value_typeEPSM_NS1_7vsmem_tEENKUlT_SK_SL_SM_E_clISE_PiSF_SF_EESJ_SZ_SK_SL_SM_EUlSZ_E0_NS1_11comp_targetILNS1_3genE0ELNS1_11target_archE4294967295ELNS1_3gpuE0ELNS1_3repE0EEENS1_38merge_mergepath_config_static_selectorELNS0_4arch9wavefront6targetE1EEEvSL_,@function
_ZN7rocprim17ROCPRIM_400000_NS6detail17trampoline_kernelINS0_14default_configENS1_38merge_sort_block_merge_config_selectorIiNS0_10empty_typeEEEZZNS1_27merge_sort_block_merge_implIS3_N6thrust23THRUST_200600_302600_NS6detail15normal_iteratorINS9_10device_ptrIiEEEEPS5_jNS1_19radix_merge_compareILb0ELb0EiNS0_19identity_decomposerEEEEE10hipError_tT0_T1_T2_jT3_P12ihipStream_tbPNSt15iterator_traitsISK_E10value_typeEPNSQ_ISL_E10value_typeEPSM_NS1_7vsmem_tEENKUlT_SK_SL_SM_E_clISE_PiSF_SF_EESJ_SZ_SK_SL_SM_EUlSZ_E0_NS1_11comp_targetILNS1_3genE0ELNS1_11target_archE4294967295ELNS1_3gpuE0ELNS1_3repE0EEENS1_38merge_mergepath_config_static_selectorELNS0_4arch9wavefront6targetE1EEEvSL_: ; @_ZN7rocprim17ROCPRIM_400000_NS6detail17trampoline_kernelINS0_14default_configENS1_38merge_sort_block_merge_config_selectorIiNS0_10empty_typeEEEZZNS1_27merge_sort_block_merge_implIS3_N6thrust23THRUST_200600_302600_NS6detail15normal_iteratorINS9_10device_ptrIiEEEEPS5_jNS1_19radix_merge_compareILb0ELb0EiNS0_19identity_decomposerEEEEE10hipError_tT0_T1_T2_jT3_P12ihipStream_tbPNSt15iterator_traitsISK_E10value_typeEPNSQ_ISL_E10value_typeEPSM_NS1_7vsmem_tEENKUlT_SK_SL_SM_E_clISE_PiSF_SF_EESJ_SZ_SK_SL_SM_EUlSZ_E0_NS1_11comp_targetILNS1_3genE0ELNS1_11target_archE4294967295ELNS1_3gpuE0ELNS1_3repE0EEENS1_38merge_mergepath_config_static_selectorELNS0_4arch9wavefront6targetE1EEEvSL_
; %bb.0:
	s_load_dwordx2 s[12:13], s[0:1], 0x40
	s_load_dword s5, s[0:1], 0x30
	s_add_u32 s8, s0, 64
	s_addc_u32 s9, s1, 0
	s_waitcnt lgkmcnt(0)
	s_mul_i32 s4, s13, s4
	s_add_i32 s3, s4, s3
	s_mul_i32 s3, s3, s12
	s_add_i32 s10, s3, s2
	s_cmp_ge_u32 s10, s5
	s_cbranch_scc1 .LBB51_43
; %bb.1:
	s_load_dwordx2 s[14:15], s[0:1], 0x28
	s_load_dwordx2 s[4:5], s[0:1], 0x38
	;; [unrolled: 1-line block ×3, first 2 shown]
	s_mov_b32 s11, 0
	s_mov_b32 s23, s11
	s_waitcnt lgkmcnt(0)
	s_lshr_b32 s24, s14, 10
	s_cmp_lg_u32 s10, s24
	s_cselect_b64 s[18:19], -1, 0
	s_lshl_b64 s[16:17], s[10:11], 2
	s_add_u32 s4, s4, s16
	s_addc_u32 s5, s5, s17
	s_lshr_b32 s3, s15, 9
	s_and_b32 s3, s3, 0x7ffffe
	s_load_dwordx2 s[20:21], s[4:5], 0x0
	s_sub_i32 s3, 0, s3
	s_and_b32 s4, s10, s3
	s_lshl_b32 s5, s4, 10
	s_lshl_b32 s16, s10, 10
	;; [unrolled: 1-line block ×3, first 2 shown]
	s_sub_i32 s13, s16, s5
	s_add_i32 s4, s4, s15
	s_add_i32 s13, s4, s13
	s_waitcnt lgkmcnt(0)
	s_sub_i32 s17, s13, s20
	s_sub_i32 s13, s13, s21
	;; [unrolled: 1-line block ×3, first 2 shown]
	s_min_u32 s22, s14, s17
	s_addk_i32 s13, 0x400
	s_or_b32 s3, s10, s3
	s_min_u32 s5, s14, s4
	s_add_i32 s4, s4, s15
	s_cmp_eq_u32 s3, -1
	s_cselect_b32 s3, s4, s13
	s_cselect_b32 s4, s5, s21
	s_min_u32 s3, s3, s14
	s_mov_b32 s21, s11
	s_sub_i32 s15, s4, s20
	s_sub_i32 s13, s3, s22
	s_lshl_b64 s[4:5], s[20:21], 2
	s_add_u32 s4, s6, s4
	s_addc_u32 s5, s7, s5
	s_lshl_b64 s[20:21], s[22:23], 2
	s_add_u32 s6, s6, s20
	s_addc_u32 s7, s7, s21
	s_cmp_lt_u32 s2, s12
	v_mov_b32_e32 v9, 0
	s_cselect_b32 s2, 12, 18
	global_load_dword v1, v9, s[8:9] offset:14
	s_add_u32 s2, s8, s2
	s_addc_u32 s3, s9, 0
	global_load_ushort v2, v9, s[2:3]
	s_cmp_eq_u32 s10, s24
	v_lshlrev_b32_e32 v10, 2, v0
	s_waitcnt vmcnt(1)
	v_lshrrev_b32_e32 v3, 16, v1
	v_and_b32_e32 v1, 0xffff, v1
	v_mul_lo_u32 v1, v1, v3
	s_waitcnt vmcnt(0)
	v_mul_lo_u32 v1, v1, v2
	v_add_u32_e32 v14, v1, v0
	v_add_u32_e32 v12, v14, v1
	s_cbranch_scc1 .LBB51_3
; %bb.2:
	v_mov_b32_e32 v11, v9
	v_subrev_co_u32_e32 v8, vcc, s15, v0
	v_lshl_add_u64 v[2:3], s[4:5], 0, v[10:11]
	v_lshl_add_u64 v[4:5], v[8:9], 2, s[6:7]
	v_cndmask_b32_e32 v3, v5, v3, vcc
	v_cndmask_b32_e32 v2, v4, v2, vcc
	v_mov_b32_e32 v15, v9
	v_subrev_co_u32_e32 v8, vcc, s15, v14
	v_lshl_add_u64 v[4:5], v[14:15], 2, s[4:5]
	v_lshl_add_u64 v[6:7], v[8:9], 2, s[6:7]
	v_cndmask_b32_e32 v5, v7, v5, vcc
	v_cndmask_b32_e32 v4, v6, v4, vcc
	v_mov_b32_e32 v13, v9
	v_subrev_co_u32_e32 v8, vcc, s15, v12
	global_load_dword v2, v[2:3], off
	v_lshl_add_u64 v[6:7], v[8:9], 2, s[6:7]
	global_load_dword v3, v[4:5], off
	v_lshl_add_u64 v[4:5], v[12:13], 2, s[4:5]
	v_cndmask_b32_e32 v4, v6, v4, vcc
	v_add_u32_e32 v6, v12, v1
	v_cndmask_b32_e32 v5, v7, v5, vcc
	v_mov_b32_e32 v7, v9
	v_subrev_co_u32_e32 v8, vcc, s15, v6
	v_lshl_add_u64 v[16:17], v[6:7], 2, s[4:5]
	v_lshl_add_u64 v[18:19], v[8:9], 2, s[6:7]
	v_cndmask_b32_e32 v17, v19, v17, vcc
	v_cndmask_b32_e32 v16, v18, v16, vcc
	global_load_dword v4, v[4:5], off
	s_add_i32 s10, s13, s15
	global_load_dword v5, v[16:17], off
	v_add_u32_e32 v16, v6, v1
	v_mov_b32_e32 v17, v9
	v_subrev_co_u32_e32 v8, vcc, s15, v16
	v_lshl_add_u64 v[6:7], v[16:17], 2, s[4:5]
	v_lshl_add_u64 v[18:19], v[8:9], 2, s[6:7]
	v_add_u32_e32 v16, v16, v1
	v_cndmask_b32_e32 v7, v19, v7, vcc
	v_cndmask_b32_e32 v6, v18, v6, vcc
	v_subrev_co_u32_e32 v8, vcc, s15, v16
	v_lshl_add_u64 v[18:19], v[16:17], 2, s[4:5]
	v_lshl_add_u64 v[20:21], v[8:9], 2, s[6:7]
	v_add_u32_e32 v16, v16, v1
	v_cndmask_b32_e32 v19, v21, v19, vcc
	v_cndmask_b32_e32 v18, v20, v18, vcc
	v_subrev_co_u32_e32 v8, vcc, s15, v16
	global_load_dword v6, v[6:7], off
	v_lshl_add_u64 v[20:21], v[8:9], 2, s[6:7]
	global_load_dword v7, v[18:19], off
	v_lshl_add_u64 v[18:19], v[16:17], 2, s[4:5]
	v_cndmask_b32_e32 v19, v21, v19, vcc
	v_cndmask_b32_e32 v18, v20, v18, vcc
	global_load_dword v8, v[18:19], off
	v_add_u32_e32 v16, v16, v1
	s_mov_b64 s[2:3], -1
	v_mov_b32_e32 v11, s10
	s_cbranch_execz .LBB51_4
	s_branch .LBB51_17
.LBB51_3:
	s_mov_b64 s[2:3], 0
                                        ; implicit-def: $vgpr16
                                        ; implicit-def: $vgpr2_vgpr3_vgpr4_vgpr5_vgpr6_vgpr7_vgpr8_vgpr9
                                        ; implicit-def: $vgpr11
.LBB51_4:
	s_add_i32 s8, s13, s15
	s_waitcnt vmcnt(6)
	v_mov_b32_e32 v2, 0
	v_cmp_gt_u32_e32 vcc, s8, v0
	s_waitcnt vmcnt(5)
	v_mov_b32_e32 v3, v2
	s_waitcnt vmcnt(4)
	v_mov_b32_e32 v4, v2
	;; [unrolled: 2-line block ×6, first 2 shown]
	v_mov_b32_e32 v9, v2
	s_and_saveexec_b64 s[2:3], vcc
	s_cbranch_execnz .LBB51_44
; %bb.5:
	s_or_b64 exec, exec, s[2:3]
	v_cmp_gt_u32_e32 vcc, s8, v14
	s_and_saveexec_b64 s[2:3], vcc
	s_cbranch_execnz .LBB51_45
.LBB51_6:
	s_or_b64 exec, exec, s[2:3]
	v_cmp_gt_u32_e32 vcc, s8, v12
	s_and_saveexec_b64 s[2:3], vcc
	s_cbranch_execz .LBB51_8
.LBB51_7:
	v_mov_b32_e32 v13, 0
	v_subrev_co_u32_e32 v16, vcc, s15, v12
	v_mov_b32_e32 v17, v13
	v_lshl_add_u64 v[14:15], v[12:13], 2, s[4:5]
	v_lshl_add_u64 v[16:17], v[16:17], 2, s[6:7]
	v_cndmask_b32_e32 v15, v17, v15, vcc
	v_cndmask_b32_e32 v14, v16, v14, vcc
	global_load_dword v4, v[14:15], off
.LBB51_8:
	s_or_b64 exec, exec, s[2:3]
	v_add_u32_e32 v12, v12, v1
	v_cmp_gt_u32_e32 vcc, s8, v12
	s_and_saveexec_b64 s[2:3], vcc
	s_cbranch_execz .LBB51_10
; %bb.9:
	v_mov_b32_e32 v13, 0
	v_subrev_co_u32_e32 v16, vcc, s15, v12
	v_mov_b32_e32 v17, v13
	v_lshl_add_u64 v[14:15], v[12:13], 2, s[4:5]
	v_lshl_add_u64 v[16:17], v[16:17], 2, s[6:7]
	v_cndmask_b32_e32 v15, v17, v15, vcc
	v_cndmask_b32_e32 v14, v16, v14, vcc
	global_load_dword v5, v[14:15], off
.LBB51_10:
	s_or_b64 exec, exec, s[2:3]
	v_add_u32_e32 v12, v12, v1
	v_cmp_gt_u32_e32 vcc, s8, v12
	s_and_saveexec_b64 s[2:3], vcc
	s_cbranch_execz .LBB51_12
; %bb.11:
	v_mov_b32_e32 v13, 0
	v_subrev_co_u32_e32 v16, vcc, s15, v12
	v_mov_b32_e32 v17, v13
	v_lshl_add_u64 v[14:15], v[12:13], 2, s[4:5]
	v_lshl_add_u64 v[16:17], v[16:17], 2, s[6:7]
	v_cndmask_b32_e32 v15, v17, v15, vcc
	v_cndmask_b32_e32 v14, v16, v14, vcc
	global_load_dword v6, v[14:15], off
.LBB51_12:
	;; [unrolled: 15-line block ×4, first 2 shown]
	s_or_b64 exec, exec, s[2:3]
	v_add_u32_e32 v16, v12, v1
	v_cmp_gt_u32_e64 s[2:3], s8, v16
	v_mov_b32_e32 v11, s8
.LBB51_17:
	s_and_saveexec_b64 s[8:9], s[2:3]
	s_cbranch_execz .LBB51_19
; %bb.18:
	v_mov_b32_e32 v13, 0
	v_mov_b32_e32 v17, v13
	v_subrev_co_u32_e32 v12, vcc, s15, v16
	v_lshl_add_u64 v[14:15], v[16:17], 2, s[4:5]
	v_lshl_add_u64 v[12:13], v[12:13], 2, s[6:7]
	v_cndmask_b32_e32 v13, v13, v15, vcc
	v_cndmask_b32_e32 v12, v12, v14, vcc
	global_load_dword v9, v[12:13], off
.LBB51_19:
	s_or_b64 exec, exec, s[8:9]
	s_load_dwordx2 s[20:21], s[0:1], 0x10
	v_lshlrev_b32_e32 v1, 3, v0
	v_min_u32_e32 v13, v11, v1
	v_sub_u32_e64 v12, v13, s13 clamp
	v_min_u32_e32 v14, s15, v13
	v_cmp_lt_u32_e32 vcc, v12, v14
	s_waitcnt vmcnt(0)
	ds_write2st64_b32 v10, v2, v3 offset1:2
	ds_write2st64_b32 v10, v4, v5 offset0:4 offset1:6
	ds_write2st64_b32 v10, v6, v7 offset0:8 offset1:10
	ds_write2st64_b32 v10, v8, v9 offset0:12 offset1:14
	s_waitcnt lgkmcnt(0)
	s_barrier
	s_and_saveexec_b64 s[0:1], vcc
	s_cbranch_execz .LBB51_23
; %bb.20:
	v_lshlrev_b32_e32 v15, 2, v13
	v_lshl_add_u32 v15, s15, 2, v15
	s_mov_b64 s[2:3], 0
.LBB51_21:                              ; =>This Inner Loop Header: Depth=1
	v_add_u32_e32 v16, v14, v12
	v_lshrrev_b32_e32 v16, 1, v16
	v_not_b32_e32 v17, v16
	v_lshlrev_b32_e32 v18, 2, v16
	v_lshl_add_u32 v17, v17, 2, v15
	ds_read_b32 v18, v18
	ds_read_b32 v17, v17
	v_add_u32_e32 v19, 1, v16
	s_waitcnt lgkmcnt(0)
	v_cmp_gt_i32_e32 vcc, v18, v17
	s_nop 1
	v_cndmask_b32_e32 v14, v14, v16, vcc
	v_cndmask_b32_e32 v12, v19, v12, vcc
	v_cmp_ge_u32_e32 vcc, v12, v14
	s_or_b64 s[2:3], vcc, s[2:3]
	s_andn2_b64 exec, exec, s[2:3]
	s_cbranch_execnz .LBB51_21
; %bb.22:
	s_or_b64 exec, exec, s[2:3]
.LBB51_23:
	s_or_b64 exec, exec, s[0:1]
	v_sub_u32_e32 v13, v13, v12
	v_add_u32_e32 v13, s15, v13
	v_cmp_ge_u32_e32 vcc, s15, v12
	v_cmp_le_u32_e64 s[0:1], v13, v11
	s_or_b64 s[0:1], vcc, s[0:1]
	s_and_saveexec_b64 s[22:23], s[0:1]
	s_cbranch_execz .LBB51_29
; %bb.24:
	v_cmp_gt_u32_e32 vcc, s15, v12
                                        ; implicit-def: $vgpr2
	s_and_saveexec_b64 s[0:1], vcc
; %bb.25:
	v_lshlrev_b32_e32 v2, 2, v12
	ds_read_b32 v2, v2
; %bb.26:
	s_or_b64 exec, exec, s[0:1]
	v_cmp_ge_u32_e64 s[0:1], v13, v11
	v_cmp_lt_u32_e64 s[2:3], v13, v11
                                        ; implicit-def: $vgpr3
	s_and_saveexec_b64 s[4:5], s[2:3]
; %bb.27:
	v_lshlrev_b32_e32 v3, 2, v13
	ds_read_b32 v3, v3
; %bb.28:
	s_or_b64 exec, exec, s[4:5]
	s_waitcnt lgkmcnt(0)
	v_cmp_le_i32_e64 s[2:3], v2, v3
	s_and_b64 s[2:3], vcc, s[2:3]
	s_or_b64 vcc, s[0:1], s[2:3]
	v_mov_b32_e32 v5, s15
	v_cndmask_b32_e32 v4, v13, v12, vcc
	v_cndmask_b32_e32 v6, v11, v5, vcc
	v_add_u32_e32 v4, 1, v4
	v_add_u32_e32 v6, -1, v6
	v_min_u32_e32 v6, v4, v6
	v_lshlrev_b32_e32 v6, 2, v6
	ds_read_b32 v6, v6
	v_cndmask_b32_e32 v8, v4, v13, vcc
	v_cndmask_b32_e32 v4, v12, v4, vcc
	v_cmp_gt_u32_e64 s[2:3], s15, v4
	v_cmp_ge_u32_e64 s[0:1], v8, v11
	s_waitcnt lgkmcnt(0)
	v_cndmask_b32_e32 v7, v6, v3, vcc
	v_cndmask_b32_e32 v6, v2, v6, vcc
	v_cmp_le_i32_e64 s[4:5], v6, v7
	s_and_b64 s[2:3], s[2:3], s[4:5]
	s_or_b64 s[0:1], s[0:1], s[2:3]
	v_cndmask_b32_e64 v9, v8, v4, s[0:1]
	v_cndmask_b32_e64 v12, v11, v5, s[0:1]
	v_add_u32_e32 v9, 1, v9
	v_add_u32_e32 v12, -1, v12
	v_min_u32_e32 v12, v9, v12
	v_lshlrev_b32_e32 v12, 2, v12
	ds_read_b32 v12, v12
	v_cndmask_b32_e64 v4, v4, v9, s[0:1]
	v_cndmask_b32_e64 v8, v9, v8, s[0:1]
	v_cmp_gt_u32_e64 s[4:5], s15, v4
	v_cmp_ge_u32_e64 s[2:3], v8, v11
	s_waitcnt lgkmcnt(0)
	v_cndmask_b32_e64 v13, v12, v7, s[0:1]
	v_cndmask_b32_e64 v12, v6, v12, s[0:1]
	v_cmp_le_i32_e64 s[6:7], v12, v13
	s_and_b64 s[4:5], s[4:5], s[6:7]
	s_or_b64 s[2:3], s[2:3], s[4:5]
	v_cndmask_b32_e64 v9, v8, v4, s[2:3]
	v_cndmask_b32_e64 v14, v11, v5, s[2:3]
	v_add_u32_e32 v9, 1, v9
	v_add_u32_e32 v14, -1, v14
	v_min_u32_e32 v14, v9, v14
	v_lshlrev_b32_e32 v14, 2, v14
	ds_read_b32 v14, v14
	v_cndmask_b32_e64 v4, v4, v9, s[2:3]
	v_cndmask_b32_e64 v8, v9, v8, s[2:3]
	v_cmp_gt_u32_e64 s[6:7], s15, v4
	v_cmp_ge_u32_e64 s[4:5], v8, v11
	s_waitcnt lgkmcnt(0)
	v_cndmask_b32_e64 v15, v14, v13, s[2:3]
	v_cndmask_b32_e64 v14, v12, v14, s[2:3]
	;; [unrolled: 17-line block ×4, first 2 shown]
	v_cmp_le_i32_e64 s[12:13], v18, v19
	s_and_b64 s[10:11], s[10:11], s[12:13]
	s_or_b64 s[8:9], s[8:9], s[10:11]
	v_cndmask_b32_e64 v4, v8, v9, s[8:9]
	v_cndmask_b32_e64 v20, v11, v5, s[8:9]
	v_add_u32_e32 v21, 1, v4
	v_add_u32_e32 v4, -1, v20
	v_min_u32_e32 v4, v21, v4
	v_lshlrev_b32_e32 v4, 2, v4
	ds_read_b32 v20, v4
	v_cndmask_b32_e64 v4, v13, v12, s[2:3]
	v_cndmask_b32_e64 v9, v9, v21, s[8:9]
	v_cndmask_b32_e32 v2, v3, v2, vcc
	v_cndmask_b32_e64 v3, v7, v6, s[0:1]
	s_waitcnt lgkmcnt(0)
	v_cndmask_b32_e64 v12, v20, v19, s[8:9]
	v_cndmask_b32_e64 v13, v18, v20, s[8:9]
	;; [unrolled: 1-line block ×3, first 2 shown]
	v_cmp_gt_u32_e64 s[0:1], s15, v9
	v_cmp_le_i32_e64 s[2:3], v13, v12
	v_cmp_ge_u32_e32 vcc, v20, v11
	s_and_b64 s[0:1], s[0:1], s[2:3]
	s_or_b64 vcc, vcc, s[0:1]
	v_cndmask_b32_e32 v6, v20, v9, vcc
	v_cndmask_b32_e32 v5, v11, v5, vcc
	v_add_u32_e32 v21, 1, v6
	v_add_u32_e32 v5, -1, v5
	v_min_u32_e32 v5, v21, v5
	v_lshlrev_b32_e32 v5, 2, v5
	ds_read_b32 v22, v5
	v_cndmask_b32_e32 v8, v12, v13, vcc
	v_cndmask_b32_e32 v9, v9, v21, vcc
	v_cndmask_b32_e64 v5, v15, v14, s[4:5]
	v_cndmask_b32_e32 v14, v21, v20, vcc
	s_waitcnt lgkmcnt(0)
	v_cndmask_b32_e32 v12, v22, v12, vcc
	v_cndmask_b32_e32 v13, v13, v22, vcc
	v_cmp_gt_u32_e64 s[0:1], s15, v9
	v_cmp_le_i32_e64 s[2:3], v13, v12
	v_cmp_ge_u32_e32 vcc, v14, v11
	s_and_b64 s[0:1], s[0:1], s[2:3]
	s_or_b64 vcc, vcc, s[0:1]
	v_cndmask_b32_e64 v6, v17, v16, s[6:7]
	v_cndmask_b32_e64 v7, v19, v18, s[8:9]
	v_cndmask_b32_e32 v9, v12, v13, vcc
.LBB51_29:
	s_or_b64 exec, exec, s[22:23]
	v_and_b32_e32 v11, 0x7c, v0
	v_lshl_add_u32 v1, v1, 2, v11
	s_barrier
	s_barrier
	ds_write2_b32 v1, v2, v3 offset1:1
	ds_write2_b32 v1, v4, v5 offset0:2 offset1:3
	ds_write2_b32 v1, v6, v7 offset0:4 offset1:5
	;; [unrolled: 1-line block ×3, first 2 shown]
	v_lshrrev_b32_e32 v1, 3, v0
	v_and_b32_e32 v1, 12, v1
	v_or_b32_e32 v9, 0x80, v0
	v_add_u32_e32 v12, v1, v10
	v_lshrrev_b32_e32 v1, 3, v9
	v_and_b32_e32 v1, 28, v1
	v_or_b32_e32 v8, 0x100, v0
	v_add_u32_e32 v13, v1, v10
	;; [unrolled: 4-line block ×6, first 2 shown]
	v_lshrrev_b32_e32 v1, 3, v4
	s_mov_b32 s17, 0
	v_and_b32_e32 v1, 0x6c, v1
	s_lshl_b64 s[0:1], s[16:17], 2
	v_add_u32_e32 v18, v1, v10
	v_or_b32_e32 v1, 0x380, v0
	s_add_u32 s0, s20, s0
	v_lshrrev_b32_e32 v2, 3, v1
	s_addc_u32 s1, s21, s1
	v_and_b32_e32 v2, 0x7c, v2
	v_mov_b32_e32 v11, 0
	v_add_u32_e32 v19, v2, v10
	v_lshl_add_u64 v[2:3], s[0:1], 0, v[10:11]
	s_and_b64 vcc, exec, s[18:19]
	s_waitcnt lgkmcnt(0)
	s_cbranch_vccz .LBB51_31
; %bb.30:
	s_barrier
	ds_read_b32 v10, v12
	ds_read_b32 v11, v13 offset:512
	ds_read_b32 v20, v14 offset:1024
	;; [unrolled: 1-line block ×7, first 2 shown]
	s_waitcnt lgkmcnt(7)
	global_store_dword v[2:3], v10, off
	s_waitcnt lgkmcnt(6)
	global_store_dword v[2:3], v11, off offset:512
	s_waitcnt lgkmcnt(5)
	global_store_dword v[2:3], v20, off offset:1024
	;; [unrolled: 2-line block ×6, first 2 shown]
	s_mov_b64 s[0:1], -1
	s_cbranch_execz .LBB51_32
	s_branch .LBB51_41
.LBB51_31:
	s_mov_b64 s[0:1], 0
                                        ; implicit-def: $vgpr22
.LBB51_32:
	s_barrier
	s_waitcnt lgkmcnt(0)
	ds_read_b32 v21, v13 offset:512
	ds_read_b32 v20, v14 offset:1024
	;; [unrolled: 1-line block ×7, first 2 shown]
	s_sub_i32 s2, s14, s16
	v_cmp_gt_u32_e32 vcc, s2, v0
	s_and_saveexec_b64 s[0:1], vcc
	s_cbranch_execnz .LBB51_46
; %bb.33:
	s_or_b64 exec, exec, s[0:1]
	v_cmp_gt_u32_e32 vcc, s2, v9
	s_and_saveexec_b64 s[0:1], vcc
	s_cbranch_execnz .LBB51_47
.LBB51_34:
	s_or_b64 exec, exec, s[0:1]
	v_cmp_gt_u32_e32 vcc, s2, v8
	s_and_saveexec_b64 s[0:1], vcc
	s_cbranch_execnz .LBB51_48
.LBB51_35:
	s_or_b64 exec, exec, s[0:1]
	v_cmp_gt_u32_e32 vcc, s2, v7
	s_and_saveexec_b64 s[0:1], vcc
	s_cbranch_execnz .LBB51_49
.LBB51_36:
	s_or_b64 exec, exec, s[0:1]
	v_cmp_gt_u32_e32 vcc, s2, v6
	s_and_saveexec_b64 s[0:1], vcc
	s_cbranch_execnz .LBB51_50
.LBB51_37:
	s_or_b64 exec, exec, s[0:1]
	v_cmp_gt_u32_e32 vcc, s2, v5
	s_and_saveexec_b64 s[0:1], vcc
	s_cbranch_execnz .LBB51_51
.LBB51_38:
	s_or_b64 exec, exec, s[0:1]
	v_cmp_gt_u32_e32 vcc, s2, v4
	s_and_saveexec_b64 s[0:1], vcc
	s_cbranch_execz .LBB51_40
.LBB51_39:
	s_waitcnt lgkmcnt(1)
	global_store_dword v[2:3], v10, off offset:3072
.LBB51_40:
	s_or_b64 exec, exec, s[0:1]
	v_cmp_gt_u32_e64 s[0:1], s2, v1
.LBB51_41:
	s_and_saveexec_b64 s[2:3], s[0:1]
	s_cbranch_execz .LBB51_43
; %bb.42:
	s_waitcnt lgkmcnt(0)
	global_store_dword v[2:3], v22, off offset:3584
.LBB51_43:
	s_endpgm
.LBB51_44:
	v_mov_b32_e32 v11, v2
	v_subrev_co_u32_e32 v6, vcc, s15, v0
	v_mov_b32_e32 v7, v2
	v_lshl_add_u64 v[4:5], s[4:5], 0, v[10:11]
	v_lshl_add_u64 v[6:7], v[6:7], 2, s[6:7]
	v_cndmask_b32_e32 v5, v7, v5, vcc
	v_cndmask_b32_e32 v4, v6, v4, vcc
	global_load_dword v16, v[4:5], off
	v_mov_b32_e32 v17, v2
	v_mov_b32_e32 v18, v2
	;; [unrolled: 1-line block ×7, first 2 shown]
	s_waitcnt vmcnt(0)
	v_mov_b64_e32 v[2:3], v[16:17]
	v_mov_b64_e32 v[4:5], v[18:19]
	;; [unrolled: 1-line block ×4, first 2 shown]
	s_or_b64 exec, exec, s[2:3]
	v_cmp_gt_u32_e32 vcc, s8, v14
	s_and_saveexec_b64 s[2:3], vcc
	s_cbranch_execz .LBB51_6
.LBB51_45:
	v_mov_b32_e32 v15, 0
	v_lshl_add_u64 v[16:17], v[14:15], 2, s[4:5]
	v_subrev_co_u32_e32 v14, vcc, s15, v14
	v_lshl_add_u64 v[14:15], v[14:15], 2, s[6:7]
	s_nop 0
	v_cndmask_b32_e32 v15, v15, v17, vcc
	v_cndmask_b32_e32 v14, v14, v16, vcc
	global_load_dword v3, v[14:15], off
	s_or_b64 exec, exec, s[2:3]
	v_cmp_gt_u32_e32 vcc, s8, v12
	s_and_saveexec_b64 s[2:3], vcc
	s_cbranch_execnz .LBB51_7
	s_branch .LBB51_8
.LBB51_46:
	ds_read_b32 v0, v12
	s_waitcnt lgkmcnt(0)
	global_store_dword v[2:3], v0, off
	s_or_b64 exec, exec, s[0:1]
	v_cmp_gt_u32_e32 vcc, s2, v9
	s_and_saveexec_b64 s[0:1], vcc
	s_cbranch_execz .LBB51_34
.LBB51_47:
	s_waitcnt lgkmcnt(6)
	global_store_dword v[2:3], v21, off offset:512
	s_or_b64 exec, exec, s[0:1]
	v_cmp_gt_u32_e32 vcc, s2, v8
	s_and_saveexec_b64 s[0:1], vcc
	s_cbranch_execz .LBB51_35
.LBB51_48:
	s_waitcnt lgkmcnt(5)
	global_store_dword v[2:3], v20, off offset:1024
	s_or_b64 exec, exec, s[0:1]
	v_cmp_gt_u32_e32 vcc, s2, v7
	s_and_saveexec_b64 s[0:1], vcc
	s_cbranch_execz .LBB51_36
.LBB51_49:
	s_waitcnt lgkmcnt(4)
	global_store_dword v[2:3], v14, off offset:1536
	s_or_b64 exec, exec, s[0:1]
	v_cmp_gt_u32_e32 vcc, s2, v6
	s_and_saveexec_b64 s[0:1], vcc
	s_cbranch_execz .LBB51_37
.LBB51_50:
	s_waitcnt lgkmcnt(3)
	global_store_dword v[2:3], v13, off offset:2048
	s_or_b64 exec, exec, s[0:1]
	v_cmp_gt_u32_e32 vcc, s2, v5
	s_and_saveexec_b64 s[0:1], vcc
	s_cbranch_execz .LBB51_38
.LBB51_51:
	s_waitcnt lgkmcnt(2)
	global_store_dword v[2:3], v11, off offset:2560
	s_or_b64 exec, exec, s[0:1]
	v_cmp_gt_u32_e32 vcc, s2, v4
	s_and_saveexec_b64 s[0:1], vcc
	s_cbranch_execnz .LBB51_39
	s_branch .LBB51_40
	.section	.rodata,"a",@progbits
	.p2align	6, 0x0
	.amdhsa_kernel _ZN7rocprim17ROCPRIM_400000_NS6detail17trampoline_kernelINS0_14default_configENS1_38merge_sort_block_merge_config_selectorIiNS0_10empty_typeEEEZZNS1_27merge_sort_block_merge_implIS3_N6thrust23THRUST_200600_302600_NS6detail15normal_iteratorINS9_10device_ptrIiEEEEPS5_jNS1_19radix_merge_compareILb0ELb0EiNS0_19identity_decomposerEEEEE10hipError_tT0_T1_T2_jT3_P12ihipStream_tbPNSt15iterator_traitsISK_E10value_typeEPNSQ_ISL_E10value_typeEPSM_NS1_7vsmem_tEENKUlT_SK_SL_SM_E_clISE_PiSF_SF_EESJ_SZ_SK_SL_SM_EUlSZ_E0_NS1_11comp_targetILNS1_3genE0ELNS1_11target_archE4294967295ELNS1_3gpuE0ELNS1_3repE0EEENS1_38merge_mergepath_config_static_selectorELNS0_4arch9wavefront6targetE1EEEvSL_
		.amdhsa_group_segment_fixed_size 4224
		.amdhsa_private_segment_fixed_size 0
		.amdhsa_kernarg_size 320
		.amdhsa_user_sgpr_count 2
		.amdhsa_user_sgpr_dispatch_ptr 0
		.amdhsa_user_sgpr_queue_ptr 0
		.amdhsa_user_sgpr_kernarg_segment_ptr 1
		.amdhsa_user_sgpr_dispatch_id 0
		.amdhsa_user_sgpr_kernarg_preload_length 0
		.amdhsa_user_sgpr_kernarg_preload_offset 0
		.amdhsa_user_sgpr_private_segment_size 0
		.amdhsa_uses_dynamic_stack 0
		.amdhsa_enable_private_segment 0
		.amdhsa_system_sgpr_workgroup_id_x 1
		.amdhsa_system_sgpr_workgroup_id_y 1
		.amdhsa_system_sgpr_workgroup_id_z 1
		.amdhsa_system_sgpr_workgroup_info 0
		.amdhsa_system_vgpr_workitem_id 0
		.amdhsa_next_free_vgpr 26
		.amdhsa_next_free_sgpr 25
		.amdhsa_accum_offset 28
		.amdhsa_reserve_vcc 1
		.amdhsa_float_round_mode_32 0
		.amdhsa_float_round_mode_16_64 0
		.amdhsa_float_denorm_mode_32 3
		.amdhsa_float_denorm_mode_16_64 3
		.amdhsa_dx10_clamp 1
		.amdhsa_ieee_mode 1
		.amdhsa_fp16_overflow 0
		.amdhsa_tg_split 0
		.amdhsa_exception_fp_ieee_invalid_op 0
		.amdhsa_exception_fp_denorm_src 0
		.amdhsa_exception_fp_ieee_div_zero 0
		.amdhsa_exception_fp_ieee_overflow 0
		.amdhsa_exception_fp_ieee_underflow 0
		.amdhsa_exception_fp_ieee_inexact 0
		.amdhsa_exception_int_div_zero 0
	.end_amdhsa_kernel
	.section	.text._ZN7rocprim17ROCPRIM_400000_NS6detail17trampoline_kernelINS0_14default_configENS1_38merge_sort_block_merge_config_selectorIiNS0_10empty_typeEEEZZNS1_27merge_sort_block_merge_implIS3_N6thrust23THRUST_200600_302600_NS6detail15normal_iteratorINS9_10device_ptrIiEEEEPS5_jNS1_19radix_merge_compareILb0ELb0EiNS0_19identity_decomposerEEEEE10hipError_tT0_T1_T2_jT3_P12ihipStream_tbPNSt15iterator_traitsISK_E10value_typeEPNSQ_ISL_E10value_typeEPSM_NS1_7vsmem_tEENKUlT_SK_SL_SM_E_clISE_PiSF_SF_EESJ_SZ_SK_SL_SM_EUlSZ_E0_NS1_11comp_targetILNS1_3genE0ELNS1_11target_archE4294967295ELNS1_3gpuE0ELNS1_3repE0EEENS1_38merge_mergepath_config_static_selectorELNS0_4arch9wavefront6targetE1EEEvSL_,"axG",@progbits,_ZN7rocprim17ROCPRIM_400000_NS6detail17trampoline_kernelINS0_14default_configENS1_38merge_sort_block_merge_config_selectorIiNS0_10empty_typeEEEZZNS1_27merge_sort_block_merge_implIS3_N6thrust23THRUST_200600_302600_NS6detail15normal_iteratorINS9_10device_ptrIiEEEEPS5_jNS1_19radix_merge_compareILb0ELb0EiNS0_19identity_decomposerEEEEE10hipError_tT0_T1_T2_jT3_P12ihipStream_tbPNSt15iterator_traitsISK_E10value_typeEPNSQ_ISL_E10value_typeEPSM_NS1_7vsmem_tEENKUlT_SK_SL_SM_E_clISE_PiSF_SF_EESJ_SZ_SK_SL_SM_EUlSZ_E0_NS1_11comp_targetILNS1_3genE0ELNS1_11target_archE4294967295ELNS1_3gpuE0ELNS1_3repE0EEENS1_38merge_mergepath_config_static_selectorELNS0_4arch9wavefront6targetE1EEEvSL_,comdat
.Lfunc_end51:
	.size	_ZN7rocprim17ROCPRIM_400000_NS6detail17trampoline_kernelINS0_14default_configENS1_38merge_sort_block_merge_config_selectorIiNS0_10empty_typeEEEZZNS1_27merge_sort_block_merge_implIS3_N6thrust23THRUST_200600_302600_NS6detail15normal_iteratorINS9_10device_ptrIiEEEEPS5_jNS1_19radix_merge_compareILb0ELb0EiNS0_19identity_decomposerEEEEE10hipError_tT0_T1_T2_jT3_P12ihipStream_tbPNSt15iterator_traitsISK_E10value_typeEPNSQ_ISL_E10value_typeEPSM_NS1_7vsmem_tEENKUlT_SK_SL_SM_E_clISE_PiSF_SF_EESJ_SZ_SK_SL_SM_EUlSZ_E0_NS1_11comp_targetILNS1_3genE0ELNS1_11target_archE4294967295ELNS1_3gpuE0ELNS1_3repE0EEENS1_38merge_mergepath_config_static_selectorELNS0_4arch9wavefront6targetE1EEEvSL_, .Lfunc_end51-_ZN7rocprim17ROCPRIM_400000_NS6detail17trampoline_kernelINS0_14default_configENS1_38merge_sort_block_merge_config_selectorIiNS0_10empty_typeEEEZZNS1_27merge_sort_block_merge_implIS3_N6thrust23THRUST_200600_302600_NS6detail15normal_iteratorINS9_10device_ptrIiEEEEPS5_jNS1_19radix_merge_compareILb0ELb0EiNS0_19identity_decomposerEEEEE10hipError_tT0_T1_T2_jT3_P12ihipStream_tbPNSt15iterator_traitsISK_E10value_typeEPNSQ_ISL_E10value_typeEPSM_NS1_7vsmem_tEENKUlT_SK_SL_SM_E_clISE_PiSF_SF_EESJ_SZ_SK_SL_SM_EUlSZ_E0_NS1_11comp_targetILNS1_3genE0ELNS1_11target_archE4294967295ELNS1_3gpuE0ELNS1_3repE0EEENS1_38merge_mergepath_config_static_selectorELNS0_4arch9wavefront6targetE1EEEvSL_
                                        ; -- End function
	.set _ZN7rocprim17ROCPRIM_400000_NS6detail17trampoline_kernelINS0_14default_configENS1_38merge_sort_block_merge_config_selectorIiNS0_10empty_typeEEEZZNS1_27merge_sort_block_merge_implIS3_N6thrust23THRUST_200600_302600_NS6detail15normal_iteratorINS9_10device_ptrIiEEEEPS5_jNS1_19radix_merge_compareILb0ELb0EiNS0_19identity_decomposerEEEEE10hipError_tT0_T1_T2_jT3_P12ihipStream_tbPNSt15iterator_traitsISK_E10value_typeEPNSQ_ISL_E10value_typeEPSM_NS1_7vsmem_tEENKUlT_SK_SL_SM_E_clISE_PiSF_SF_EESJ_SZ_SK_SL_SM_EUlSZ_E0_NS1_11comp_targetILNS1_3genE0ELNS1_11target_archE4294967295ELNS1_3gpuE0ELNS1_3repE0EEENS1_38merge_mergepath_config_static_selectorELNS0_4arch9wavefront6targetE1EEEvSL_.num_vgpr, 26
	.set _ZN7rocprim17ROCPRIM_400000_NS6detail17trampoline_kernelINS0_14default_configENS1_38merge_sort_block_merge_config_selectorIiNS0_10empty_typeEEEZZNS1_27merge_sort_block_merge_implIS3_N6thrust23THRUST_200600_302600_NS6detail15normal_iteratorINS9_10device_ptrIiEEEEPS5_jNS1_19radix_merge_compareILb0ELb0EiNS0_19identity_decomposerEEEEE10hipError_tT0_T1_T2_jT3_P12ihipStream_tbPNSt15iterator_traitsISK_E10value_typeEPNSQ_ISL_E10value_typeEPSM_NS1_7vsmem_tEENKUlT_SK_SL_SM_E_clISE_PiSF_SF_EESJ_SZ_SK_SL_SM_EUlSZ_E0_NS1_11comp_targetILNS1_3genE0ELNS1_11target_archE4294967295ELNS1_3gpuE0ELNS1_3repE0EEENS1_38merge_mergepath_config_static_selectorELNS0_4arch9wavefront6targetE1EEEvSL_.num_agpr, 0
	.set _ZN7rocprim17ROCPRIM_400000_NS6detail17trampoline_kernelINS0_14default_configENS1_38merge_sort_block_merge_config_selectorIiNS0_10empty_typeEEEZZNS1_27merge_sort_block_merge_implIS3_N6thrust23THRUST_200600_302600_NS6detail15normal_iteratorINS9_10device_ptrIiEEEEPS5_jNS1_19radix_merge_compareILb0ELb0EiNS0_19identity_decomposerEEEEE10hipError_tT0_T1_T2_jT3_P12ihipStream_tbPNSt15iterator_traitsISK_E10value_typeEPNSQ_ISL_E10value_typeEPSM_NS1_7vsmem_tEENKUlT_SK_SL_SM_E_clISE_PiSF_SF_EESJ_SZ_SK_SL_SM_EUlSZ_E0_NS1_11comp_targetILNS1_3genE0ELNS1_11target_archE4294967295ELNS1_3gpuE0ELNS1_3repE0EEENS1_38merge_mergepath_config_static_selectorELNS0_4arch9wavefront6targetE1EEEvSL_.numbered_sgpr, 25
	.set _ZN7rocprim17ROCPRIM_400000_NS6detail17trampoline_kernelINS0_14default_configENS1_38merge_sort_block_merge_config_selectorIiNS0_10empty_typeEEEZZNS1_27merge_sort_block_merge_implIS3_N6thrust23THRUST_200600_302600_NS6detail15normal_iteratorINS9_10device_ptrIiEEEEPS5_jNS1_19radix_merge_compareILb0ELb0EiNS0_19identity_decomposerEEEEE10hipError_tT0_T1_T2_jT3_P12ihipStream_tbPNSt15iterator_traitsISK_E10value_typeEPNSQ_ISL_E10value_typeEPSM_NS1_7vsmem_tEENKUlT_SK_SL_SM_E_clISE_PiSF_SF_EESJ_SZ_SK_SL_SM_EUlSZ_E0_NS1_11comp_targetILNS1_3genE0ELNS1_11target_archE4294967295ELNS1_3gpuE0ELNS1_3repE0EEENS1_38merge_mergepath_config_static_selectorELNS0_4arch9wavefront6targetE1EEEvSL_.num_named_barrier, 0
	.set _ZN7rocprim17ROCPRIM_400000_NS6detail17trampoline_kernelINS0_14default_configENS1_38merge_sort_block_merge_config_selectorIiNS0_10empty_typeEEEZZNS1_27merge_sort_block_merge_implIS3_N6thrust23THRUST_200600_302600_NS6detail15normal_iteratorINS9_10device_ptrIiEEEEPS5_jNS1_19radix_merge_compareILb0ELb0EiNS0_19identity_decomposerEEEEE10hipError_tT0_T1_T2_jT3_P12ihipStream_tbPNSt15iterator_traitsISK_E10value_typeEPNSQ_ISL_E10value_typeEPSM_NS1_7vsmem_tEENKUlT_SK_SL_SM_E_clISE_PiSF_SF_EESJ_SZ_SK_SL_SM_EUlSZ_E0_NS1_11comp_targetILNS1_3genE0ELNS1_11target_archE4294967295ELNS1_3gpuE0ELNS1_3repE0EEENS1_38merge_mergepath_config_static_selectorELNS0_4arch9wavefront6targetE1EEEvSL_.private_seg_size, 0
	.set _ZN7rocprim17ROCPRIM_400000_NS6detail17trampoline_kernelINS0_14default_configENS1_38merge_sort_block_merge_config_selectorIiNS0_10empty_typeEEEZZNS1_27merge_sort_block_merge_implIS3_N6thrust23THRUST_200600_302600_NS6detail15normal_iteratorINS9_10device_ptrIiEEEEPS5_jNS1_19radix_merge_compareILb0ELb0EiNS0_19identity_decomposerEEEEE10hipError_tT0_T1_T2_jT3_P12ihipStream_tbPNSt15iterator_traitsISK_E10value_typeEPNSQ_ISL_E10value_typeEPSM_NS1_7vsmem_tEENKUlT_SK_SL_SM_E_clISE_PiSF_SF_EESJ_SZ_SK_SL_SM_EUlSZ_E0_NS1_11comp_targetILNS1_3genE0ELNS1_11target_archE4294967295ELNS1_3gpuE0ELNS1_3repE0EEENS1_38merge_mergepath_config_static_selectorELNS0_4arch9wavefront6targetE1EEEvSL_.uses_vcc, 1
	.set _ZN7rocprim17ROCPRIM_400000_NS6detail17trampoline_kernelINS0_14default_configENS1_38merge_sort_block_merge_config_selectorIiNS0_10empty_typeEEEZZNS1_27merge_sort_block_merge_implIS3_N6thrust23THRUST_200600_302600_NS6detail15normal_iteratorINS9_10device_ptrIiEEEEPS5_jNS1_19radix_merge_compareILb0ELb0EiNS0_19identity_decomposerEEEEE10hipError_tT0_T1_T2_jT3_P12ihipStream_tbPNSt15iterator_traitsISK_E10value_typeEPNSQ_ISL_E10value_typeEPSM_NS1_7vsmem_tEENKUlT_SK_SL_SM_E_clISE_PiSF_SF_EESJ_SZ_SK_SL_SM_EUlSZ_E0_NS1_11comp_targetILNS1_3genE0ELNS1_11target_archE4294967295ELNS1_3gpuE0ELNS1_3repE0EEENS1_38merge_mergepath_config_static_selectorELNS0_4arch9wavefront6targetE1EEEvSL_.uses_flat_scratch, 0
	.set _ZN7rocprim17ROCPRIM_400000_NS6detail17trampoline_kernelINS0_14default_configENS1_38merge_sort_block_merge_config_selectorIiNS0_10empty_typeEEEZZNS1_27merge_sort_block_merge_implIS3_N6thrust23THRUST_200600_302600_NS6detail15normal_iteratorINS9_10device_ptrIiEEEEPS5_jNS1_19radix_merge_compareILb0ELb0EiNS0_19identity_decomposerEEEEE10hipError_tT0_T1_T2_jT3_P12ihipStream_tbPNSt15iterator_traitsISK_E10value_typeEPNSQ_ISL_E10value_typeEPSM_NS1_7vsmem_tEENKUlT_SK_SL_SM_E_clISE_PiSF_SF_EESJ_SZ_SK_SL_SM_EUlSZ_E0_NS1_11comp_targetILNS1_3genE0ELNS1_11target_archE4294967295ELNS1_3gpuE0ELNS1_3repE0EEENS1_38merge_mergepath_config_static_selectorELNS0_4arch9wavefront6targetE1EEEvSL_.has_dyn_sized_stack, 0
	.set _ZN7rocprim17ROCPRIM_400000_NS6detail17trampoline_kernelINS0_14default_configENS1_38merge_sort_block_merge_config_selectorIiNS0_10empty_typeEEEZZNS1_27merge_sort_block_merge_implIS3_N6thrust23THRUST_200600_302600_NS6detail15normal_iteratorINS9_10device_ptrIiEEEEPS5_jNS1_19radix_merge_compareILb0ELb0EiNS0_19identity_decomposerEEEEE10hipError_tT0_T1_T2_jT3_P12ihipStream_tbPNSt15iterator_traitsISK_E10value_typeEPNSQ_ISL_E10value_typeEPSM_NS1_7vsmem_tEENKUlT_SK_SL_SM_E_clISE_PiSF_SF_EESJ_SZ_SK_SL_SM_EUlSZ_E0_NS1_11comp_targetILNS1_3genE0ELNS1_11target_archE4294967295ELNS1_3gpuE0ELNS1_3repE0EEENS1_38merge_mergepath_config_static_selectorELNS0_4arch9wavefront6targetE1EEEvSL_.has_recursion, 0
	.set _ZN7rocprim17ROCPRIM_400000_NS6detail17trampoline_kernelINS0_14default_configENS1_38merge_sort_block_merge_config_selectorIiNS0_10empty_typeEEEZZNS1_27merge_sort_block_merge_implIS3_N6thrust23THRUST_200600_302600_NS6detail15normal_iteratorINS9_10device_ptrIiEEEEPS5_jNS1_19radix_merge_compareILb0ELb0EiNS0_19identity_decomposerEEEEE10hipError_tT0_T1_T2_jT3_P12ihipStream_tbPNSt15iterator_traitsISK_E10value_typeEPNSQ_ISL_E10value_typeEPSM_NS1_7vsmem_tEENKUlT_SK_SL_SM_E_clISE_PiSF_SF_EESJ_SZ_SK_SL_SM_EUlSZ_E0_NS1_11comp_targetILNS1_3genE0ELNS1_11target_archE4294967295ELNS1_3gpuE0ELNS1_3repE0EEENS1_38merge_mergepath_config_static_selectorELNS0_4arch9wavefront6targetE1EEEvSL_.has_indirect_call, 0
	.section	.AMDGPU.csdata,"",@progbits
; Kernel info:
; codeLenInByte = 3212
; TotalNumSgprs: 31
; NumVgprs: 26
; NumAgprs: 0
; TotalNumVgprs: 26
; ScratchSize: 0
; MemoryBound: 0
; FloatMode: 240
; IeeeMode: 1
; LDSByteSize: 4224 bytes/workgroup (compile time only)
; SGPRBlocks: 3
; VGPRBlocks: 3
; NumSGPRsForWavesPerEU: 31
; NumVGPRsForWavesPerEU: 26
; AccumOffset: 28
; Occupancy: 8
; WaveLimiterHint : 1
; COMPUTE_PGM_RSRC2:SCRATCH_EN: 0
; COMPUTE_PGM_RSRC2:USER_SGPR: 2
; COMPUTE_PGM_RSRC2:TRAP_HANDLER: 0
; COMPUTE_PGM_RSRC2:TGID_X_EN: 1
; COMPUTE_PGM_RSRC2:TGID_Y_EN: 1
; COMPUTE_PGM_RSRC2:TGID_Z_EN: 1
; COMPUTE_PGM_RSRC2:TIDIG_COMP_CNT: 0
; COMPUTE_PGM_RSRC3_GFX90A:ACCUM_OFFSET: 6
; COMPUTE_PGM_RSRC3_GFX90A:TG_SPLIT: 0
	.section	.text._ZN7rocprim17ROCPRIM_400000_NS6detail17trampoline_kernelINS0_14default_configENS1_38merge_sort_block_merge_config_selectorIiNS0_10empty_typeEEEZZNS1_27merge_sort_block_merge_implIS3_N6thrust23THRUST_200600_302600_NS6detail15normal_iteratorINS9_10device_ptrIiEEEEPS5_jNS1_19radix_merge_compareILb0ELb0EiNS0_19identity_decomposerEEEEE10hipError_tT0_T1_T2_jT3_P12ihipStream_tbPNSt15iterator_traitsISK_E10value_typeEPNSQ_ISL_E10value_typeEPSM_NS1_7vsmem_tEENKUlT_SK_SL_SM_E_clISE_PiSF_SF_EESJ_SZ_SK_SL_SM_EUlSZ_E0_NS1_11comp_targetILNS1_3genE10ELNS1_11target_archE1201ELNS1_3gpuE5ELNS1_3repE0EEENS1_38merge_mergepath_config_static_selectorELNS0_4arch9wavefront6targetE1EEEvSL_,"axG",@progbits,_ZN7rocprim17ROCPRIM_400000_NS6detail17trampoline_kernelINS0_14default_configENS1_38merge_sort_block_merge_config_selectorIiNS0_10empty_typeEEEZZNS1_27merge_sort_block_merge_implIS3_N6thrust23THRUST_200600_302600_NS6detail15normal_iteratorINS9_10device_ptrIiEEEEPS5_jNS1_19radix_merge_compareILb0ELb0EiNS0_19identity_decomposerEEEEE10hipError_tT0_T1_T2_jT3_P12ihipStream_tbPNSt15iterator_traitsISK_E10value_typeEPNSQ_ISL_E10value_typeEPSM_NS1_7vsmem_tEENKUlT_SK_SL_SM_E_clISE_PiSF_SF_EESJ_SZ_SK_SL_SM_EUlSZ_E0_NS1_11comp_targetILNS1_3genE10ELNS1_11target_archE1201ELNS1_3gpuE5ELNS1_3repE0EEENS1_38merge_mergepath_config_static_selectorELNS0_4arch9wavefront6targetE1EEEvSL_,comdat
	.protected	_ZN7rocprim17ROCPRIM_400000_NS6detail17trampoline_kernelINS0_14default_configENS1_38merge_sort_block_merge_config_selectorIiNS0_10empty_typeEEEZZNS1_27merge_sort_block_merge_implIS3_N6thrust23THRUST_200600_302600_NS6detail15normal_iteratorINS9_10device_ptrIiEEEEPS5_jNS1_19radix_merge_compareILb0ELb0EiNS0_19identity_decomposerEEEEE10hipError_tT0_T1_T2_jT3_P12ihipStream_tbPNSt15iterator_traitsISK_E10value_typeEPNSQ_ISL_E10value_typeEPSM_NS1_7vsmem_tEENKUlT_SK_SL_SM_E_clISE_PiSF_SF_EESJ_SZ_SK_SL_SM_EUlSZ_E0_NS1_11comp_targetILNS1_3genE10ELNS1_11target_archE1201ELNS1_3gpuE5ELNS1_3repE0EEENS1_38merge_mergepath_config_static_selectorELNS0_4arch9wavefront6targetE1EEEvSL_ ; -- Begin function _ZN7rocprim17ROCPRIM_400000_NS6detail17trampoline_kernelINS0_14default_configENS1_38merge_sort_block_merge_config_selectorIiNS0_10empty_typeEEEZZNS1_27merge_sort_block_merge_implIS3_N6thrust23THRUST_200600_302600_NS6detail15normal_iteratorINS9_10device_ptrIiEEEEPS5_jNS1_19radix_merge_compareILb0ELb0EiNS0_19identity_decomposerEEEEE10hipError_tT0_T1_T2_jT3_P12ihipStream_tbPNSt15iterator_traitsISK_E10value_typeEPNSQ_ISL_E10value_typeEPSM_NS1_7vsmem_tEENKUlT_SK_SL_SM_E_clISE_PiSF_SF_EESJ_SZ_SK_SL_SM_EUlSZ_E0_NS1_11comp_targetILNS1_3genE10ELNS1_11target_archE1201ELNS1_3gpuE5ELNS1_3repE0EEENS1_38merge_mergepath_config_static_selectorELNS0_4arch9wavefront6targetE1EEEvSL_
	.globl	_ZN7rocprim17ROCPRIM_400000_NS6detail17trampoline_kernelINS0_14default_configENS1_38merge_sort_block_merge_config_selectorIiNS0_10empty_typeEEEZZNS1_27merge_sort_block_merge_implIS3_N6thrust23THRUST_200600_302600_NS6detail15normal_iteratorINS9_10device_ptrIiEEEEPS5_jNS1_19radix_merge_compareILb0ELb0EiNS0_19identity_decomposerEEEEE10hipError_tT0_T1_T2_jT3_P12ihipStream_tbPNSt15iterator_traitsISK_E10value_typeEPNSQ_ISL_E10value_typeEPSM_NS1_7vsmem_tEENKUlT_SK_SL_SM_E_clISE_PiSF_SF_EESJ_SZ_SK_SL_SM_EUlSZ_E0_NS1_11comp_targetILNS1_3genE10ELNS1_11target_archE1201ELNS1_3gpuE5ELNS1_3repE0EEENS1_38merge_mergepath_config_static_selectorELNS0_4arch9wavefront6targetE1EEEvSL_
	.p2align	8
	.type	_ZN7rocprim17ROCPRIM_400000_NS6detail17trampoline_kernelINS0_14default_configENS1_38merge_sort_block_merge_config_selectorIiNS0_10empty_typeEEEZZNS1_27merge_sort_block_merge_implIS3_N6thrust23THRUST_200600_302600_NS6detail15normal_iteratorINS9_10device_ptrIiEEEEPS5_jNS1_19radix_merge_compareILb0ELb0EiNS0_19identity_decomposerEEEEE10hipError_tT0_T1_T2_jT3_P12ihipStream_tbPNSt15iterator_traitsISK_E10value_typeEPNSQ_ISL_E10value_typeEPSM_NS1_7vsmem_tEENKUlT_SK_SL_SM_E_clISE_PiSF_SF_EESJ_SZ_SK_SL_SM_EUlSZ_E0_NS1_11comp_targetILNS1_3genE10ELNS1_11target_archE1201ELNS1_3gpuE5ELNS1_3repE0EEENS1_38merge_mergepath_config_static_selectorELNS0_4arch9wavefront6targetE1EEEvSL_,@function
_ZN7rocprim17ROCPRIM_400000_NS6detail17trampoline_kernelINS0_14default_configENS1_38merge_sort_block_merge_config_selectorIiNS0_10empty_typeEEEZZNS1_27merge_sort_block_merge_implIS3_N6thrust23THRUST_200600_302600_NS6detail15normal_iteratorINS9_10device_ptrIiEEEEPS5_jNS1_19radix_merge_compareILb0ELb0EiNS0_19identity_decomposerEEEEE10hipError_tT0_T1_T2_jT3_P12ihipStream_tbPNSt15iterator_traitsISK_E10value_typeEPNSQ_ISL_E10value_typeEPSM_NS1_7vsmem_tEENKUlT_SK_SL_SM_E_clISE_PiSF_SF_EESJ_SZ_SK_SL_SM_EUlSZ_E0_NS1_11comp_targetILNS1_3genE10ELNS1_11target_archE1201ELNS1_3gpuE5ELNS1_3repE0EEENS1_38merge_mergepath_config_static_selectorELNS0_4arch9wavefront6targetE1EEEvSL_: ; @_ZN7rocprim17ROCPRIM_400000_NS6detail17trampoline_kernelINS0_14default_configENS1_38merge_sort_block_merge_config_selectorIiNS0_10empty_typeEEEZZNS1_27merge_sort_block_merge_implIS3_N6thrust23THRUST_200600_302600_NS6detail15normal_iteratorINS9_10device_ptrIiEEEEPS5_jNS1_19radix_merge_compareILb0ELb0EiNS0_19identity_decomposerEEEEE10hipError_tT0_T1_T2_jT3_P12ihipStream_tbPNSt15iterator_traitsISK_E10value_typeEPNSQ_ISL_E10value_typeEPSM_NS1_7vsmem_tEENKUlT_SK_SL_SM_E_clISE_PiSF_SF_EESJ_SZ_SK_SL_SM_EUlSZ_E0_NS1_11comp_targetILNS1_3genE10ELNS1_11target_archE1201ELNS1_3gpuE5ELNS1_3repE0EEENS1_38merge_mergepath_config_static_selectorELNS0_4arch9wavefront6targetE1EEEvSL_
; %bb.0:
	.section	.rodata,"a",@progbits
	.p2align	6, 0x0
	.amdhsa_kernel _ZN7rocprim17ROCPRIM_400000_NS6detail17trampoline_kernelINS0_14default_configENS1_38merge_sort_block_merge_config_selectorIiNS0_10empty_typeEEEZZNS1_27merge_sort_block_merge_implIS3_N6thrust23THRUST_200600_302600_NS6detail15normal_iteratorINS9_10device_ptrIiEEEEPS5_jNS1_19radix_merge_compareILb0ELb0EiNS0_19identity_decomposerEEEEE10hipError_tT0_T1_T2_jT3_P12ihipStream_tbPNSt15iterator_traitsISK_E10value_typeEPNSQ_ISL_E10value_typeEPSM_NS1_7vsmem_tEENKUlT_SK_SL_SM_E_clISE_PiSF_SF_EESJ_SZ_SK_SL_SM_EUlSZ_E0_NS1_11comp_targetILNS1_3genE10ELNS1_11target_archE1201ELNS1_3gpuE5ELNS1_3repE0EEENS1_38merge_mergepath_config_static_selectorELNS0_4arch9wavefront6targetE1EEEvSL_
		.amdhsa_group_segment_fixed_size 0
		.amdhsa_private_segment_fixed_size 0
		.amdhsa_kernarg_size 64
		.amdhsa_user_sgpr_count 2
		.amdhsa_user_sgpr_dispatch_ptr 0
		.amdhsa_user_sgpr_queue_ptr 0
		.amdhsa_user_sgpr_kernarg_segment_ptr 1
		.amdhsa_user_sgpr_dispatch_id 0
		.amdhsa_user_sgpr_kernarg_preload_length 0
		.amdhsa_user_sgpr_kernarg_preload_offset 0
		.amdhsa_user_sgpr_private_segment_size 0
		.amdhsa_uses_dynamic_stack 0
		.amdhsa_enable_private_segment 0
		.amdhsa_system_sgpr_workgroup_id_x 1
		.amdhsa_system_sgpr_workgroup_id_y 0
		.amdhsa_system_sgpr_workgroup_id_z 0
		.amdhsa_system_sgpr_workgroup_info 0
		.amdhsa_system_vgpr_workitem_id 0
		.amdhsa_next_free_vgpr 1
		.amdhsa_next_free_sgpr 0
		.amdhsa_accum_offset 4
		.amdhsa_reserve_vcc 0
		.amdhsa_float_round_mode_32 0
		.amdhsa_float_round_mode_16_64 0
		.amdhsa_float_denorm_mode_32 3
		.amdhsa_float_denorm_mode_16_64 3
		.amdhsa_dx10_clamp 1
		.amdhsa_ieee_mode 1
		.amdhsa_fp16_overflow 0
		.amdhsa_tg_split 0
		.amdhsa_exception_fp_ieee_invalid_op 0
		.amdhsa_exception_fp_denorm_src 0
		.amdhsa_exception_fp_ieee_div_zero 0
		.amdhsa_exception_fp_ieee_overflow 0
		.amdhsa_exception_fp_ieee_underflow 0
		.amdhsa_exception_fp_ieee_inexact 0
		.amdhsa_exception_int_div_zero 0
	.end_amdhsa_kernel
	.section	.text._ZN7rocprim17ROCPRIM_400000_NS6detail17trampoline_kernelINS0_14default_configENS1_38merge_sort_block_merge_config_selectorIiNS0_10empty_typeEEEZZNS1_27merge_sort_block_merge_implIS3_N6thrust23THRUST_200600_302600_NS6detail15normal_iteratorINS9_10device_ptrIiEEEEPS5_jNS1_19radix_merge_compareILb0ELb0EiNS0_19identity_decomposerEEEEE10hipError_tT0_T1_T2_jT3_P12ihipStream_tbPNSt15iterator_traitsISK_E10value_typeEPNSQ_ISL_E10value_typeEPSM_NS1_7vsmem_tEENKUlT_SK_SL_SM_E_clISE_PiSF_SF_EESJ_SZ_SK_SL_SM_EUlSZ_E0_NS1_11comp_targetILNS1_3genE10ELNS1_11target_archE1201ELNS1_3gpuE5ELNS1_3repE0EEENS1_38merge_mergepath_config_static_selectorELNS0_4arch9wavefront6targetE1EEEvSL_,"axG",@progbits,_ZN7rocprim17ROCPRIM_400000_NS6detail17trampoline_kernelINS0_14default_configENS1_38merge_sort_block_merge_config_selectorIiNS0_10empty_typeEEEZZNS1_27merge_sort_block_merge_implIS3_N6thrust23THRUST_200600_302600_NS6detail15normal_iteratorINS9_10device_ptrIiEEEEPS5_jNS1_19radix_merge_compareILb0ELb0EiNS0_19identity_decomposerEEEEE10hipError_tT0_T1_T2_jT3_P12ihipStream_tbPNSt15iterator_traitsISK_E10value_typeEPNSQ_ISL_E10value_typeEPSM_NS1_7vsmem_tEENKUlT_SK_SL_SM_E_clISE_PiSF_SF_EESJ_SZ_SK_SL_SM_EUlSZ_E0_NS1_11comp_targetILNS1_3genE10ELNS1_11target_archE1201ELNS1_3gpuE5ELNS1_3repE0EEENS1_38merge_mergepath_config_static_selectorELNS0_4arch9wavefront6targetE1EEEvSL_,comdat
.Lfunc_end52:
	.size	_ZN7rocprim17ROCPRIM_400000_NS6detail17trampoline_kernelINS0_14default_configENS1_38merge_sort_block_merge_config_selectorIiNS0_10empty_typeEEEZZNS1_27merge_sort_block_merge_implIS3_N6thrust23THRUST_200600_302600_NS6detail15normal_iteratorINS9_10device_ptrIiEEEEPS5_jNS1_19radix_merge_compareILb0ELb0EiNS0_19identity_decomposerEEEEE10hipError_tT0_T1_T2_jT3_P12ihipStream_tbPNSt15iterator_traitsISK_E10value_typeEPNSQ_ISL_E10value_typeEPSM_NS1_7vsmem_tEENKUlT_SK_SL_SM_E_clISE_PiSF_SF_EESJ_SZ_SK_SL_SM_EUlSZ_E0_NS1_11comp_targetILNS1_3genE10ELNS1_11target_archE1201ELNS1_3gpuE5ELNS1_3repE0EEENS1_38merge_mergepath_config_static_selectorELNS0_4arch9wavefront6targetE1EEEvSL_, .Lfunc_end52-_ZN7rocprim17ROCPRIM_400000_NS6detail17trampoline_kernelINS0_14default_configENS1_38merge_sort_block_merge_config_selectorIiNS0_10empty_typeEEEZZNS1_27merge_sort_block_merge_implIS3_N6thrust23THRUST_200600_302600_NS6detail15normal_iteratorINS9_10device_ptrIiEEEEPS5_jNS1_19radix_merge_compareILb0ELb0EiNS0_19identity_decomposerEEEEE10hipError_tT0_T1_T2_jT3_P12ihipStream_tbPNSt15iterator_traitsISK_E10value_typeEPNSQ_ISL_E10value_typeEPSM_NS1_7vsmem_tEENKUlT_SK_SL_SM_E_clISE_PiSF_SF_EESJ_SZ_SK_SL_SM_EUlSZ_E0_NS1_11comp_targetILNS1_3genE10ELNS1_11target_archE1201ELNS1_3gpuE5ELNS1_3repE0EEENS1_38merge_mergepath_config_static_selectorELNS0_4arch9wavefront6targetE1EEEvSL_
                                        ; -- End function
	.set _ZN7rocprim17ROCPRIM_400000_NS6detail17trampoline_kernelINS0_14default_configENS1_38merge_sort_block_merge_config_selectorIiNS0_10empty_typeEEEZZNS1_27merge_sort_block_merge_implIS3_N6thrust23THRUST_200600_302600_NS6detail15normal_iteratorINS9_10device_ptrIiEEEEPS5_jNS1_19radix_merge_compareILb0ELb0EiNS0_19identity_decomposerEEEEE10hipError_tT0_T1_T2_jT3_P12ihipStream_tbPNSt15iterator_traitsISK_E10value_typeEPNSQ_ISL_E10value_typeEPSM_NS1_7vsmem_tEENKUlT_SK_SL_SM_E_clISE_PiSF_SF_EESJ_SZ_SK_SL_SM_EUlSZ_E0_NS1_11comp_targetILNS1_3genE10ELNS1_11target_archE1201ELNS1_3gpuE5ELNS1_3repE0EEENS1_38merge_mergepath_config_static_selectorELNS0_4arch9wavefront6targetE1EEEvSL_.num_vgpr, 0
	.set _ZN7rocprim17ROCPRIM_400000_NS6detail17trampoline_kernelINS0_14default_configENS1_38merge_sort_block_merge_config_selectorIiNS0_10empty_typeEEEZZNS1_27merge_sort_block_merge_implIS3_N6thrust23THRUST_200600_302600_NS6detail15normal_iteratorINS9_10device_ptrIiEEEEPS5_jNS1_19radix_merge_compareILb0ELb0EiNS0_19identity_decomposerEEEEE10hipError_tT0_T1_T2_jT3_P12ihipStream_tbPNSt15iterator_traitsISK_E10value_typeEPNSQ_ISL_E10value_typeEPSM_NS1_7vsmem_tEENKUlT_SK_SL_SM_E_clISE_PiSF_SF_EESJ_SZ_SK_SL_SM_EUlSZ_E0_NS1_11comp_targetILNS1_3genE10ELNS1_11target_archE1201ELNS1_3gpuE5ELNS1_3repE0EEENS1_38merge_mergepath_config_static_selectorELNS0_4arch9wavefront6targetE1EEEvSL_.num_agpr, 0
	.set _ZN7rocprim17ROCPRIM_400000_NS6detail17trampoline_kernelINS0_14default_configENS1_38merge_sort_block_merge_config_selectorIiNS0_10empty_typeEEEZZNS1_27merge_sort_block_merge_implIS3_N6thrust23THRUST_200600_302600_NS6detail15normal_iteratorINS9_10device_ptrIiEEEEPS5_jNS1_19radix_merge_compareILb0ELb0EiNS0_19identity_decomposerEEEEE10hipError_tT0_T1_T2_jT3_P12ihipStream_tbPNSt15iterator_traitsISK_E10value_typeEPNSQ_ISL_E10value_typeEPSM_NS1_7vsmem_tEENKUlT_SK_SL_SM_E_clISE_PiSF_SF_EESJ_SZ_SK_SL_SM_EUlSZ_E0_NS1_11comp_targetILNS1_3genE10ELNS1_11target_archE1201ELNS1_3gpuE5ELNS1_3repE0EEENS1_38merge_mergepath_config_static_selectorELNS0_4arch9wavefront6targetE1EEEvSL_.numbered_sgpr, 0
	.set _ZN7rocprim17ROCPRIM_400000_NS6detail17trampoline_kernelINS0_14default_configENS1_38merge_sort_block_merge_config_selectorIiNS0_10empty_typeEEEZZNS1_27merge_sort_block_merge_implIS3_N6thrust23THRUST_200600_302600_NS6detail15normal_iteratorINS9_10device_ptrIiEEEEPS5_jNS1_19radix_merge_compareILb0ELb0EiNS0_19identity_decomposerEEEEE10hipError_tT0_T1_T2_jT3_P12ihipStream_tbPNSt15iterator_traitsISK_E10value_typeEPNSQ_ISL_E10value_typeEPSM_NS1_7vsmem_tEENKUlT_SK_SL_SM_E_clISE_PiSF_SF_EESJ_SZ_SK_SL_SM_EUlSZ_E0_NS1_11comp_targetILNS1_3genE10ELNS1_11target_archE1201ELNS1_3gpuE5ELNS1_3repE0EEENS1_38merge_mergepath_config_static_selectorELNS0_4arch9wavefront6targetE1EEEvSL_.num_named_barrier, 0
	.set _ZN7rocprim17ROCPRIM_400000_NS6detail17trampoline_kernelINS0_14default_configENS1_38merge_sort_block_merge_config_selectorIiNS0_10empty_typeEEEZZNS1_27merge_sort_block_merge_implIS3_N6thrust23THRUST_200600_302600_NS6detail15normal_iteratorINS9_10device_ptrIiEEEEPS5_jNS1_19radix_merge_compareILb0ELb0EiNS0_19identity_decomposerEEEEE10hipError_tT0_T1_T2_jT3_P12ihipStream_tbPNSt15iterator_traitsISK_E10value_typeEPNSQ_ISL_E10value_typeEPSM_NS1_7vsmem_tEENKUlT_SK_SL_SM_E_clISE_PiSF_SF_EESJ_SZ_SK_SL_SM_EUlSZ_E0_NS1_11comp_targetILNS1_3genE10ELNS1_11target_archE1201ELNS1_3gpuE5ELNS1_3repE0EEENS1_38merge_mergepath_config_static_selectorELNS0_4arch9wavefront6targetE1EEEvSL_.private_seg_size, 0
	.set _ZN7rocprim17ROCPRIM_400000_NS6detail17trampoline_kernelINS0_14default_configENS1_38merge_sort_block_merge_config_selectorIiNS0_10empty_typeEEEZZNS1_27merge_sort_block_merge_implIS3_N6thrust23THRUST_200600_302600_NS6detail15normal_iteratorINS9_10device_ptrIiEEEEPS5_jNS1_19radix_merge_compareILb0ELb0EiNS0_19identity_decomposerEEEEE10hipError_tT0_T1_T2_jT3_P12ihipStream_tbPNSt15iterator_traitsISK_E10value_typeEPNSQ_ISL_E10value_typeEPSM_NS1_7vsmem_tEENKUlT_SK_SL_SM_E_clISE_PiSF_SF_EESJ_SZ_SK_SL_SM_EUlSZ_E0_NS1_11comp_targetILNS1_3genE10ELNS1_11target_archE1201ELNS1_3gpuE5ELNS1_3repE0EEENS1_38merge_mergepath_config_static_selectorELNS0_4arch9wavefront6targetE1EEEvSL_.uses_vcc, 0
	.set _ZN7rocprim17ROCPRIM_400000_NS6detail17trampoline_kernelINS0_14default_configENS1_38merge_sort_block_merge_config_selectorIiNS0_10empty_typeEEEZZNS1_27merge_sort_block_merge_implIS3_N6thrust23THRUST_200600_302600_NS6detail15normal_iteratorINS9_10device_ptrIiEEEEPS5_jNS1_19radix_merge_compareILb0ELb0EiNS0_19identity_decomposerEEEEE10hipError_tT0_T1_T2_jT3_P12ihipStream_tbPNSt15iterator_traitsISK_E10value_typeEPNSQ_ISL_E10value_typeEPSM_NS1_7vsmem_tEENKUlT_SK_SL_SM_E_clISE_PiSF_SF_EESJ_SZ_SK_SL_SM_EUlSZ_E0_NS1_11comp_targetILNS1_3genE10ELNS1_11target_archE1201ELNS1_3gpuE5ELNS1_3repE0EEENS1_38merge_mergepath_config_static_selectorELNS0_4arch9wavefront6targetE1EEEvSL_.uses_flat_scratch, 0
	.set _ZN7rocprim17ROCPRIM_400000_NS6detail17trampoline_kernelINS0_14default_configENS1_38merge_sort_block_merge_config_selectorIiNS0_10empty_typeEEEZZNS1_27merge_sort_block_merge_implIS3_N6thrust23THRUST_200600_302600_NS6detail15normal_iteratorINS9_10device_ptrIiEEEEPS5_jNS1_19radix_merge_compareILb0ELb0EiNS0_19identity_decomposerEEEEE10hipError_tT0_T1_T2_jT3_P12ihipStream_tbPNSt15iterator_traitsISK_E10value_typeEPNSQ_ISL_E10value_typeEPSM_NS1_7vsmem_tEENKUlT_SK_SL_SM_E_clISE_PiSF_SF_EESJ_SZ_SK_SL_SM_EUlSZ_E0_NS1_11comp_targetILNS1_3genE10ELNS1_11target_archE1201ELNS1_3gpuE5ELNS1_3repE0EEENS1_38merge_mergepath_config_static_selectorELNS0_4arch9wavefront6targetE1EEEvSL_.has_dyn_sized_stack, 0
	.set _ZN7rocprim17ROCPRIM_400000_NS6detail17trampoline_kernelINS0_14default_configENS1_38merge_sort_block_merge_config_selectorIiNS0_10empty_typeEEEZZNS1_27merge_sort_block_merge_implIS3_N6thrust23THRUST_200600_302600_NS6detail15normal_iteratorINS9_10device_ptrIiEEEEPS5_jNS1_19radix_merge_compareILb0ELb0EiNS0_19identity_decomposerEEEEE10hipError_tT0_T1_T2_jT3_P12ihipStream_tbPNSt15iterator_traitsISK_E10value_typeEPNSQ_ISL_E10value_typeEPSM_NS1_7vsmem_tEENKUlT_SK_SL_SM_E_clISE_PiSF_SF_EESJ_SZ_SK_SL_SM_EUlSZ_E0_NS1_11comp_targetILNS1_3genE10ELNS1_11target_archE1201ELNS1_3gpuE5ELNS1_3repE0EEENS1_38merge_mergepath_config_static_selectorELNS0_4arch9wavefront6targetE1EEEvSL_.has_recursion, 0
	.set _ZN7rocprim17ROCPRIM_400000_NS6detail17trampoline_kernelINS0_14default_configENS1_38merge_sort_block_merge_config_selectorIiNS0_10empty_typeEEEZZNS1_27merge_sort_block_merge_implIS3_N6thrust23THRUST_200600_302600_NS6detail15normal_iteratorINS9_10device_ptrIiEEEEPS5_jNS1_19radix_merge_compareILb0ELb0EiNS0_19identity_decomposerEEEEE10hipError_tT0_T1_T2_jT3_P12ihipStream_tbPNSt15iterator_traitsISK_E10value_typeEPNSQ_ISL_E10value_typeEPSM_NS1_7vsmem_tEENKUlT_SK_SL_SM_E_clISE_PiSF_SF_EESJ_SZ_SK_SL_SM_EUlSZ_E0_NS1_11comp_targetILNS1_3genE10ELNS1_11target_archE1201ELNS1_3gpuE5ELNS1_3repE0EEENS1_38merge_mergepath_config_static_selectorELNS0_4arch9wavefront6targetE1EEEvSL_.has_indirect_call, 0
	.section	.AMDGPU.csdata,"",@progbits
; Kernel info:
; codeLenInByte = 0
; TotalNumSgprs: 6
; NumVgprs: 0
; NumAgprs: 0
; TotalNumVgprs: 0
; ScratchSize: 0
; MemoryBound: 0
; FloatMode: 240
; IeeeMode: 1
; LDSByteSize: 0 bytes/workgroup (compile time only)
; SGPRBlocks: 0
; VGPRBlocks: 0
; NumSGPRsForWavesPerEU: 6
; NumVGPRsForWavesPerEU: 1
; AccumOffset: 4
; Occupancy: 8
; WaveLimiterHint : 0
; COMPUTE_PGM_RSRC2:SCRATCH_EN: 0
; COMPUTE_PGM_RSRC2:USER_SGPR: 2
; COMPUTE_PGM_RSRC2:TRAP_HANDLER: 0
; COMPUTE_PGM_RSRC2:TGID_X_EN: 1
; COMPUTE_PGM_RSRC2:TGID_Y_EN: 0
; COMPUTE_PGM_RSRC2:TGID_Z_EN: 0
; COMPUTE_PGM_RSRC2:TIDIG_COMP_CNT: 0
; COMPUTE_PGM_RSRC3_GFX90A:ACCUM_OFFSET: 0
; COMPUTE_PGM_RSRC3_GFX90A:TG_SPLIT: 0
	.section	.text._ZN7rocprim17ROCPRIM_400000_NS6detail17trampoline_kernelINS0_14default_configENS1_38merge_sort_block_merge_config_selectorIiNS0_10empty_typeEEEZZNS1_27merge_sort_block_merge_implIS3_N6thrust23THRUST_200600_302600_NS6detail15normal_iteratorINS9_10device_ptrIiEEEEPS5_jNS1_19radix_merge_compareILb0ELb0EiNS0_19identity_decomposerEEEEE10hipError_tT0_T1_T2_jT3_P12ihipStream_tbPNSt15iterator_traitsISK_E10value_typeEPNSQ_ISL_E10value_typeEPSM_NS1_7vsmem_tEENKUlT_SK_SL_SM_E_clISE_PiSF_SF_EESJ_SZ_SK_SL_SM_EUlSZ_E0_NS1_11comp_targetILNS1_3genE5ELNS1_11target_archE942ELNS1_3gpuE9ELNS1_3repE0EEENS1_38merge_mergepath_config_static_selectorELNS0_4arch9wavefront6targetE1EEEvSL_,"axG",@progbits,_ZN7rocprim17ROCPRIM_400000_NS6detail17trampoline_kernelINS0_14default_configENS1_38merge_sort_block_merge_config_selectorIiNS0_10empty_typeEEEZZNS1_27merge_sort_block_merge_implIS3_N6thrust23THRUST_200600_302600_NS6detail15normal_iteratorINS9_10device_ptrIiEEEEPS5_jNS1_19radix_merge_compareILb0ELb0EiNS0_19identity_decomposerEEEEE10hipError_tT0_T1_T2_jT3_P12ihipStream_tbPNSt15iterator_traitsISK_E10value_typeEPNSQ_ISL_E10value_typeEPSM_NS1_7vsmem_tEENKUlT_SK_SL_SM_E_clISE_PiSF_SF_EESJ_SZ_SK_SL_SM_EUlSZ_E0_NS1_11comp_targetILNS1_3genE5ELNS1_11target_archE942ELNS1_3gpuE9ELNS1_3repE0EEENS1_38merge_mergepath_config_static_selectorELNS0_4arch9wavefront6targetE1EEEvSL_,comdat
	.protected	_ZN7rocprim17ROCPRIM_400000_NS6detail17trampoline_kernelINS0_14default_configENS1_38merge_sort_block_merge_config_selectorIiNS0_10empty_typeEEEZZNS1_27merge_sort_block_merge_implIS3_N6thrust23THRUST_200600_302600_NS6detail15normal_iteratorINS9_10device_ptrIiEEEEPS5_jNS1_19radix_merge_compareILb0ELb0EiNS0_19identity_decomposerEEEEE10hipError_tT0_T1_T2_jT3_P12ihipStream_tbPNSt15iterator_traitsISK_E10value_typeEPNSQ_ISL_E10value_typeEPSM_NS1_7vsmem_tEENKUlT_SK_SL_SM_E_clISE_PiSF_SF_EESJ_SZ_SK_SL_SM_EUlSZ_E0_NS1_11comp_targetILNS1_3genE5ELNS1_11target_archE942ELNS1_3gpuE9ELNS1_3repE0EEENS1_38merge_mergepath_config_static_selectorELNS0_4arch9wavefront6targetE1EEEvSL_ ; -- Begin function _ZN7rocprim17ROCPRIM_400000_NS6detail17trampoline_kernelINS0_14default_configENS1_38merge_sort_block_merge_config_selectorIiNS0_10empty_typeEEEZZNS1_27merge_sort_block_merge_implIS3_N6thrust23THRUST_200600_302600_NS6detail15normal_iteratorINS9_10device_ptrIiEEEEPS5_jNS1_19radix_merge_compareILb0ELb0EiNS0_19identity_decomposerEEEEE10hipError_tT0_T1_T2_jT3_P12ihipStream_tbPNSt15iterator_traitsISK_E10value_typeEPNSQ_ISL_E10value_typeEPSM_NS1_7vsmem_tEENKUlT_SK_SL_SM_E_clISE_PiSF_SF_EESJ_SZ_SK_SL_SM_EUlSZ_E0_NS1_11comp_targetILNS1_3genE5ELNS1_11target_archE942ELNS1_3gpuE9ELNS1_3repE0EEENS1_38merge_mergepath_config_static_selectorELNS0_4arch9wavefront6targetE1EEEvSL_
	.globl	_ZN7rocprim17ROCPRIM_400000_NS6detail17trampoline_kernelINS0_14default_configENS1_38merge_sort_block_merge_config_selectorIiNS0_10empty_typeEEEZZNS1_27merge_sort_block_merge_implIS3_N6thrust23THRUST_200600_302600_NS6detail15normal_iteratorINS9_10device_ptrIiEEEEPS5_jNS1_19radix_merge_compareILb0ELb0EiNS0_19identity_decomposerEEEEE10hipError_tT0_T1_T2_jT3_P12ihipStream_tbPNSt15iterator_traitsISK_E10value_typeEPNSQ_ISL_E10value_typeEPSM_NS1_7vsmem_tEENKUlT_SK_SL_SM_E_clISE_PiSF_SF_EESJ_SZ_SK_SL_SM_EUlSZ_E0_NS1_11comp_targetILNS1_3genE5ELNS1_11target_archE942ELNS1_3gpuE9ELNS1_3repE0EEENS1_38merge_mergepath_config_static_selectorELNS0_4arch9wavefront6targetE1EEEvSL_
	.p2align	8
	.type	_ZN7rocprim17ROCPRIM_400000_NS6detail17trampoline_kernelINS0_14default_configENS1_38merge_sort_block_merge_config_selectorIiNS0_10empty_typeEEEZZNS1_27merge_sort_block_merge_implIS3_N6thrust23THRUST_200600_302600_NS6detail15normal_iteratorINS9_10device_ptrIiEEEEPS5_jNS1_19radix_merge_compareILb0ELb0EiNS0_19identity_decomposerEEEEE10hipError_tT0_T1_T2_jT3_P12ihipStream_tbPNSt15iterator_traitsISK_E10value_typeEPNSQ_ISL_E10value_typeEPSM_NS1_7vsmem_tEENKUlT_SK_SL_SM_E_clISE_PiSF_SF_EESJ_SZ_SK_SL_SM_EUlSZ_E0_NS1_11comp_targetILNS1_3genE5ELNS1_11target_archE942ELNS1_3gpuE9ELNS1_3repE0EEENS1_38merge_mergepath_config_static_selectorELNS0_4arch9wavefront6targetE1EEEvSL_,@function
_ZN7rocprim17ROCPRIM_400000_NS6detail17trampoline_kernelINS0_14default_configENS1_38merge_sort_block_merge_config_selectorIiNS0_10empty_typeEEEZZNS1_27merge_sort_block_merge_implIS3_N6thrust23THRUST_200600_302600_NS6detail15normal_iteratorINS9_10device_ptrIiEEEEPS5_jNS1_19radix_merge_compareILb0ELb0EiNS0_19identity_decomposerEEEEE10hipError_tT0_T1_T2_jT3_P12ihipStream_tbPNSt15iterator_traitsISK_E10value_typeEPNSQ_ISL_E10value_typeEPSM_NS1_7vsmem_tEENKUlT_SK_SL_SM_E_clISE_PiSF_SF_EESJ_SZ_SK_SL_SM_EUlSZ_E0_NS1_11comp_targetILNS1_3genE5ELNS1_11target_archE942ELNS1_3gpuE9ELNS1_3repE0EEENS1_38merge_mergepath_config_static_selectorELNS0_4arch9wavefront6targetE1EEEvSL_: ; @_ZN7rocprim17ROCPRIM_400000_NS6detail17trampoline_kernelINS0_14default_configENS1_38merge_sort_block_merge_config_selectorIiNS0_10empty_typeEEEZZNS1_27merge_sort_block_merge_implIS3_N6thrust23THRUST_200600_302600_NS6detail15normal_iteratorINS9_10device_ptrIiEEEEPS5_jNS1_19radix_merge_compareILb0ELb0EiNS0_19identity_decomposerEEEEE10hipError_tT0_T1_T2_jT3_P12ihipStream_tbPNSt15iterator_traitsISK_E10value_typeEPNSQ_ISL_E10value_typeEPSM_NS1_7vsmem_tEENKUlT_SK_SL_SM_E_clISE_PiSF_SF_EESJ_SZ_SK_SL_SM_EUlSZ_E0_NS1_11comp_targetILNS1_3genE5ELNS1_11target_archE942ELNS1_3gpuE9ELNS1_3repE0EEENS1_38merge_mergepath_config_static_selectorELNS0_4arch9wavefront6targetE1EEEvSL_
; %bb.0:
	.section	.rodata,"a",@progbits
	.p2align	6, 0x0
	.amdhsa_kernel _ZN7rocprim17ROCPRIM_400000_NS6detail17trampoline_kernelINS0_14default_configENS1_38merge_sort_block_merge_config_selectorIiNS0_10empty_typeEEEZZNS1_27merge_sort_block_merge_implIS3_N6thrust23THRUST_200600_302600_NS6detail15normal_iteratorINS9_10device_ptrIiEEEEPS5_jNS1_19radix_merge_compareILb0ELb0EiNS0_19identity_decomposerEEEEE10hipError_tT0_T1_T2_jT3_P12ihipStream_tbPNSt15iterator_traitsISK_E10value_typeEPNSQ_ISL_E10value_typeEPSM_NS1_7vsmem_tEENKUlT_SK_SL_SM_E_clISE_PiSF_SF_EESJ_SZ_SK_SL_SM_EUlSZ_E0_NS1_11comp_targetILNS1_3genE5ELNS1_11target_archE942ELNS1_3gpuE9ELNS1_3repE0EEENS1_38merge_mergepath_config_static_selectorELNS0_4arch9wavefront6targetE1EEEvSL_
		.amdhsa_group_segment_fixed_size 0
		.amdhsa_private_segment_fixed_size 0
		.amdhsa_kernarg_size 64
		.amdhsa_user_sgpr_count 2
		.amdhsa_user_sgpr_dispatch_ptr 0
		.amdhsa_user_sgpr_queue_ptr 0
		.amdhsa_user_sgpr_kernarg_segment_ptr 1
		.amdhsa_user_sgpr_dispatch_id 0
		.amdhsa_user_sgpr_kernarg_preload_length 0
		.amdhsa_user_sgpr_kernarg_preload_offset 0
		.amdhsa_user_sgpr_private_segment_size 0
		.amdhsa_uses_dynamic_stack 0
		.amdhsa_enable_private_segment 0
		.amdhsa_system_sgpr_workgroup_id_x 1
		.amdhsa_system_sgpr_workgroup_id_y 0
		.amdhsa_system_sgpr_workgroup_id_z 0
		.amdhsa_system_sgpr_workgroup_info 0
		.amdhsa_system_vgpr_workitem_id 0
		.amdhsa_next_free_vgpr 1
		.amdhsa_next_free_sgpr 0
		.amdhsa_accum_offset 4
		.amdhsa_reserve_vcc 0
		.amdhsa_float_round_mode_32 0
		.amdhsa_float_round_mode_16_64 0
		.amdhsa_float_denorm_mode_32 3
		.amdhsa_float_denorm_mode_16_64 3
		.amdhsa_dx10_clamp 1
		.amdhsa_ieee_mode 1
		.amdhsa_fp16_overflow 0
		.amdhsa_tg_split 0
		.amdhsa_exception_fp_ieee_invalid_op 0
		.amdhsa_exception_fp_denorm_src 0
		.amdhsa_exception_fp_ieee_div_zero 0
		.amdhsa_exception_fp_ieee_overflow 0
		.amdhsa_exception_fp_ieee_underflow 0
		.amdhsa_exception_fp_ieee_inexact 0
		.amdhsa_exception_int_div_zero 0
	.end_amdhsa_kernel
	.section	.text._ZN7rocprim17ROCPRIM_400000_NS6detail17trampoline_kernelINS0_14default_configENS1_38merge_sort_block_merge_config_selectorIiNS0_10empty_typeEEEZZNS1_27merge_sort_block_merge_implIS3_N6thrust23THRUST_200600_302600_NS6detail15normal_iteratorINS9_10device_ptrIiEEEEPS5_jNS1_19radix_merge_compareILb0ELb0EiNS0_19identity_decomposerEEEEE10hipError_tT0_T1_T2_jT3_P12ihipStream_tbPNSt15iterator_traitsISK_E10value_typeEPNSQ_ISL_E10value_typeEPSM_NS1_7vsmem_tEENKUlT_SK_SL_SM_E_clISE_PiSF_SF_EESJ_SZ_SK_SL_SM_EUlSZ_E0_NS1_11comp_targetILNS1_3genE5ELNS1_11target_archE942ELNS1_3gpuE9ELNS1_3repE0EEENS1_38merge_mergepath_config_static_selectorELNS0_4arch9wavefront6targetE1EEEvSL_,"axG",@progbits,_ZN7rocprim17ROCPRIM_400000_NS6detail17trampoline_kernelINS0_14default_configENS1_38merge_sort_block_merge_config_selectorIiNS0_10empty_typeEEEZZNS1_27merge_sort_block_merge_implIS3_N6thrust23THRUST_200600_302600_NS6detail15normal_iteratorINS9_10device_ptrIiEEEEPS5_jNS1_19radix_merge_compareILb0ELb0EiNS0_19identity_decomposerEEEEE10hipError_tT0_T1_T2_jT3_P12ihipStream_tbPNSt15iterator_traitsISK_E10value_typeEPNSQ_ISL_E10value_typeEPSM_NS1_7vsmem_tEENKUlT_SK_SL_SM_E_clISE_PiSF_SF_EESJ_SZ_SK_SL_SM_EUlSZ_E0_NS1_11comp_targetILNS1_3genE5ELNS1_11target_archE942ELNS1_3gpuE9ELNS1_3repE0EEENS1_38merge_mergepath_config_static_selectorELNS0_4arch9wavefront6targetE1EEEvSL_,comdat
.Lfunc_end53:
	.size	_ZN7rocprim17ROCPRIM_400000_NS6detail17trampoline_kernelINS0_14default_configENS1_38merge_sort_block_merge_config_selectorIiNS0_10empty_typeEEEZZNS1_27merge_sort_block_merge_implIS3_N6thrust23THRUST_200600_302600_NS6detail15normal_iteratorINS9_10device_ptrIiEEEEPS5_jNS1_19radix_merge_compareILb0ELb0EiNS0_19identity_decomposerEEEEE10hipError_tT0_T1_T2_jT3_P12ihipStream_tbPNSt15iterator_traitsISK_E10value_typeEPNSQ_ISL_E10value_typeEPSM_NS1_7vsmem_tEENKUlT_SK_SL_SM_E_clISE_PiSF_SF_EESJ_SZ_SK_SL_SM_EUlSZ_E0_NS1_11comp_targetILNS1_3genE5ELNS1_11target_archE942ELNS1_3gpuE9ELNS1_3repE0EEENS1_38merge_mergepath_config_static_selectorELNS0_4arch9wavefront6targetE1EEEvSL_, .Lfunc_end53-_ZN7rocprim17ROCPRIM_400000_NS6detail17trampoline_kernelINS0_14default_configENS1_38merge_sort_block_merge_config_selectorIiNS0_10empty_typeEEEZZNS1_27merge_sort_block_merge_implIS3_N6thrust23THRUST_200600_302600_NS6detail15normal_iteratorINS9_10device_ptrIiEEEEPS5_jNS1_19radix_merge_compareILb0ELb0EiNS0_19identity_decomposerEEEEE10hipError_tT0_T1_T2_jT3_P12ihipStream_tbPNSt15iterator_traitsISK_E10value_typeEPNSQ_ISL_E10value_typeEPSM_NS1_7vsmem_tEENKUlT_SK_SL_SM_E_clISE_PiSF_SF_EESJ_SZ_SK_SL_SM_EUlSZ_E0_NS1_11comp_targetILNS1_3genE5ELNS1_11target_archE942ELNS1_3gpuE9ELNS1_3repE0EEENS1_38merge_mergepath_config_static_selectorELNS0_4arch9wavefront6targetE1EEEvSL_
                                        ; -- End function
	.set _ZN7rocprim17ROCPRIM_400000_NS6detail17trampoline_kernelINS0_14default_configENS1_38merge_sort_block_merge_config_selectorIiNS0_10empty_typeEEEZZNS1_27merge_sort_block_merge_implIS3_N6thrust23THRUST_200600_302600_NS6detail15normal_iteratorINS9_10device_ptrIiEEEEPS5_jNS1_19radix_merge_compareILb0ELb0EiNS0_19identity_decomposerEEEEE10hipError_tT0_T1_T2_jT3_P12ihipStream_tbPNSt15iterator_traitsISK_E10value_typeEPNSQ_ISL_E10value_typeEPSM_NS1_7vsmem_tEENKUlT_SK_SL_SM_E_clISE_PiSF_SF_EESJ_SZ_SK_SL_SM_EUlSZ_E0_NS1_11comp_targetILNS1_3genE5ELNS1_11target_archE942ELNS1_3gpuE9ELNS1_3repE0EEENS1_38merge_mergepath_config_static_selectorELNS0_4arch9wavefront6targetE1EEEvSL_.num_vgpr, 0
	.set _ZN7rocprim17ROCPRIM_400000_NS6detail17trampoline_kernelINS0_14default_configENS1_38merge_sort_block_merge_config_selectorIiNS0_10empty_typeEEEZZNS1_27merge_sort_block_merge_implIS3_N6thrust23THRUST_200600_302600_NS6detail15normal_iteratorINS9_10device_ptrIiEEEEPS5_jNS1_19radix_merge_compareILb0ELb0EiNS0_19identity_decomposerEEEEE10hipError_tT0_T1_T2_jT3_P12ihipStream_tbPNSt15iterator_traitsISK_E10value_typeEPNSQ_ISL_E10value_typeEPSM_NS1_7vsmem_tEENKUlT_SK_SL_SM_E_clISE_PiSF_SF_EESJ_SZ_SK_SL_SM_EUlSZ_E0_NS1_11comp_targetILNS1_3genE5ELNS1_11target_archE942ELNS1_3gpuE9ELNS1_3repE0EEENS1_38merge_mergepath_config_static_selectorELNS0_4arch9wavefront6targetE1EEEvSL_.num_agpr, 0
	.set _ZN7rocprim17ROCPRIM_400000_NS6detail17trampoline_kernelINS0_14default_configENS1_38merge_sort_block_merge_config_selectorIiNS0_10empty_typeEEEZZNS1_27merge_sort_block_merge_implIS3_N6thrust23THRUST_200600_302600_NS6detail15normal_iteratorINS9_10device_ptrIiEEEEPS5_jNS1_19radix_merge_compareILb0ELb0EiNS0_19identity_decomposerEEEEE10hipError_tT0_T1_T2_jT3_P12ihipStream_tbPNSt15iterator_traitsISK_E10value_typeEPNSQ_ISL_E10value_typeEPSM_NS1_7vsmem_tEENKUlT_SK_SL_SM_E_clISE_PiSF_SF_EESJ_SZ_SK_SL_SM_EUlSZ_E0_NS1_11comp_targetILNS1_3genE5ELNS1_11target_archE942ELNS1_3gpuE9ELNS1_3repE0EEENS1_38merge_mergepath_config_static_selectorELNS0_4arch9wavefront6targetE1EEEvSL_.numbered_sgpr, 0
	.set _ZN7rocprim17ROCPRIM_400000_NS6detail17trampoline_kernelINS0_14default_configENS1_38merge_sort_block_merge_config_selectorIiNS0_10empty_typeEEEZZNS1_27merge_sort_block_merge_implIS3_N6thrust23THRUST_200600_302600_NS6detail15normal_iteratorINS9_10device_ptrIiEEEEPS5_jNS1_19radix_merge_compareILb0ELb0EiNS0_19identity_decomposerEEEEE10hipError_tT0_T1_T2_jT3_P12ihipStream_tbPNSt15iterator_traitsISK_E10value_typeEPNSQ_ISL_E10value_typeEPSM_NS1_7vsmem_tEENKUlT_SK_SL_SM_E_clISE_PiSF_SF_EESJ_SZ_SK_SL_SM_EUlSZ_E0_NS1_11comp_targetILNS1_3genE5ELNS1_11target_archE942ELNS1_3gpuE9ELNS1_3repE0EEENS1_38merge_mergepath_config_static_selectorELNS0_4arch9wavefront6targetE1EEEvSL_.num_named_barrier, 0
	.set _ZN7rocprim17ROCPRIM_400000_NS6detail17trampoline_kernelINS0_14default_configENS1_38merge_sort_block_merge_config_selectorIiNS0_10empty_typeEEEZZNS1_27merge_sort_block_merge_implIS3_N6thrust23THRUST_200600_302600_NS6detail15normal_iteratorINS9_10device_ptrIiEEEEPS5_jNS1_19radix_merge_compareILb0ELb0EiNS0_19identity_decomposerEEEEE10hipError_tT0_T1_T2_jT3_P12ihipStream_tbPNSt15iterator_traitsISK_E10value_typeEPNSQ_ISL_E10value_typeEPSM_NS1_7vsmem_tEENKUlT_SK_SL_SM_E_clISE_PiSF_SF_EESJ_SZ_SK_SL_SM_EUlSZ_E0_NS1_11comp_targetILNS1_3genE5ELNS1_11target_archE942ELNS1_3gpuE9ELNS1_3repE0EEENS1_38merge_mergepath_config_static_selectorELNS0_4arch9wavefront6targetE1EEEvSL_.private_seg_size, 0
	.set _ZN7rocprim17ROCPRIM_400000_NS6detail17trampoline_kernelINS0_14default_configENS1_38merge_sort_block_merge_config_selectorIiNS0_10empty_typeEEEZZNS1_27merge_sort_block_merge_implIS3_N6thrust23THRUST_200600_302600_NS6detail15normal_iteratorINS9_10device_ptrIiEEEEPS5_jNS1_19radix_merge_compareILb0ELb0EiNS0_19identity_decomposerEEEEE10hipError_tT0_T1_T2_jT3_P12ihipStream_tbPNSt15iterator_traitsISK_E10value_typeEPNSQ_ISL_E10value_typeEPSM_NS1_7vsmem_tEENKUlT_SK_SL_SM_E_clISE_PiSF_SF_EESJ_SZ_SK_SL_SM_EUlSZ_E0_NS1_11comp_targetILNS1_3genE5ELNS1_11target_archE942ELNS1_3gpuE9ELNS1_3repE0EEENS1_38merge_mergepath_config_static_selectorELNS0_4arch9wavefront6targetE1EEEvSL_.uses_vcc, 0
	.set _ZN7rocprim17ROCPRIM_400000_NS6detail17trampoline_kernelINS0_14default_configENS1_38merge_sort_block_merge_config_selectorIiNS0_10empty_typeEEEZZNS1_27merge_sort_block_merge_implIS3_N6thrust23THRUST_200600_302600_NS6detail15normal_iteratorINS9_10device_ptrIiEEEEPS5_jNS1_19radix_merge_compareILb0ELb0EiNS0_19identity_decomposerEEEEE10hipError_tT0_T1_T2_jT3_P12ihipStream_tbPNSt15iterator_traitsISK_E10value_typeEPNSQ_ISL_E10value_typeEPSM_NS1_7vsmem_tEENKUlT_SK_SL_SM_E_clISE_PiSF_SF_EESJ_SZ_SK_SL_SM_EUlSZ_E0_NS1_11comp_targetILNS1_3genE5ELNS1_11target_archE942ELNS1_3gpuE9ELNS1_3repE0EEENS1_38merge_mergepath_config_static_selectorELNS0_4arch9wavefront6targetE1EEEvSL_.uses_flat_scratch, 0
	.set _ZN7rocprim17ROCPRIM_400000_NS6detail17trampoline_kernelINS0_14default_configENS1_38merge_sort_block_merge_config_selectorIiNS0_10empty_typeEEEZZNS1_27merge_sort_block_merge_implIS3_N6thrust23THRUST_200600_302600_NS6detail15normal_iteratorINS9_10device_ptrIiEEEEPS5_jNS1_19radix_merge_compareILb0ELb0EiNS0_19identity_decomposerEEEEE10hipError_tT0_T1_T2_jT3_P12ihipStream_tbPNSt15iterator_traitsISK_E10value_typeEPNSQ_ISL_E10value_typeEPSM_NS1_7vsmem_tEENKUlT_SK_SL_SM_E_clISE_PiSF_SF_EESJ_SZ_SK_SL_SM_EUlSZ_E0_NS1_11comp_targetILNS1_3genE5ELNS1_11target_archE942ELNS1_3gpuE9ELNS1_3repE0EEENS1_38merge_mergepath_config_static_selectorELNS0_4arch9wavefront6targetE1EEEvSL_.has_dyn_sized_stack, 0
	.set _ZN7rocprim17ROCPRIM_400000_NS6detail17trampoline_kernelINS0_14default_configENS1_38merge_sort_block_merge_config_selectorIiNS0_10empty_typeEEEZZNS1_27merge_sort_block_merge_implIS3_N6thrust23THRUST_200600_302600_NS6detail15normal_iteratorINS9_10device_ptrIiEEEEPS5_jNS1_19radix_merge_compareILb0ELb0EiNS0_19identity_decomposerEEEEE10hipError_tT0_T1_T2_jT3_P12ihipStream_tbPNSt15iterator_traitsISK_E10value_typeEPNSQ_ISL_E10value_typeEPSM_NS1_7vsmem_tEENKUlT_SK_SL_SM_E_clISE_PiSF_SF_EESJ_SZ_SK_SL_SM_EUlSZ_E0_NS1_11comp_targetILNS1_3genE5ELNS1_11target_archE942ELNS1_3gpuE9ELNS1_3repE0EEENS1_38merge_mergepath_config_static_selectorELNS0_4arch9wavefront6targetE1EEEvSL_.has_recursion, 0
	.set _ZN7rocprim17ROCPRIM_400000_NS6detail17trampoline_kernelINS0_14default_configENS1_38merge_sort_block_merge_config_selectorIiNS0_10empty_typeEEEZZNS1_27merge_sort_block_merge_implIS3_N6thrust23THRUST_200600_302600_NS6detail15normal_iteratorINS9_10device_ptrIiEEEEPS5_jNS1_19radix_merge_compareILb0ELb0EiNS0_19identity_decomposerEEEEE10hipError_tT0_T1_T2_jT3_P12ihipStream_tbPNSt15iterator_traitsISK_E10value_typeEPNSQ_ISL_E10value_typeEPSM_NS1_7vsmem_tEENKUlT_SK_SL_SM_E_clISE_PiSF_SF_EESJ_SZ_SK_SL_SM_EUlSZ_E0_NS1_11comp_targetILNS1_3genE5ELNS1_11target_archE942ELNS1_3gpuE9ELNS1_3repE0EEENS1_38merge_mergepath_config_static_selectorELNS0_4arch9wavefront6targetE1EEEvSL_.has_indirect_call, 0
	.section	.AMDGPU.csdata,"",@progbits
; Kernel info:
; codeLenInByte = 0
; TotalNumSgprs: 6
; NumVgprs: 0
; NumAgprs: 0
; TotalNumVgprs: 0
; ScratchSize: 0
; MemoryBound: 0
; FloatMode: 240
; IeeeMode: 1
; LDSByteSize: 0 bytes/workgroup (compile time only)
; SGPRBlocks: 0
; VGPRBlocks: 0
; NumSGPRsForWavesPerEU: 6
; NumVGPRsForWavesPerEU: 1
; AccumOffset: 4
; Occupancy: 8
; WaveLimiterHint : 0
; COMPUTE_PGM_RSRC2:SCRATCH_EN: 0
; COMPUTE_PGM_RSRC2:USER_SGPR: 2
; COMPUTE_PGM_RSRC2:TRAP_HANDLER: 0
; COMPUTE_PGM_RSRC2:TGID_X_EN: 1
; COMPUTE_PGM_RSRC2:TGID_Y_EN: 0
; COMPUTE_PGM_RSRC2:TGID_Z_EN: 0
; COMPUTE_PGM_RSRC2:TIDIG_COMP_CNT: 0
; COMPUTE_PGM_RSRC3_GFX90A:ACCUM_OFFSET: 0
; COMPUTE_PGM_RSRC3_GFX90A:TG_SPLIT: 0
	.section	.text._ZN7rocprim17ROCPRIM_400000_NS6detail17trampoline_kernelINS0_14default_configENS1_38merge_sort_block_merge_config_selectorIiNS0_10empty_typeEEEZZNS1_27merge_sort_block_merge_implIS3_N6thrust23THRUST_200600_302600_NS6detail15normal_iteratorINS9_10device_ptrIiEEEEPS5_jNS1_19radix_merge_compareILb0ELb0EiNS0_19identity_decomposerEEEEE10hipError_tT0_T1_T2_jT3_P12ihipStream_tbPNSt15iterator_traitsISK_E10value_typeEPNSQ_ISL_E10value_typeEPSM_NS1_7vsmem_tEENKUlT_SK_SL_SM_E_clISE_PiSF_SF_EESJ_SZ_SK_SL_SM_EUlSZ_E0_NS1_11comp_targetILNS1_3genE4ELNS1_11target_archE910ELNS1_3gpuE8ELNS1_3repE0EEENS1_38merge_mergepath_config_static_selectorELNS0_4arch9wavefront6targetE1EEEvSL_,"axG",@progbits,_ZN7rocprim17ROCPRIM_400000_NS6detail17trampoline_kernelINS0_14default_configENS1_38merge_sort_block_merge_config_selectorIiNS0_10empty_typeEEEZZNS1_27merge_sort_block_merge_implIS3_N6thrust23THRUST_200600_302600_NS6detail15normal_iteratorINS9_10device_ptrIiEEEEPS5_jNS1_19radix_merge_compareILb0ELb0EiNS0_19identity_decomposerEEEEE10hipError_tT0_T1_T2_jT3_P12ihipStream_tbPNSt15iterator_traitsISK_E10value_typeEPNSQ_ISL_E10value_typeEPSM_NS1_7vsmem_tEENKUlT_SK_SL_SM_E_clISE_PiSF_SF_EESJ_SZ_SK_SL_SM_EUlSZ_E0_NS1_11comp_targetILNS1_3genE4ELNS1_11target_archE910ELNS1_3gpuE8ELNS1_3repE0EEENS1_38merge_mergepath_config_static_selectorELNS0_4arch9wavefront6targetE1EEEvSL_,comdat
	.protected	_ZN7rocprim17ROCPRIM_400000_NS6detail17trampoline_kernelINS0_14default_configENS1_38merge_sort_block_merge_config_selectorIiNS0_10empty_typeEEEZZNS1_27merge_sort_block_merge_implIS3_N6thrust23THRUST_200600_302600_NS6detail15normal_iteratorINS9_10device_ptrIiEEEEPS5_jNS1_19radix_merge_compareILb0ELb0EiNS0_19identity_decomposerEEEEE10hipError_tT0_T1_T2_jT3_P12ihipStream_tbPNSt15iterator_traitsISK_E10value_typeEPNSQ_ISL_E10value_typeEPSM_NS1_7vsmem_tEENKUlT_SK_SL_SM_E_clISE_PiSF_SF_EESJ_SZ_SK_SL_SM_EUlSZ_E0_NS1_11comp_targetILNS1_3genE4ELNS1_11target_archE910ELNS1_3gpuE8ELNS1_3repE0EEENS1_38merge_mergepath_config_static_selectorELNS0_4arch9wavefront6targetE1EEEvSL_ ; -- Begin function _ZN7rocprim17ROCPRIM_400000_NS6detail17trampoline_kernelINS0_14default_configENS1_38merge_sort_block_merge_config_selectorIiNS0_10empty_typeEEEZZNS1_27merge_sort_block_merge_implIS3_N6thrust23THRUST_200600_302600_NS6detail15normal_iteratorINS9_10device_ptrIiEEEEPS5_jNS1_19radix_merge_compareILb0ELb0EiNS0_19identity_decomposerEEEEE10hipError_tT0_T1_T2_jT3_P12ihipStream_tbPNSt15iterator_traitsISK_E10value_typeEPNSQ_ISL_E10value_typeEPSM_NS1_7vsmem_tEENKUlT_SK_SL_SM_E_clISE_PiSF_SF_EESJ_SZ_SK_SL_SM_EUlSZ_E0_NS1_11comp_targetILNS1_3genE4ELNS1_11target_archE910ELNS1_3gpuE8ELNS1_3repE0EEENS1_38merge_mergepath_config_static_selectorELNS0_4arch9wavefront6targetE1EEEvSL_
	.globl	_ZN7rocprim17ROCPRIM_400000_NS6detail17trampoline_kernelINS0_14default_configENS1_38merge_sort_block_merge_config_selectorIiNS0_10empty_typeEEEZZNS1_27merge_sort_block_merge_implIS3_N6thrust23THRUST_200600_302600_NS6detail15normal_iteratorINS9_10device_ptrIiEEEEPS5_jNS1_19radix_merge_compareILb0ELb0EiNS0_19identity_decomposerEEEEE10hipError_tT0_T1_T2_jT3_P12ihipStream_tbPNSt15iterator_traitsISK_E10value_typeEPNSQ_ISL_E10value_typeEPSM_NS1_7vsmem_tEENKUlT_SK_SL_SM_E_clISE_PiSF_SF_EESJ_SZ_SK_SL_SM_EUlSZ_E0_NS1_11comp_targetILNS1_3genE4ELNS1_11target_archE910ELNS1_3gpuE8ELNS1_3repE0EEENS1_38merge_mergepath_config_static_selectorELNS0_4arch9wavefront6targetE1EEEvSL_
	.p2align	8
	.type	_ZN7rocprim17ROCPRIM_400000_NS6detail17trampoline_kernelINS0_14default_configENS1_38merge_sort_block_merge_config_selectorIiNS0_10empty_typeEEEZZNS1_27merge_sort_block_merge_implIS3_N6thrust23THRUST_200600_302600_NS6detail15normal_iteratorINS9_10device_ptrIiEEEEPS5_jNS1_19radix_merge_compareILb0ELb0EiNS0_19identity_decomposerEEEEE10hipError_tT0_T1_T2_jT3_P12ihipStream_tbPNSt15iterator_traitsISK_E10value_typeEPNSQ_ISL_E10value_typeEPSM_NS1_7vsmem_tEENKUlT_SK_SL_SM_E_clISE_PiSF_SF_EESJ_SZ_SK_SL_SM_EUlSZ_E0_NS1_11comp_targetILNS1_3genE4ELNS1_11target_archE910ELNS1_3gpuE8ELNS1_3repE0EEENS1_38merge_mergepath_config_static_selectorELNS0_4arch9wavefront6targetE1EEEvSL_,@function
_ZN7rocprim17ROCPRIM_400000_NS6detail17trampoline_kernelINS0_14default_configENS1_38merge_sort_block_merge_config_selectorIiNS0_10empty_typeEEEZZNS1_27merge_sort_block_merge_implIS3_N6thrust23THRUST_200600_302600_NS6detail15normal_iteratorINS9_10device_ptrIiEEEEPS5_jNS1_19radix_merge_compareILb0ELb0EiNS0_19identity_decomposerEEEEE10hipError_tT0_T1_T2_jT3_P12ihipStream_tbPNSt15iterator_traitsISK_E10value_typeEPNSQ_ISL_E10value_typeEPSM_NS1_7vsmem_tEENKUlT_SK_SL_SM_E_clISE_PiSF_SF_EESJ_SZ_SK_SL_SM_EUlSZ_E0_NS1_11comp_targetILNS1_3genE4ELNS1_11target_archE910ELNS1_3gpuE8ELNS1_3repE0EEENS1_38merge_mergepath_config_static_selectorELNS0_4arch9wavefront6targetE1EEEvSL_: ; @_ZN7rocprim17ROCPRIM_400000_NS6detail17trampoline_kernelINS0_14default_configENS1_38merge_sort_block_merge_config_selectorIiNS0_10empty_typeEEEZZNS1_27merge_sort_block_merge_implIS3_N6thrust23THRUST_200600_302600_NS6detail15normal_iteratorINS9_10device_ptrIiEEEEPS5_jNS1_19radix_merge_compareILb0ELb0EiNS0_19identity_decomposerEEEEE10hipError_tT0_T1_T2_jT3_P12ihipStream_tbPNSt15iterator_traitsISK_E10value_typeEPNSQ_ISL_E10value_typeEPSM_NS1_7vsmem_tEENKUlT_SK_SL_SM_E_clISE_PiSF_SF_EESJ_SZ_SK_SL_SM_EUlSZ_E0_NS1_11comp_targetILNS1_3genE4ELNS1_11target_archE910ELNS1_3gpuE8ELNS1_3repE0EEENS1_38merge_mergepath_config_static_selectorELNS0_4arch9wavefront6targetE1EEEvSL_
; %bb.0:
	.section	.rodata,"a",@progbits
	.p2align	6, 0x0
	.amdhsa_kernel _ZN7rocprim17ROCPRIM_400000_NS6detail17trampoline_kernelINS0_14default_configENS1_38merge_sort_block_merge_config_selectorIiNS0_10empty_typeEEEZZNS1_27merge_sort_block_merge_implIS3_N6thrust23THRUST_200600_302600_NS6detail15normal_iteratorINS9_10device_ptrIiEEEEPS5_jNS1_19radix_merge_compareILb0ELb0EiNS0_19identity_decomposerEEEEE10hipError_tT0_T1_T2_jT3_P12ihipStream_tbPNSt15iterator_traitsISK_E10value_typeEPNSQ_ISL_E10value_typeEPSM_NS1_7vsmem_tEENKUlT_SK_SL_SM_E_clISE_PiSF_SF_EESJ_SZ_SK_SL_SM_EUlSZ_E0_NS1_11comp_targetILNS1_3genE4ELNS1_11target_archE910ELNS1_3gpuE8ELNS1_3repE0EEENS1_38merge_mergepath_config_static_selectorELNS0_4arch9wavefront6targetE1EEEvSL_
		.amdhsa_group_segment_fixed_size 0
		.amdhsa_private_segment_fixed_size 0
		.amdhsa_kernarg_size 64
		.amdhsa_user_sgpr_count 2
		.amdhsa_user_sgpr_dispatch_ptr 0
		.amdhsa_user_sgpr_queue_ptr 0
		.amdhsa_user_sgpr_kernarg_segment_ptr 1
		.amdhsa_user_sgpr_dispatch_id 0
		.amdhsa_user_sgpr_kernarg_preload_length 0
		.amdhsa_user_sgpr_kernarg_preload_offset 0
		.amdhsa_user_sgpr_private_segment_size 0
		.amdhsa_uses_dynamic_stack 0
		.amdhsa_enable_private_segment 0
		.amdhsa_system_sgpr_workgroup_id_x 1
		.amdhsa_system_sgpr_workgroup_id_y 0
		.amdhsa_system_sgpr_workgroup_id_z 0
		.amdhsa_system_sgpr_workgroup_info 0
		.amdhsa_system_vgpr_workitem_id 0
		.amdhsa_next_free_vgpr 1
		.amdhsa_next_free_sgpr 0
		.amdhsa_accum_offset 4
		.amdhsa_reserve_vcc 0
		.amdhsa_float_round_mode_32 0
		.amdhsa_float_round_mode_16_64 0
		.amdhsa_float_denorm_mode_32 3
		.amdhsa_float_denorm_mode_16_64 3
		.amdhsa_dx10_clamp 1
		.amdhsa_ieee_mode 1
		.amdhsa_fp16_overflow 0
		.amdhsa_tg_split 0
		.amdhsa_exception_fp_ieee_invalid_op 0
		.amdhsa_exception_fp_denorm_src 0
		.amdhsa_exception_fp_ieee_div_zero 0
		.amdhsa_exception_fp_ieee_overflow 0
		.amdhsa_exception_fp_ieee_underflow 0
		.amdhsa_exception_fp_ieee_inexact 0
		.amdhsa_exception_int_div_zero 0
	.end_amdhsa_kernel
	.section	.text._ZN7rocprim17ROCPRIM_400000_NS6detail17trampoline_kernelINS0_14default_configENS1_38merge_sort_block_merge_config_selectorIiNS0_10empty_typeEEEZZNS1_27merge_sort_block_merge_implIS3_N6thrust23THRUST_200600_302600_NS6detail15normal_iteratorINS9_10device_ptrIiEEEEPS5_jNS1_19radix_merge_compareILb0ELb0EiNS0_19identity_decomposerEEEEE10hipError_tT0_T1_T2_jT3_P12ihipStream_tbPNSt15iterator_traitsISK_E10value_typeEPNSQ_ISL_E10value_typeEPSM_NS1_7vsmem_tEENKUlT_SK_SL_SM_E_clISE_PiSF_SF_EESJ_SZ_SK_SL_SM_EUlSZ_E0_NS1_11comp_targetILNS1_3genE4ELNS1_11target_archE910ELNS1_3gpuE8ELNS1_3repE0EEENS1_38merge_mergepath_config_static_selectorELNS0_4arch9wavefront6targetE1EEEvSL_,"axG",@progbits,_ZN7rocprim17ROCPRIM_400000_NS6detail17trampoline_kernelINS0_14default_configENS1_38merge_sort_block_merge_config_selectorIiNS0_10empty_typeEEEZZNS1_27merge_sort_block_merge_implIS3_N6thrust23THRUST_200600_302600_NS6detail15normal_iteratorINS9_10device_ptrIiEEEEPS5_jNS1_19radix_merge_compareILb0ELb0EiNS0_19identity_decomposerEEEEE10hipError_tT0_T1_T2_jT3_P12ihipStream_tbPNSt15iterator_traitsISK_E10value_typeEPNSQ_ISL_E10value_typeEPSM_NS1_7vsmem_tEENKUlT_SK_SL_SM_E_clISE_PiSF_SF_EESJ_SZ_SK_SL_SM_EUlSZ_E0_NS1_11comp_targetILNS1_3genE4ELNS1_11target_archE910ELNS1_3gpuE8ELNS1_3repE0EEENS1_38merge_mergepath_config_static_selectorELNS0_4arch9wavefront6targetE1EEEvSL_,comdat
.Lfunc_end54:
	.size	_ZN7rocprim17ROCPRIM_400000_NS6detail17trampoline_kernelINS0_14default_configENS1_38merge_sort_block_merge_config_selectorIiNS0_10empty_typeEEEZZNS1_27merge_sort_block_merge_implIS3_N6thrust23THRUST_200600_302600_NS6detail15normal_iteratorINS9_10device_ptrIiEEEEPS5_jNS1_19radix_merge_compareILb0ELb0EiNS0_19identity_decomposerEEEEE10hipError_tT0_T1_T2_jT3_P12ihipStream_tbPNSt15iterator_traitsISK_E10value_typeEPNSQ_ISL_E10value_typeEPSM_NS1_7vsmem_tEENKUlT_SK_SL_SM_E_clISE_PiSF_SF_EESJ_SZ_SK_SL_SM_EUlSZ_E0_NS1_11comp_targetILNS1_3genE4ELNS1_11target_archE910ELNS1_3gpuE8ELNS1_3repE0EEENS1_38merge_mergepath_config_static_selectorELNS0_4arch9wavefront6targetE1EEEvSL_, .Lfunc_end54-_ZN7rocprim17ROCPRIM_400000_NS6detail17trampoline_kernelINS0_14default_configENS1_38merge_sort_block_merge_config_selectorIiNS0_10empty_typeEEEZZNS1_27merge_sort_block_merge_implIS3_N6thrust23THRUST_200600_302600_NS6detail15normal_iteratorINS9_10device_ptrIiEEEEPS5_jNS1_19radix_merge_compareILb0ELb0EiNS0_19identity_decomposerEEEEE10hipError_tT0_T1_T2_jT3_P12ihipStream_tbPNSt15iterator_traitsISK_E10value_typeEPNSQ_ISL_E10value_typeEPSM_NS1_7vsmem_tEENKUlT_SK_SL_SM_E_clISE_PiSF_SF_EESJ_SZ_SK_SL_SM_EUlSZ_E0_NS1_11comp_targetILNS1_3genE4ELNS1_11target_archE910ELNS1_3gpuE8ELNS1_3repE0EEENS1_38merge_mergepath_config_static_selectorELNS0_4arch9wavefront6targetE1EEEvSL_
                                        ; -- End function
	.set _ZN7rocprim17ROCPRIM_400000_NS6detail17trampoline_kernelINS0_14default_configENS1_38merge_sort_block_merge_config_selectorIiNS0_10empty_typeEEEZZNS1_27merge_sort_block_merge_implIS3_N6thrust23THRUST_200600_302600_NS6detail15normal_iteratorINS9_10device_ptrIiEEEEPS5_jNS1_19radix_merge_compareILb0ELb0EiNS0_19identity_decomposerEEEEE10hipError_tT0_T1_T2_jT3_P12ihipStream_tbPNSt15iterator_traitsISK_E10value_typeEPNSQ_ISL_E10value_typeEPSM_NS1_7vsmem_tEENKUlT_SK_SL_SM_E_clISE_PiSF_SF_EESJ_SZ_SK_SL_SM_EUlSZ_E0_NS1_11comp_targetILNS1_3genE4ELNS1_11target_archE910ELNS1_3gpuE8ELNS1_3repE0EEENS1_38merge_mergepath_config_static_selectorELNS0_4arch9wavefront6targetE1EEEvSL_.num_vgpr, 0
	.set _ZN7rocprim17ROCPRIM_400000_NS6detail17trampoline_kernelINS0_14default_configENS1_38merge_sort_block_merge_config_selectorIiNS0_10empty_typeEEEZZNS1_27merge_sort_block_merge_implIS3_N6thrust23THRUST_200600_302600_NS6detail15normal_iteratorINS9_10device_ptrIiEEEEPS5_jNS1_19radix_merge_compareILb0ELb0EiNS0_19identity_decomposerEEEEE10hipError_tT0_T1_T2_jT3_P12ihipStream_tbPNSt15iterator_traitsISK_E10value_typeEPNSQ_ISL_E10value_typeEPSM_NS1_7vsmem_tEENKUlT_SK_SL_SM_E_clISE_PiSF_SF_EESJ_SZ_SK_SL_SM_EUlSZ_E0_NS1_11comp_targetILNS1_3genE4ELNS1_11target_archE910ELNS1_3gpuE8ELNS1_3repE0EEENS1_38merge_mergepath_config_static_selectorELNS0_4arch9wavefront6targetE1EEEvSL_.num_agpr, 0
	.set _ZN7rocprim17ROCPRIM_400000_NS6detail17trampoline_kernelINS0_14default_configENS1_38merge_sort_block_merge_config_selectorIiNS0_10empty_typeEEEZZNS1_27merge_sort_block_merge_implIS3_N6thrust23THRUST_200600_302600_NS6detail15normal_iteratorINS9_10device_ptrIiEEEEPS5_jNS1_19radix_merge_compareILb0ELb0EiNS0_19identity_decomposerEEEEE10hipError_tT0_T1_T2_jT3_P12ihipStream_tbPNSt15iterator_traitsISK_E10value_typeEPNSQ_ISL_E10value_typeEPSM_NS1_7vsmem_tEENKUlT_SK_SL_SM_E_clISE_PiSF_SF_EESJ_SZ_SK_SL_SM_EUlSZ_E0_NS1_11comp_targetILNS1_3genE4ELNS1_11target_archE910ELNS1_3gpuE8ELNS1_3repE0EEENS1_38merge_mergepath_config_static_selectorELNS0_4arch9wavefront6targetE1EEEvSL_.numbered_sgpr, 0
	.set _ZN7rocprim17ROCPRIM_400000_NS6detail17trampoline_kernelINS0_14default_configENS1_38merge_sort_block_merge_config_selectorIiNS0_10empty_typeEEEZZNS1_27merge_sort_block_merge_implIS3_N6thrust23THRUST_200600_302600_NS6detail15normal_iteratorINS9_10device_ptrIiEEEEPS5_jNS1_19radix_merge_compareILb0ELb0EiNS0_19identity_decomposerEEEEE10hipError_tT0_T1_T2_jT3_P12ihipStream_tbPNSt15iterator_traitsISK_E10value_typeEPNSQ_ISL_E10value_typeEPSM_NS1_7vsmem_tEENKUlT_SK_SL_SM_E_clISE_PiSF_SF_EESJ_SZ_SK_SL_SM_EUlSZ_E0_NS1_11comp_targetILNS1_3genE4ELNS1_11target_archE910ELNS1_3gpuE8ELNS1_3repE0EEENS1_38merge_mergepath_config_static_selectorELNS0_4arch9wavefront6targetE1EEEvSL_.num_named_barrier, 0
	.set _ZN7rocprim17ROCPRIM_400000_NS6detail17trampoline_kernelINS0_14default_configENS1_38merge_sort_block_merge_config_selectorIiNS0_10empty_typeEEEZZNS1_27merge_sort_block_merge_implIS3_N6thrust23THRUST_200600_302600_NS6detail15normal_iteratorINS9_10device_ptrIiEEEEPS5_jNS1_19radix_merge_compareILb0ELb0EiNS0_19identity_decomposerEEEEE10hipError_tT0_T1_T2_jT3_P12ihipStream_tbPNSt15iterator_traitsISK_E10value_typeEPNSQ_ISL_E10value_typeEPSM_NS1_7vsmem_tEENKUlT_SK_SL_SM_E_clISE_PiSF_SF_EESJ_SZ_SK_SL_SM_EUlSZ_E0_NS1_11comp_targetILNS1_3genE4ELNS1_11target_archE910ELNS1_3gpuE8ELNS1_3repE0EEENS1_38merge_mergepath_config_static_selectorELNS0_4arch9wavefront6targetE1EEEvSL_.private_seg_size, 0
	.set _ZN7rocprim17ROCPRIM_400000_NS6detail17trampoline_kernelINS0_14default_configENS1_38merge_sort_block_merge_config_selectorIiNS0_10empty_typeEEEZZNS1_27merge_sort_block_merge_implIS3_N6thrust23THRUST_200600_302600_NS6detail15normal_iteratorINS9_10device_ptrIiEEEEPS5_jNS1_19radix_merge_compareILb0ELb0EiNS0_19identity_decomposerEEEEE10hipError_tT0_T1_T2_jT3_P12ihipStream_tbPNSt15iterator_traitsISK_E10value_typeEPNSQ_ISL_E10value_typeEPSM_NS1_7vsmem_tEENKUlT_SK_SL_SM_E_clISE_PiSF_SF_EESJ_SZ_SK_SL_SM_EUlSZ_E0_NS1_11comp_targetILNS1_3genE4ELNS1_11target_archE910ELNS1_3gpuE8ELNS1_3repE0EEENS1_38merge_mergepath_config_static_selectorELNS0_4arch9wavefront6targetE1EEEvSL_.uses_vcc, 0
	.set _ZN7rocprim17ROCPRIM_400000_NS6detail17trampoline_kernelINS0_14default_configENS1_38merge_sort_block_merge_config_selectorIiNS0_10empty_typeEEEZZNS1_27merge_sort_block_merge_implIS3_N6thrust23THRUST_200600_302600_NS6detail15normal_iteratorINS9_10device_ptrIiEEEEPS5_jNS1_19radix_merge_compareILb0ELb0EiNS0_19identity_decomposerEEEEE10hipError_tT0_T1_T2_jT3_P12ihipStream_tbPNSt15iterator_traitsISK_E10value_typeEPNSQ_ISL_E10value_typeEPSM_NS1_7vsmem_tEENKUlT_SK_SL_SM_E_clISE_PiSF_SF_EESJ_SZ_SK_SL_SM_EUlSZ_E0_NS1_11comp_targetILNS1_3genE4ELNS1_11target_archE910ELNS1_3gpuE8ELNS1_3repE0EEENS1_38merge_mergepath_config_static_selectorELNS0_4arch9wavefront6targetE1EEEvSL_.uses_flat_scratch, 0
	.set _ZN7rocprim17ROCPRIM_400000_NS6detail17trampoline_kernelINS0_14default_configENS1_38merge_sort_block_merge_config_selectorIiNS0_10empty_typeEEEZZNS1_27merge_sort_block_merge_implIS3_N6thrust23THRUST_200600_302600_NS6detail15normal_iteratorINS9_10device_ptrIiEEEEPS5_jNS1_19radix_merge_compareILb0ELb0EiNS0_19identity_decomposerEEEEE10hipError_tT0_T1_T2_jT3_P12ihipStream_tbPNSt15iterator_traitsISK_E10value_typeEPNSQ_ISL_E10value_typeEPSM_NS1_7vsmem_tEENKUlT_SK_SL_SM_E_clISE_PiSF_SF_EESJ_SZ_SK_SL_SM_EUlSZ_E0_NS1_11comp_targetILNS1_3genE4ELNS1_11target_archE910ELNS1_3gpuE8ELNS1_3repE0EEENS1_38merge_mergepath_config_static_selectorELNS0_4arch9wavefront6targetE1EEEvSL_.has_dyn_sized_stack, 0
	.set _ZN7rocprim17ROCPRIM_400000_NS6detail17trampoline_kernelINS0_14default_configENS1_38merge_sort_block_merge_config_selectorIiNS0_10empty_typeEEEZZNS1_27merge_sort_block_merge_implIS3_N6thrust23THRUST_200600_302600_NS6detail15normal_iteratorINS9_10device_ptrIiEEEEPS5_jNS1_19radix_merge_compareILb0ELb0EiNS0_19identity_decomposerEEEEE10hipError_tT0_T1_T2_jT3_P12ihipStream_tbPNSt15iterator_traitsISK_E10value_typeEPNSQ_ISL_E10value_typeEPSM_NS1_7vsmem_tEENKUlT_SK_SL_SM_E_clISE_PiSF_SF_EESJ_SZ_SK_SL_SM_EUlSZ_E0_NS1_11comp_targetILNS1_3genE4ELNS1_11target_archE910ELNS1_3gpuE8ELNS1_3repE0EEENS1_38merge_mergepath_config_static_selectorELNS0_4arch9wavefront6targetE1EEEvSL_.has_recursion, 0
	.set _ZN7rocprim17ROCPRIM_400000_NS6detail17trampoline_kernelINS0_14default_configENS1_38merge_sort_block_merge_config_selectorIiNS0_10empty_typeEEEZZNS1_27merge_sort_block_merge_implIS3_N6thrust23THRUST_200600_302600_NS6detail15normal_iteratorINS9_10device_ptrIiEEEEPS5_jNS1_19radix_merge_compareILb0ELb0EiNS0_19identity_decomposerEEEEE10hipError_tT0_T1_T2_jT3_P12ihipStream_tbPNSt15iterator_traitsISK_E10value_typeEPNSQ_ISL_E10value_typeEPSM_NS1_7vsmem_tEENKUlT_SK_SL_SM_E_clISE_PiSF_SF_EESJ_SZ_SK_SL_SM_EUlSZ_E0_NS1_11comp_targetILNS1_3genE4ELNS1_11target_archE910ELNS1_3gpuE8ELNS1_3repE0EEENS1_38merge_mergepath_config_static_selectorELNS0_4arch9wavefront6targetE1EEEvSL_.has_indirect_call, 0
	.section	.AMDGPU.csdata,"",@progbits
; Kernel info:
; codeLenInByte = 0
; TotalNumSgprs: 6
; NumVgprs: 0
; NumAgprs: 0
; TotalNumVgprs: 0
; ScratchSize: 0
; MemoryBound: 0
; FloatMode: 240
; IeeeMode: 1
; LDSByteSize: 0 bytes/workgroup (compile time only)
; SGPRBlocks: 0
; VGPRBlocks: 0
; NumSGPRsForWavesPerEU: 6
; NumVGPRsForWavesPerEU: 1
; AccumOffset: 4
; Occupancy: 8
; WaveLimiterHint : 0
; COMPUTE_PGM_RSRC2:SCRATCH_EN: 0
; COMPUTE_PGM_RSRC2:USER_SGPR: 2
; COMPUTE_PGM_RSRC2:TRAP_HANDLER: 0
; COMPUTE_PGM_RSRC2:TGID_X_EN: 1
; COMPUTE_PGM_RSRC2:TGID_Y_EN: 0
; COMPUTE_PGM_RSRC2:TGID_Z_EN: 0
; COMPUTE_PGM_RSRC2:TIDIG_COMP_CNT: 0
; COMPUTE_PGM_RSRC3_GFX90A:ACCUM_OFFSET: 0
; COMPUTE_PGM_RSRC3_GFX90A:TG_SPLIT: 0
	.section	.text._ZN7rocprim17ROCPRIM_400000_NS6detail17trampoline_kernelINS0_14default_configENS1_38merge_sort_block_merge_config_selectorIiNS0_10empty_typeEEEZZNS1_27merge_sort_block_merge_implIS3_N6thrust23THRUST_200600_302600_NS6detail15normal_iteratorINS9_10device_ptrIiEEEEPS5_jNS1_19radix_merge_compareILb0ELb0EiNS0_19identity_decomposerEEEEE10hipError_tT0_T1_T2_jT3_P12ihipStream_tbPNSt15iterator_traitsISK_E10value_typeEPNSQ_ISL_E10value_typeEPSM_NS1_7vsmem_tEENKUlT_SK_SL_SM_E_clISE_PiSF_SF_EESJ_SZ_SK_SL_SM_EUlSZ_E0_NS1_11comp_targetILNS1_3genE3ELNS1_11target_archE908ELNS1_3gpuE7ELNS1_3repE0EEENS1_38merge_mergepath_config_static_selectorELNS0_4arch9wavefront6targetE1EEEvSL_,"axG",@progbits,_ZN7rocprim17ROCPRIM_400000_NS6detail17trampoline_kernelINS0_14default_configENS1_38merge_sort_block_merge_config_selectorIiNS0_10empty_typeEEEZZNS1_27merge_sort_block_merge_implIS3_N6thrust23THRUST_200600_302600_NS6detail15normal_iteratorINS9_10device_ptrIiEEEEPS5_jNS1_19radix_merge_compareILb0ELb0EiNS0_19identity_decomposerEEEEE10hipError_tT0_T1_T2_jT3_P12ihipStream_tbPNSt15iterator_traitsISK_E10value_typeEPNSQ_ISL_E10value_typeEPSM_NS1_7vsmem_tEENKUlT_SK_SL_SM_E_clISE_PiSF_SF_EESJ_SZ_SK_SL_SM_EUlSZ_E0_NS1_11comp_targetILNS1_3genE3ELNS1_11target_archE908ELNS1_3gpuE7ELNS1_3repE0EEENS1_38merge_mergepath_config_static_selectorELNS0_4arch9wavefront6targetE1EEEvSL_,comdat
	.protected	_ZN7rocprim17ROCPRIM_400000_NS6detail17trampoline_kernelINS0_14default_configENS1_38merge_sort_block_merge_config_selectorIiNS0_10empty_typeEEEZZNS1_27merge_sort_block_merge_implIS3_N6thrust23THRUST_200600_302600_NS6detail15normal_iteratorINS9_10device_ptrIiEEEEPS5_jNS1_19radix_merge_compareILb0ELb0EiNS0_19identity_decomposerEEEEE10hipError_tT0_T1_T2_jT3_P12ihipStream_tbPNSt15iterator_traitsISK_E10value_typeEPNSQ_ISL_E10value_typeEPSM_NS1_7vsmem_tEENKUlT_SK_SL_SM_E_clISE_PiSF_SF_EESJ_SZ_SK_SL_SM_EUlSZ_E0_NS1_11comp_targetILNS1_3genE3ELNS1_11target_archE908ELNS1_3gpuE7ELNS1_3repE0EEENS1_38merge_mergepath_config_static_selectorELNS0_4arch9wavefront6targetE1EEEvSL_ ; -- Begin function _ZN7rocprim17ROCPRIM_400000_NS6detail17trampoline_kernelINS0_14default_configENS1_38merge_sort_block_merge_config_selectorIiNS0_10empty_typeEEEZZNS1_27merge_sort_block_merge_implIS3_N6thrust23THRUST_200600_302600_NS6detail15normal_iteratorINS9_10device_ptrIiEEEEPS5_jNS1_19radix_merge_compareILb0ELb0EiNS0_19identity_decomposerEEEEE10hipError_tT0_T1_T2_jT3_P12ihipStream_tbPNSt15iterator_traitsISK_E10value_typeEPNSQ_ISL_E10value_typeEPSM_NS1_7vsmem_tEENKUlT_SK_SL_SM_E_clISE_PiSF_SF_EESJ_SZ_SK_SL_SM_EUlSZ_E0_NS1_11comp_targetILNS1_3genE3ELNS1_11target_archE908ELNS1_3gpuE7ELNS1_3repE0EEENS1_38merge_mergepath_config_static_selectorELNS0_4arch9wavefront6targetE1EEEvSL_
	.globl	_ZN7rocprim17ROCPRIM_400000_NS6detail17trampoline_kernelINS0_14default_configENS1_38merge_sort_block_merge_config_selectorIiNS0_10empty_typeEEEZZNS1_27merge_sort_block_merge_implIS3_N6thrust23THRUST_200600_302600_NS6detail15normal_iteratorINS9_10device_ptrIiEEEEPS5_jNS1_19radix_merge_compareILb0ELb0EiNS0_19identity_decomposerEEEEE10hipError_tT0_T1_T2_jT3_P12ihipStream_tbPNSt15iterator_traitsISK_E10value_typeEPNSQ_ISL_E10value_typeEPSM_NS1_7vsmem_tEENKUlT_SK_SL_SM_E_clISE_PiSF_SF_EESJ_SZ_SK_SL_SM_EUlSZ_E0_NS1_11comp_targetILNS1_3genE3ELNS1_11target_archE908ELNS1_3gpuE7ELNS1_3repE0EEENS1_38merge_mergepath_config_static_selectorELNS0_4arch9wavefront6targetE1EEEvSL_
	.p2align	8
	.type	_ZN7rocprim17ROCPRIM_400000_NS6detail17trampoline_kernelINS0_14default_configENS1_38merge_sort_block_merge_config_selectorIiNS0_10empty_typeEEEZZNS1_27merge_sort_block_merge_implIS3_N6thrust23THRUST_200600_302600_NS6detail15normal_iteratorINS9_10device_ptrIiEEEEPS5_jNS1_19radix_merge_compareILb0ELb0EiNS0_19identity_decomposerEEEEE10hipError_tT0_T1_T2_jT3_P12ihipStream_tbPNSt15iterator_traitsISK_E10value_typeEPNSQ_ISL_E10value_typeEPSM_NS1_7vsmem_tEENKUlT_SK_SL_SM_E_clISE_PiSF_SF_EESJ_SZ_SK_SL_SM_EUlSZ_E0_NS1_11comp_targetILNS1_3genE3ELNS1_11target_archE908ELNS1_3gpuE7ELNS1_3repE0EEENS1_38merge_mergepath_config_static_selectorELNS0_4arch9wavefront6targetE1EEEvSL_,@function
_ZN7rocprim17ROCPRIM_400000_NS6detail17trampoline_kernelINS0_14default_configENS1_38merge_sort_block_merge_config_selectorIiNS0_10empty_typeEEEZZNS1_27merge_sort_block_merge_implIS3_N6thrust23THRUST_200600_302600_NS6detail15normal_iteratorINS9_10device_ptrIiEEEEPS5_jNS1_19radix_merge_compareILb0ELb0EiNS0_19identity_decomposerEEEEE10hipError_tT0_T1_T2_jT3_P12ihipStream_tbPNSt15iterator_traitsISK_E10value_typeEPNSQ_ISL_E10value_typeEPSM_NS1_7vsmem_tEENKUlT_SK_SL_SM_E_clISE_PiSF_SF_EESJ_SZ_SK_SL_SM_EUlSZ_E0_NS1_11comp_targetILNS1_3genE3ELNS1_11target_archE908ELNS1_3gpuE7ELNS1_3repE0EEENS1_38merge_mergepath_config_static_selectorELNS0_4arch9wavefront6targetE1EEEvSL_: ; @_ZN7rocprim17ROCPRIM_400000_NS6detail17trampoline_kernelINS0_14default_configENS1_38merge_sort_block_merge_config_selectorIiNS0_10empty_typeEEEZZNS1_27merge_sort_block_merge_implIS3_N6thrust23THRUST_200600_302600_NS6detail15normal_iteratorINS9_10device_ptrIiEEEEPS5_jNS1_19radix_merge_compareILb0ELb0EiNS0_19identity_decomposerEEEEE10hipError_tT0_T1_T2_jT3_P12ihipStream_tbPNSt15iterator_traitsISK_E10value_typeEPNSQ_ISL_E10value_typeEPSM_NS1_7vsmem_tEENKUlT_SK_SL_SM_E_clISE_PiSF_SF_EESJ_SZ_SK_SL_SM_EUlSZ_E0_NS1_11comp_targetILNS1_3genE3ELNS1_11target_archE908ELNS1_3gpuE7ELNS1_3repE0EEENS1_38merge_mergepath_config_static_selectorELNS0_4arch9wavefront6targetE1EEEvSL_
; %bb.0:
	.section	.rodata,"a",@progbits
	.p2align	6, 0x0
	.amdhsa_kernel _ZN7rocprim17ROCPRIM_400000_NS6detail17trampoline_kernelINS0_14default_configENS1_38merge_sort_block_merge_config_selectorIiNS0_10empty_typeEEEZZNS1_27merge_sort_block_merge_implIS3_N6thrust23THRUST_200600_302600_NS6detail15normal_iteratorINS9_10device_ptrIiEEEEPS5_jNS1_19radix_merge_compareILb0ELb0EiNS0_19identity_decomposerEEEEE10hipError_tT0_T1_T2_jT3_P12ihipStream_tbPNSt15iterator_traitsISK_E10value_typeEPNSQ_ISL_E10value_typeEPSM_NS1_7vsmem_tEENKUlT_SK_SL_SM_E_clISE_PiSF_SF_EESJ_SZ_SK_SL_SM_EUlSZ_E0_NS1_11comp_targetILNS1_3genE3ELNS1_11target_archE908ELNS1_3gpuE7ELNS1_3repE0EEENS1_38merge_mergepath_config_static_selectorELNS0_4arch9wavefront6targetE1EEEvSL_
		.amdhsa_group_segment_fixed_size 0
		.amdhsa_private_segment_fixed_size 0
		.amdhsa_kernarg_size 64
		.amdhsa_user_sgpr_count 2
		.amdhsa_user_sgpr_dispatch_ptr 0
		.amdhsa_user_sgpr_queue_ptr 0
		.amdhsa_user_sgpr_kernarg_segment_ptr 1
		.amdhsa_user_sgpr_dispatch_id 0
		.amdhsa_user_sgpr_kernarg_preload_length 0
		.amdhsa_user_sgpr_kernarg_preload_offset 0
		.amdhsa_user_sgpr_private_segment_size 0
		.amdhsa_uses_dynamic_stack 0
		.amdhsa_enable_private_segment 0
		.amdhsa_system_sgpr_workgroup_id_x 1
		.amdhsa_system_sgpr_workgroup_id_y 0
		.amdhsa_system_sgpr_workgroup_id_z 0
		.amdhsa_system_sgpr_workgroup_info 0
		.amdhsa_system_vgpr_workitem_id 0
		.amdhsa_next_free_vgpr 1
		.amdhsa_next_free_sgpr 0
		.amdhsa_accum_offset 4
		.amdhsa_reserve_vcc 0
		.amdhsa_float_round_mode_32 0
		.amdhsa_float_round_mode_16_64 0
		.amdhsa_float_denorm_mode_32 3
		.amdhsa_float_denorm_mode_16_64 3
		.amdhsa_dx10_clamp 1
		.amdhsa_ieee_mode 1
		.amdhsa_fp16_overflow 0
		.amdhsa_tg_split 0
		.amdhsa_exception_fp_ieee_invalid_op 0
		.amdhsa_exception_fp_denorm_src 0
		.amdhsa_exception_fp_ieee_div_zero 0
		.amdhsa_exception_fp_ieee_overflow 0
		.amdhsa_exception_fp_ieee_underflow 0
		.amdhsa_exception_fp_ieee_inexact 0
		.amdhsa_exception_int_div_zero 0
	.end_amdhsa_kernel
	.section	.text._ZN7rocprim17ROCPRIM_400000_NS6detail17trampoline_kernelINS0_14default_configENS1_38merge_sort_block_merge_config_selectorIiNS0_10empty_typeEEEZZNS1_27merge_sort_block_merge_implIS3_N6thrust23THRUST_200600_302600_NS6detail15normal_iteratorINS9_10device_ptrIiEEEEPS5_jNS1_19radix_merge_compareILb0ELb0EiNS0_19identity_decomposerEEEEE10hipError_tT0_T1_T2_jT3_P12ihipStream_tbPNSt15iterator_traitsISK_E10value_typeEPNSQ_ISL_E10value_typeEPSM_NS1_7vsmem_tEENKUlT_SK_SL_SM_E_clISE_PiSF_SF_EESJ_SZ_SK_SL_SM_EUlSZ_E0_NS1_11comp_targetILNS1_3genE3ELNS1_11target_archE908ELNS1_3gpuE7ELNS1_3repE0EEENS1_38merge_mergepath_config_static_selectorELNS0_4arch9wavefront6targetE1EEEvSL_,"axG",@progbits,_ZN7rocprim17ROCPRIM_400000_NS6detail17trampoline_kernelINS0_14default_configENS1_38merge_sort_block_merge_config_selectorIiNS0_10empty_typeEEEZZNS1_27merge_sort_block_merge_implIS3_N6thrust23THRUST_200600_302600_NS6detail15normal_iteratorINS9_10device_ptrIiEEEEPS5_jNS1_19radix_merge_compareILb0ELb0EiNS0_19identity_decomposerEEEEE10hipError_tT0_T1_T2_jT3_P12ihipStream_tbPNSt15iterator_traitsISK_E10value_typeEPNSQ_ISL_E10value_typeEPSM_NS1_7vsmem_tEENKUlT_SK_SL_SM_E_clISE_PiSF_SF_EESJ_SZ_SK_SL_SM_EUlSZ_E0_NS1_11comp_targetILNS1_3genE3ELNS1_11target_archE908ELNS1_3gpuE7ELNS1_3repE0EEENS1_38merge_mergepath_config_static_selectorELNS0_4arch9wavefront6targetE1EEEvSL_,comdat
.Lfunc_end55:
	.size	_ZN7rocprim17ROCPRIM_400000_NS6detail17trampoline_kernelINS0_14default_configENS1_38merge_sort_block_merge_config_selectorIiNS0_10empty_typeEEEZZNS1_27merge_sort_block_merge_implIS3_N6thrust23THRUST_200600_302600_NS6detail15normal_iteratorINS9_10device_ptrIiEEEEPS5_jNS1_19radix_merge_compareILb0ELb0EiNS0_19identity_decomposerEEEEE10hipError_tT0_T1_T2_jT3_P12ihipStream_tbPNSt15iterator_traitsISK_E10value_typeEPNSQ_ISL_E10value_typeEPSM_NS1_7vsmem_tEENKUlT_SK_SL_SM_E_clISE_PiSF_SF_EESJ_SZ_SK_SL_SM_EUlSZ_E0_NS1_11comp_targetILNS1_3genE3ELNS1_11target_archE908ELNS1_3gpuE7ELNS1_3repE0EEENS1_38merge_mergepath_config_static_selectorELNS0_4arch9wavefront6targetE1EEEvSL_, .Lfunc_end55-_ZN7rocprim17ROCPRIM_400000_NS6detail17trampoline_kernelINS0_14default_configENS1_38merge_sort_block_merge_config_selectorIiNS0_10empty_typeEEEZZNS1_27merge_sort_block_merge_implIS3_N6thrust23THRUST_200600_302600_NS6detail15normal_iteratorINS9_10device_ptrIiEEEEPS5_jNS1_19radix_merge_compareILb0ELb0EiNS0_19identity_decomposerEEEEE10hipError_tT0_T1_T2_jT3_P12ihipStream_tbPNSt15iterator_traitsISK_E10value_typeEPNSQ_ISL_E10value_typeEPSM_NS1_7vsmem_tEENKUlT_SK_SL_SM_E_clISE_PiSF_SF_EESJ_SZ_SK_SL_SM_EUlSZ_E0_NS1_11comp_targetILNS1_3genE3ELNS1_11target_archE908ELNS1_3gpuE7ELNS1_3repE0EEENS1_38merge_mergepath_config_static_selectorELNS0_4arch9wavefront6targetE1EEEvSL_
                                        ; -- End function
	.set _ZN7rocprim17ROCPRIM_400000_NS6detail17trampoline_kernelINS0_14default_configENS1_38merge_sort_block_merge_config_selectorIiNS0_10empty_typeEEEZZNS1_27merge_sort_block_merge_implIS3_N6thrust23THRUST_200600_302600_NS6detail15normal_iteratorINS9_10device_ptrIiEEEEPS5_jNS1_19radix_merge_compareILb0ELb0EiNS0_19identity_decomposerEEEEE10hipError_tT0_T1_T2_jT3_P12ihipStream_tbPNSt15iterator_traitsISK_E10value_typeEPNSQ_ISL_E10value_typeEPSM_NS1_7vsmem_tEENKUlT_SK_SL_SM_E_clISE_PiSF_SF_EESJ_SZ_SK_SL_SM_EUlSZ_E0_NS1_11comp_targetILNS1_3genE3ELNS1_11target_archE908ELNS1_3gpuE7ELNS1_3repE0EEENS1_38merge_mergepath_config_static_selectorELNS0_4arch9wavefront6targetE1EEEvSL_.num_vgpr, 0
	.set _ZN7rocprim17ROCPRIM_400000_NS6detail17trampoline_kernelINS0_14default_configENS1_38merge_sort_block_merge_config_selectorIiNS0_10empty_typeEEEZZNS1_27merge_sort_block_merge_implIS3_N6thrust23THRUST_200600_302600_NS6detail15normal_iteratorINS9_10device_ptrIiEEEEPS5_jNS1_19radix_merge_compareILb0ELb0EiNS0_19identity_decomposerEEEEE10hipError_tT0_T1_T2_jT3_P12ihipStream_tbPNSt15iterator_traitsISK_E10value_typeEPNSQ_ISL_E10value_typeEPSM_NS1_7vsmem_tEENKUlT_SK_SL_SM_E_clISE_PiSF_SF_EESJ_SZ_SK_SL_SM_EUlSZ_E0_NS1_11comp_targetILNS1_3genE3ELNS1_11target_archE908ELNS1_3gpuE7ELNS1_3repE0EEENS1_38merge_mergepath_config_static_selectorELNS0_4arch9wavefront6targetE1EEEvSL_.num_agpr, 0
	.set _ZN7rocprim17ROCPRIM_400000_NS6detail17trampoline_kernelINS0_14default_configENS1_38merge_sort_block_merge_config_selectorIiNS0_10empty_typeEEEZZNS1_27merge_sort_block_merge_implIS3_N6thrust23THRUST_200600_302600_NS6detail15normal_iteratorINS9_10device_ptrIiEEEEPS5_jNS1_19radix_merge_compareILb0ELb0EiNS0_19identity_decomposerEEEEE10hipError_tT0_T1_T2_jT3_P12ihipStream_tbPNSt15iterator_traitsISK_E10value_typeEPNSQ_ISL_E10value_typeEPSM_NS1_7vsmem_tEENKUlT_SK_SL_SM_E_clISE_PiSF_SF_EESJ_SZ_SK_SL_SM_EUlSZ_E0_NS1_11comp_targetILNS1_3genE3ELNS1_11target_archE908ELNS1_3gpuE7ELNS1_3repE0EEENS1_38merge_mergepath_config_static_selectorELNS0_4arch9wavefront6targetE1EEEvSL_.numbered_sgpr, 0
	.set _ZN7rocprim17ROCPRIM_400000_NS6detail17trampoline_kernelINS0_14default_configENS1_38merge_sort_block_merge_config_selectorIiNS0_10empty_typeEEEZZNS1_27merge_sort_block_merge_implIS3_N6thrust23THRUST_200600_302600_NS6detail15normal_iteratorINS9_10device_ptrIiEEEEPS5_jNS1_19radix_merge_compareILb0ELb0EiNS0_19identity_decomposerEEEEE10hipError_tT0_T1_T2_jT3_P12ihipStream_tbPNSt15iterator_traitsISK_E10value_typeEPNSQ_ISL_E10value_typeEPSM_NS1_7vsmem_tEENKUlT_SK_SL_SM_E_clISE_PiSF_SF_EESJ_SZ_SK_SL_SM_EUlSZ_E0_NS1_11comp_targetILNS1_3genE3ELNS1_11target_archE908ELNS1_3gpuE7ELNS1_3repE0EEENS1_38merge_mergepath_config_static_selectorELNS0_4arch9wavefront6targetE1EEEvSL_.num_named_barrier, 0
	.set _ZN7rocprim17ROCPRIM_400000_NS6detail17trampoline_kernelINS0_14default_configENS1_38merge_sort_block_merge_config_selectorIiNS0_10empty_typeEEEZZNS1_27merge_sort_block_merge_implIS3_N6thrust23THRUST_200600_302600_NS6detail15normal_iteratorINS9_10device_ptrIiEEEEPS5_jNS1_19radix_merge_compareILb0ELb0EiNS0_19identity_decomposerEEEEE10hipError_tT0_T1_T2_jT3_P12ihipStream_tbPNSt15iterator_traitsISK_E10value_typeEPNSQ_ISL_E10value_typeEPSM_NS1_7vsmem_tEENKUlT_SK_SL_SM_E_clISE_PiSF_SF_EESJ_SZ_SK_SL_SM_EUlSZ_E0_NS1_11comp_targetILNS1_3genE3ELNS1_11target_archE908ELNS1_3gpuE7ELNS1_3repE0EEENS1_38merge_mergepath_config_static_selectorELNS0_4arch9wavefront6targetE1EEEvSL_.private_seg_size, 0
	.set _ZN7rocprim17ROCPRIM_400000_NS6detail17trampoline_kernelINS0_14default_configENS1_38merge_sort_block_merge_config_selectorIiNS0_10empty_typeEEEZZNS1_27merge_sort_block_merge_implIS3_N6thrust23THRUST_200600_302600_NS6detail15normal_iteratorINS9_10device_ptrIiEEEEPS5_jNS1_19radix_merge_compareILb0ELb0EiNS0_19identity_decomposerEEEEE10hipError_tT0_T1_T2_jT3_P12ihipStream_tbPNSt15iterator_traitsISK_E10value_typeEPNSQ_ISL_E10value_typeEPSM_NS1_7vsmem_tEENKUlT_SK_SL_SM_E_clISE_PiSF_SF_EESJ_SZ_SK_SL_SM_EUlSZ_E0_NS1_11comp_targetILNS1_3genE3ELNS1_11target_archE908ELNS1_3gpuE7ELNS1_3repE0EEENS1_38merge_mergepath_config_static_selectorELNS0_4arch9wavefront6targetE1EEEvSL_.uses_vcc, 0
	.set _ZN7rocprim17ROCPRIM_400000_NS6detail17trampoline_kernelINS0_14default_configENS1_38merge_sort_block_merge_config_selectorIiNS0_10empty_typeEEEZZNS1_27merge_sort_block_merge_implIS3_N6thrust23THRUST_200600_302600_NS6detail15normal_iteratorINS9_10device_ptrIiEEEEPS5_jNS1_19radix_merge_compareILb0ELb0EiNS0_19identity_decomposerEEEEE10hipError_tT0_T1_T2_jT3_P12ihipStream_tbPNSt15iterator_traitsISK_E10value_typeEPNSQ_ISL_E10value_typeEPSM_NS1_7vsmem_tEENKUlT_SK_SL_SM_E_clISE_PiSF_SF_EESJ_SZ_SK_SL_SM_EUlSZ_E0_NS1_11comp_targetILNS1_3genE3ELNS1_11target_archE908ELNS1_3gpuE7ELNS1_3repE0EEENS1_38merge_mergepath_config_static_selectorELNS0_4arch9wavefront6targetE1EEEvSL_.uses_flat_scratch, 0
	.set _ZN7rocprim17ROCPRIM_400000_NS6detail17trampoline_kernelINS0_14default_configENS1_38merge_sort_block_merge_config_selectorIiNS0_10empty_typeEEEZZNS1_27merge_sort_block_merge_implIS3_N6thrust23THRUST_200600_302600_NS6detail15normal_iteratorINS9_10device_ptrIiEEEEPS5_jNS1_19radix_merge_compareILb0ELb0EiNS0_19identity_decomposerEEEEE10hipError_tT0_T1_T2_jT3_P12ihipStream_tbPNSt15iterator_traitsISK_E10value_typeEPNSQ_ISL_E10value_typeEPSM_NS1_7vsmem_tEENKUlT_SK_SL_SM_E_clISE_PiSF_SF_EESJ_SZ_SK_SL_SM_EUlSZ_E0_NS1_11comp_targetILNS1_3genE3ELNS1_11target_archE908ELNS1_3gpuE7ELNS1_3repE0EEENS1_38merge_mergepath_config_static_selectorELNS0_4arch9wavefront6targetE1EEEvSL_.has_dyn_sized_stack, 0
	.set _ZN7rocprim17ROCPRIM_400000_NS6detail17trampoline_kernelINS0_14default_configENS1_38merge_sort_block_merge_config_selectorIiNS0_10empty_typeEEEZZNS1_27merge_sort_block_merge_implIS3_N6thrust23THRUST_200600_302600_NS6detail15normal_iteratorINS9_10device_ptrIiEEEEPS5_jNS1_19radix_merge_compareILb0ELb0EiNS0_19identity_decomposerEEEEE10hipError_tT0_T1_T2_jT3_P12ihipStream_tbPNSt15iterator_traitsISK_E10value_typeEPNSQ_ISL_E10value_typeEPSM_NS1_7vsmem_tEENKUlT_SK_SL_SM_E_clISE_PiSF_SF_EESJ_SZ_SK_SL_SM_EUlSZ_E0_NS1_11comp_targetILNS1_3genE3ELNS1_11target_archE908ELNS1_3gpuE7ELNS1_3repE0EEENS1_38merge_mergepath_config_static_selectorELNS0_4arch9wavefront6targetE1EEEvSL_.has_recursion, 0
	.set _ZN7rocprim17ROCPRIM_400000_NS6detail17trampoline_kernelINS0_14default_configENS1_38merge_sort_block_merge_config_selectorIiNS0_10empty_typeEEEZZNS1_27merge_sort_block_merge_implIS3_N6thrust23THRUST_200600_302600_NS6detail15normal_iteratorINS9_10device_ptrIiEEEEPS5_jNS1_19radix_merge_compareILb0ELb0EiNS0_19identity_decomposerEEEEE10hipError_tT0_T1_T2_jT3_P12ihipStream_tbPNSt15iterator_traitsISK_E10value_typeEPNSQ_ISL_E10value_typeEPSM_NS1_7vsmem_tEENKUlT_SK_SL_SM_E_clISE_PiSF_SF_EESJ_SZ_SK_SL_SM_EUlSZ_E0_NS1_11comp_targetILNS1_3genE3ELNS1_11target_archE908ELNS1_3gpuE7ELNS1_3repE0EEENS1_38merge_mergepath_config_static_selectorELNS0_4arch9wavefront6targetE1EEEvSL_.has_indirect_call, 0
	.section	.AMDGPU.csdata,"",@progbits
; Kernel info:
; codeLenInByte = 0
; TotalNumSgprs: 6
; NumVgprs: 0
; NumAgprs: 0
; TotalNumVgprs: 0
; ScratchSize: 0
; MemoryBound: 0
; FloatMode: 240
; IeeeMode: 1
; LDSByteSize: 0 bytes/workgroup (compile time only)
; SGPRBlocks: 0
; VGPRBlocks: 0
; NumSGPRsForWavesPerEU: 6
; NumVGPRsForWavesPerEU: 1
; AccumOffset: 4
; Occupancy: 8
; WaveLimiterHint : 0
; COMPUTE_PGM_RSRC2:SCRATCH_EN: 0
; COMPUTE_PGM_RSRC2:USER_SGPR: 2
; COMPUTE_PGM_RSRC2:TRAP_HANDLER: 0
; COMPUTE_PGM_RSRC2:TGID_X_EN: 1
; COMPUTE_PGM_RSRC2:TGID_Y_EN: 0
; COMPUTE_PGM_RSRC2:TGID_Z_EN: 0
; COMPUTE_PGM_RSRC2:TIDIG_COMP_CNT: 0
; COMPUTE_PGM_RSRC3_GFX90A:ACCUM_OFFSET: 0
; COMPUTE_PGM_RSRC3_GFX90A:TG_SPLIT: 0
	.section	.text._ZN7rocprim17ROCPRIM_400000_NS6detail17trampoline_kernelINS0_14default_configENS1_38merge_sort_block_merge_config_selectorIiNS0_10empty_typeEEEZZNS1_27merge_sort_block_merge_implIS3_N6thrust23THRUST_200600_302600_NS6detail15normal_iteratorINS9_10device_ptrIiEEEEPS5_jNS1_19radix_merge_compareILb0ELb0EiNS0_19identity_decomposerEEEEE10hipError_tT0_T1_T2_jT3_P12ihipStream_tbPNSt15iterator_traitsISK_E10value_typeEPNSQ_ISL_E10value_typeEPSM_NS1_7vsmem_tEENKUlT_SK_SL_SM_E_clISE_PiSF_SF_EESJ_SZ_SK_SL_SM_EUlSZ_E0_NS1_11comp_targetILNS1_3genE2ELNS1_11target_archE906ELNS1_3gpuE6ELNS1_3repE0EEENS1_38merge_mergepath_config_static_selectorELNS0_4arch9wavefront6targetE1EEEvSL_,"axG",@progbits,_ZN7rocprim17ROCPRIM_400000_NS6detail17trampoline_kernelINS0_14default_configENS1_38merge_sort_block_merge_config_selectorIiNS0_10empty_typeEEEZZNS1_27merge_sort_block_merge_implIS3_N6thrust23THRUST_200600_302600_NS6detail15normal_iteratorINS9_10device_ptrIiEEEEPS5_jNS1_19radix_merge_compareILb0ELb0EiNS0_19identity_decomposerEEEEE10hipError_tT0_T1_T2_jT3_P12ihipStream_tbPNSt15iterator_traitsISK_E10value_typeEPNSQ_ISL_E10value_typeEPSM_NS1_7vsmem_tEENKUlT_SK_SL_SM_E_clISE_PiSF_SF_EESJ_SZ_SK_SL_SM_EUlSZ_E0_NS1_11comp_targetILNS1_3genE2ELNS1_11target_archE906ELNS1_3gpuE6ELNS1_3repE0EEENS1_38merge_mergepath_config_static_selectorELNS0_4arch9wavefront6targetE1EEEvSL_,comdat
	.protected	_ZN7rocprim17ROCPRIM_400000_NS6detail17trampoline_kernelINS0_14default_configENS1_38merge_sort_block_merge_config_selectorIiNS0_10empty_typeEEEZZNS1_27merge_sort_block_merge_implIS3_N6thrust23THRUST_200600_302600_NS6detail15normal_iteratorINS9_10device_ptrIiEEEEPS5_jNS1_19radix_merge_compareILb0ELb0EiNS0_19identity_decomposerEEEEE10hipError_tT0_T1_T2_jT3_P12ihipStream_tbPNSt15iterator_traitsISK_E10value_typeEPNSQ_ISL_E10value_typeEPSM_NS1_7vsmem_tEENKUlT_SK_SL_SM_E_clISE_PiSF_SF_EESJ_SZ_SK_SL_SM_EUlSZ_E0_NS1_11comp_targetILNS1_3genE2ELNS1_11target_archE906ELNS1_3gpuE6ELNS1_3repE0EEENS1_38merge_mergepath_config_static_selectorELNS0_4arch9wavefront6targetE1EEEvSL_ ; -- Begin function _ZN7rocprim17ROCPRIM_400000_NS6detail17trampoline_kernelINS0_14default_configENS1_38merge_sort_block_merge_config_selectorIiNS0_10empty_typeEEEZZNS1_27merge_sort_block_merge_implIS3_N6thrust23THRUST_200600_302600_NS6detail15normal_iteratorINS9_10device_ptrIiEEEEPS5_jNS1_19radix_merge_compareILb0ELb0EiNS0_19identity_decomposerEEEEE10hipError_tT0_T1_T2_jT3_P12ihipStream_tbPNSt15iterator_traitsISK_E10value_typeEPNSQ_ISL_E10value_typeEPSM_NS1_7vsmem_tEENKUlT_SK_SL_SM_E_clISE_PiSF_SF_EESJ_SZ_SK_SL_SM_EUlSZ_E0_NS1_11comp_targetILNS1_3genE2ELNS1_11target_archE906ELNS1_3gpuE6ELNS1_3repE0EEENS1_38merge_mergepath_config_static_selectorELNS0_4arch9wavefront6targetE1EEEvSL_
	.globl	_ZN7rocprim17ROCPRIM_400000_NS6detail17trampoline_kernelINS0_14default_configENS1_38merge_sort_block_merge_config_selectorIiNS0_10empty_typeEEEZZNS1_27merge_sort_block_merge_implIS3_N6thrust23THRUST_200600_302600_NS6detail15normal_iteratorINS9_10device_ptrIiEEEEPS5_jNS1_19radix_merge_compareILb0ELb0EiNS0_19identity_decomposerEEEEE10hipError_tT0_T1_T2_jT3_P12ihipStream_tbPNSt15iterator_traitsISK_E10value_typeEPNSQ_ISL_E10value_typeEPSM_NS1_7vsmem_tEENKUlT_SK_SL_SM_E_clISE_PiSF_SF_EESJ_SZ_SK_SL_SM_EUlSZ_E0_NS1_11comp_targetILNS1_3genE2ELNS1_11target_archE906ELNS1_3gpuE6ELNS1_3repE0EEENS1_38merge_mergepath_config_static_selectorELNS0_4arch9wavefront6targetE1EEEvSL_
	.p2align	8
	.type	_ZN7rocprim17ROCPRIM_400000_NS6detail17trampoline_kernelINS0_14default_configENS1_38merge_sort_block_merge_config_selectorIiNS0_10empty_typeEEEZZNS1_27merge_sort_block_merge_implIS3_N6thrust23THRUST_200600_302600_NS6detail15normal_iteratorINS9_10device_ptrIiEEEEPS5_jNS1_19radix_merge_compareILb0ELb0EiNS0_19identity_decomposerEEEEE10hipError_tT0_T1_T2_jT3_P12ihipStream_tbPNSt15iterator_traitsISK_E10value_typeEPNSQ_ISL_E10value_typeEPSM_NS1_7vsmem_tEENKUlT_SK_SL_SM_E_clISE_PiSF_SF_EESJ_SZ_SK_SL_SM_EUlSZ_E0_NS1_11comp_targetILNS1_3genE2ELNS1_11target_archE906ELNS1_3gpuE6ELNS1_3repE0EEENS1_38merge_mergepath_config_static_selectorELNS0_4arch9wavefront6targetE1EEEvSL_,@function
_ZN7rocprim17ROCPRIM_400000_NS6detail17trampoline_kernelINS0_14default_configENS1_38merge_sort_block_merge_config_selectorIiNS0_10empty_typeEEEZZNS1_27merge_sort_block_merge_implIS3_N6thrust23THRUST_200600_302600_NS6detail15normal_iteratorINS9_10device_ptrIiEEEEPS5_jNS1_19radix_merge_compareILb0ELb0EiNS0_19identity_decomposerEEEEE10hipError_tT0_T1_T2_jT3_P12ihipStream_tbPNSt15iterator_traitsISK_E10value_typeEPNSQ_ISL_E10value_typeEPSM_NS1_7vsmem_tEENKUlT_SK_SL_SM_E_clISE_PiSF_SF_EESJ_SZ_SK_SL_SM_EUlSZ_E0_NS1_11comp_targetILNS1_3genE2ELNS1_11target_archE906ELNS1_3gpuE6ELNS1_3repE0EEENS1_38merge_mergepath_config_static_selectorELNS0_4arch9wavefront6targetE1EEEvSL_: ; @_ZN7rocprim17ROCPRIM_400000_NS6detail17trampoline_kernelINS0_14default_configENS1_38merge_sort_block_merge_config_selectorIiNS0_10empty_typeEEEZZNS1_27merge_sort_block_merge_implIS3_N6thrust23THRUST_200600_302600_NS6detail15normal_iteratorINS9_10device_ptrIiEEEEPS5_jNS1_19radix_merge_compareILb0ELb0EiNS0_19identity_decomposerEEEEE10hipError_tT0_T1_T2_jT3_P12ihipStream_tbPNSt15iterator_traitsISK_E10value_typeEPNSQ_ISL_E10value_typeEPSM_NS1_7vsmem_tEENKUlT_SK_SL_SM_E_clISE_PiSF_SF_EESJ_SZ_SK_SL_SM_EUlSZ_E0_NS1_11comp_targetILNS1_3genE2ELNS1_11target_archE906ELNS1_3gpuE6ELNS1_3repE0EEENS1_38merge_mergepath_config_static_selectorELNS0_4arch9wavefront6targetE1EEEvSL_
; %bb.0:
	.section	.rodata,"a",@progbits
	.p2align	6, 0x0
	.amdhsa_kernel _ZN7rocprim17ROCPRIM_400000_NS6detail17trampoline_kernelINS0_14default_configENS1_38merge_sort_block_merge_config_selectorIiNS0_10empty_typeEEEZZNS1_27merge_sort_block_merge_implIS3_N6thrust23THRUST_200600_302600_NS6detail15normal_iteratorINS9_10device_ptrIiEEEEPS5_jNS1_19radix_merge_compareILb0ELb0EiNS0_19identity_decomposerEEEEE10hipError_tT0_T1_T2_jT3_P12ihipStream_tbPNSt15iterator_traitsISK_E10value_typeEPNSQ_ISL_E10value_typeEPSM_NS1_7vsmem_tEENKUlT_SK_SL_SM_E_clISE_PiSF_SF_EESJ_SZ_SK_SL_SM_EUlSZ_E0_NS1_11comp_targetILNS1_3genE2ELNS1_11target_archE906ELNS1_3gpuE6ELNS1_3repE0EEENS1_38merge_mergepath_config_static_selectorELNS0_4arch9wavefront6targetE1EEEvSL_
		.amdhsa_group_segment_fixed_size 0
		.amdhsa_private_segment_fixed_size 0
		.amdhsa_kernarg_size 64
		.amdhsa_user_sgpr_count 2
		.amdhsa_user_sgpr_dispatch_ptr 0
		.amdhsa_user_sgpr_queue_ptr 0
		.amdhsa_user_sgpr_kernarg_segment_ptr 1
		.amdhsa_user_sgpr_dispatch_id 0
		.amdhsa_user_sgpr_kernarg_preload_length 0
		.amdhsa_user_sgpr_kernarg_preload_offset 0
		.amdhsa_user_sgpr_private_segment_size 0
		.amdhsa_uses_dynamic_stack 0
		.amdhsa_enable_private_segment 0
		.amdhsa_system_sgpr_workgroup_id_x 1
		.amdhsa_system_sgpr_workgroup_id_y 0
		.amdhsa_system_sgpr_workgroup_id_z 0
		.amdhsa_system_sgpr_workgroup_info 0
		.amdhsa_system_vgpr_workitem_id 0
		.amdhsa_next_free_vgpr 1
		.amdhsa_next_free_sgpr 0
		.amdhsa_accum_offset 4
		.amdhsa_reserve_vcc 0
		.amdhsa_float_round_mode_32 0
		.amdhsa_float_round_mode_16_64 0
		.amdhsa_float_denorm_mode_32 3
		.amdhsa_float_denorm_mode_16_64 3
		.amdhsa_dx10_clamp 1
		.amdhsa_ieee_mode 1
		.amdhsa_fp16_overflow 0
		.amdhsa_tg_split 0
		.amdhsa_exception_fp_ieee_invalid_op 0
		.amdhsa_exception_fp_denorm_src 0
		.amdhsa_exception_fp_ieee_div_zero 0
		.amdhsa_exception_fp_ieee_overflow 0
		.amdhsa_exception_fp_ieee_underflow 0
		.amdhsa_exception_fp_ieee_inexact 0
		.amdhsa_exception_int_div_zero 0
	.end_amdhsa_kernel
	.section	.text._ZN7rocprim17ROCPRIM_400000_NS6detail17trampoline_kernelINS0_14default_configENS1_38merge_sort_block_merge_config_selectorIiNS0_10empty_typeEEEZZNS1_27merge_sort_block_merge_implIS3_N6thrust23THRUST_200600_302600_NS6detail15normal_iteratorINS9_10device_ptrIiEEEEPS5_jNS1_19radix_merge_compareILb0ELb0EiNS0_19identity_decomposerEEEEE10hipError_tT0_T1_T2_jT3_P12ihipStream_tbPNSt15iterator_traitsISK_E10value_typeEPNSQ_ISL_E10value_typeEPSM_NS1_7vsmem_tEENKUlT_SK_SL_SM_E_clISE_PiSF_SF_EESJ_SZ_SK_SL_SM_EUlSZ_E0_NS1_11comp_targetILNS1_3genE2ELNS1_11target_archE906ELNS1_3gpuE6ELNS1_3repE0EEENS1_38merge_mergepath_config_static_selectorELNS0_4arch9wavefront6targetE1EEEvSL_,"axG",@progbits,_ZN7rocprim17ROCPRIM_400000_NS6detail17trampoline_kernelINS0_14default_configENS1_38merge_sort_block_merge_config_selectorIiNS0_10empty_typeEEEZZNS1_27merge_sort_block_merge_implIS3_N6thrust23THRUST_200600_302600_NS6detail15normal_iteratorINS9_10device_ptrIiEEEEPS5_jNS1_19radix_merge_compareILb0ELb0EiNS0_19identity_decomposerEEEEE10hipError_tT0_T1_T2_jT3_P12ihipStream_tbPNSt15iterator_traitsISK_E10value_typeEPNSQ_ISL_E10value_typeEPSM_NS1_7vsmem_tEENKUlT_SK_SL_SM_E_clISE_PiSF_SF_EESJ_SZ_SK_SL_SM_EUlSZ_E0_NS1_11comp_targetILNS1_3genE2ELNS1_11target_archE906ELNS1_3gpuE6ELNS1_3repE0EEENS1_38merge_mergepath_config_static_selectorELNS0_4arch9wavefront6targetE1EEEvSL_,comdat
.Lfunc_end56:
	.size	_ZN7rocprim17ROCPRIM_400000_NS6detail17trampoline_kernelINS0_14default_configENS1_38merge_sort_block_merge_config_selectorIiNS0_10empty_typeEEEZZNS1_27merge_sort_block_merge_implIS3_N6thrust23THRUST_200600_302600_NS6detail15normal_iteratorINS9_10device_ptrIiEEEEPS5_jNS1_19radix_merge_compareILb0ELb0EiNS0_19identity_decomposerEEEEE10hipError_tT0_T1_T2_jT3_P12ihipStream_tbPNSt15iterator_traitsISK_E10value_typeEPNSQ_ISL_E10value_typeEPSM_NS1_7vsmem_tEENKUlT_SK_SL_SM_E_clISE_PiSF_SF_EESJ_SZ_SK_SL_SM_EUlSZ_E0_NS1_11comp_targetILNS1_3genE2ELNS1_11target_archE906ELNS1_3gpuE6ELNS1_3repE0EEENS1_38merge_mergepath_config_static_selectorELNS0_4arch9wavefront6targetE1EEEvSL_, .Lfunc_end56-_ZN7rocprim17ROCPRIM_400000_NS6detail17trampoline_kernelINS0_14default_configENS1_38merge_sort_block_merge_config_selectorIiNS0_10empty_typeEEEZZNS1_27merge_sort_block_merge_implIS3_N6thrust23THRUST_200600_302600_NS6detail15normal_iteratorINS9_10device_ptrIiEEEEPS5_jNS1_19radix_merge_compareILb0ELb0EiNS0_19identity_decomposerEEEEE10hipError_tT0_T1_T2_jT3_P12ihipStream_tbPNSt15iterator_traitsISK_E10value_typeEPNSQ_ISL_E10value_typeEPSM_NS1_7vsmem_tEENKUlT_SK_SL_SM_E_clISE_PiSF_SF_EESJ_SZ_SK_SL_SM_EUlSZ_E0_NS1_11comp_targetILNS1_3genE2ELNS1_11target_archE906ELNS1_3gpuE6ELNS1_3repE0EEENS1_38merge_mergepath_config_static_selectorELNS0_4arch9wavefront6targetE1EEEvSL_
                                        ; -- End function
	.set _ZN7rocprim17ROCPRIM_400000_NS6detail17trampoline_kernelINS0_14default_configENS1_38merge_sort_block_merge_config_selectorIiNS0_10empty_typeEEEZZNS1_27merge_sort_block_merge_implIS3_N6thrust23THRUST_200600_302600_NS6detail15normal_iteratorINS9_10device_ptrIiEEEEPS5_jNS1_19radix_merge_compareILb0ELb0EiNS0_19identity_decomposerEEEEE10hipError_tT0_T1_T2_jT3_P12ihipStream_tbPNSt15iterator_traitsISK_E10value_typeEPNSQ_ISL_E10value_typeEPSM_NS1_7vsmem_tEENKUlT_SK_SL_SM_E_clISE_PiSF_SF_EESJ_SZ_SK_SL_SM_EUlSZ_E0_NS1_11comp_targetILNS1_3genE2ELNS1_11target_archE906ELNS1_3gpuE6ELNS1_3repE0EEENS1_38merge_mergepath_config_static_selectorELNS0_4arch9wavefront6targetE1EEEvSL_.num_vgpr, 0
	.set _ZN7rocprim17ROCPRIM_400000_NS6detail17trampoline_kernelINS0_14default_configENS1_38merge_sort_block_merge_config_selectorIiNS0_10empty_typeEEEZZNS1_27merge_sort_block_merge_implIS3_N6thrust23THRUST_200600_302600_NS6detail15normal_iteratorINS9_10device_ptrIiEEEEPS5_jNS1_19radix_merge_compareILb0ELb0EiNS0_19identity_decomposerEEEEE10hipError_tT0_T1_T2_jT3_P12ihipStream_tbPNSt15iterator_traitsISK_E10value_typeEPNSQ_ISL_E10value_typeEPSM_NS1_7vsmem_tEENKUlT_SK_SL_SM_E_clISE_PiSF_SF_EESJ_SZ_SK_SL_SM_EUlSZ_E0_NS1_11comp_targetILNS1_3genE2ELNS1_11target_archE906ELNS1_3gpuE6ELNS1_3repE0EEENS1_38merge_mergepath_config_static_selectorELNS0_4arch9wavefront6targetE1EEEvSL_.num_agpr, 0
	.set _ZN7rocprim17ROCPRIM_400000_NS6detail17trampoline_kernelINS0_14default_configENS1_38merge_sort_block_merge_config_selectorIiNS0_10empty_typeEEEZZNS1_27merge_sort_block_merge_implIS3_N6thrust23THRUST_200600_302600_NS6detail15normal_iteratorINS9_10device_ptrIiEEEEPS5_jNS1_19radix_merge_compareILb0ELb0EiNS0_19identity_decomposerEEEEE10hipError_tT0_T1_T2_jT3_P12ihipStream_tbPNSt15iterator_traitsISK_E10value_typeEPNSQ_ISL_E10value_typeEPSM_NS1_7vsmem_tEENKUlT_SK_SL_SM_E_clISE_PiSF_SF_EESJ_SZ_SK_SL_SM_EUlSZ_E0_NS1_11comp_targetILNS1_3genE2ELNS1_11target_archE906ELNS1_3gpuE6ELNS1_3repE0EEENS1_38merge_mergepath_config_static_selectorELNS0_4arch9wavefront6targetE1EEEvSL_.numbered_sgpr, 0
	.set _ZN7rocprim17ROCPRIM_400000_NS6detail17trampoline_kernelINS0_14default_configENS1_38merge_sort_block_merge_config_selectorIiNS0_10empty_typeEEEZZNS1_27merge_sort_block_merge_implIS3_N6thrust23THRUST_200600_302600_NS6detail15normal_iteratorINS9_10device_ptrIiEEEEPS5_jNS1_19radix_merge_compareILb0ELb0EiNS0_19identity_decomposerEEEEE10hipError_tT0_T1_T2_jT3_P12ihipStream_tbPNSt15iterator_traitsISK_E10value_typeEPNSQ_ISL_E10value_typeEPSM_NS1_7vsmem_tEENKUlT_SK_SL_SM_E_clISE_PiSF_SF_EESJ_SZ_SK_SL_SM_EUlSZ_E0_NS1_11comp_targetILNS1_3genE2ELNS1_11target_archE906ELNS1_3gpuE6ELNS1_3repE0EEENS1_38merge_mergepath_config_static_selectorELNS0_4arch9wavefront6targetE1EEEvSL_.num_named_barrier, 0
	.set _ZN7rocprim17ROCPRIM_400000_NS6detail17trampoline_kernelINS0_14default_configENS1_38merge_sort_block_merge_config_selectorIiNS0_10empty_typeEEEZZNS1_27merge_sort_block_merge_implIS3_N6thrust23THRUST_200600_302600_NS6detail15normal_iteratorINS9_10device_ptrIiEEEEPS5_jNS1_19radix_merge_compareILb0ELb0EiNS0_19identity_decomposerEEEEE10hipError_tT0_T1_T2_jT3_P12ihipStream_tbPNSt15iterator_traitsISK_E10value_typeEPNSQ_ISL_E10value_typeEPSM_NS1_7vsmem_tEENKUlT_SK_SL_SM_E_clISE_PiSF_SF_EESJ_SZ_SK_SL_SM_EUlSZ_E0_NS1_11comp_targetILNS1_3genE2ELNS1_11target_archE906ELNS1_3gpuE6ELNS1_3repE0EEENS1_38merge_mergepath_config_static_selectorELNS0_4arch9wavefront6targetE1EEEvSL_.private_seg_size, 0
	.set _ZN7rocprim17ROCPRIM_400000_NS6detail17trampoline_kernelINS0_14default_configENS1_38merge_sort_block_merge_config_selectorIiNS0_10empty_typeEEEZZNS1_27merge_sort_block_merge_implIS3_N6thrust23THRUST_200600_302600_NS6detail15normal_iteratorINS9_10device_ptrIiEEEEPS5_jNS1_19radix_merge_compareILb0ELb0EiNS0_19identity_decomposerEEEEE10hipError_tT0_T1_T2_jT3_P12ihipStream_tbPNSt15iterator_traitsISK_E10value_typeEPNSQ_ISL_E10value_typeEPSM_NS1_7vsmem_tEENKUlT_SK_SL_SM_E_clISE_PiSF_SF_EESJ_SZ_SK_SL_SM_EUlSZ_E0_NS1_11comp_targetILNS1_3genE2ELNS1_11target_archE906ELNS1_3gpuE6ELNS1_3repE0EEENS1_38merge_mergepath_config_static_selectorELNS0_4arch9wavefront6targetE1EEEvSL_.uses_vcc, 0
	.set _ZN7rocprim17ROCPRIM_400000_NS6detail17trampoline_kernelINS0_14default_configENS1_38merge_sort_block_merge_config_selectorIiNS0_10empty_typeEEEZZNS1_27merge_sort_block_merge_implIS3_N6thrust23THRUST_200600_302600_NS6detail15normal_iteratorINS9_10device_ptrIiEEEEPS5_jNS1_19radix_merge_compareILb0ELb0EiNS0_19identity_decomposerEEEEE10hipError_tT0_T1_T2_jT3_P12ihipStream_tbPNSt15iterator_traitsISK_E10value_typeEPNSQ_ISL_E10value_typeEPSM_NS1_7vsmem_tEENKUlT_SK_SL_SM_E_clISE_PiSF_SF_EESJ_SZ_SK_SL_SM_EUlSZ_E0_NS1_11comp_targetILNS1_3genE2ELNS1_11target_archE906ELNS1_3gpuE6ELNS1_3repE0EEENS1_38merge_mergepath_config_static_selectorELNS0_4arch9wavefront6targetE1EEEvSL_.uses_flat_scratch, 0
	.set _ZN7rocprim17ROCPRIM_400000_NS6detail17trampoline_kernelINS0_14default_configENS1_38merge_sort_block_merge_config_selectorIiNS0_10empty_typeEEEZZNS1_27merge_sort_block_merge_implIS3_N6thrust23THRUST_200600_302600_NS6detail15normal_iteratorINS9_10device_ptrIiEEEEPS5_jNS1_19radix_merge_compareILb0ELb0EiNS0_19identity_decomposerEEEEE10hipError_tT0_T1_T2_jT3_P12ihipStream_tbPNSt15iterator_traitsISK_E10value_typeEPNSQ_ISL_E10value_typeEPSM_NS1_7vsmem_tEENKUlT_SK_SL_SM_E_clISE_PiSF_SF_EESJ_SZ_SK_SL_SM_EUlSZ_E0_NS1_11comp_targetILNS1_3genE2ELNS1_11target_archE906ELNS1_3gpuE6ELNS1_3repE0EEENS1_38merge_mergepath_config_static_selectorELNS0_4arch9wavefront6targetE1EEEvSL_.has_dyn_sized_stack, 0
	.set _ZN7rocprim17ROCPRIM_400000_NS6detail17trampoline_kernelINS0_14default_configENS1_38merge_sort_block_merge_config_selectorIiNS0_10empty_typeEEEZZNS1_27merge_sort_block_merge_implIS3_N6thrust23THRUST_200600_302600_NS6detail15normal_iteratorINS9_10device_ptrIiEEEEPS5_jNS1_19radix_merge_compareILb0ELb0EiNS0_19identity_decomposerEEEEE10hipError_tT0_T1_T2_jT3_P12ihipStream_tbPNSt15iterator_traitsISK_E10value_typeEPNSQ_ISL_E10value_typeEPSM_NS1_7vsmem_tEENKUlT_SK_SL_SM_E_clISE_PiSF_SF_EESJ_SZ_SK_SL_SM_EUlSZ_E0_NS1_11comp_targetILNS1_3genE2ELNS1_11target_archE906ELNS1_3gpuE6ELNS1_3repE0EEENS1_38merge_mergepath_config_static_selectorELNS0_4arch9wavefront6targetE1EEEvSL_.has_recursion, 0
	.set _ZN7rocprim17ROCPRIM_400000_NS6detail17trampoline_kernelINS0_14default_configENS1_38merge_sort_block_merge_config_selectorIiNS0_10empty_typeEEEZZNS1_27merge_sort_block_merge_implIS3_N6thrust23THRUST_200600_302600_NS6detail15normal_iteratorINS9_10device_ptrIiEEEEPS5_jNS1_19radix_merge_compareILb0ELb0EiNS0_19identity_decomposerEEEEE10hipError_tT0_T1_T2_jT3_P12ihipStream_tbPNSt15iterator_traitsISK_E10value_typeEPNSQ_ISL_E10value_typeEPSM_NS1_7vsmem_tEENKUlT_SK_SL_SM_E_clISE_PiSF_SF_EESJ_SZ_SK_SL_SM_EUlSZ_E0_NS1_11comp_targetILNS1_3genE2ELNS1_11target_archE906ELNS1_3gpuE6ELNS1_3repE0EEENS1_38merge_mergepath_config_static_selectorELNS0_4arch9wavefront6targetE1EEEvSL_.has_indirect_call, 0
	.section	.AMDGPU.csdata,"",@progbits
; Kernel info:
; codeLenInByte = 0
; TotalNumSgprs: 6
; NumVgprs: 0
; NumAgprs: 0
; TotalNumVgprs: 0
; ScratchSize: 0
; MemoryBound: 0
; FloatMode: 240
; IeeeMode: 1
; LDSByteSize: 0 bytes/workgroup (compile time only)
; SGPRBlocks: 0
; VGPRBlocks: 0
; NumSGPRsForWavesPerEU: 6
; NumVGPRsForWavesPerEU: 1
; AccumOffset: 4
; Occupancy: 8
; WaveLimiterHint : 0
; COMPUTE_PGM_RSRC2:SCRATCH_EN: 0
; COMPUTE_PGM_RSRC2:USER_SGPR: 2
; COMPUTE_PGM_RSRC2:TRAP_HANDLER: 0
; COMPUTE_PGM_RSRC2:TGID_X_EN: 1
; COMPUTE_PGM_RSRC2:TGID_Y_EN: 0
; COMPUTE_PGM_RSRC2:TGID_Z_EN: 0
; COMPUTE_PGM_RSRC2:TIDIG_COMP_CNT: 0
; COMPUTE_PGM_RSRC3_GFX90A:ACCUM_OFFSET: 0
; COMPUTE_PGM_RSRC3_GFX90A:TG_SPLIT: 0
	.section	.text._ZN7rocprim17ROCPRIM_400000_NS6detail17trampoline_kernelINS0_14default_configENS1_38merge_sort_block_merge_config_selectorIiNS0_10empty_typeEEEZZNS1_27merge_sort_block_merge_implIS3_N6thrust23THRUST_200600_302600_NS6detail15normal_iteratorINS9_10device_ptrIiEEEEPS5_jNS1_19radix_merge_compareILb0ELb0EiNS0_19identity_decomposerEEEEE10hipError_tT0_T1_T2_jT3_P12ihipStream_tbPNSt15iterator_traitsISK_E10value_typeEPNSQ_ISL_E10value_typeEPSM_NS1_7vsmem_tEENKUlT_SK_SL_SM_E_clISE_PiSF_SF_EESJ_SZ_SK_SL_SM_EUlSZ_E0_NS1_11comp_targetILNS1_3genE9ELNS1_11target_archE1100ELNS1_3gpuE3ELNS1_3repE0EEENS1_38merge_mergepath_config_static_selectorELNS0_4arch9wavefront6targetE1EEEvSL_,"axG",@progbits,_ZN7rocprim17ROCPRIM_400000_NS6detail17trampoline_kernelINS0_14default_configENS1_38merge_sort_block_merge_config_selectorIiNS0_10empty_typeEEEZZNS1_27merge_sort_block_merge_implIS3_N6thrust23THRUST_200600_302600_NS6detail15normal_iteratorINS9_10device_ptrIiEEEEPS5_jNS1_19radix_merge_compareILb0ELb0EiNS0_19identity_decomposerEEEEE10hipError_tT0_T1_T2_jT3_P12ihipStream_tbPNSt15iterator_traitsISK_E10value_typeEPNSQ_ISL_E10value_typeEPSM_NS1_7vsmem_tEENKUlT_SK_SL_SM_E_clISE_PiSF_SF_EESJ_SZ_SK_SL_SM_EUlSZ_E0_NS1_11comp_targetILNS1_3genE9ELNS1_11target_archE1100ELNS1_3gpuE3ELNS1_3repE0EEENS1_38merge_mergepath_config_static_selectorELNS0_4arch9wavefront6targetE1EEEvSL_,comdat
	.protected	_ZN7rocprim17ROCPRIM_400000_NS6detail17trampoline_kernelINS0_14default_configENS1_38merge_sort_block_merge_config_selectorIiNS0_10empty_typeEEEZZNS1_27merge_sort_block_merge_implIS3_N6thrust23THRUST_200600_302600_NS6detail15normal_iteratorINS9_10device_ptrIiEEEEPS5_jNS1_19radix_merge_compareILb0ELb0EiNS0_19identity_decomposerEEEEE10hipError_tT0_T1_T2_jT3_P12ihipStream_tbPNSt15iterator_traitsISK_E10value_typeEPNSQ_ISL_E10value_typeEPSM_NS1_7vsmem_tEENKUlT_SK_SL_SM_E_clISE_PiSF_SF_EESJ_SZ_SK_SL_SM_EUlSZ_E0_NS1_11comp_targetILNS1_3genE9ELNS1_11target_archE1100ELNS1_3gpuE3ELNS1_3repE0EEENS1_38merge_mergepath_config_static_selectorELNS0_4arch9wavefront6targetE1EEEvSL_ ; -- Begin function _ZN7rocprim17ROCPRIM_400000_NS6detail17trampoline_kernelINS0_14default_configENS1_38merge_sort_block_merge_config_selectorIiNS0_10empty_typeEEEZZNS1_27merge_sort_block_merge_implIS3_N6thrust23THRUST_200600_302600_NS6detail15normal_iteratorINS9_10device_ptrIiEEEEPS5_jNS1_19radix_merge_compareILb0ELb0EiNS0_19identity_decomposerEEEEE10hipError_tT0_T1_T2_jT3_P12ihipStream_tbPNSt15iterator_traitsISK_E10value_typeEPNSQ_ISL_E10value_typeEPSM_NS1_7vsmem_tEENKUlT_SK_SL_SM_E_clISE_PiSF_SF_EESJ_SZ_SK_SL_SM_EUlSZ_E0_NS1_11comp_targetILNS1_3genE9ELNS1_11target_archE1100ELNS1_3gpuE3ELNS1_3repE0EEENS1_38merge_mergepath_config_static_selectorELNS0_4arch9wavefront6targetE1EEEvSL_
	.globl	_ZN7rocprim17ROCPRIM_400000_NS6detail17trampoline_kernelINS0_14default_configENS1_38merge_sort_block_merge_config_selectorIiNS0_10empty_typeEEEZZNS1_27merge_sort_block_merge_implIS3_N6thrust23THRUST_200600_302600_NS6detail15normal_iteratorINS9_10device_ptrIiEEEEPS5_jNS1_19radix_merge_compareILb0ELb0EiNS0_19identity_decomposerEEEEE10hipError_tT0_T1_T2_jT3_P12ihipStream_tbPNSt15iterator_traitsISK_E10value_typeEPNSQ_ISL_E10value_typeEPSM_NS1_7vsmem_tEENKUlT_SK_SL_SM_E_clISE_PiSF_SF_EESJ_SZ_SK_SL_SM_EUlSZ_E0_NS1_11comp_targetILNS1_3genE9ELNS1_11target_archE1100ELNS1_3gpuE3ELNS1_3repE0EEENS1_38merge_mergepath_config_static_selectorELNS0_4arch9wavefront6targetE1EEEvSL_
	.p2align	8
	.type	_ZN7rocprim17ROCPRIM_400000_NS6detail17trampoline_kernelINS0_14default_configENS1_38merge_sort_block_merge_config_selectorIiNS0_10empty_typeEEEZZNS1_27merge_sort_block_merge_implIS3_N6thrust23THRUST_200600_302600_NS6detail15normal_iteratorINS9_10device_ptrIiEEEEPS5_jNS1_19radix_merge_compareILb0ELb0EiNS0_19identity_decomposerEEEEE10hipError_tT0_T1_T2_jT3_P12ihipStream_tbPNSt15iterator_traitsISK_E10value_typeEPNSQ_ISL_E10value_typeEPSM_NS1_7vsmem_tEENKUlT_SK_SL_SM_E_clISE_PiSF_SF_EESJ_SZ_SK_SL_SM_EUlSZ_E0_NS1_11comp_targetILNS1_3genE9ELNS1_11target_archE1100ELNS1_3gpuE3ELNS1_3repE0EEENS1_38merge_mergepath_config_static_selectorELNS0_4arch9wavefront6targetE1EEEvSL_,@function
_ZN7rocprim17ROCPRIM_400000_NS6detail17trampoline_kernelINS0_14default_configENS1_38merge_sort_block_merge_config_selectorIiNS0_10empty_typeEEEZZNS1_27merge_sort_block_merge_implIS3_N6thrust23THRUST_200600_302600_NS6detail15normal_iteratorINS9_10device_ptrIiEEEEPS5_jNS1_19radix_merge_compareILb0ELb0EiNS0_19identity_decomposerEEEEE10hipError_tT0_T1_T2_jT3_P12ihipStream_tbPNSt15iterator_traitsISK_E10value_typeEPNSQ_ISL_E10value_typeEPSM_NS1_7vsmem_tEENKUlT_SK_SL_SM_E_clISE_PiSF_SF_EESJ_SZ_SK_SL_SM_EUlSZ_E0_NS1_11comp_targetILNS1_3genE9ELNS1_11target_archE1100ELNS1_3gpuE3ELNS1_3repE0EEENS1_38merge_mergepath_config_static_selectorELNS0_4arch9wavefront6targetE1EEEvSL_: ; @_ZN7rocprim17ROCPRIM_400000_NS6detail17trampoline_kernelINS0_14default_configENS1_38merge_sort_block_merge_config_selectorIiNS0_10empty_typeEEEZZNS1_27merge_sort_block_merge_implIS3_N6thrust23THRUST_200600_302600_NS6detail15normal_iteratorINS9_10device_ptrIiEEEEPS5_jNS1_19radix_merge_compareILb0ELb0EiNS0_19identity_decomposerEEEEE10hipError_tT0_T1_T2_jT3_P12ihipStream_tbPNSt15iterator_traitsISK_E10value_typeEPNSQ_ISL_E10value_typeEPSM_NS1_7vsmem_tEENKUlT_SK_SL_SM_E_clISE_PiSF_SF_EESJ_SZ_SK_SL_SM_EUlSZ_E0_NS1_11comp_targetILNS1_3genE9ELNS1_11target_archE1100ELNS1_3gpuE3ELNS1_3repE0EEENS1_38merge_mergepath_config_static_selectorELNS0_4arch9wavefront6targetE1EEEvSL_
; %bb.0:
	.section	.rodata,"a",@progbits
	.p2align	6, 0x0
	.amdhsa_kernel _ZN7rocprim17ROCPRIM_400000_NS6detail17trampoline_kernelINS0_14default_configENS1_38merge_sort_block_merge_config_selectorIiNS0_10empty_typeEEEZZNS1_27merge_sort_block_merge_implIS3_N6thrust23THRUST_200600_302600_NS6detail15normal_iteratorINS9_10device_ptrIiEEEEPS5_jNS1_19radix_merge_compareILb0ELb0EiNS0_19identity_decomposerEEEEE10hipError_tT0_T1_T2_jT3_P12ihipStream_tbPNSt15iterator_traitsISK_E10value_typeEPNSQ_ISL_E10value_typeEPSM_NS1_7vsmem_tEENKUlT_SK_SL_SM_E_clISE_PiSF_SF_EESJ_SZ_SK_SL_SM_EUlSZ_E0_NS1_11comp_targetILNS1_3genE9ELNS1_11target_archE1100ELNS1_3gpuE3ELNS1_3repE0EEENS1_38merge_mergepath_config_static_selectorELNS0_4arch9wavefront6targetE1EEEvSL_
		.amdhsa_group_segment_fixed_size 0
		.amdhsa_private_segment_fixed_size 0
		.amdhsa_kernarg_size 64
		.amdhsa_user_sgpr_count 2
		.amdhsa_user_sgpr_dispatch_ptr 0
		.amdhsa_user_sgpr_queue_ptr 0
		.amdhsa_user_sgpr_kernarg_segment_ptr 1
		.amdhsa_user_sgpr_dispatch_id 0
		.amdhsa_user_sgpr_kernarg_preload_length 0
		.amdhsa_user_sgpr_kernarg_preload_offset 0
		.amdhsa_user_sgpr_private_segment_size 0
		.amdhsa_uses_dynamic_stack 0
		.amdhsa_enable_private_segment 0
		.amdhsa_system_sgpr_workgroup_id_x 1
		.amdhsa_system_sgpr_workgroup_id_y 0
		.amdhsa_system_sgpr_workgroup_id_z 0
		.amdhsa_system_sgpr_workgroup_info 0
		.amdhsa_system_vgpr_workitem_id 0
		.amdhsa_next_free_vgpr 1
		.amdhsa_next_free_sgpr 0
		.amdhsa_accum_offset 4
		.amdhsa_reserve_vcc 0
		.amdhsa_float_round_mode_32 0
		.amdhsa_float_round_mode_16_64 0
		.amdhsa_float_denorm_mode_32 3
		.amdhsa_float_denorm_mode_16_64 3
		.amdhsa_dx10_clamp 1
		.amdhsa_ieee_mode 1
		.amdhsa_fp16_overflow 0
		.amdhsa_tg_split 0
		.amdhsa_exception_fp_ieee_invalid_op 0
		.amdhsa_exception_fp_denorm_src 0
		.amdhsa_exception_fp_ieee_div_zero 0
		.amdhsa_exception_fp_ieee_overflow 0
		.amdhsa_exception_fp_ieee_underflow 0
		.amdhsa_exception_fp_ieee_inexact 0
		.amdhsa_exception_int_div_zero 0
	.end_amdhsa_kernel
	.section	.text._ZN7rocprim17ROCPRIM_400000_NS6detail17trampoline_kernelINS0_14default_configENS1_38merge_sort_block_merge_config_selectorIiNS0_10empty_typeEEEZZNS1_27merge_sort_block_merge_implIS3_N6thrust23THRUST_200600_302600_NS6detail15normal_iteratorINS9_10device_ptrIiEEEEPS5_jNS1_19radix_merge_compareILb0ELb0EiNS0_19identity_decomposerEEEEE10hipError_tT0_T1_T2_jT3_P12ihipStream_tbPNSt15iterator_traitsISK_E10value_typeEPNSQ_ISL_E10value_typeEPSM_NS1_7vsmem_tEENKUlT_SK_SL_SM_E_clISE_PiSF_SF_EESJ_SZ_SK_SL_SM_EUlSZ_E0_NS1_11comp_targetILNS1_3genE9ELNS1_11target_archE1100ELNS1_3gpuE3ELNS1_3repE0EEENS1_38merge_mergepath_config_static_selectorELNS0_4arch9wavefront6targetE1EEEvSL_,"axG",@progbits,_ZN7rocprim17ROCPRIM_400000_NS6detail17trampoline_kernelINS0_14default_configENS1_38merge_sort_block_merge_config_selectorIiNS0_10empty_typeEEEZZNS1_27merge_sort_block_merge_implIS3_N6thrust23THRUST_200600_302600_NS6detail15normal_iteratorINS9_10device_ptrIiEEEEPS5_jNS1_19radix_merge_compareILb0ELb0EiNS0_19identity_decomposerEEEEE10hipError_tT0_T1_T2_jT3_P12ihipStream_tbPNSt15iterator_traitsISK_E10value_typeEPNSQ_ISL_E10value_typeEPSM_NS1_7vsmem_tEENKUlT_SK_SL_SM_E_clISE_PiSF_SF_EESJ_SZ_SK_SL_SM_EUlSZ_E0_NS1_11comp_targetILNS1_3genE9ELNS1_11target_archE1100ELNS1_3gpuE3ELNS1_3repE0EEENS1_38merge_mergepath_config_static_selectorELNS0_4arch9wavefront6targetE1EEEvSL_,comdat
.Lfunc_end57:
	.size	_ZN7rocprim17ROCPRIM_400000_NS6detail17trampoline_kernelINS0_14default_configENS1_38merge_sort_block_merge_config_selectorIiNS0_10empty_typeEEEZZNS1_27merge_sort_block_merge_implIS3_N6thrust23THRUST_200600_302600_NS6detail15normal_iteratorINS9_10device_ptrIiEEEEPS5_jNS1_19radix_merge_compareILb0ELb0EiNS0_19identity_decomposerEEEEE10hipError_tT0_T1_T2_jT3_P12ihipStream_tbPNSt15iterator_traitsISK_E10value_typeEPNSQ_ISL_E10value_typeEPSM_NS1_7vsmem_tEENKUlT_SK_SL_SM_E_clISE_PiSF_SF_EESJ_SZ_SK_SL_SM_EUlSZ_E0_NS1_11comp_targetILNS1_3genE9ELNS1_11target_archE1100ELNS1_3gpuE3ELNS1_3repE0EEENS1_38merge_mergepath_config_static_selectorELNS0_4arch9wavefront6targetE1EEEvSL_, .Lfunc_end57-_ZN7rocprim17ROCPRIM_400000_NS6detail17trampoline_kernelINS0_14default_configENS1_38merge_sort_block_merge_config_selectorIiNS0_10empty_typeEEEZZNS1_27merge_sort_block_merge_implIS3_N6thrust23THRUST_200600_302600_NS6detail15normal_iteratorINS9_10device_ptrIiEEEEPS5_jNS1_19radix_merge_compareILb0ELb0EiNS0_19identity_decomposerEEEEE10hipError_tT0_T1_T2_jT3_P12ihipStream_tbPNSt15iterator_traitsISK_E10value_typeEPNSQ_ISL_E10value_typeEPSM_NS1_7vsmem_tEENKUlT_SK_SL_SM_E_clISE_PiSF_SF_EESJ_SZ_SK_SL_SM_EUlSZ_E0_NS1_11comp_targetILNS1_3genE9ELNS1_11target_archE1100ELNS1_3gpuE3ELNS1_3repE0EEENS1_38merge_mergepath_config_static_selectorELNS0_4arch9wavefront6targetE1EEEvSL_
                                        ; -- End function
	.set _ZN7rocprim17ROCPRIM_400000_NS6detail17trampoline_kernelINS0_14default_configENS1_38merge_sort_block_merge_config_selectorIiNS0_10empty_typeEEEZZNS1_27merge_sort_block_merge_implIS3_N6thrust23THRUST_200600_302600_NS6detail15normal_iteratorINS9_10device_ptrIiEEEEPS5_jNS1_19radix_merge_compareILb0ELb0EiNS0_19identity_decomposerEEEEE10hipError_tT0_T1_T2_jT3_P12ihipStream_tbPNSt15iterator_traitsISK_E10value_typeEPNSQ_ISL_E10value_typeEPSM_NS1_7vsmem_tEENKUlT_SK_SL_SM_E_clISE_PiSF_SF_EESJ_SZ_SK_SL_SM_EUlSZ_E0_NS1_11comp_targetILNS1_3genE9ELNS1_11target_archE1100ELNS1_3gpuE3ELNS1_3repE0EEENS1_38merge_mergepath_config_static_selectorELNS0_4arch9wavefront6targetE1EEEvSL_.num_vgpr, 0
	.set _ZN7rocprim17ROCPRIM_400000_NS6detail17trampoline_kernelINS0_14default_configENS1_38merge_sort_block_merge_config_selectorIiNS0_10empty_typeEEEZZNS1_27merge_sort_block_merge_implIS3_N6thrust23THRUST_200600_302600_NS6detail15normal_iteratorINS9_10device_ptrIiEEEEPS5_jNS1_19radix_merge_compareILb0ELb0EiNS0_19identity_decomposerEEEEE10hipError_tT0_T1_T2_jT3_P12ihipStream_tbPNSt15iterator_traitsISK_E10value_typeEPNSQ_ISL_E10value_typeEPSM_NS1_7vsmem_tEENKUlT_SK_SL_SM_E_clISE_PiSF_SF_EESJ_SZ_SK_SL_SM_EUlSZ_E0_NS1_11comp_targetILNS1_3genE9ELNS1_11target_archE1100ELNS1_3gpuE3ELNS1_3repE0EEENS1_38merge_mergepath_config_static_selectorELNS0_4arch9wavefront6targetE1EEEvSL_.num_agpr, 0
	.set _ZN7rocprim17ROCPRIM_400000_NS6detail17trampoline_kernelINS0_14default_configENS1_38merge_sort_block_merge_config_selectorIiNS0_10empty_typeEEEZZNS1_27merge_sort_block_merge_implIS3_N6thrust23THRUST_200600_302600_NS6detail15normal_iteratorINS9_10device_ptrIiEEEEPS5_jNS1_19radix_merge_compareILb0ELb0EiNS0_19identity_decomposerEEEEE10hipError_tT0_T1_T2_jT3_P12ihipStream_tbPNSt15iterator_traitsISK_E10value_typeEPNSQ_ISL_E10value_typeEPSM_NS1_7vsmem_tEENKUlT_SK_SL_SM_E_clISE_PiSF_SF_EESJ_SZ_SK_SL_SM_EUlSZ_E0_NS1_11comp_targetILNS1_3genE9ELNS1_11target_archE1100ELNS1_3gpuE3ELNS1_3repE0EEENS1_38merge_mergepath_config_static_selectorELNS0_4arch9wavefront6targetE1EEEvSL_.numbered_sgpr, 0
	.set _ZN7rocprim17ROCPRIM_400000_NS6detail17trampoline_kernelINS0_14default_configENS1_38merge_sort_block_merge_config_selectorIiNS0_10empty_typeEEEZZNS1_27merge_sort_block_merge_implIS3_N6thrust23THRUST_200600_302600_NS6detail15normal_iteratorINS9_10device_ptrIiEEEEPS5_jNS1_19radix_merge_compareILb0ELb0EiNS0_19identity_decomposerEEEEE10hipError_tT0_T1_T2_jT3_P12ihipStream_tbPNSt15iterator_traitsISK_E10value_typeEPNSQ_ISL_E10value_typeEPSM_NS1_7vsmem_tEENKUlT_SK_SL_SM_E_clISE_PiSF_SF_EESJ_SZ_SK_SL_SM_EUlSZ_E0_NS1_11comp_targetILNS1_3genE9ELNS1_11target_archE1100ELNS1_3gpuE3ELNS1_3repE0EEENS1_38merge_mergepath_config_static_selectorELNS0_4arch9wavefront6targetE1EEEvSL_.num_named_barrier, 0
	.set _ZN7rocprim17ROCPRIM_400000_NS6detail17trampoline_kernelINS0_14default_configENS1_38merge_sort_block_merge_config_selectorIiNS0_10empty_typeEEEZZNS1_27merge_sort_block_merge_implIS3_N6thrust23THRUST_200600_302600_NS6detail15normal_iteratorINS9_10device_ptrIiEEEEPS5_jNS1_19radix_merge_compareILb0ELb0EiNS0_19identity_decomposerEEEEE10hipError_tT0_T1_T2_jT3_P12ihipStream_tbPNSt15iterator_traitsISK_E10value_typeEPNSQ_ISL_E10value_typeEPSM_NS1_7vsmem_tEENKUlT_SK_SL_SM_E_clISE_PiSF_SF_EESJ_SZ_SK_SL_SM_EUlSZ_E0_NS1_11comp_targetILNS1_3genE9ELNS1_11target_archE1100ELNS1_3gpuE3ELNS1_3repE0EEENS1_38merge_mergepath_config_static_selectorELNS0_4arch9wavefront6targetE1EEEvSL_.private_seg_size, 0
	.set _ZN7rocprim17ROCPRIM_400000_NS6detail17trampoline_kernelINS0_14default_configENS1_38merge_sort_block_merge_config_selectorIiNS0_10empty_typeEEEZZNS1_27merge_sort_block_merge_implIS3_N6thrust23THRUST_200600_302600_NS6detail15normal_iteratorINS9_10device_ptrIiEEEEPS5_jNS1_19radix_merge_compareILb0ELb0EiNS0_19identity_decomposerEEEEE10hipError_tT0_T1_T2_jT3_P12ihipStream_tbPNSt15iterator_traitsISK_E10value_typeEPNSQ_ISL_E10value_typeEPSM_NS1_7vsmem_tEENKUlT_SK_SL_SM_E_clISE_PiSF_SF_EESJ_SZ_SK_SL_SM_EUlSZ_E0_NS1_11comp_targetILNS1_3genE9ELNS1_11target_archE1100ELNS1_3gpuE3ELNS1_3repE0EEENS1_38merge_mergepath_config_static_selectorELNS0_4arch9wavefront6targetE1EEEvSL_.uses_vcc, 0
	.set _ZN7rocprim17ROCPRIM_400000_NS6detail17trampoline_kernelINS0_14default_configENS1_38merge_sort_block_merge_config_selectorIiNS0_10empty_typeEEEZZNS1_27merge_sort_block_merge_implIS3_N6thrust23THRUST_200600_302600_NS6detail15normal_iteratorINS9_10device_ptrIiEEEEPS5_jNS1_19radix_merge_compareILb0ELb0EiNS0_19identity_decomposerEEEEE10hipError_tT0_T1_T2_jT3_P12ihipStream_tbPNSt15iterator_traitsISK_E10value_typeEPNSQ_ISL_E10value_typeEPSM_NS1_7vsmem_tEENKUlT_SK_SL_SM_E_clISE_PiSF_SF_EESJ_SZ_SK_SL_SM_EUlSZ_E0_NS1_11comp_targetILNS1_3genE9ELNS1_11target_archE1100ELNS1_3gpuE3ELNS1_3repE0EEENS1_38merge_mergepath_config_static_selectorELNS0_4arch9wavefront6targetE1EEEvSL_.uses_flat_scratch, 0
	.set _ZN7rocprim17ROCPRIM_400000_NS6detail17trampoline_kernelINS0_14default_configENS1_38merge_sort_block_merge_config_selectorIiNS0_10empty_typeEEEZZNS1_27merge_sort_block_merge_implIS3_N6thrust23THRUST_200600_302600_NS6detail15normal_iteratorINS9_10device_ptrIiEEEEPS5_jNS1_19radix_merge_compareILb0ELb0EiNS0_19identity_decomposerEEEEE10hipError_tT0_T1_T2_jT3_P12ihipStream_tbPNSt15iterator_traitsISK_E10value_typeEPNSQ_ISL_E10value_typeEPSM_NS1_7vsmem_tEENKUlT_SK_SL_SM_E_clISE_PiSF_SF_EESJ_SZ_SK_SL_SM_EUlSZ_E0_NS1_11comp_targetILNS1_3genE9ELNS1_11target_archE1100ELNS1_3gpuE3ELNS1_3repE0EEENS1_38merge_mergepath_config_static_selectorELNS0_4arch9wavefront6targetE1EEEvSL_.has_dyn_sized_stack, 0
	.set _ZN7rocprim17ROCPRIM_400000_NS6detail17trampoline_kernelINS0_14default_configENS1_38merge_sort_block_merge_config_selectorIiNS0_10empty_typeEEEZZNS1_27merge_sort_block_merge_implIS3_N6thrust23THRUST_200600_302600_NS6detail15normal_iteratorINS9_10device_ptrIiEEEEPS5_jNS1_19radix_merge_compareILb0ELb0EiNS0_19identity_decomposerEEEEE10hipError_tT0_T1_T2_jT3_P12ihipStream_tbPNSt15iterator_traitsISK_E10value_typeEPNSQ_ISL_E10value_typeEPSM_NS1_7vsmem_tEENKUlT_SK_SL_SM_E_clISE_PiSF_SF_EESJ_SZ_SK_SL_SM_EUlSZ_E0_NS1_11comp_targetILNS1_3genE9ELNS1_11target_archE1100ELNS1_3gpuE3ELNS1_3repE0EEENS1_38merge_mergepath_config_static_selectorELNS0_4arch9wavefront6targetE1EEEvSL_.has_recursion, 0
	.set _ZN7rocprim17ROCPRIM_400000_NS6detail17trampoline_kernelINS0_14default_configENS1_38merge_sort_block_merge_config_selectorIiNS0_10empty_typeEEEZZNS1_27merge_sort_block_merge_implIS3_N6thrust23THRUST_200600_302600_NS6detail15normal_iteratorINS9_10device_ptrIiEEEEPS5_jNS1_19radix_merge_compareILb0ELb0EiNS0_19identity_decomposerEEEEE10hipError_tT0_T1_T2_jT3_P12ihipStream_tbPNSt15iterator_traitsISK_E10value_typeEPNSQ_ISL_E10value_typeEPSM_NS1_7vsmem_tEENKUlT_SK_SL_SM_E_clISE_PiSF_SF_EESJ_SZ_SK_SL_SM_EUlSZ_E0_NS1_11comp_targetILNS1_3genE9ELNS1_11target_archE1100ELNS1_3gpuE3ELNS1_3repE0EEENS1_38merge_mergepath_config_static_selectorELNS0_4arch9wavefront6targetE1EEEvSL_.has_indirect_call, 0
	.section	.AMDGPU.csdata,"",@progbits
; Kernel info:
; codeLenInByte = 0
; TotalNumSgprs: 6
; NumVgprs: 0
; NumAgprs: 0
; TotalNumVgprs: 0
; ScratchSize: 0
; MemoryBound: 0
; FloatMode: 240
; IeeeMode: 1
; LDSByteSize: 0 bytes/workgroup (compile time only)
; SGPRBlocks: 0
; VGPRBlocks: 0
; NumSGPRsForWavesPerEU: 6
; NumVGPRsForWavesPerEU: 1
; AccumOffset: 4
; Occupancy: 8
; WaveLimiterHint : 0
; COMPUTE_PGM_RSRC2:SCRATCH_EN: 0
; COMPUTE_PGM_RSRC2:USER_SGPR: 2
; COMPUTE_PGM_RSRC2:TRAP_HANDLER: 0
; COMPUTE_PGM_RSRC2:TGID_X_EN: 1
; COMPUTE_PGM_RSRC2:TGID_Y_EN: 0
; COMPUTE_PGM_RSRC2:TGID_Z_EN: 0
; COMPUTE_PGM_RSRC2:TIDIG_COMP_CNT: 0
; COMPUTE_PGM_RSRC3_GFX90A:ACCUM_OFFSET: 0
; COMPUTE_PGM_RSRC3_GFX90A:TG_SPLIT: 0
	.section	.text._ZN7rocprim17ROCPRIM_400000_NS6detail17trampoline_kernelINS0_14default_configENS1_38merge_sort_block_merge_config_selectorIiNS0_10empty_typeEEEZZNS1_27merge_sort_block_merge_implIS3_N6thrust23THRUST_200600_302600_NS6detail15normal_iteratorINS9_10device_ptrIiEEEEPS5_jNS1_19radix_merge_compareILb0ELb0EiNS0_19identity_decomposerEEEEE10hipError_tT0_T1_T2_jT3_P12ihipStream_tbPNSt15iterator_traitsISK_E10value_typeEPNSQ_ISL_E10value_typeEPSM_NS1_7vsmem_tEENKUlT_SK_SL_SM_E_clISE_PiSF_SF_EESJ_SZ_SK_SL_SM_EUlSZ_E0_NS1_11comp_targetILNS1_3genE8ELNS1_11target_archE1030ELNS1_3gpuE2ELNS1_3repE0EEENS1_38merge_mergepath_config_static_selectorELNS0_4arch9wavefront6targetE1EEEvSL_,"axG",@progbits,_ZN7rocprim17ROCPRIM_400000_NS6detail17trampoline_kernelINS0_14default_configENS1_38merge_sort_block_merge_config_selectorIiNS0_10empty_typeEEEZZNS1_27merge_sort_block_merge_implIS3_N6thrust23THRUST_200600_302600_NS6detail15normal_iteratorINS9_10device_ptrIiEEEEPS5_jNS1_19radix_merge_compareILb0ELb0EiNS0_19identity_decomposerEEEEE10hipError_tT0_T1_T2_jT3_P12ihipStream_tbPNSt15iterator_traitsISK_E10value_typeEPNSQ_ISL_E10value_typeEPSM_NS1_7vsmem_tEENKUlT_SK_SL_SM_E_clISE_PiSF_SF_EESJ_SZ_SK_SL_SM_EUlSZ_E0_NS1_11comp_targetILNS1_3genE8ELNS1_11target_archE1030ELNS1_3gpuE2ELNS1_3repE0EEENS1_38merge_mergepath_config_static_selectorELNS0_4arch9wavefront6targetE1EEEvSL_,comdat
	.protected	_ZN7rocprim17ROCPRIM_400000_NS6detail17trampoline_kernelINS0_14default_configENS1_38merge_sort_block_merge_config_selectorIiNS0_10empty_typeEEEZZNS1_27merge_sort_block_merge_implIS3_N6thrust23THRUST_200600_302600_NS6detail15normal_iteratorINS9_10device_ptrIiEEEEPS5_jNS1_19radix_merge_compareILb0ELb0EiNS0_19identity_decomposerEEEEE10hipError_tT0_T1_T2_jT3_P12ihipStream_tbPNSt15iterator_traitsISK_E10value_typeEPNSQ_ISL_E10value_typeEPSM_NS1_7vsmem_tEENKUlT_SK_SL_SM_E_clISE_PiSF_SF_EESJ_SZ_SK_SL_SM_EUlSZ_E0_NS1_11comp_targetILNS1_3genE8ELNS1_11target_archE1030ELNS1_3gpuE2ELNS1_3repE0EEENS1_38merge_mergepath_config_static_selectorELNS0_4arch9wavefront6targetE1EEEvSL_ ; -- Begin function _ZN7rocprim17ROCPRIM_400000_NS6detail17trampoline_kernelINS0_14default_configENS1_38merge_sort_block_merge_config_selectorIiNS0_10empty_typeEEEZZNS1_27merge_sort_block_merge_implIS3_N6thrust23THRUST_200600_302600_NS6detail15normal_iteratorINS9_10device_ptrIiEEEEPS5_jNS1_19radix_merge_compareILb0ELb0EiNS0_19identity_decomposerEEEEE10hipError_tT0_T1_T2_jT3_P12ihipStream_tbPNSt15iterator_traitsISK_E10value_typeEPNSQ_ISL_E10value_typeEPSM_NS1_7vsmem_tEENKUlT_SK_SL_SM_E_clISE_PiSF_SF_EESJ_SZ_SK_SL_SM_EUlSZ_E0_NS1_11comp_targetILNS1_3genE8ELNS1_11target_archE1030ELNS1_3gpuE2ELNS1_3repE0EEENS1_38merge_mergepath_config_static_selectorELNS0_4arch9wavefront6targetE1EEEvSL_
	.globl	_ZN7rocprim17ROCPRIM_400000_NS6detail17trampoline_kernelINS0_14default_configENS1_38merge_sort_block_merge_config_selectorIiNS0_10empty_typeEEEZZNS1_27merge_sort_block_merge_implIS3_N6thrust23THRUST_200600_302600_NS6detail15normal_iteratorINS9_10device_ptrIiEEEEPS5_jNS1_19radix_merge_compareILb0ELb0EiNS0_19identity_decomposerEEEEE10hipError_tT0_T1_T2_jT3_P12ihipStream_tbPNSt15iterator_traitsISK_E10value_typeEPNSQ_ISL_E10value_typeEPSM_NS1_7vsmem_tEENKUlT_SK_SL_SM_E_clISE_PiSF_SF_EESJ_SZ_SK_SL_SM_EUlSZ_E0_NS1_11comp_targetILNS1_3genE8ELNS1_11target_archE1030ELNS1_3gpuE2ELNS1_3repE0EEENS1_38merge_mergepath_config_static_selectorELNS0_4arch9wavefront6targetE1EEEvSL_
	.p2align	8
	.type	_ZN7rocprim17ROCPRIM_400000_NS6detail17trampoline_kernelINS0_14default_configENS1_38merge_sort_block_merge_config_selectorIiNS0_10empty_typeEEEZZNS1_27merge_sort_block_merge_implIS3_N6thrust23THRUST_200600_302600_NS6detail15normal_iteratorINS9_10device_ptrIiEEEEPS5_jNS1_19radix_merge_compareILb0ELb0EiNS0_19identity_decomposerEEEEE10hipError_tT0_T1_T2_jT3_P12ihipStream_tbPNSt15iterator_traitsISK_E10value_typeEPNSQ_ISL_E10value_typeEPSM_NS1_7vsmem_tEENKUlT_SK_SL_SM_E_clISE_PiSF_SF_EESJ_SZ_SK_SL_SM_EUlSZ_E0_NS1_11comp_targetILNS1_3genE8ELNS1_11target_archE1030ELNS1_3gpuE2ELNS1_3repE0EEENS1_38merge_mergepath_config_static_selectorELNS0_4arch9wavefront6targetE1EEEvSL_,@function
_ZN7rocprim17ROCPRIM_400000_NS6detail17trampoline_kernelINS0_14default_configENS1_38merge_sort_block_merge_config_selectorIiNS0_10empty_typeEEEZZNS1_27merge_sort_block_merge_implIS3_N6thrust23THRUST_200600_302600_NS6detail15normal_iteratorINS9_10device_ptrIiEEEEPS5_jNS1_19radix_merge_compareILb0ELb0EiNS0_19identity_decomposerEEEEE10hipError_tT0_T1_T2_jT3_P12ihipStream_tbPNSt15iterator_traitsISK_E10value_typeEPNSQ_ISL_E10value_typeEPSM_NS1_7vsmem_tEENKUlT_SK_SL_SM_E_clISE_PiSF_SF_EESJ_SZ_SK_SL_SM_EUlSZ_E0_NS1_11comp_targetILNS1_3genE8ELNS1_11target_archE1030ELNS1_3gpuE2ELNS1_3repE0EEENS1_38merge_mergepath_config_static_selectorELNS0_4arch9wavefront6targetE1EEEvSL_: ; @_ZN7rocprim17ROCPRIM_400000_NS6detail17trampoline_kernelINS0_14default_configENS1_38merge_sort_block_merge_config_selectorIiNS0_10empty_typeEEEZZNS1_27merge_sort_block_merge_implIS3_N6thrust23THRUST_200600_302600_NS6detail15normal_iteratorINS9_10device_ptrIiEEEEPS5_jNS1_19radix_merge_compareILb0ELb0EiNS0_19identity_decomposerEEEEE10hipError_tT0_T1_T2_jT3_P12ihipStream_tbPNSt15iterator_traitsISK_E10value_typeEPNSQ_ISL_E10value_typeEPSM_NS1_7vsmem_tEENKUlT_SK_SL_SM_E_clISE_PiSF_SF_EESJ_SZ_SK_SL_SM_EUlSZ_E0_NS1_11comp_targetILNS1_3genE8ELNS1_11target_archE1030ELNS1_3gpuE2ELNS1_3repE0EEENS1_38merge_mergepath_config_static_selectorELNS0_4arch9wavefront6targetE1EEEvSL_
; %bb.0:
	.section	.rodata,"a",@progbits
	.p2align	6, 0x0
	.amdhsa_kernel _ZN7rocprim17ROCPRIM_400000_NS6detail17trampoline_kernelINS0_14default_configENS1_38merge_sort_block_merge_config_selectorIiNS0_10empty_typeEEEZZNS1_27merge_sort_block_merge_implIS3_N6thrust23THRUST_200600_302600_NS6detail15normal_iteratorINS9_10device_ptrIiEEEEPS5_jNS1_19radix_merge_compareILb0ELb0EiNS0_19identity_decomposerEEEEE10hipError_tT0_T1_T2_jT3_P12ihipStream_tbPNSt15iterator_traitsISK_E10value_typeEPNSQ_ISL_E10value_typeEPSM_NS1_7vsmem_tEENKUlT_SK_SL_SM_E_clISE_PiSF_SF_EESJ_SZ_SK_SL_SM_EUlSZ_E0_NS1_11comp_targetILNS1_3genE8ELNS1_11target_archE1030ELNS1_3gpuE2ELNS1_3repE0EEENS1_38merge_mergepath_config_static_selectorELNS0_4arch9wavefront6targetE1EEEvSL_
		.amdhsa_group_segment_fixed_size 0
		.amdhsa_private_segment_fixed_size 0
		.amdhsa_kernarg_size 64
		.amdhsa_user_sgpr_count 2
		.amdhsa_user_sgpr_dispatch_ptr 0
		.amdhsa_user_sgpr_queue_ptr 0
		.amdhsa_user_sgpr_kernarg_segment_ptr 1
		.amdhsa_user_sgpr_dispatch_id 0
		.amdhsa_user_sgpr_kernarg_preload_length 0
		.amdhsa_user_sgpr_kernarg_preload_offset 0
		.amdhsa_user_sgpr_private_segment_size 0
		.amdhsa_uses_dynamic_stack 0
		.amdhsa_enable_private_segment 0
		.amdhsa_system_sgpr_workgroup_id_x 1
		.amdhsa_system_sgpr_workgroup_id_y 0
		.amdhsa_system_sgpr_workgroup_id_z 0
		.amdhsa_system_sgpr_workgroup_info 0
		.amdhsa_system_vgpr_workitem_id 0
		.amdhsa_next_free_vgpr 1
		.amdhsa_next_free_sgpr 0
		.amdhsa_accum_offset 4
		.amdhsa_reserve_vcc 0
		.amdhsa_float_round_mode_32 0
		.amdhsa_float_round_mode_16_64 0
		.amdhsa_float_denorm_mode_32 3
		.amdhsa_float_denorm_mode_16_64 3
		.amdhsa_dx10_clamp 1
		.amdhsa_ieee_mode 1
		.amdhsa_fp16_overflow 0
		.amdhsa_tg_split 0
		.amdhsa_exception_fp_ieee_invalid_op 0
		.amdhsa_exception_fp_denorm_src 0
		.amdhsa_exception_fp_ieee_div_zero 0
		.amdhsa_exception_fp_ieee_overflow 0
		.amdhsa_exception_fp_ieee_underflow 0
		.amdhsa_exception_fp_ieee_inexact 0
		.amdhsa_exception_int_div_zero 0
	.end_amdhsa_kernel
	.section	.text._ZN7rocprim17ROCPRIM_400000_NS6detail17trampoline_kernelINS0_14default_configENS1_38merge_sort_block_merge_config_selectorIiNS0_10empty_typeEEEZZNS1_27merge_sort_block_merge_implIS3_N6thrust23THRUST_200600_302600_NS6detail15normal_iteratorINS9_10device_ptrIiEEEEPS5_jNS1_19radix_merge_compareILb0ELb0EiNS0_19identity_decomposerEEEEE10hipError_tT0_T1_T2_jT3_P12ihipStream_tbPNSt15iterator_traitsISK_E10value_typeEPNSQ_ISL_E10value_typeEPSM_NS1_7vsmem_tEENKUlT_SK_SL_SM_E_clISE_PiSF_SF_EESJ_SZ_SK_SL_SM_EUlSZ_E0_NS1_11comp_targetILNS1_3genE8ELNS1_11target_archE1030ELNS1_3gpuE2ELNS1_3repE0EEENS1_38merge_mergepath_config_static_selectorELNS0_4arch9wavefront6targetE1EEEvSL_,"axG",@progbits,_ZN7rocprim17ROCPRIM_400000_NS6detail17trampoline_kernelINS0_14default_configENS1_38merge_sort_block_merge_config_selectorIiNS0_10empty_typeEEEZZNS1_27merge_sort_block_merge_implIS3_N6thrust23THRUST_200600_302600_NS6detail15normal_iteratorINS9_10device_ptrIiEEEEPS5_jNS1_19radix_merge_compareILb0ELb0EiNS0_19identity_decomposerEEEEE10hipError_tT0_T1_T2_jT3_P12ihipStream_tbPNSt15iterator_traitsISK_E10value_typeEPNSQ_ISL_E10value_typeEPSM_NS1_7vsmem_tEENKUlT_SK_SL_SM_E_clISE_PiSF_SF_EESJ_SZ_SK_SL_SM_EUlSZ_E0_NS1_11comp_targetILNS1_3genE8ELNS1_11target_archE1030ELNS1_3gpuE2ELNS1_3repE0EEENS1_38merge_mergepath_config_static_selectorELNS0_4arch9wavefront6targetE1EEEvSL_,comdat
.Lfunc_end58:
	.size	_ZN7rocprim17ROCPRIM_400000_NS6detail17trampoline_kernelINS0_14default_configENS1_38merge_sort_block_merge_config_selectorIiNS0_10empty_typeEEEZZNS1_27merge_sort_block_merge_implIS3_N6thrust23THRUST_200600_302600_NS6detail15normal_iteratorINS9_10device_ptrIiEEEEPS5_jNS1_19radix_merge_compareILb0ELb0EiNS0_19identity_decomposerEEEEE10hipError_tT0_T1_T2_jT3_P12ihipStream_tbPNSt15iterator_traitsISK_E10value_typeEPNSQ_ISL_E10value_typeEPSM_NS1_7vsmem_tEENKUlT_SK_SL_SM_E_clISE_PiSF_SF_EESJ_SZ_SK_SL_SM_EUlSZ_E0_NS1_11comp_targetILNS1_3genE8ELNS1_11target_archE1030ELNS1_3gpuE2ELNS1_3repE0EEENS1_38merge_mergepath_config_static_selectorELNS0_4arch9wavefront6targetE1EEEvSL_, .Lfunc_end58-_ZN7rocprim17ROCPRIM_400000_NS6detail17trampoline_kernelINS0_14default_configENS1_38merge_sort_block_merge_config_selectorIiNS0_10empty_typeEEEZZNS1_27merge_sort_block_merge_implIS3_N6thrust23THRUST_200600_302600_NS6detail15normal_iteratorINS9_10device_ptrIiEEEEPS5_jNS1_19radix_merge_compareILb0ELb0EiNS0_19identity_decomposerEEEEE10hipError_tT0_T1_T2_jT3_P12ihipStream_tbPNSt15iterator_traitsISK_E10value_typeEPNSQ_ISL_E10value_typeEPSM_NS1_7vsmem_tEENKUlT_SK_SL_SM_E_clISE_PiSF_SF_EESJ_SZ_SK_SL_SM_EUlSZ_E0_NS1_11comp_targetILNS1_3genE8ELNS1_11target_archE1030ELNS1_3gpuE2ELNS1_3repE0EEENS1_38merge_mergepath_config_static_selectorELNS0_4arch9wavefront6targetE1EEEvSL_
                                        ; -- End function
	.set _ZN7rocprim17ROCPRIM_400000_NS6detail17trampoline_kernelINS0_14default_configENS1_38merge_sort_block_merge_config_selectorIiNS0_10empty_typeEEEZZNS1_27merge_sort_block_merge_implIS3_N6thrust23THRUST_200600_302600_NS6detail15normal_iteratorINS9_10device_ptrIiEEEEPS5_jNS1_19radix_merge_compareILb0ELb0EiNS0_19identity_decomposerEEEEE10hipError_tT0_T1_T2_jT3_P12ihipStream_tbPNSt15iterator_traitsISK_E10value_typeEPNSQ_ISL_E10value_typeEPSM_NS1_7vsmem_tEENKUlT_SK_SL_SM_E_clISE_PiSF_SF_EESJ_SZ_SK_SL_SM_EUlSZ_E0_NS1_11comp_targetILNS1_3genE8ELNS1_11target_archE1030ELNS1_3gpuE2ELNS1_3repE0EEENS1_38merge_mergepath_config_static_selectorELNS0_4arch9wavefront6targetE1EEEvSL_.num_vgpr, 0
	.set _ZN7rocprim17ROCPRIM_400000_NS6detail17trampoline_kernelINS0_14default_configENS1_38merge_sort_block_merge_config_selectorIiNS0_10empty_typeEEEZZNS1_27merge_sort_block_merge_implIS3_N6thrust23THRUST_200600_302600_NS6detail15normal_iteratorINS9_10device_ptrIiEEEEPS5_jNS1_19radix_merge_compareILb0ELb0EiNS0_19identity_decomposerEEEEE10hipError_tT0_T1_T2_jT3_P12ihipStream_tbPNSt15iterator_traitsISK_E10value_typeEPNSQ_ISL_E10value_typeEPSM_NS1_7vsmem_tEENKUlT_SK_SL_SM_E_clISE_PiSF_SF_EESJ_SZ_SK_SL_SM_EUlSZ_E0_NS1_11comp_targetILNS1_3genE8ELNS1_11target_archE1030ELNS1_3gpuE2ELNS1_3repE0EEENS1_38merge_mergepath_config_static_selectorELNS0_4arch9wavefront6targetE1EEEvSL_.num_agpr, 0
	.set _ZN7rocprim17ROCPRIM_400000_NS6detail17trampoline_kernelINS0_14default_configENS1_38merge_sort_block_merge_config_selectorIiNS0_10empty_typeEEEZZNS1_27merge_sort_block_merge_implIS3_N6thrust23THRUST_200600_302600_NS6detail15normal_iteratorINS9_10device_ptrIiEEEEPS5_jNS1_19radix_merge_compareILb0ELb0EiNS0_19identity_decomposerEEEEE10hipError_tT0_T1_T2_jT3_P12ihipStream_tbPNSt15iterator_traitsISK_E10value_typeEPNSQ_ISL_E10value_typeEPSM_NS1_7vsmem_tEENKUlT_SK_SL_SM_E_clISE_PiSF_SF_EESJ_SZ_SK_SL_SM_EUlSZ_E0_NS1_11comp_targetILNS1_3genE8ELNS1_11target_archE1030ELNS1_3gpuE2ELNS1_3repE0EEENS1_38merge_mergepath_config_static_selectorELNS0_4arch9wavefront6targetE1EEEvSL_.numbered_sgpr, 0
	.set _ZN7rocprim17ROCPRIM_400000_NS6detail17trampoline_kernelINS0_14default_configENS1_38merge_sort_block_merge_config_selectorIiNS0_10empty_typeEEEZZNS1_27merge_sort_block_merge_implIS3_N6thrust23THRUST_200600_302600_NS6detail15normal_iteratorINS9_10device_ptrIiEEEEPS5_jNS1_19radix_merge_compareILb0ELb0EiNS0_19identity_decomposerEEEEE10hipError_tT0_T1_T2_jT3_P12ihipStream_tbPNSt15iterator_traitsISK_E10value_typeEPNSQ_ISL_E10value_typeEPSM_NS1_7vsmem_tEENKUlT_SK_SL_SM_E_clISE_PiSF_SF_EESJ_SZ_SK_SL_SM_EUlSZ_E0_NS1_11comp_targetILNS1_3genE8ELNS1_11target_archE1030ELNS1_3gpuE2ELNS1_3repE0EEENS1_38merge_mergepath_config_static_selectorELNS0_4arch9wavefront6targetE1EEEvSL_.num_named_barrier, 0
	.set _ZN7rocprim17ROCPRIM_400000_NS6detail17trampoline_kernelINS0_14default_configENS1_38merge_sort_block_merge_config_selectorIiNS0_10empty_typeEEEZZNS1_27merge_sort_block_merge_implIS3_N6thrust23THRUST_200600_302600_NS6detail15normal_iteratorINS9_10device_ptrIiEEEEPS5_jNS1_19radix_merge_compareILb0ELb0EiNS0_19identity_decomposerEEEEE10hipError_tT0_T1_T2_jT3_P12ihipStream_tbPNSt15iterator_traitsISK_E10value_typeEPNSQ_ISL_E10value_typeEPSM_NS1_7vsmem_tEENKUlT_SK_SL_SM_E_clISE_PiSF_SF_EESJ_SZ_SK_SL_SM_EUlSZ_E0_NS1_11comp_targetILNS1_3genE8ELNS1_11target_archE1030ELNS1_3gpuE2ELNS1_3repE0EEENS1_38merge_mergepath_config_static_selectorELNS0_4arch9wavefront6targetE1EEEvSL_.private_seg_size, 0
	.set _ZN7rocprim17ROCPRIM_400000_NS6detail17trampoline_kernelINS0_14default_configENS1_38merge_sort_block_merge_config_selectorIiNS0_10empty_typeEEEZZNS1_27merge_sort_block_merge_implIS3_N6thrust23THRUST_200600_302600_NS6detail15normal_iteratorINS9_10device_ptrIiEEEEPS5_jNS1_19radix_merge_compareILb0ELb0EiNS0_19identity_decomposerEEEEE10hipError_tT0_T1_T2_jT3_P12ihipStream_tbPNSt15iterator_traitsISK_E10value_typeEPNSQ_ISL_E10value_typeEPSM_NS1_7vsmem_tEENKUlT_SK_SL_SM_E_clISE_PiSF_SF_EESJ_SZ_SK_SL_SM_EUlSZ_E0_NS1_11comp_targetILNS1_3genE8ELNS1_11target_archE1030ELNS1_3gpuE2ELNS1_3repE0EEENS1_38merge_mergepath_config_static_selectorELNS0_4arch9wavefront6targetE1EEEvSL_.uses_vcc, 0
	.set _ZN7rocprim17ROCPRIM_400000_NS6detail17trampoline_kernelINS0_14default_configENS1_38merge_sort_block_merge_config_selectorIiNS0_10empty_typeEEEZZNS1_27merge_sort_block_merge_implIS3_N6thrust23THRUST_200600_302600_NS6detail15normal_iteratorINS9_10device_ptrIiEEEEPS5_jNS1_19radix_merge_compareILb0ELb0EiNS0_19identity_decomposerEEEEE10hipError_tT0_T1_T2_jT3_P12ihipStream_tbPNSt15iterator_traitsISK_E10value_typeEPNSQ_ISL_E10value_typeEPSM_NS1_7vsmem_tEENKUlT_SK_SL_SM_E_clISE_PiSF_SF_EESJ_SZ_SK_SL_SM_EUlSZ_E0_NS1_11comp_targetILNS1_3genE8ELNS1_11target_archE1030ELNS1_3gpuE2ELNS1_3repE0EEENS1_38merge_mergepath_config_static_selectorELNS0_4arch9wavefront6targetE1EEEvSL_.uses_flat_scratch, 0
	.set _ZN7rocprim17ROCPRIM_400000_NS6detail17trampoline_kernelINS0_14default_configENS1_38merge_sort_block_merge_config_selectorIiNS0_10empty_typeEEEZZNS1_27merge_sort_block_merge_implIS3_N6thrust23THRUST_200600_302600_NS6detail15normal_iteratorINS9_10device_ptrIiEEEEPS5_jNS1_19radix_merge_compareILb0ELb0EiNS0_19identity_decomposerEEEEE10hipError_tT0_T1_T2_jT3_P12ihipStream_tbPNSt15iterator_traitsISK_E10value_typeEPNSQ_ISL_E10value_typeEPSM_NS1_7vsmem_tEENKUlT_SK_SL_SM_E_clISE_PiSF_SF_EESJ_SZ_SK_SL_SM_EUlSZ_E0_NS1_11comp_targetILNS1_3genE8ELNS1_11target_archE1030ELNS1_3gpuE2ELNS1_3repE0EEENS1_38merge_mergepath_config_static_selectorELNS0_4arch9wavefront6targetE1EEEvSL_.has_dyn_sized_stack, 0
	.set _ZN7rocprim17ROCPRIM_400000_NS6detail17trampoline_kernelINS0_14default_configENS1_38merge_sort_block_merge_config_selectorIiNS0_10empty_typeEEEZZNS1_27merge_sort_block_merge_implIS3_N6thrust23THRUST_200600_302600_NS6detail15normal_iteratorINS9_10device_ptrIiEEEEPS5_jNS1_19radix_merge_compareILb0ELb0EiNS0_19identity_decomposerEEEEE10hipError_tT0_T1_T2_jT3_P12ihipStream_tbPNSt15iterator_traitsISK_E10value_typeEPNSQ_ISL_E10value_typeEPSM_NS1_7vsmem_tEENKUlT_SK_SL_SM_E_clISE_PiSF_SF_EESJ_SZ_SK_SL_SM_EUlSZ_E0_NS1_11comp_targetILNS1_3genE8ELNS1_11target_archE1030ELNS1_3gpuE2ELNS1_3repE0EEENS1_38merge_mergepath_config_static_selectorELNS0_4arch9wavefront6targetE1EEEvSL_.has_recursion, 0
	.set _ZN7rocprim17ROCPRIM_400000_NS6detail17trampoline_kernelINS0_14default_configENS1_38merge_sort_block_merge_config_selectorIiNS0_10empty_typeEEEZZNS1_27merge_sort_block_merge_implIS3_N6thrust23THRUST_200600_302600_NS6detail15normal_iteratorINS9_10device_ptrIiEEEEPS5_jNS1_19radix_merge_compareILb0ELb0EiNS0_19identity_decomposerEEEEE10hipError_tT0_T1_T2_jT3_P12ihipStream_tbPNSt15iterator_traitsISK_E10value_typeEPNSQ_ISL_E10value_typeEPSM_NS1_7vsmem_tEENKUlT_SK_SL_SM_E_clISE_PiSF_SF_EESJ_SZ_SK_SL_SM_EUlSZ_E0_NS1_11comp_targetILNS1_3genE8ELNS1_11target_archE1030ELNS1_3gpuE2ELNS1_3repE0EEENS1_38merge_mergepath_config_static_selectorELNS0_4arch9wavefront6targetE1EEEvSL_.has_indirect_call, 0
	.section	.AMDGPU.csdata,"",@progbits
; Kernel info:
; codeLenInByte = 0
; TotalNumSgprs: 6
; NumVgprs: 0
; NumAgprs: 0
; TotalNumVgprs: 0
; ScratchSize: 0
; MemoryBound: 0
; FloatMode: 240
; IeeeMode: 1
; LDSByteSize: 0 bytes/workgroup (compile time only)
; SGPRBlocks: 0
; VGPRBlocks: 0
; NumSGPRsForWavesPerEU: 6
; NumVGPRsForWavesPerEU: 1
; AccumOffset: 4
; Occupancy: 8
; WaveLimiterHint : 0
; COMPUTE_PGM_RSRC2:SCRATCH_EN: 0
; COMPUTE_PGM_RSRC2:USER_SGPR: 2
; COMPUTE_PGM_RSRC2:TRAP_HANDLER: 0
; COMPUTE_PGM_RSRC2:TGID_X_EN: 1
; COMPUTE_PGM_RSRC2:TGID_Y_EN: 0
; COMPUTE_PGM_RSRC2:TGID_Z_EN: 0
; COMPUTE_PGM_RSRC2:TIDIG_COMP_CNT: 0
; COMPUTE_PGM_RSRC3_GFX90A:ACCUM_OFFSET: 0
; COMPUTE_PGM_RSRC3_GFX90A:TG_SPLIT: 0
	.section	.text._ZN7rocprim17ROCPRIM_400000_NS6detail17trampoline_kernelINS0_14default_configENS1_38merge_sort_block_merge_config_selectorIiNS0_10empty_typeEEEZZNS1_27merge_sort_block_merge_implIS3_N6thrust23THRUST_200600_302600_NS6detail15normal_iteratorINS9_10device_ptrIiEEEEPS5_jNS1_19radix_merge_compareILb0ELb0EiNS0_19identity_decomposerEEEEE10hipError_tT0_T1_T2_jT3_P12ihipStream_tbPNSt15iterator_traitsISK_E10value_typeEPNSQ_ISL_E10value_typeEPSM_NS1_7vsmem_tEENKUlT_SK_SL_SM_E_clISE_PiSF_SF_EESJ_SZ_SK_SL_SM_EUlSZ_E1_NS1_11comp_targetILNS1_3genE0ELNS1_11target_archE4294967295ELNS1_3gpuE0ELNS1_3repE0EEENS1_36merge_oddeven_config_static_selectorELNS0_4arch9wavefront6targetE1EEEvSL_,"axG",@progbits,_ZN7rocprim17ROCPRIM_400000_NS6detail17trampoline_kernelINS0_14default_configENS1_38merge_sort_block_merge_config_selectorIiNS0_10empty_typeEEEZZNS1_27merge_sort_block_merge_implIS3_N6thrust23THRUST_200600_302600_NS6detail15normal_iteratorINS9_10device_ptrIiEEEEPS5_jNS1_19radix_merge_compareILb0ELb0EiNS0_19identity_decomposerEEEEE10hipError_tT0_T1_T2_jT3_P12ihipStream_tbPNSt15iterator_traitsISK_E10value_typeEPNSQ_ISL_E10value_typeEPSM_NS1_7vsmem_tEENKUlT_SK_SL_SM_E_clISE_PiSF_SF_EESJ_SZ_SK_SL_SM_EUlSZ_E1_NS1_11comp_targetILNS1_3genE0ELNS1_11target_archE4294967295ELNS1_3gpuE0ELNS1_3repE0EEENS1_36merge_oddeven_config_static_selectorELNS0_4arch9wavefront6targetE1EEEvSL_,comdat
	.protected	_ZN7rocprim17ROCPRIM_400000_NS6detail17trampoline_kernelINS0_14default_configENS1_38merge_sort_block_merge_config_selectorIiNS0_10empty_typeEEEZZNS1_27merge_sort_block_merge_implIS3_N6thrust23THRUST_200600_302600_NS6detail15normal_iteratorINS9_10device_ptrIiEEEEPS5_jNS1_19radix_merge_compareILb0ELb0EiNS0_19identity_decomposerEEEEE10hipError_tT0_T1_T2_jT3_P12ihipStream_tbPNSt15iterator_traitsISK_E10value_typeEPNSQ_ISL_E10value_typeEPSM_NS1_7vsmem_tEENKUlT_SK_SL_SM_E_clISE_PiSF_SF_EESJ_SZ_SK_SL_SM_EUlSZ_E1_NS1_11comp_targetILNS1_3genE0ELNS1_11target_archE4294967295ELNS1_3gpuE0ELNS1_3repE0EEENS1_36merge_oddeven_config_static_selectorELNS0_4arch9wavefront6targetE1EEEvSL_ ; -- Begin function _ZN7rocprim17ROCPRIM_400000_NS6detail17trampoline_kernelINS0_14default_configENS1_38merge_sort_block_merge_config_selectorIiNS0_10empty_typeEEEZZNS1_27merge_sort_block_merge_implIS3_N6thrust23THRUST_200600_302600_NS6detail15normal_iteratorINS9_10device_ptrIiEEEEPS5_jNS1_19radix_merge_compareILb0ELb0EiNS0_19identity_decomposerEEEEE10hipError_tT0_T1_T2_jT3_P12ihipStream_tbPNSt15iterator_traitsISK_E10value_typeEPNSQ_ISL_E10value_typeEPSM_NS1_7vsmem_tEENKUlT_SK_SL_SM_E_clISE_PiSF_SF_EESJ_SZ_SK_SL_SM_EUlSZ_E1_NS1_11comp_targetILNS1_3genE0ELNS1_11target_archE4294967295ELNS1_3gpuE0ELNS1_3repE0EEENS1_36merge_oddeven_config_static_selectorELNS0_4arch9wavefront6targetE1EEEvSL_
	.globl	_ZN7rocprim17ROCPRIM_400000_NS6detail17trampoline_kernelINS0_14default_configENS1_38merge_sort_block_merge_config_selectorIiNS0_10empty_typeEEEZZNS1_27merge_sort_block_merge_implIS3_N6thrust23THRUST_200600_302600_NS6detail15normal_iteratorINS9_10device_ptrIiEEEEPS5_jNS1_19radix_merge_compareILb0ELb0EiNS0_19identity_decomposerEEEEE10hipError_tT0_T1_T2_jT3_P12ihipStream_tbPNSt15iterator_traitsISK_E10value_typeEPNSQ_ISL_E10value_typeEPSM_NS1_7vsmem_tEENKUlT_SK_SL_SM_E_clISE_PiSF_SF_EESJ_SZ_SK_SL_SM_EUlSZ_E1_NS1_11comp_targetILNS1_3genE0ELNS1_11target_archE4294967295ELNS1_3gpuE0ELNS1_3repE0EEENS1_36merge_oddeven_config_static_selectorELNS0_4arch9wavefront6targetE1EEEvSL_
	.p2align	8
	.type	_ZN7rocprim17ROCPRIM_400000_NS6detail17trampoline_kernelINS0_14default_configENS1_38merge_sort_block_merge_config_selectorIiNS0_10empty_typeEEEZZNS1_27merge_sort_block_merge_implIS3_N6thrust23THRUST_200600_302600_NS6detail15normal_iteratorINS9_10device_ptrIiEEEEPS5_jNS1_19radix_merge_compareILb0ELb0EiNS0_19identity_decomposerEEEEE10hipError_tT0_T1_T2_jT3_P12ihipStream_tbPNSt15iterator_traitsISK_E10value_typeEPNSQ_ISL_E10value_typeEPSM_NS1_7vsmem_tEENKUlT_SK_SL_SM_E_clISE_PiSF_SF_EESJ_SZ_SK_SL_SM_EUlSZ_E1_NS1_11comp_targetILNS1_3genE0ELNS1_11target_archE4294967295ELNS1_3gpuE0ELNS1_3repE0EEENS1_36merge_oddeven_config_static_selectorELNS0_4arch9wavefront6targetE1EEEvSL_,@function
_ZN7rocprim17ROCPRIM_400000_NS6detail17trampoline_kernelINS0_14default_configENS1_38merge_sort_block_merge_config_selectorIiNS0_10empty_typeEEEZZNS1_27merge_sort_block_merge_implIS3_N6thrust23THRUST_200600_302600_NS6detail15normal_iteratorINS9_10device_ptrIiEEEEPS5_jNS1_19radix_merge_compareILb0ELb0EiNS0_19identity_decomposerEEEEE10hipError_tT0_T1_T2_jT3_P12ihipStream_tbPNSt15iterator_traitsISK_E10value_typeEPNSQ_ISL_E10value_typeEPSM_NS1_7vsmem_tEENKUlT_SK_SL_SM_E_clISE_PiSF_SF_EESJ_SZ_SK_SL_SM_EUlSZ_E1_NS1_11comp_targetILNS1_3genE0ELNS1_11target_archE4294967295ELNS1_3gpuE0ELNS1_3repE0EEENS1_36merge_oddeven_config_static_selectorELNS0_4arch9wavefront6targetE1EEEvSL_: ; @_ZN7rocprim17ROCPRIM_400000_NS6detail17trampoline_kernelINS0_14default_configENS1_38merge_sort_block_merge_config_selectorIiNS0_10empty_typeEEEZZNS1_27merge_sort_block_merge_implIS3_N6thrust23THRUST_200600_302600_NS6detail15normal_iteratorINS9_10device_ptrIiEEEEPS5_jNS1_19radix_merge_compareILb0ELb0EiNS0_19identity_decomposerEEEEE10hipError_tT0_T1_T2_jT3_P12ihipStream_tbPNSt15iterator_traitsISK_E10value_typeEPNSQ_ISL_E10value_typeEPSM_NS1_7vsmem_tEENKUlT_SK_SL_SM_E_clISE_PiSF_SF_EESJ_SZ_SK_SL_SM_EUlSZ_E1_NS1_11comp_targetILNS1_3genE0ELNS1_11target_archE4294967295ELNS1_3gpuE0ELNS1_3repE0EEENS1_36merge_oddeven_config_static_selectorELNS0_4arch9wavefront6targetE1EEEvSL_
; %bb.0:
	s_load_dword s16, s[0:1], 0x20
	s_waitcnt lgkmcnt(0)
	s_lshr_b32 s3, s16, 8
	s_cmp_lg_u32 s2, s3
	s_cselect_b64 s[12:13], -1, 0
	s_cmp_eq_u32 s2, s3
	s_cselect_b64 s[6:7], -1, 0
	s_lshl_b32 s14, s2, 8
	s_sub_i32 s3, s16, s14
	v_cmp_gt_u32_e64 s[4:5], s3, v0
	s_or_b64 s[8:9], s[12:13], s[4:5]
	s_and_saveexec_b64 s[10:11], s[8:9]
	s_cbranch_execz .LBB59_20
; %bb.1:
	s_load_dwordx4 s[8:11], s[0:1], 0x0
	s_load_dword s17, s[0:1], 0x24
	s_mov_b32 s15, 0
	s_lshl_b64 s[0:1], s[14:15], 2
	v_lshlrev_b32_e32 v1, 2, v0
	s_waitcnt lgkmcnt(0)
	s_add_u32 s0, s8, s0
	s_addc_u32 s1, s9, s1
	global_load_dword v2, v1, s[0:1]
	s_lshr_b32 s0, s17, 8
	s_sub_i32 s1, 0, s0
	s_and_b32 s1, s2, s1
	s_and_b32 s0, s1, s0
	s_lshl_b32 s18, s1, 8
	s_sub_i32 s15, 0, s17
	s_cmp_eq_u32 s0, 0
	s_cselect_b64 s[0:1], -1, 0
	s_and_b64 s[2:3], s[0:1], exec
	s_cselect_b32 s15, s17, s15
	s_add_i32 s15, s15, s18
	s_cmp_gt_u32 s16, s15
	v_add_u32_e32 v0, s14, v0
	s_cbranch_scc1 .LBB59_3
; %bb.2:
	v_cmp_gt_u32_e32 vcc, s16, v0
	s_or_b64 s[2:3], vcc, s[12:13]
	s_and_b64 s[2:3], s[2:3], exec
	s_cbranch_execz .LBB59_4
	s_branch .LBB59_18
.LBB59_3:
	s_mov_b64 s[2:3], 0
.LBB59_4:
	s_min_u32 s12, s15, s16
	s_min_u32 s14, s18, s12
	s_add_i32 s18, s18, s12
	s_add_i32 s13, s12, s17
	v_subrev_u32_e32 v0, s18, v0
	s_min_u32 s13, s13, s16
	v_add_u32_e32 v3, s14, v0
	s_and_b64 vcc, exec, s[6:7]
	s_cbranch_vccz .LBB59_12
; %bb.5:
                                        ; implicit-def: $vgpr0
	s_and_saveexec_b64 s[6:7], s[4:5]
	s_cbranch_execz .LBB59_11
; %bb.6:
	s_cmp_ge_u32 s15, s13
	v_mov_b32_e32 v4, s12
	s_cbranch_scc1 .LBB59_10
; %bb.7:
	s_mov_b64 s[4:5], 0
	v_mov_b32_e32 v5, s13
	v_mov_b32_e32 v4, s12
	;; [unrolled: 1-line block ×3, first 2 shown]
.LBB59_8:                               ; =>This Inner Loop Header: Depth=1
	v_add_u32_e32 v0, v4, v5
	v_lshrrev_b32_e32 v0, 1, v0
	v_lshl_add_u64 v[6:7], v[0:1], 2, s[8:9]
	global_load_dword v6, v[6:7], off
	v_add_u32_e32 v7, 1, v0
	s_waitcnt vmcnt(0)
	v_cmp_gt_i32_e32 vcc, v2, v6
	s_nop 1
	v_cndmask_b32_e64 v8, 0, 1, vcc
	v_cmp_le_i32_e32 vcc, v6, v2
	s_nop 1
	v_cndmask_b32_e64 v6, 0, 1, vcc
	v_cndmask_b32_e64 v6, v6, v8, s[0:1]
	v_and_b32_e32 v6, 1, v6
	v_cmp_eq_u32_e32 vcc, 1, v6
	s_nop 1
	v_cndmask_b32_e32 v5, v0, v5, vcc
	v_cndmask_b32_e32 v4, v4, v7, vcc
	v_cmp_ge_u32_e32 vcc, v4, v5
	s_or_b64 s[4:5], vcc, s[4:5]
	s_andn2_b64 exec, exec, s[4:5]
	s_cbranch_execnz .LBB59_8
; %bb.9:
	s_or_b64 exec, exec, s[4:5]
.LBB59_10:
	v_add_u32_e32 v0, v4, v3
	s_or_b64 s[2:3], s[2:3], exec
.LBB59_11:
	s_or_b64 exec, exec, s[6:7]
	s_branch .LBB59_18
.LBB59_12:
                                        ; implicit-def: $vgpr0
	s_cbranch_execz .LBB59_18
; %bb.13:
	s_cmp_ge_u32 s15, s13
	v_mov_b32_e32 v4, s12
	s_cbranch_scc1 .LBB59_17
; %bb.14:
	s_mov_b64 s[2:3], 0
	v_mov_b32_e32 v5, s13
	v_mov_b32_e32 v4, s12
	v_mov_b32_e32 v1, 0
.LBB59_15:                              ; =>This Inner Loop Header: Depth=1
	v_add_u32_e32 v0, v4, v5
	v_lshrrev_b32_e32 v0, 1, v0
	v_lshl_add_u64 v[6:7], v[0:1], 2, s[8:9]
	global_load_dword v6, v[6:7], off
	v_add_u32_e32 v7, 1, v0
	s_waitcnt vmcnt(0)
	v_cmp_gt_i32_e32 vcc, v2, v6
	s_nop 1
	v_cndmask_b32_e64 v8, 0, 1, vcc
	v_cmp_le_i32_e32 vcc, v6, v2
	s_nop 1
	v_cndmask_b32_e64 v6, 0, 1, vcc
	v_cndmask_b32_e64 v6, v6, v8, s[0:1]
	v_and_b32_e32 v6, 1, v6
	v_cmp_eq_u32_e32 vcc, 1, v6
	s_nop 1
	v_cndmask_b32_e32 v5, v0, v5, vcc
	v_cndmask_b32_e32 v4, v4, v7, vcc
	v_cmp_ge_u32_e32 vcc, v4, v5
	s_or_b64 s[2:3], vcc, s[2:3]
	s_andn2_b64 exec, exec, s[2:3]
	s_cbranch_execnz .LBB59_15
; %bb.16:
	s_or_b64 exec, exec, s[2:3]
.LBB59_17:
	v_add_u32_e32 v0, v4, v3
	s_mov_b64 s[2:3], -1
.LBB59_18:
	s_and_b64 exec, exec, s[2:3]
	s_cbranch_execz .LBB59_20
; %bb.19:
	v_mov_b32_e32 v4, s10
	v_mov_b32_e32 v5, s11
	;; [unrolled: 1-line block ×3, first 2 shown]
	v_lshl_add_u64 v[0:1], v[0:1], 2, v[4:5]
	s_waitcnt vmcnt(0)
	global_store_dword v[0:1], v2, off
.LBB59_20:
	s_endpgm
	.section	.rodata,"a",@progbits
	.p2align	6, 0x0
	.amdhsa_kernel _ZN7rocprim17ROCPRIM_400000_NS6detail17trampoline_kernelINS0_14default_configENS1_38merge_sort_block_merge_config_selectorIiNS0_10empty_typeEEEZZNS1_27merge_sort_block_merge_implIS3_N6thrust23THRUST_200600_302600_NS6detail15normal_iteratorINS9_10device_ptrIiEEEEPS5_jNS1_19radix_merge_compareILb0ELb0EiNS0_19identity_decomposerEEEEE10hipError_tT0_T1_T2_jT3_P12ihipStream_tbPNSt15iterator_traitsISK_E10value_typeEPNSQ_ISL_E10value_typeEPSM_NS1_7vsmem_tEENKUlT_SK_SL_SM_E_clISE_PiSF_SF_EESJ_SZ_SK_SL_SM_EUlSZ_E1_NS1_11comp_targetILNS1_3genE0ELNS1_11target_archE4294967295ELNS1_3gpuE0ELNS1_3repE0EEENS1_36merge_oddeven_config_static_selectorELNS0_4arch9wavefront6targetE1EEEvSL_
		.amdhsa_group_segment_fixed_size 0
		.amdhsa_private_segment_fixed_size 0
		.amdhsa_kernarg_size 48
		.amdhsa_user_sgpr_count 2
		.amdhsa_user_sgpr_dispatch_ptr 0
		.amdhsa_user_sgpr_queue_ptr 0
		.amdhsa_user_sgpr_kernarg_segment_ptr 1
		.amdhsa_user_sgpr_dispatch_id 0
		.amdhsa_user_sgpr_kernarg_preload_length 0
		.amdhsa_user_sgpr_kernarg_preload_offset 0
		.amdhsa_user_sgpr_private_segment_size 0
		.amdhsa_uses_dynamic_stack 0
		.amdhsa_enable_private_segment 0
		.amdhsa_system_sgpr_workgroup_id_x 1
		.amdhsa_system_sgpr_workgroup_id_y 0
		.amdhsa_system_sgpr_workgroup_id_z 0
		.amdhsa_system_sgpr_workgroup_info 0
		.amdhsa_system_vgpr_workitem_id 0
		.amdhsa_next_free_vgpr 9
		.amdhsa_next_free_sgpr 19
		.amdhsa_accum_offset 12
		.amdhsa_reserve_vcc 1
		.amdhsa_float_round_mode_32 0
		.amdhsa_float_round_mode_16_64 0
		.amdhsa_float_denorm_mode_32 3
		.amdhsa_float_denorm_mode_16_64 3
		.amdhsa_dx10_clamp 1
		.amdhsa_ieee_mode 1
		.amdhsa_fp16_overflow 0
		.amdhsa_tg_split 0
		.amdhsa_exception_fp_ieee_invalid_op 0
		.amdhsa_exception_fp_denorm_src 0
		.amdhsa_exception_fp_ieee_div_zero 0
		.amdhsa_exception_fp_ieee_overflow 0
		.amdhsa_exception_fp_ieee_underflow 0
		.amdhsa_exception_fp_ieee_inexact 0
		.amdhsa_exception_int_div_zero 0
	.end_amdhsa_kernel
	.section	.text._ZN7rocprim17ROCPRIM_400000_NS6detail17trampoline_kernelINS0_14default_configENS1_38merge_sort_block_merge_config_selectorIiNS0_10empty_typeEEEZZNS1_27merge_sort_block_merge_implIS3_N6thrust23THRUST_200600_302600_NS6detail15normal_iteratorINS9_10device_ptrIiEEEEPS5_jNS1_19radix_merge_compareILb0ELb0EiNS0_19identity_decomposerEEEEE10hipError_tT0_T1_T2_jT3_P12ihipStream_tbPNSt15iterator_traitsISK_E10value_typeEPNSQ_ISL_E10value_typeEPSM_NS1_7vsmem_tEENKUlT_SK_SL_SM_E_clISE_PiSF_SF_EESJ_SZ_SK_SL_SM_EUlSZ_E1_NS1_11comp_targetILNS1_3genE0ELNS1_11target_archE4294967295ELNS1_3gpuE0ELNS1_3repE0EEENS1_36merge_oddeven_config_static_selectorELNS0_4arch9wavefront6targetE1EEEvSL_,"axG",@progbits,_ZN7rocprim17ROCPRIM_400000_NS6detail17trampoline_kernelINS0_14default_configENS1_38merge_sort_block_merge_config_selectorIiNS0_10empty_typeEEEZZNS1_27merge_sort_block_merge_implIS3_N6thrust23THRUST_200600_302600_NS6detail15normal_iteratorINS9_10device_ptrIiEEEEPS5_jNS1_19radix_merge_compareILb0ELb0EiNS0_19identity_decomposerEEEEE10hipError_tT0_T1_T2_jT3_P12ihipStream_tbPNSt15iterator_traitsISK_E10value_typeEPNSQ_ISL_E10value_typeEPSM_NS1_7vsmem_tEENKUlT_SK_SL_SM_E_clISE_PiSF_SF_EESJ_SZ_SK_SL_SM_EUlSZ_E1_NS1_11comp_targetILNS1_3genE0ELNS1_11target_archE4294967295ELNS1_3gpuE0ELNS1_3repE0EEENS1_36merge_oddeven_config_static_selectorELNS0_4arch9wavefront6targetE1EEEvSL_,comdat
.Lfunc_end59:
	.size	_ZN7rocprim17ROCPRIM_400000_NS6detail17trampoline_kernelINS0_14default_configENS1_38merge_sort_block_merge_config_selectorIiNS0_10empty_typeEEEZZNS1_27merge_sort_block_merge_implIS3_N6thrust23THRUST_200600_302600_NS6detail15normal_iteratorINS9_10device_ptrIiEEEEPS5_jNS1_19radix_merge_compareILb0ELb0EiNS0_19identity_decomposerEEEEE10hipError_tT0_T1_T2_jT3_P12ihipStream_tbPNSt15iterator_traitsISK_E10value_typeEPNSQ_ISL_E10value_typeEPSM_NS1_7vsmem_tEENKUlT_SK_SL_SM_E_clISE_PiSF_SF_EESJ_SZ_SK_SL_SM_EUlSZ_E1_NS1_11comp_targetILNS1_3genE0ELNS1_11target_archE4294967295ELNS1_3gpuE0ELNS1_3repE0EEENS1_36merge_oddeven_config_static_selectorELNS0_4arch9wavefront6targetE1EEEvSL_, .Lfunc_end59-_ZN7rocprim17ROCPRIM_400000_NS6detail17trampoline_kernelINS0_14default_configENS1_38merge_sort_block_merge_config_selectorIiNS0_10empty_typeEEEZZNS1_27merge_sort_block_merge_implIS3_N6thrust23THRUST_200600_302600_NS6detail15normal_iteratorINS9_10device_ptrIiEEEEPS5_jNS1_19radix_merge_compareILb0ELb0EiNS0_19identity_decomposerEEEEE10hipError_tT0_T1_T2_jT3_P12ihipStream_tbPNSt15iterator_traitsISK_E10value_typeEPNSQ_ISL_E10value_typeEPSM_NS1_7vsmem_tEENKUlT_SK_SL_SM_E_clISE_PiSF_SF_EESJ_SZ_SK_SL_SM_EUlSZ_E1_NS1_11comp_targetILNS1_3genE0ELNS1_11target_archE4294967295ELNS1_3gpuE0ELNS1_3repE0EEENS1_36merge_oddeven_config_static_selectorELNS0_4arch9wavefront6targetE1EEEvSL_
                                        ; -- End function
	.set _ZN7rocprim17ROCPRIM_400000_NS6detail17trampoline_kernelINS0_14default_configENS1_38merge_sort_block_merge_config_selectorIiNS0_10empty_typeEEEZZNS1_27merge_sort_block_merge_implIS3_N6thrust23THRUST_200600_302600_NS6detail15normal_iteratorINS9_10device_ptrIiEEEEPS5_jNS1_19radix_merge_compareILb0ELb0EiNS0_19identity_decomposerEEEEE10hipError_tT0_T1_T2_jT3_P12ihipStream_tbPNSt15iterator_traitsISK_E10value_typeEPNSQ_ISL_E10value_typeEPSM_NS1_7vsmem_tEENKUlT_SK_SL_SM_E_clISE_PiSF_SF_EESJ_SZ_SK_SL_SM_EUlSZ_E1_NS1_11comp_targetILNS1_3genE0ELNS1_11target_archE4294967295ELNS1_3gpuE0ELNS1_3repE0EEENS1_36merge_oddeven_config_static_selectorELNS0_4arch9wavefront6targetE1EEEvSL_.num_vgpr, 9
	.set _ZN7rocprim17ROCPRIM_400000_NS6detail17trampoline_kernelINS0_14default_configENS1_38merge_sort_block_merge_config_selectorIiNS0_10empty_typeEEEZZNS1_27merge_sort_block_merge_implIS3_N6thrust23THRUST_200600_302600_NS6detail15normal_iteratorINS9_10device_ptrIiEEEEPS5_jNS1_19radix_merge_compareILb0ELb0EiNS0_19identity_decomposerEEEEE10hipError_tT0_T1_T2_jT3_P12ihipStream_tbPNSt15iterator_traitsISK_E10value_typeEPNSQ_ISL_E10value_typeEPSM_NS1_7vsmem_tEENKUlT_SK_SL_SM_E_clISE_PiSF_SF_EESJ_SZ_SK_SL_SM_EUlSZ_E1_NS1_11comp_targetILNS1_3genE0ELNS1_11target_archE4294967295ELNS1_3gpuE0ELNS1_3repE0EEENS1_36merge_oddeven_config_static_selectorELNS0_4arch9wavefront6targetE1EEEvSL_.num_agpr, 0
	.set _ZN7rocprim17ROCPRIM_400000_NS6detail17trampoline_kernelINS0_14default_configENS1_38merge_sort_block_merge_config_selectorIiNS0_10empty_typeEEEZZNS1_27merge_sort_block_merge_implIS3_N6thrust23THRUST_200600_302600_NS6detail15normal_iteratorINS9_10device_ptrIiEEEEPS5_jNS1_19radix_merge_compareILb0ELb0EiNS0_19identity_decomposerEEEEE10hipError_tT0_T1_T2_jT3_P12ihipStream_tbPNSt15iterator_traitsISK_E10value_typeEPNSQ_ISL_E10value_typeEPSM_NS1_7vsmem_tEENKUlT_SK_SL_SM_E_clISE_PiSF_SF_EESJ_SZ_SK_SL_SM_EUlSZ_E1_NS1_11comp_targetILNS1_3genE0ELNS1_11target_archE4294967295ELNS1_3gpuE0ELNS1_3repE0EEENS1_36merge_oddeven_config_static_selectorELNS0_4arch9wavefront6targetE1EEEvSL_.numbered_sgpr, 19
	.set _ZN7rocprim17ROCPRIM_400000_NS6detail17trampoline_kernelINS0_14default_configENS1_38merge_sort_block_merge_config_selectorIiNS0_10empty_typeEEEZZNS1_27merge_sort_block_merge_implIS3_N6thrust23THRUST_200600_302600_NS6detail15normal_iteratorINS9_10device_ptrIiEEEEPS5_jNS1_19radix_merge_compareILb0ELb0EiNS0_19identity_decomposerEEEEE10hipError_tT0_T1_T2_jT3_P12ihipStream_tbPNSt15iterator_traitsISK_E10value_typeEPNSQ_ISL_E10value_typeEPSM_NS1_7vsmem_tEENKUlT_SK_SL_SM_E_clISE_PiSF_SF_EESJ_SZ_SK_SL_SM_EUlSZ_E1_NS1_11comp_targetILNS1_3genE0ELNS1_11target_archE4294967295ELNS1_3gpuE0ELNS1_3repE0EEENS1_36merge_oddeven_config_static_selectorELNS0_4arch9wavefront6targetE1EEEvSL_.num_named_barrier, 0
	.set _ZN7rocprim17ROCPRIM_400000_NS6detail17trampoline_kernelINS0_14default_configENS1_38merge_sort_block_merge_config_selectorIiNS0_10empty_typeEEEZZNS1_27merge_sort_block_merge_implIS3_N6thrust23THRUST_200600_302600_NS6detail15normal_iteratorINS9_10device_ptrIiEEEEPS5_jNS1_19radix_merge_compareILb0ELb0EiNS0_19identity_decomposerEEEEE10hipError_tT0_T1_T2_jT3_P12ihipStream_tbPNSt15iterator_traitsISK_E10value_typeEPNSQ_ISL_E10value_typeEPSM_NS1_7vsmem_tEENKUlT_SK_SL_SM_E_clISE_PiSF_SF_EESJ_SZ_SK_SL_SM_EUlSZ_E1_NS1_11comp_targetILNS1_3genE0ELNS1_11target_archE4294967295ELNS1_3gpuE0ELNS1_3repE0EEENS1_36merge_oddeven_config_static_selectorELNS0_4arch9wavefront6targetE1EEEvSL_.private_seg_size, 0
	.set _ZN7rocprim17ROCPRIM_400000_NS6detail17trampoline_kernelINS0_14default_configENS1_38merge_sort_block_merge_config_selectorIiNS0_10empty_typeEEEZZNS1_27merge_sort_block_merge_implIS3_N6thrust23THRUST_200600_302600_NS6detail15normal_iteratorINS9_10device_ptrIiEEEEPS5_jNS1_19radix_merge_compareILb0ELb0EiNS0_19identity_decomposerEEEEE10hipError_tT0_T1_T2_jT3_P12ihipStream_tbPNSt15iterator_traitsISK_E10value_typeEPNSQ_ISL_E10value_typeEPSM_NS1_7vsmem_tEENKUlT_SK_SL_SM_E_clISE_PiSF_SF_EESJ_SZ_SK_SL_SM_EUlSZ_E1_NS1_11comp_targetILNS1_3genE0ELNS1_11target_archE4294967295ELNS1_3gpuE0ELNS1_3repE0EEENS1_36merge_oddeven_config_static_selectorELNS0_4arch9wavefront6targetE1EEEvSL_.uses_vcc, 1
	.set _ZN7rocprim17ROCPRIM_400000_NS6detail17trampoline_kernelINS0_14default_configENS1_38merge_sort_block_merge_config_selectorIiNS0_10empty_typeEEEZZNS1_27merge_sort_block_merge_implIS3_N6thrust23THRUST_200600_302600_NS6detail15normal_iteratorINS9_10device_ptrIiEEEEPS5_jNS1_19radix_merge_compareILb0ELb0EiNS0_19identity_decomposerEEEEE10hipError_tT0_T1_T2_jT3_P12ihipStream_tbPNSt15iterator_traitsISK_E10value_typeEPNSQ_ISL_E10value_typeEPSM_NS1_7vsmem_tEENKUlT_SK_SL_SM_E_clISE_PiSF_SF_EESJ_SZ_SK_SL_SM_EUlSZ_E1_NS1_11comp_targetILNS1_3genE0ELNS1_11target_archE4294967295ELNS1_3gpuE0ELNS1_3repE0EEENS1_36merge_oddeven_config_static_selectorELNS0_4arch9wavefront6targetE1EEEvSL_.uses_flat_scratch, 0
	.set _ZN7rocprim17ROCPRIM_400000_NS6detail17trampoline_kernelINS0_14default_configENS1_38merge_sort_block_merge_config_selectorIiNS0_10empty_typeEEEZZNS1_27merge_sort_block_merge_implIS3_N6thrust23THRUST_200600_302600_NS6detail15normal_iteratorINS9_10device_ptrIiEEEEPS5_jNS1_19radix_merge_compareILb0ELb0EiNS0_19identity_decomposerEEEEE10hipError_tT0_T1_T2_jT3_P12ihipStream_tbPNSt15iterator_traitsISK_E10value_typeEPNSQ_ISL_E10value_typeEPSM_NS1_7vsmem_tEENKUlT_SK_SL_SM_E_clISE_PiSF_SF_EESJ_SZ_SK_SL_SM_EUlSZ_E1_NS1_11comp_targetILNS1_3genE0ELNS1_11target_archE4294967295ELNS1_3gpuE0ELNS1_3repE0EEENS1_36merge_oddeven_config_static_selectorELNS0_4arch9wavefront6targetE1EEEvSL_.has_dyn_sized_stack, 0
	.set _ZN7rocprim17ROCPRIM_400000_NS6detail17trampoline_kernelINS0_14default_configENS1_38merge_sort_block_merge_config_selectorIiNS0_10empty_typeEEEZZNS1_27merge_sort_block_merge_implIS3_N6thrust23THRUST_200600_302600_NS6detail15normal_iteratorINS9_10device_ptrIiEEEEPS5_jNS1_19radix_merge_compareILb0ELb0EiNS0_19identity_decomposerEEEEE10hipError_tT0_T1_T2_jT3_P12ihipStream_tbPNSt15iterator_traitsISK_E10value_typeEPNSQ_ISL_E10value_typeEPSM_NS1_7vsmem_tEENKUlT_SK_SL_SM_E_clISE_PiSF_SF_EESJ_SZ_SK_SL_SM_EUlSZ_E1_NS1_11comp_targetILNS1_3genE0ELNS1_11target_archE4294967295ELNS1_3gpuE0ELNS1_3repE0EEENS1_36merge_oddeven_config_static_selectorELNS0_4arch9wavefront6targetE1EEEvSL_.has_recursion, 0
	.set _ZN7rocprim17ROCPRIM_400000_NS6detail17trampoline_kernelINS0_14default_configENS1_38merge_sort_block_merge_config_selectorIiNS0_10empty_typeEEEZZNS1_27merge_sort_block_merge_implIS3_N6thrust23THRUST_200600_302600_NS6detail15normal_iteratorINS9_10device_ptrIiEEEEPS5_jNS1_19radix_merge_compareILb0ELb0EiNS0_19identity_decomposerEEEEE10hipError_tT0_T1_T2_jT3_P12ihipStream_tbPNSt15iterator_traitsISK_E10value_typeEPNSQ_ISL_E10value_typeEPSM_NS1_7vsmem_tEENKUlT_SK_SL_SM_E_clISE_PiSF_SF_EESJ_SZ_SK_SL_SM_EUlSZ_E1_NS1_11comp_targetILNS1_3genE0ELNS1_11target_archE4294967295ELNS1_3gpuE0ELNS1_3repE0EEENS1_36merge_oddeven_config_static_selectorELNS0_4arch9wavefront6targetE1EEEvSL_.has_indirect_call, 0
	.section	.AMDGPU.csdata,"",@progbits
; Kernel info:
; codeLenInByte = 584
; TotalNumSgprs: 25
; NumVgprs: 9
; NumAgprs: 0
; TotalNumVgprs: 9
; ScratchSize: 0
; MemoryBound: 0
; FloatMode: 240
; IeeeMode: 1
; LDSByteSize: 0 bytes/workgroup (compile time only)
; SGPRBlocks: 3
; VGPRBlocks: 1
; NumSGPRsForWavesPerEU: 25
; NumVGPRsForWavesPerEU: 9
; AccumOffset: 12
; Occupancy: 8
; WaveLimiterHint : 0
; COMPUTE_PGM_RSRC2:SCRATCH_EN: 0
; COMPUTE_PGM_RSRC2:USER_SGPR: 2
; COMPUTE_PGM_RSRC2:TRAP_HANDLER: 0
; COMPUTE_PGM_RSRC2:TGID_X_EN: 1
; COMPUTE_PGM_RSRC2:TGID_Y_EN: 0
; COMPUTE_PGM_RSRC2:TGID_Z_EN: 0
; COMPUTE_PGM_RSRC2:TIDIG_COMP_CNT: 0
; COMPUTE_PGM_RSRC3_GFX90A:ACCUM_OFFSET: 2
; COMPUTE_PGM_RSRC3_GFX90A:TG_SPLIT: 0
	.section	.text._ZN7rocprim17ROCPRIM_400000_NS6detail17trampoline_kernelINS0_14default_configENS1_38merge_sort_block_merge_config_selectorIiNS0_10empty_typeEEEZZNS1_27merge_sort_block_merge_implIS3_N6thrust23THRUST_200600_302600_NS6detail15normal_iteratorINS9_10device_ptrIiEEEEPS5_jNS1_19radix_merge_compareILb0ELb0EiNS0_19identity_decomposerEEEEE10hipError_tT0_T1_T2_jT3_P12ihipStream_tbPNSt15iterator_traitsISK_E10value_typeEPNSQ_ISL_E10value_typeEPSM_NS1_7vsmem_tEENKUlT_SK_SL_SM_E_clISE_PiSF_SF_EESJ_SZ_SK_SL_SM_EUlSZ_E1_NS1_11comp_targetILNS1_3genE10ELNS1_11target_archE1201ELNS1_3gpuE5ELNS1_3repE0EEENS1_36merge_oddeven_config_static_selectorELNS0_4arch9wavefront6targetE1EEEvSL_,"axG",@progbits,_ZN7rocprim17ROCPRIM_400000_NS6detail17trampoline_kernelINS0_14default_configENS1_38merge_sort_block_merge_config_selectorIiNS0_10empty_typeEEEZZNS1_27merge_sort_block_merge_implIS3_N6thrust23THRUST_200600_302600_NS6detail15normal_iteratorINS9_10device_ptrIiEEEEPS5_jNS1_19radix_merge_compareILb0ELb0EiNS0_19identity_decomposerEEEEE10hipError_tT0_T1_T2_jT3_P12ihipStream_tbPNSt15iterator_traitsISK_E10value_typeEPNSQ_ISL_E10value_typeEPSM_NS1_7vsmem_tEENKUlT_SK_SL_SM_E_clISE_PiSF_SF_EESJ_SZ_SK_SL_SM_EUlSZ_E1_NS1_11comp_targetILNS1_3genE10ELNS1_11target_archE1201ELNS1_3gpuE5ELNS1_3repE0EEENS1_36merge_oddeven_config_static_selectorELNS0_4arch9wavefront6targetE1EEEvSL_,comdat
	.protected	_ZN7rocprim17ROCPRIM_400000_NS6detail17trampoline_kernelINS0_14default_configENS1_38merge_sort_block_merge_config_selectorIiNS0_10empty_typeEEEZZNS1_27merge_sort_block_merge_implIS3_N6thrust23THRUST_200600_302600_NS6detail15normal_iteratorINS9_10device_ptrIiEEEEPS5_jNS1_19radix_merge_compareILb0ELb0EiNS0_19identity_decomposerEEEEE10hipError_tT0_T1_T2_jT3_P12ihipStream_tbPNSt15iterator_traitsISK_E10value_typeEPNSQ_ISL_E10value_typeEPSM_NS1_7vsmem_tEENKUlT_SK_SL_SM_E_clISE_PiSF_SF_EESJ_SZ_SK_SL_SM_EUlSZ_E1_NS1_11comp_targetILNS1_3genE10ELNS1_11target_archE1201ELNS1_3gpuE5ELNS1_3repE0EEENS1_36merge_oddeven_config_static_selectorELNS0_4arch9wavefront6targetE1EEEvSL_ ; -- Begin function _ZN7rocprim17ROCPRIM_400000_NS6detail17trampoline_kernelINS0_14default_configENS1_38merge_sort_block_merge_config_selectorIiNS0_10empty_typeEEEZZNS1_27merge_sort_block_merge_implIS3_N6thrust23THRUST_200600_302600_NS6detail15normal_iteratorINS9_10device_ptrIiEEEEPS5_jNS1_19radix_merge_compareILb0ELb0EiNS0_19identity_decomposerEEEEE10hipError_tT0_T1_T2_jT3_P12ihipStream_tbPNSt15iterator_traitsISK_E10value_typeEPNSQ_ISL_E10value_typeEPSM_NS1_7vsmem_tEENKUlT_SK_SL_SM_E_clISE_PiSF_SF_EESJ_SZ_SK_SL_SM_EUlSZ_E1_NS1_11comp_targetILNS1_3genE10ELNS1_11target_archE1201ELNS1_3gpuE5ELNS1_3repE0EEENS1_36merge_oddeven_config_static_selectorELNS0_4arch9wavefront6targetE1EEEvSL_
	.globl	_ZN7rocprim17ROCPRIM_400000_NS6detail17trampoline_kernelINS0_14default_configENS1_38merge_sort_block_merge_config_selectorIiNS0_10empty_typeEEEZZNS1_27merge_sort_block_merge_implIS3_N6thrust23THRUST_200600_302600_NS6detail15normal_iteratorINS9_10device_ptrIiEEEEPS5_jNS1_19radix_merge_compareILb0ELb0EiNS0_19identity_decomposerEEEEE10hipError_tT0_T1_T2_jT3_P12ihipStream_tbPNSt15iterator_traitsISK_E10value_typeEPNSQ_ISL_E10value_typeEPSM_NS1_7vsmem_tEENKUlT_SK_SL_SM_E_clISE_PiSF_SF_EESJ_SZ_SK_SL_SM_EUlSZ_E1_NS1_11comp_targetILNS1_3genE10ELNS1_11target_archE1201ELNS1_3gpuE5ELNS1_3repE0EEENS1_36merge_oddeven_config_static_selectorELNS0_4arch9wavefront6targetE1EEEvSL_
	.p2align	8
	.type	_ZN7rocprim17ROCPRIM_400000_NS6detail17trampoline_kernelINS0_14default_configENS1_38merge_sort_block_merge_config_selectorIiNS0_10empty_typeEEEZZNS1_27merge_sort_block_merge_implIS3_N6thrust23THRUST_200600_302600_NS6detail15normal_iteratorINS9_10device_ptrIiEEEEPS5_jNS1_19radix_merge_compareILb0ELb0EiNS0_19identity_decomposerEEEEE10hipError_tT0_T1_T2_jT3_P12ihipStream_tbPNSt15iterator_traitsISK_E10value_typeEPNSQ_ISL_E10value_typeEPSM_NS1_7vsmem_tEENKUlT_SK_SL_SM_E_clISE_PiSF_SF_EESJ_SZ_SK_SL_SM_EUlSZ_E1_NS1_11comp_targetILNS1_3genE10ELNS1_11target_archE1201ELNS1_3gpuE5ELNS1_3repE0EEENS1_36merge_oddeven_config_static_selectorELNS0_4arch9wavefront6targetE1EEEvSL_,@function
_ZN7rocprim17ROCPRIM_400000_NS6detail17trampoline_kernelINS0_14default_configENS1_38merge_sort_block_merge_config_selectorIiNS0_10empty_typeEEEZZNS1_27merge_sort_block_merge_implIS3_N6thrust23THRUST_200600_302600_NS6detail15normal_iteratorINS9_10device_ptrIiEEEEPS5_jNS1_19radix_merge_compareILb0ELb0EiNS0_19identity_decomposerEEEEE10hipError_tT0_T1_T2_jT3_P12ihipStream_tbPNSt15iterator_traitsISK_E10value_typeEPNSQ_ISL_E10value_typeEPSM_NS1_7vsmem_tEENKUlT_SK_SL_SM_E_clISE_PiSF_SF_EESJ_SZ_SK_SL_SM_EUlSZ_E1_NS1_11comp_targetILNS1_3genE10ELNS1_11target_archE1201ELNS1_3gpuE5ELNS1_3repE0EEENS1_36merge_oddeven_config_static_selectorELNS0_4arch9wavefront6targetE1EEEvSL_: ; @_ZN7rocprim17ROCPRIM_400000_NS6detail17trampoline_kernelINS0_14default_configENS1_38merge_sort_block_merge_config_selectorIiNS0_10empty_typeEEEZZNS1_27merge_sort_block_merge_implIS3_N6thrust23THRUST_200600_302600_NS6detail15normal_iteratorINS9_10device_ptrIiEEEEPS5_jNS1_19radix_merge_compareILb0ELb0EiNS0_19identity_decomposerEEEEE10hipError_tT0_T1_T2_jT3_P12ihipStream_tbPNSt15iterator_traitsISK_E10value_typeEPNSQ_ISL_E10value_typeEPSM_NS1_7vsmem_tEENKUlT_SK_SL_SM_E_clISE_PiSF_SF_EESJ_SZ_SK_SL_SM_EUlSZ_E1_NS1_11comp_targetILNS1_3genE10ELNS1_11target_archE1201ELNS1_3gpuE5ELNS1_3repE0EEENS1_36merge_oddeven_config_static_selectorELNS0_4arch9wavefront6targetE1EEEvSL_
; %bb.0:
	.section	.rodata,"a",@progbits
	.p2align	6, 0x0
	.amdhsa_kernel _ZN7rocprim17ROCPRIM_400000_NS6detail17trampoline_kernelINS0_14default_configENS1_38merge_sort_block_merge_config_selectorIiNS0_10empty_typeEEEZZNS1_27merge_sort_block_merge_implIS3_N6thrust23THRUST_200600_302600_NS6detail15normal_iteratorINS9_10device_ptrIiEEEEPS5_jNS1_19radix_merge_compareILb0ELb0EiNS0_19identity_decomposerEEEEE10hipError_tT0_T1_T2_jT3_P12ihipStream_tbPNSt15iterator_traitsISK_E10value_typeEPNSQ_ISL_E10value_typeEPSM_NS1_7vsmem_tEENKUlT_SK_SL_SM_E_clISE_PiSF_SF_EESJ_SZ_SK_SL_SM_EUlSZ_E1_NS1_11comp_targetILNS1_3genE10ELNS1_11target_archE1201ELNS1_3gpuE5ELNS1_3repE0EEENS1_36merge_oddeven_config_static_selectorELNS0_4arch9wavefront6targetE1EEEvSL_
		.amdhsa_group_segment_fixed_size 0
		.amdhsa_private_segment_fixed_size 0
		.amdhsa_kernarg_size 48
		.amdhsa_user_sgpr_count 2
		.amdhsa_user_sgpr_dispatch_ptr 0
		.amdhsa_user_sgpr_queue_ptr 0
		.amdhsa_user_sgpr_kernarg_segment_ptr 1
		.amdhsa_user_sgpr_dispatch_id 0
		.amdhsa_user_sgpr_kernarg_preload_length 0
		.amdhsa_user_sgpr_kernarg_preload_offset 0
		.amdhsa_user_sgpr_private_segment_size 0
		.amdhsa_uses_dynamic_stack 0
		.amdhsa_enable_private_segment 0
		.amdhsa_system_sgpr_workgroup_id_x 1
		.amdhsa_system_sgpr_workgroup_id_y 0
		.amdhsa_system_sgpr_workgroup_id_z 0
		.amdhsa_system_sgpr_workgroup_info 0
		.amdhsa_system_vgpr_workitem_id 0
		.amdhsa_next_free_vgpr 1
		.amdhsa_next_free_sgpr 0
		.amdhsa_accum_offset 4
		.amdhsa_reserve_vcc 0
		.amdhsa_float_round_mode_32 0
		.amdhsa_float_round_mode_16_64 0
		.amdhsa_float_denorm_mode_32 3
		.amdhsa_float_denorm_mode_16_64 3
		.amdhsa_dx10_clamp 1
		.amdhsa_ieee_mode 1
		.amdhsa_fp16_overflow 0
		.amdhsa_tg_split 0
		.amdhsa_exception_fp_ieee_invalid_op 0
		.amdhsa_exception_fp_denorm_src 0
		.amdhsa_exception_fp_ieee_div_zero 0
		.amdhsa_exception_fp_ieee_overflow 0
		.amdhsa_exception_fp_ieee_underflow 0
		.amdhsa_exception_fp_ieee_inexact 0
		.amdhsa_exception_int_div_zero 0
	.end_amdhsa_kernel
	.section	.text._ZN7rocprim17ROCPRIM_400000_NS6detail17trampoline_kernelINS0_14default_configENS1_38merge_sort_block_merge_config_selectorIiNS0_10empty_typeEEEZZNS1_27merge_sort_block_merge_implIS3_N6thrust23THRUST_200600_302600_NS6detail15normal_iteratorINS9_10device_ptrIiEEEEPS5_jNS1_19radix_merge_compareILb0ELb0EiNS0_19identity_decomposerEEEEE10hipError_tT0_T1_T2_jT3_P12ihipStream_tbPNSt15iterator_traitsISK_E10value_typeEPNSQ_ISL_E10value_typeEPSM_NS1_7vsmem_tEENKUlT_SK_SL_SM_E_clISE_PiSF_SF_EESJ_SZ_SK_SL_SM_EUlSZ_E1_NS1_11comp_targetILNS1_3genE10ELNS1_11target_archE1201ELNS1_3gpuE5ELNS1_3repE0EEENS1_36merge_oddeven_config_static_selectorELNS0_4arch9wavefront6targetE1EEEvSL_,"axG",@progbits,_ZN7rocprim17ROCPRIM_400000_NS6detail17trampoline_kernelINS0_14default_configENS1_38merge_sort_block_merge_config_selectorIiNS0_10empty_typeEEEZZNS1_27merge_sort_block_merge_implIS3_N6thrust23THRUST_200600_302600_NS6detail15normal_iteratorINS9_10device_ptrIiEEEEPS5_jNS1_19radix_merge_compareILb0ELb0EiNS0_19identity_decomposerEEEEE10hipError_tT0_T1_T2_jT3_P12ihipStream_tbPNSt15iterator_traitsISK_E10value_typeEPNSQ_ISL_E10value_typeEPSM_NS1_7vsmem_tEENKUlT_SK_SL_SM_E_clISE_PiSF_SF_EESJ_SZ_SK_SL_SM_EUlSZ_E1_NS1_11comp_targetILNS1_3genE10ELNS1_11target_archE1201ELNS1_3gpuE5ELNS1_3repE0EEENS1_36merge_oddeven_config_static_selectorELNS0_4arch9wavefront6targetE1EEEvSL_,comdat
.Lfunc_end60:
	.size	_ZN7rocprim17ROCPRIM_400000_NS6detail17trampoline_kernelINS0_14default_configENS1_38merge_sort_block_merge_config_selectorIiNS0_10empty_typeEEEZZNS1_27merge_sort_block_merge_implIS3_N6thrust23THRUST_200600_302600_NS6detail15normal_iteratorINS9_10device_ptrIiEEEEPS5_jNS1_19radix_merge_compareILb0ELb0EiNS0_19identity_decomposerEEEEE10hipError_tT0_T1_T2_jT3_P12ihipStream_tbPNSt15iterator_traitsISK_E10value_typeEPNSQ_ISL_E10value_typeEPSM_NS1_7vsmem_tEENKUlT_SK_SL_SM_E_clISE_PiSF_SF_EESJ_SZ_SK_SL_SM_EUlSZ_E1_NS1_11comp_targetILNS1_3genE10ELNS1_11target_archE1201ELNS1_3gpuE5ELNS1_3repE0EEENS1_36merge_oddeven_config_static_selectorELNS0_4arch9wavefront6targetE1EEEvSL_, .Lfunc_end60-_ZN7rocprim17ROCPRIM_400000_NS6detail17trampoline_kernelINS0_14default_configENS1_38merge_sort_block_merge_config_selectorIiNS0_10empty_typeEEEZZNS1_27merge_sort_block_merge_implIS3_N6thrust23THRUST_200600_302600_NS6detail15normal_iteratorINS9_10device_ptrIiEEEEPS5_jNS1_19radix_merge_compareILb0ELb0EiNS0_19identity_decomposerEEEEE10hipError_tT0_T1_T2_jT3_P12ihipStream_tbPNSt15iterator_traitsISK_E10value_typeEPNSQ_ISL_E10value_typeEPSM_NS1_7vsmem_tEENKUlT_SK_SL_SM_E_clISE_PiSF_SF_EESJ_SZ_SK_SL_SM_EUlSZ_E1_NS1_11comp_targetILNS1_3genE10ELNS1_11target_archE1201ELNS1_3gpuE5ELNS1_3repE0EEENS1_36merge_oddeven_config_static_selectorELNS0_4arch9wavefront6targetE1EEEvSL_
                                        ; -- End function
	.set _ZN7rocprim17ROCPRIM_400000_NS6detail17trampoline_kernelINS0_14default_configENS1_38merge_sort_block_merge_config_selectorIiNS0_10empty_typeEEEZZNS1_27merge_sort_block_merge_implIS3_N6thrust23THRUST_200600_302600_NS6detail15normal_iteratorINS9_10device_ptrIiEEEEPS5_jNS1_19radix_merge_compareILb0ELb0EiNS0_19identity_decomposerEEEEE10hipError_tT0_T1_T2_jT3_P12ihipStream_tbPNSt15iterator_traitsISK_E10value_typeEPNSQ_ISL_E10value_typeEPSM_NS1_7vsmem_tEENKUlT_SK_SL_SM_E_clISE_PiSF_SF_EESJ_SZ_SK_SL_SM_EUlSZ_E1_NS1_11comp_targetILNS1_3genE10ELNS1_11target_archE1201ELNS1_3gpuE5ELNS1_3repE0EEENS1_36merge_oddeven_config_static_selectorELNS0_4arch9wavefront6targetE1EEEvSL_.num_vgpr, 0
	.set _ZN7rocprim17ROCPRIM_400000_NS6detail17trampoline_kernelINS0_14default_configENS1_38merge_sort_block_merge_config_selectorIiNS0_10empty_typeEEEZZNS1_27merge_sort_block_merge_implIS3_N6thrust23THRUST_200600_302600_NS6detail15normal_iteratorINS9_10device_ptrIiEEEEPS5_jNS1_19radix_merge_compareILb0ELb0EiNS0_19identity_decomposerEEEEE10hipError_tT0_T1_T2_jT3_P12ihipStream_tbPNSt15iterator_traitsISK_E10value_typeEPNSQ_ISL_E10value_typeEPSM_NS1_7vsmem_tEENKUlT_SK_SL_SM_E_clISE_PiSF_SF_EESJ_SZ_SK_SL_SM_EUlSZ_E1_NS1_11comp_targetILNS1_3genE10ELNS1_11target_archE1201ELNS1_3gpuE5ELNS1_3repE0EEENS1_36merge_oddeven_config_static_selectorELNS0_4arch9wavefront6targetE1EEEvSL_.num_agpr, 0
	.set _ZN7rocprim17ROCPRIM_400000_NS6detail17trampoline_kernelINS0_14default_configENS1_38merge_sort_block_merge_config_selectorIiNS0_10empty_typeEEEZZNS1_27merge_sort_block_merge_implIS3_N6thrust23THRUST_200600_302600_NS6detail15normal_iteratorINS9_10device_ptrIiEEEEPS5_jNS1_19radix_merge_compareILb0ELb0EiNS0_19identity_decomposerEEEEE10hipError_tT0_T1_T2_jT3_P12ihipStream_tbPNSt15iterator_traitsISK_E10value_typeEPNSQ_ISL_E10value_typeEPSM_NS1_7vsmem_tEENKUlT_SK_SL_SM_E_clISE_PiSF_SF_EESJ_SZ_SK_SL_SM_EUlSZ_E1_NS1_11comp_targetILNS1_3genE10ELNS1_11target_archE1201ELNS1_3gpuE5ELNS1_3repE0EEENS1_36merge_oddeven_config_static_selectorELNS0_4arch9wavefront6targetE1EEEvSL_.numbered_sgpr, 0
	.set _ZN7rocprim17ROCPRIM_400000_NS6detail17trampoline_kernelINS0_14default_configENS1_38merge_sort_block_merge_config_selectorIiNS0_10empty_typeEEEZZNS1_27merge_sort_block_merge_implIS3_N6thrust23THRUST_200600_302600_NS6detail15normal_iteratorINS9_10device_ptrIiEEEEPS5_jNS1_19radix_merge_compareILb0ELb0EiNS0_19identity_decomposerEEEEE10hipError_tT0_T1_T2_jT3_P12ihipStream_tbPNSt15iterator_traitsISK_E10value_typeEPNSQ_ISL_E10value_typeEPSM_NS1_7vsmem_tEENKUlT_SK_SL_SM_E_clISE_PiSF_SF_EESJ_SZ_SK_SL_SM_EUlSZ_E1_NS1_11comp_targetILNS1_3genE10ELNS1_11target_archE1201ELNS1_3gpuE5ELNS1_3repE0EEENS1_36merge_oddeven_config_static_selectorELNS0_4arch9wavefront6targetE1EEEvSL_.num_named_barrier, 0
	.set _ZN7rocprim17ROCPRIM_400000_NS6detail17trampoline_kernelINS0_14default_configENS1_38merge_sort_block_merge_config_selectorIiNS0_10empty_typeEEEZZNS1_27merge_sort_block_merge_implIS3_N6thrust23THRUST_200600_302600_NS6detail15normal_iteratorINS9_10device_ptrIiEEEEPS5_jNS1_19radix_merge_compareILb0ELb0EiNS0_19identity_decomposerEEEEE10hipError_tT0_T1_T2_jT3_P12ihipStream_tbPNSt15iterator_traitsISK_E10value_typeEPNSQ_ISL_E10value_typeEPSM_NS1_7vsmem_tEENKUlT_SK_SL_SM_E_clISE_PiSF_SF_EESJ_SZ_SK_SL_SM_EUlSZ_E1_NS1_11comp_targetILNS1_3genE10ELNS1_11target_archE1201ELNS1_3gpuE5ELNS1_3repE0EEENS1_36merge_oddeven_config_static_selectorELNS0_4arch9wavefront6targetE1EEEvSL_.private_seg_size, 0
	.set _ZN7rocprim17ROCPRIM_400000_NS6detail17trampoline_kernelINS0_14default_configENS1_38merge_sort_block_merge_config_selectorIiNS0_10empty_typeEEEZZNS1_27merge_sort_block_merge_implIS3_N6thrust23THRUST_200600_302600_NS6detail15normal_iteratorINS9_10device_ptrIiEEEEPS5_jNS1_19radix_merge_compareILb0ELb0EiNS0_19identity_decomposerEEEEE10hipError_tT0_T1_T2_jT3_P12ihipStream_tbPNSt15iterator_traitsISK_E10value_typeEPNSQ_ISL_E10value_typeEPSM_NS1_7vsmem_tEENKUlT_SK_SL_SM_E_clISE_PiSF_SF_EESJ_SZ_SK_SL_SM_EUlSZ_E1_NS1_11comp_targetILNS1_3genE10ELNS1_11target_archE1201ELNS1_3gpuE5ELNS1_3repE0EEENS1_36merge_oddeven_config_static_selectorELNS0_4arch9wavefront6targetE1EEEvSL_.uses_vcc, 0
	.set _ZN7rocprim17ROCPRIM_400000_NS6detail17trampoline_kernelINS0_14default_configENS1_38merge_sort_block_merge_config_selectorIiNS0_10empty_typeEEEZZNS1_27merge_sort_block_merge_implIS3_N6thrust23THRUST_200600_302600_NS6detail15normal_iteratorINS9_10device_ptrIiEEEEPS5_jNS1_19radix_merge_compareILb0ELb0EiNS0_19identity_decomposerEEEEE10hipError_tT0_T1_T2_jT3_P12ihipStream_tbPNSt15iterator_traitsISK_E10value_typeEPNSQ_ISL_E10value_typeEPSM_NS1_7vsmem_tEENKUlT_SK_SL_SM_E_clISE_PiSF_SF_EESJ_SZ_SK_SL_SM_EUlSZ_E1_NS1_11comp_targetILNS1_3genE10ELNS1_11target_archE1201ELNS1_3gpuE5ELNS1_3repE0EEENS1_36merge_oddeven_config_static_selectorELNS0_4arch9wavefront6targetE1EEEvSL_.uses_flat_scratch, 0
	.set _ZN7rocprim17ROCPRIM_400000_NS6detail17trampoline_kernelINS0_14default_configENS1_38merge_sort_block_merge_config_selectorIiNS0_10empty_typeEEEZZNS1_27merge_sort_block_merge_implIS3_N6thrust23THRUST_200600_302600_NS6detail15normal_iteratorINS9_10device_ptrIiEEEEPS5_jNS1_19radix_merge_compareILb0ELb0EiNS0_19identity_decomposerEEEEE10hipError_tT0_T1_T2_jT3_P12ihipStream_tbPNSt15iterator_traitsISK_E10value_typeEPNSQ_ISL_E10value_typeEPSM_NS1_7vsmem_tEENKUlT_SK_SL_SM_E_clISE_PiSF_SF_EESJ_SZ_SK_SL_SM_EUlSZ_E1_NS1_11comp_targetILNS1_3genE10ELNS1_11target_archE1201ELNS1_3gpuE5ELNS1_3repE0EEENS1_36merge_oddeven_config_static_selectorELNS0_4arch9wavefront6targetE1EEEvSL_.has_dyn_sized_stack, 0
	.set _ZN7rocprim17ROCPRIM_400000_NS6detail17trampoline_kernelINS0_14default_configENS1_38merge_sort_block_merge_config_selectorIiNS0_10empty_typeEEEZZNS1_27merge_sort_block_merge_implIS3_N6thrust23THRUST_200600_302600_NS6detail15normal_iteratorINS9_10device_ptrIiEEEEPS5_jNS1_19radix_merge_compareILb0ELb0EiNS0_19identity_decomposerEEEEE10hipError_tT0_T1_T2_jT3_P12ihipStream_tbPNSt15iterator_traitsISK_E10value_typeEPNSQ_ISL_E10value_typeEPSM_NS1_7vsmem_tEENKUlT_SK_SL_SM_E_clISE_PiSF_SF_EESJ_SZ_SK_SL_SM_EUlSZ_E1_NS1_11comp_targetILNS1_3genE10ELNS1_11target_archE1201ELNS1_3gpuE5ELNS1_3repE0EEENS1_36merge_oddeven_config_static_selectorELNS0_4arch9wavefront6targetE1EEEvSL_.has_recursion, 0
	.set _ZN7rocprim17ROCPRIM_400000_NS6detail17trampoline_kernelINS0_14default_configENS1_38merge_sort_block_merge_config_selectorIiNS0_10empty_typeEEEZZNS1_27merge_sort_block_merge_implIS3_N6thrust23THRUST_200600_302600_NS6detail15normal_iteratorINS9_10device_ptrIiEEEEPS5_jNS1_19radix_merge_compareILb0ELb0EiNS0_19identity_decomposerEEEEE10hipError_tT0_T1_T2_jT3_P12ihipStream_tbPNSt15iterator_traitsISK_E10value_typeEPNSQ_ISL_E10value_typeEPSM_NS1_7vsmem_tEENKUlT_SK_SL_SM_E_clISE_PiSF_SF_EESJ_SZ_SK_SL_SM_EUlSZ_E1_NS1_11comp_targetILNS1_3genE10ELNS1_11target_archE1201ELNS1_3gpuE5ELNS1_3repE0EEENS1_36merge_oddeven_config_static_selectorELNS0_4arch9wavefront6targetE1EEEvSL_.has_indirect_call, 0
	.section	.AMDGPU.csdata,"",@progbits
; Kernel info:
; codeLenInByte = 0
; TotalNumSgprs: 6
; NumVgprs: 0
; NumAgprs: 0
; TotalNumVgprs: 0
; ScratchSize: 0
; MemoryBound: 0
; FloatMode: 240
; IeeeMode: 1
; LDSByteSize: 0 bytes/workgroup (compile time only)
; SGPRBlocks: 0
; VGPRBlocks: 0
; NumSGPRsForWavesPerEU: 6
; NumVGPRsForWavesPerEU: 1
; AccumOffset: 4
; Occupancy: 8
; WaveLimiterHint : 0
; COMPUTE_PGM_RSRC2:SCRATCH_EN: 0
; COMPUTE_PGM_RSRC2:USER_SGPR: 2
; COMPUTE_PGM_RSRC2:TRAP_HANDLER: 0
; COMPUTE_PGM_RSRC2:TGID_X_EN: 1
; COMPUTE_PGM_RSRC2:TGID_Y_EN: 0
; COMPUTE_PGM_RSRC2:TGID_Z_EN: 0
; COMPUTE_PGM_RSRC2:TIDIG_COMP_CNT: 0
; COMPUTE_PGM_RSRC3_GFX90A:ACCUM_OFFSET: 0
; COMPUTE_PGM_RSRC3_GFX90A:TG_SPLIT: 0
	.section	.text._ZN7rocprim17ROCPRIM_400000_NS6detail17trampoline_kernelINS0_14default_configENS1_38merge_sort_block_merge_config_selectorIiNS0_10empty_typeEEEZZNS1_27merge_sort_block_merge_implIS3_N6thrust23THRUST_200600_302600_NS6detail15normal_iteratorINS9_10device_ptrIiEEEEPS5_jNS1_19radix_merge_compareILb0ELb0EiNS0_19identity_decomposerEEEEE10hipError_tT0_T1_T2_jT3_P12ihipStream_tbPNSt15iterator_traitsISK_E10value_typeEPNSQ_ISL_E10value_typeEPSM_NS1_7vsmem_tEENKUlT_SK_SL_SM_E_clISE_PiSF_SF_EESJ_SZ_SK_SL_SM_EUlSZ_E1_NS1_11comp_targetILNS1_3genE5ELNS1_11target_archE942ELNS1_3gpuE9ELNS1_3repE0EEENS1_36merge_oddeven_config_static_selectorELNS0_4arch9wavefront6targetE1EEEvSL_,"axG",@progbits,_ZN7rocprim17ROCPRIM_400000_NS6detail17trampoline_kernelINS0_14default_configENS1_38merge_sort_block_merge_config_selectorIiNS0_10empty_typeEEEZZNS1_27merge_sort_block_merge_implIS3_N6thrust23THRUST_200600_302600_NS6detail15normal_iteratorINS9_10device_ptrIiEEEEPS5_jNS1_19radix_merge_compareILb0ELb0EiNS0_19identity_decomposerEEEEE10hipError_tT0_T1_T2_jT3_P12ihipStream_tbPNSt15iterator_traitsISK_E10value_typeEPNSQ_ISL_E10value_typeEPSM_NS1_7vsmem_tEENKUlT_SK_SL_SM_E_clISE_PiSF_SF_EESJ_SZ_SK_SL_SM_EUlSZ_E1_NS1_11comp_targetILNS1_3genE5ELNS1_11target_archE942ELNS1_3gpuE9ELNS1_3repE0EEENS1_36merge_oddeven_config_static_selectorELNS0_4arch9wavefront6targetE1EEEvSL_,comdat
	.protected	_ZN7rocprim17ROCPRIM_400000_NS6detail17trampoline_kernelINS0_14default_configENS1_38merge_sort_block_merge_config_selectorIiNS0_10empty_typeEEEZZNS1_27merge_sort_block_merge_implIS3_N6thrust23THRUST_200600_302600_NS6detail15normal_iteratorINS9_10device_ptrIiEEEEPS5_jNS1_19radix_merge_compareILb0ELb0EiNS0_19identity_decomposerEEEEE10hipError_tT0_T1_T2_jT3_P12ihipStream_tbPNSt15iterator_traitsISK_E10value_typeEPNSQ_ISL_E10value_typeEPSM_NS1_7vsmem_tEENKUlT_SK_SL_SM_E_clISE_PiSF_SF_EESJ_SZ_SK_SL_SM_EUlSZ_E1_NS1_11comp_targetILNS1_3genE5ELNS1_11target_archE942ELNS1_3gpuE9ELNS1_3repE0EEENS1_36merge_oddeven_config_static_selectorELNS0_4arch9wavefront6targetE1EEEvSL_ ; -- Begin function _ZN7rocprim17ROCPRIM_400000_NS6detail17trampoline_kernelINS0_14default_configENS1_38merge_sort_block_merge_config_selectorIiNS0_10empty_typeEEEZZNS1_27merge_sort_block_merge_implIS3_N6thrust23THRUST_200600_302600_NS6detail15normal_iteratorINS9_10device_ptrIiEEEEPS5_jNS1_19radix_merge_compareILb0ELb0EiNS0_19identity_decomposerEEEEE10hipError_tT0_T1_T2_jT3_P12ihipStream_tbPNSt15iterator_traitsISK_E10value_typeEPNSQ_ISL_E10value_typeEPSM_NS1_7vsmem_tEENKUlT_SK_SL_SM_E_clISE_PiSF_SF_EESJ_SZ_SK_SL_SM_EUlSZ_E1_NS1_11comp_targetILNS1_3genE5ELNS1_11target_archE942ELNS1_3gpuE9ELNS1_3repE0EEENS1_36merge_oddeven_config_static_selectorELNS0_4arch9wavefront6targetE1EEEvSL_
	.globl	_ZN7rocprim17ROCPRIM_400000_NS6detail17trampoline_kernelINS0_14default_configENS1_38merge_sort_block_merge_config_selectorIiNS0_10empty_typeEEEZZNS1_27merge_sort_block_merge_implIS3_N6thrust23THRUST_200600_302600_NS6detail15normal_iteratorINS9_10device_ptrIiEEEEPS5_jNS1_19radix_merge_compareILb0ELb0EiNS0_19identity_decomposerEEEEE10hipError_tT0_T1_T2_jT3_P12ihipStream_tbPNSt15iterator_traitsISK_E10value_typeEPNSQ_ISL_E10value_typeEPSM_NS1_7vsmem_tEENKUlT_SK_SL_SM_E_clISE_PiSF_SF_EESJ_SZ_SK_SL_SM_EUlSZ_E1_NS1_11comp_targetILNS1_3genE5ELNS1_11target_archE942ELNS1_3gpuE9ELNS1_3repE0EEENS1_36merge_oddeven_config_static_selectorELNS0_4arch9wavefront6targetE1EEEvSL_
	.p2align	8
	.type	_ZN7rocprim17ROCPRIM_400000_NS6detail17trampoline_kernelINS0_14default_configENS1_38merge_sort_block_merge_config_selectorIiNS0_10empty_typeEEEZZNS1_27merge_sort_block_merge_implIS3_N6thrust23THRUST_200600_302600_NS6detail15normal_iteratorINS9_10device_ptrIiEEEEPS5_jNS1_19radix_merge_compareILb0ELb0EiNS0_19identity_decomposerEEEEE10hipError_tT0_T1_T2_jT3_P12ihipStream_tbPNSt15iterator_traitsISK_E10value_typeEPNSQ_ISL_E10value_typeEPSM_NS1_7vsmem_tEENKUlT_SK_SL_SM_E_clISE_PiSF_SF_EESJ_SZ_SK_SL_SM_EUlSZ_E1_NS1_11comp_targetILNS1_3genE5ELNS1_11target_archE942ELNS1_3gpuE9ELNS1_3repE0EEENS1_36merge_oddeven_config_static_selectorELNS0_4arch9wavefront6targetE1EEEvSL_,@function
_ZN7rocprim17ROCPRIM_400000_NS6detail17trampoline_kernelINS0_14default_configENS1_38merge_sort_block_merge_config_selectorIiNS0_10empty_typeEEEZZNS1_27merge_sort_block_merge_implIS3_N6thrust23THRUST_200600_302600_NS6detail15normal_iteratorINS9_10device_ptrIiEEEEPS5_jNS1_19radix_merge_compareILb0ELb0EiNS0_19identity_decomposerEEEEE10hipError_tT0_T1_T2_jT3_P12ihipStream_tbPNSt15iterator_traitsISK_E10value_typeEPNSQ_ISL_E10value_typeEPSM_NS1_7vsmem_tEENKUlT_SK_SL_SM_E_clISE_PiSF_SF_EESJ_SZ_SK_SL_SM_EUlSZ_E1_NS1_11comp_targetILNS1_3genE5ELNS1_11target_archE942ELNS1_3gpuE9ELNS1_3repE0EEENS1_36merge_oddeven_config_static_selectorELNS0_4arch9wavefront6targetE1EEEvSL_: ; @_ZN7rocprim17ROCPRIM_400000_NS6detail17trampoline_kernelINS0_14default_configENS1_38merge_sort_block_merge_config_selectorIiNS0_10empty_typeEEEZZNS1_27merge_sort_block_merge_implIS3_N6thrust23THRUST_200600_302600_NS6detail15normal_iteratorINS9_10device_ptrIiEEEEPS5_jNS1_19radix_merge_compareILb0ELb0EiNS0_19identity_decomposerEEEEE10hipError_tT0_T1_T2_jT3_P12ihipStream_tbPNSt15iterator_traitsISK_E10value_typeEPNSQ_ISL_E10value_typeEPSM_NS1_7vsmem_tEENKUlT_SK_SL_SM_E_clISE_PiSF_SF_EESJ_SZ_SK_SL_SM_EUlSZ_E1_NS1_11comp_targetILNS1_3genE5ELNS1_11target_archE942ELNS1_3gpuE9ELNS1_3repE0EEENS1_36merge_oddeven_config_static_selectorELNS0_4arch9wavefront6targetE1EEEvSL_
; %bb.0:
	.section	.rodata,"a",@progbits
	.p2align	6, 0x0
	.amdhsa_kernel _ZN7rocprim17ROCPRIM_400000_NS6detail17trampoline_kernelINS0_14default_configENS1_38merge_sort_block_merge_config_selectorIiNS0_10empty_typeEEEZZNS1_27merge_sort_block_merge_implIS3_N6thrust23THRUST_200600_302600_NS6detail15normal_iteratorINS9_10device_ptrIiEEEEPS5_jNS1_19radix_merge_compareILb0ELb0EiNS0_19identity_decomposerEEEEE10hipError_tT0_T1_T2_jT3_P12ihipStream_tbPNSt15iterator_traitsISK_E10value_typeEPNSQ_ISL_E10value_typeEPSM_NS1_7vsmem_tEENKUlT_SK_SL_SM_E_clISE_PiSF_SF_EESJ_SZ_SK_SL_SM_EUlSZ_E1_NS1_11comp_targetILNS1_3genE5ELNS1_11target_archE942ELNS1_3gpuE9ELNS1_3repE0EEENS1_36merge_oddeven_config_static_selectorELNS0_4arch9wavefront6targetE1EEEvSL_
		.amdhsa_group_segment_fixed_size 0
		.amdhsa_private_segment_fixed_size 0
		.amdhsa_kernarg_size 48
		.amdhsa_user_sgpr_count 2
		.amdhsa_user_sgpr_dispatch_ptr 0
		.amdhsa_user_sgpr_queue_ptr 0
		.amdhsa_user_sgpr_kernarg_segment_ptr 1
		.amdhsa_user_sgpr_dispatch_id 0
		.amdhsa_user_sgpr_kernarg_preload_length 0
		.amdhsa_user_sgpr_kernarg_preload_offset 0
		.amdhsa_user_sgpr_private_segment_size 0
		.amdhsa_uses_dynamic_stack 0
		.amdhsa_enable_private_segment 0
		.amdhsa_system_sgpr_workgroup_id_x 1
		.amdhsa_system_sgpr_workgroup_id_y 0
		.amdhsa_system_sgpr_workgroup_id_z 0
		.amdhsa_system_sgpr_workgroup_info 0
		.amdhsa_system_vgpr_workitem_id 0
		.amdhsa_next_free_vgpr 1
		.amdhsa_next_free_sgpr 0
		.amdhsa_accum_offset 4
		.amdhsa_reserve_vcc 0
		.amdhsa_float_round_mode_32 0
		.amdhsa_float_round_mode_16_64 0
		.amdhsa_float_denorm_mode_32 3
		.amdhsa_float_denorm_mode_16_64 3
		.amdhsa_dx10_clamp 1
		.amdhsa_ieee_mode 1
		.amdhsa_fp16_overflow 0
		.amdhsa_tg_split 0
		.amdhsa_exception_fp_ieee_invalid_op 0
		.amdhsa_exception_fp_denorm_src 0
		.amdhsa_exception_fp_ieee_div_zero 0
		.amdhsa_exception_fp_ieee_overflow 0
		.amdhsa_exception_fp_ieee_underflow 0
		.amdhsa_exception_fp_ieee_inexact 0
		.amdhsa_exception_int_div_zero 0
	.end_amdhsa_kernel
	.section	.text._ZN7rocprim17ROCPRIM_400000_NS6detail17trampoline_kernelINS0_14default_configENS1_38merge_sort_block_merge_config_selectorIiNS0_10empty_typeEEEZZNS1_27merge_sort_block_merge_implIS3_N6thrust23THRUST_200600_302600_NS6detail15normal_iteratorINS9_10device_ptrIiEEEEPS5_jNS1_19radix_merge_compareILb0ELb0EiNS0_19identity_decomposerEEEEE10hipError_tT0_T1_T2_jT3_P12ihipStream_tbPNSt15iterator_traitsISK_E10value_typeEPNSQ_ISL_E10value_typeEPSM_NS1_7vsmem_tEENKUlT_SK_SL_SM_E_clISE_PiSF_SF_EESJ_SZ_SK_SL_SM_EUlSZ_E1_NS1_11comp_targetILNS1_3genE5ELNS1_11target_archE942ELNS1_3gpuE9ELNS1_3repE0EEENS1_36merge_oddeven_config_static_selectorELNS0_4arch9wavefront6targetE1EEEvSL_,"axG",@progbits,_ZN7rocprim17ROCPRIM_400000_NS6detail17trampoline_kernelINS0_14default_configENS1_38merge_sort_block_merge_config_selectorIiNS0_10empty_typeEEEZZNS1_27merge_sort_block_merge_implIS3_N6thrust23THRUST_200600_302600_NS6detail15normal_iteratorINS9_10device_ptrIiEEEEPS5_jNS1_19radix_merge_compareILb0ELb0EiNS0_19identity_decomposerEEEEE10hipError_tT0_T1_T2_jT3_P12ihipStream_tbPNSt15iterator_traitsISK_E10value_typeEPNSQ_ISL_E10value_typeEPSM_NS1_7vsmem_tEENKUlT_SK_SL_SM_E_clISE_PiSF_SF_EESJ_SZ_SK_SL_SM_EUlSZ_E1_NS1_11comp_targetILNS1_3genE5ELNS1_11target_archE942ELNS1_3gpuE9ELNS1_3repE0EEENS1_36merge_oddeven_config_static_selectorELNS0_4arch9wavefront6targetE1EEEvSL_,comdat
.Lfunc_end61:
	.size	_ZN7rocprim17ROCPRIM_400000_NS6detail17trampoline_kernelINS0_14default_configENS1_38merge_sort_block_merge_config_selectorIiNS0_10empty_typeEEEZZNS1_27merge_sort_block_merge_implIS3_N6thrust23THRUST_200600_302600_NS6detail15normal_iteratorINS9_10device_ptrIiEEEEPS5_jNS1_19radix_merge_compareILb0ELb0EiNS0_19identity_decomposerEEEEE10hipError_tT0_T1_T2_jT3_P12ihipStream_tbPNSt15iterator_traitsISK_E10value_typeEPNSQ_ISL_E10value_typeEPSM_NS1_7vsmem_tEENKUlT_SK_SL_SM_E_clISE_PiSF_SF_EESJ_SZ_SK_SL_SM_EUlSZ_E1_NS1_11comp_targetILNS1_3genE5ELNS1_11target_archE942ELNS1_3gpuE9ELNS1_3repE0EEENS1_36merge_oddeven_config_static_selectorELNS0_4arch9wavefront6targetE1EEEvSL_, .Lfunc_end61-_ZN7rocprim17ROCPRIM_400000_NS6detail17trampoline_kernelINS0_14default_configENS1_38merge_sort_block_merge_config_selectorIiNS0_10empty_typeEEEZZNS1_27merge_sort_block_merge_implIS3_N6thrust23THRUST_200600_302600_NS6detail15normal_iteratorINS9_10device_ptrIiEEEEPS5_jNS1_19radix_merge_compareILb0ELb0EiNS0_19identity_decomposerEEEEE10hipError_tT0_T1_T2_jT3_P12ihipStream_tbPNSt15iterator_traitsISK_E10value_typeEPNSQ_ISL_E10value_typeEPSM_NS1_7vsmem_tEENKUlT_SK_SL_SM_E_clISE_PiSF_SF_EESJ_SZ_SK_SL_SM_EUlSZ_E1_NS1_11comp_targetILNS1_3genE5ELNS1_11target_archE942ELNS1_3gpuE9ELNS1_3repE0EEENS1_36merge_oddeven_config_static_selectorELNS0_4arch9wavefront6targetE1EEEvSL_
                                        ; -- End function
	.set _ZN7rocprim17ROCPRIM_400000_NS6detail17trampoline_kernelINS0_14default_configENS1_38merge_sort_block_merge_config_selectorIiNS0_10empty_typeEEEZZNS1_27merge_sort_block_merge_implIS3_N6thrust23THRUST_200600_302600_NS6detail15normal_iteratorINS9_10device_ptrIiEEEEPS5_jNS1_19radix_merge_compareILb0ELb0EiNS0_19identity_decomposerEEEEE10hipError_tT0_T1_T2_jT3_P12ihipStream_tbPNSt15iterator_traitsISK_E10value_typeEPNSQ_ISL_E10value_typeEPSM_NS1_7vsmem_tEENKUlT_SK_SL_SM_E_clISE_PiSF_SF_EESJ_SZ_SK_SL_SM_EUlSZ_E1_NS1_11comp_targetILNS1_3genE5ELNS1_11target_archE942ELNS1_3gpuE9ELNS1_3repE0EEENS1_36merge_oddeven_config_static_selectorELNS0_4arch9wavefront6targetE1EEEvSL_.num_vgpr, 0
	.set _ZN7rocprim17ROCPRIM_400000_NS6detail17trampoline_kernelINS0_14default_configENS1_38merge_sort_block_merge_config_selectorIiNS0_10empty_typeEEEZZNS1_27merge_sort_block_merge_implIS3_N6thrust23THRUST_200600_302600_NS6detail15normal_iteratorINS9_10device_ptrIiEEEEPS5_jNS1_19radix_merge_compareILb0ELb0EiNS0_19identity_decomposerEEEEE10hipError_tT0_T1_T2_jT3_P12ihipStream_tbPNSt15iterator_traitsISK_E10value_typeEPNSQ_ISL_E10value_typeEPSM_NS1_7vsmem_tEENKUlT_SK_SL_SM_E_clISE_PiSF_SF_EESJ_SZ_SK_SL_SM_EUlSZ_E1_NS1_11comp_targetILNS1_3genE5ELNS1_11target_archE942ELNS1_3gpuE9ELNS1_3repE0EEENS1_36merge_oddeven_config_static_selectorELNS0_4arch9wavefront6targetE1EEEvSL_.num_agpr, 0
	.set _ZN7rocprim17ROCPRIM_400000_NS6detail17trampoline_kernelINS0_14default_configENS1_38merge_sort_block_merge_config_selectorIiNS0_10empty_typeEEEZZNS1_27merge_sort_block_merge_implIS3_N6thrust23THRUST_200600_302600_NS6detail15normal_iteratorINS9_10device_ptrIiEEEEPS5_jNS1_19radix_merge_compareILb0ELb0EiNS0_19identity_decomposerEEEEE10hipError_tT0_T1_T2_jT3_P12ihipStream_tbPNSt15iterator_traitsISK_E10value_typeEPNSQ_ISL_E10value_typeEPSM_NS1_7vsmem_tEENKUlT_SK_SL_SM_E_clISE_PiSF_SF_EESJ_SZ_SK_SL_SM_EUlSZ_E1_NS1_11comp_targetILNS1_3genE5ELNS1_11target_archE942ELNS1_3gpuE9ELNS1_3repE0EEENS1_36merge_oddeven_config_static_selectorELNS0_4arch9wavefront6targetE1EEEvSL_.numbered_sgpr, 0
	.set _ZN7rocprim17ROCPRIM_400000_NS6detail17trampoline_kernelINS0_14default_configENS1_38merge_sort_block_merge_config_selectorIiNS0_10empty_typeEEEZZNS1_27merge_sort_block_merge_implIS3_N6thrust23THRUST_200600_302600_NS6detail15normal_iteratorINS9_10device_ptrIiEEEEPS5_jNS1_19radix_merge_compareILb0ELb0EiNS0_19identity_decomposerEEEEE10hipError_tT0_T1_T2_jT3_P12ihipStream_tbPNSt15iterator_traitsISK_E10value_typeEPNSQ_ISL_E10value_typeEPSM_NS1_7vsmem_tEENKUlT_SK_SL_SM_E_clISE_PiSF_SF_EESJ_SZ_SK_SL_SM_EUlSZ_E1_NS1_11comp_targetILNS1_3genE5ELNS1_11target_archE942ELNS1_3gpuE9ELNS1_3repE0EEENS1_36merge_oddeven_config_static_selectorELNS0_4arch9wavefront6targetE1EEEvSL_.num_named_barrier, 0
	.set _ZN7rocprim17ROCPRIM_400000_NS6detail17trampoline_kernelINS0_14default_configENS1_38merge_sort_block_merge_config_selectorIiNS0_10empty_typeEEEZZNS1_27merge_sort_block_merge_implIS3_N6thrust23THRUST_200600_302600_NS6detail15normal_iteratorINS9_10device_ptrIiEEEEPS5_jNS1_19radix_merge_compareILb0ELb0EiNS0_19identity_decomposerEEEEE10hipError_tT0_T1_T2_jT3_P12ihipStream_tbPNSt15iterator_traitsISK_E10value_typeEPNSQ_ISL_E10value_typeEPSM_NS1_7vsmem_tEENKUlT_SK_SL_SM_E_clISE_PiSF_SF_EESJ_SZ_SK_SL_SM_EUlSZ_E1_NS1_11comp_targetILNS1_3genE5ELNS1_11target_archE942ELNS1_3gpuE9ELNS1_3repE0EEENS1_36merge_oddeven_config_static_selectorELNS0_4arch9wavefront6targetE1EEEvSL_.private_seg_size, 0
	.set _ZN7rocprim17ROCPRIM_400000_NS6detail17trampoline_kernelINS0_14default_configENS1_38merge_sort_block_merge_config_selectorIiNS0_10empty_typeEEEZZNS1_27merge_sort_block_merge_implIS3_N6thrust23THRUST_200600_302600_NS6detail15normal_iteratorINS9_10device_ptrIiEEEEPS5_jNS1_19radix_merge_compareILb0ELb0EiNS0_19identity_decomposerEEEEE10hipError_tT0_T1_T2_jT3_P12ihipStream_tbPNSt15iterator_traitsISK_E10value_typeEPNSQ_ISL_E10value_typeEPSM_NS1_7vsmem_tEENKUlT_SK_SL_SM_E_clISE_PiSF_SF_EESJ_SZ_SK_SL_SM_EUlSZ_E1_NS1_11comp_targetILNS1_3genE5ELNS1_11target_archE942ELNS1_3gpuE9ELNS1_3repE0EEENS1_36merge_oddeven_config_static_selectorELNS0_4arch9wavefront6targetE1EEEvSL_.uses_vcc, 0
	.set _ZN7rocprim17ROCPRIM_400000_NS6detail17trampoline_kernelINS0_14default_configENS1_38merge_sort_block_merge_config_selectorIiNS0_10empty_typeEEEZZNS1_27merge_sort_block_merge_implIS3_N6thrust23THRUST_200600_302600_NS6detail15normal_iteratorINS9_10device_ptrIiEEEEPS5_jNS1_19radix_merge_compareILb0ELb0EiNS0_19identity_decomposerEEEEE10hipError_tT0_T1_T2_jT3_P12ihipStream_tbPNSt15iterator_traitsISK_E10value_typeEPNSQ_ISL_E10value_typeEPSM_NS1_7vsmem_tEENKUlT_SK_SL_SM_E_clISE_PiSF_SF_EESJ_SZ_SK_SL_SM_EUlSZ_E1_NS1_11comp_targetILNS1_3genE5ELNS1_11target_archE942ELNS1_3gpuE9ELNS1_3repE0EEENS1_36merge_oddeven_config_static_selectorELNS0_4arch9wavefront6targetE1EEEvSL_.uses_flat_scratch, 0
	.set _ZN7rocprim17ROCPRIM_400000_NS6detail17trampoline_kernelINS0_14default_configENS1_38merge_sort_block_merge_config_selectorIiNS0_10empty_typeEEEZZNS1_27merge_sort_block_merge_implIS3_N6thrust23THRUST_200600_302600_NS6detail15normal_iteratorINS9_10device_ptrIiEEEEPS5_jNS1_19radix_merge_compareILb0ELb0EiNS0_19identity_decomposerEEEEE10hipError_tT0_T1_T2_jT3_P12ihipStream_tbPNSt15iterator_traitsISK_E10value_typeEPNSQ_ISL_E10value_typeEPSM_NS1_7vsmem_tEENKUlT_SK_SL_SM_E_clISE_PiSF_SF_EESJ_SZ_SK_SL_SM_EUlSZ_E1_NS1_11comp_targetILNS1_3genE5ELNS1_11target_archE942ELNS1_3gpuE9ELNS1_3repE0EEENS1_36merge_oddeven_config_static_selectorELNS0_4arch9wavefront6targetE1EEEvSL_.has_dyn_sized_stack, 0
	.set _ZN7rocprim17ROCPRIM_400000_NS6detail17trampoline_kernelINS0_14default_configENS1_38merge_sort_block_merge_config_selectorIiNS0_10empty_typeEEEZZNS1_27merge_sort_block_merge_implIS3_N6thrust23THRUST_200600_302600_NS6detail15normal_iteratorINS9_10device_ptrIiEEEEPS5_jNS1_19radix_merge_compareILb0ELb0EiNS0_19identity_decomposerEEEEE10hipError_tT0_T1_T2_jT3_P12ihipStream_tbPNSt15iterator_traitsISK_E10value_typeEPNSQ_ISL_E10value_typeEPSM_NS1_7vsmem_tEENKUlT_SK_SL_SM_E_clISE_PiSF_SF_EESJ_SZ_SK_SL_SM_EUlSZ_E1_NS1_11comp_targetILNS1_3genE5ELNS1_11target_archE942ELNS1_3gpuE9ELNS1_3repE0EEENS1_36merge_oddeven_config_static_selectorELNS0_4arch9wavefront6targetE1EEEvSL_.has_recursion, 0
	.set _ZN7rocprim17ROCPRIM_400000_NS6detail17trampoline_kernelINS0_14default_configENS1_38merge_sort_block_merge_config_selectorIiNS0_10empty_typeEEEZZNS1_27merge_sort_block_merge_implIS3_N6thrust23THRUST_200600_302600_NS6detail15normal_iteratorINS9_10device_ptrIiEEEEPS5_jNS1_19radix_merge_compareILb0ELb0EiNS0_19identity_decomposerEEEEE10hipError_tT0_T1_T2_jT3_P12ihipStream_tbPNSt15iterator_traitsISK_E10value_typeEPNSQ_ISL_E10value_typeEPSM_NS1_7vsmem_tEENKUlT_SK_SL_SM_E_clISE_PiSF_SF_EESJ_SZ_SK_SL_SM_EUlSZ_E1_NS1_11comp_targetILNS1_3genE5ELNS1_11target_archE942ELNS1_3gpuE9ELNS1_3repE0EEENS1_36merge_oddeven_config_static_selectorELNS0_4arch9wavefront6targetE1EEEvSL_.has_indirect_call, 0
	.section	.AMDGPU.csdata,"",@progbits
; Kernel info:
; codeLenInByte = 0
; TotalNumSgprs: 6
; NumVgprs: 0
; NumAgprs: 0
; TotalNumVgprs: 0
; ScratchSize: 0
; MemoryBound: 0
; FloatMode: 240
; IeeeMode: 1
; LDSByteSize: 0 bytes/workgroup (compile time only)
; SGPRBlocks: 0
; VGPRBlocks: 0
; NumSGPRsForWavesPerEU: 6
; NumVGPRsForWavesPerEU: 1
; AccumOffset: 4
; Occupancy: 8
; WaveLimiterHint : 0
; COMPUTE_PGM_RSRC2:SCRATCH_EN: 0
; COMPUTE_PGM_RSRC2:USER_SGPR: 2
; COMPUTE_PGM_RSRC2:TRAP_HANDLER: 0
; COMPUTE_PGM_RSRC2:TGID_X_EN: 1
; COMPUTE_PGM_RSRC2:TGID_Y_EN: 0
; COMPUTE_PGM_RSRC2:TGID_Z_EN: 0
; COMPUTE_PGM_RSRC2:TIDIG_COMP_CNT: 0
; COMPUTE_PGM_RSRC3_GFX90A:ACCUM_OFFSET: 0
; COMPUTE_PGM_RSRC3_GFX90A:TG_SPLIT: 0
	.section	.text._ZN7rocprim17ROCPRIM_400000_NS6detail17trampoline_kernelINS0_14default_configENS1_38merge_sort_block_merge_config_selectorIiNS0_10empty_typeEEEZZNS1_27merge_sort_block_merge_implIS3_N6thrust23THRUST_200600_302600_NS6detail15normal_iteratorINS9_10device_ptrIiEEEEPS5_jNS1_19radix_merge_compareILb0ELb0EiNS0_19identity_decomposerEEEEE10hipError_tT0_T1_T2_jT3_P12ihipStream_tbPNSt15iterator_traitsISK_E10value_typeEPNSQ_ISL_E10value_typeEPSM_NS1_7vsmem_tEENKUlT_SK_SL_SM_E_clISE_PiSF_SF_EESJ_SZ_SK_SL_SM_EUlSZ_E1_NS1_11comp_targetILNS1_3genE4ELNS1_11target_archE910ELNS1_3gpuE8ELNS1_3repE0EEENS1_36merge_oddeven_config_static_selectorELNS0_4arch9wavefront6targetE1EEEvSL_,"axG",@progbits,_ZN7rocprim17ROCPRIM_400000_NS6detail17trampoline_kernelINS0_14default_configENS1_38merge_sort_block_merge_config_selectorIiNS0_10empty_typeEEEZZNS1_27merge_sort_block_merge_implIS3_N6thrust23THRUST_200600_302600_NS6detail15normal_iteratorINS9_10device_ptrIiEEEEPS5_jNS1_19radix_merge_compareILb0ELb0EiNS0_19identity_decomposerEEEEE10hipError_tT0_T1_T2_jT3_P12ihipStream_tbPNSt15iterator_traitsISK_E10value_typeEPNSQ_ISL_E10value_typeEPSM_NS1_7vsmem_tEENKUlT_SK_SL_SM_E_clISE_PiSF_SF_EESJ_SZ_SK_SL_SM_EUlSZ_E1_NS1_11comp_targetILNS1_3genE4ELNS1_11target_archE910ELNS1_3gpuE8ELNS1_3repE0EEENS1_36merge_oddeven_config_static_selectorELNS0_4arch9wavefront6targetE1EEEvSL_,comdat
	.protected	_ZN7rocprim17ROCPRIM_400000_NS6detail17trampoline_kernelINS0_14default_configENS1_38merge_sort_block_merge_config_selectorIiNS0_10empty_typeEEEZZNS1_27merge_sort_block_merge_implIS3_N6thrust23THRUST_200600_302600_NS6detail15normal_iteratorINS9_10device_ptrIiEEEEPS5_jNS1_19radix_merge_compareILb0ELb0EiNS0_19identity_decomposerEEEEE10hipError_tT0_T1_T2_jT3_P12ihipStream_tbPNSt15iterator_traitsISK_E10value_typeEPNSQ_ISL_E10value_typeEPSM_NS1_7vsmem_tEENKUlT_SK_SL_SM_E_clISE_PiSF_SF_EESJ_SZ_SK_SL_SM_EUlSZ_E1_NS1_11comp_targetILNS1_3genE4ELNS1_11target_archE910ELNS1_3gpuE8ELNS1_3repE0EEENS1_36merge_oddeven_config_static_selectorELNS0_4arch9wavefront6targetE1EEEvSL_ ; -- Begin function _ZN7rocprim17ROCPRIM_400000_NS6detail17trampoline_kernelINS0_14default_configENS1_38merge_sort_block_merge_config_selectorIiNS0_10empty_typeEEEZZNS1_27merge_sort_block_merge_implIS3_N6thrust23THRUST_200600_302600_NS6detail15normal_iteratorINS9_10device_ptrIiEEEEPS5_jNS1_19radix_merge_compareILb0ELb0EiNS0_19identity_decomposerEEEEE10hipError_tT0_T1_T2_jT3_P12ihipStream_tbPNSt15iterator_traitsISK_E10value_typeEPNSQ_ISL_E10value_typeEPSM_NS1_7vsmem_tEENKUlT_SK_SL_SM_E_clISE_PiSF_SF_EESJ_SZ_SK_SL_SM_EUlSZ_E1_NS1_11comp_targetILNS1_3genE4ELNS1_11target_archE910ELNS1_3gpuE8ELNS1_3repE0EEENS1_36merge_oddeven_config_static_selectorELNS0_4arch9wavefront6targetE1EEEvSL_
	.globl	_ZN7rocprim17ROCPRIM_400000_NS6detail17trampoline_kernelINS0_14default_configENS1_38merge_sort_block_merge_config_selectorIiNS0_10empty_typeEEEZZNS1_27merge_sort_block_merge_implIS3_N6thrust23THRUST_200600_302600_NS6detail15normal_iteratorINS9_10device_ptrIiEEEEPS5_jNS1_19radix_merge_compareILb0ELb0EiNS0_19identity_decomposerEEEEE10hipError_tT0_T1_T2_jT3_P12ihipStream_tbPNSt15iterator_traitsISK_E10value_typeEPNSQ_ISL_E10value_typeEPSM_NS1_7vsmem_tEENKUlT_SK_SL_SM_E_clISE_PiSF_SF_EESJ_SZ_SK_SL_SM_EUlSZ_E1_NS1_11comp_targetILNS1_3genE4ELNS1_11target_archE910ELNS1_3gpuE8ELNS1_3repE0EEENS1_36merge_oddeven_config_static_selectorELNS0_4arch9wavefront6targetE1EEEvSL_
	.p2align	8
	.type	_ZN7rocprim17ROCPRIM_400000_NS6detail17trampoline_kernelINS0_14default_configENS1_38merge_sort_block_merge_config_selectorIiNS0_10empty_typeEEEZZNS1_27merge_sort_block_merge_implIS3_N6thrust23THRUST_200600_302600_NS6detail15normal_iteratorINS9_10device_ptrIiEEEEPS5_jNS1_19radix_merge_compareILb0ELb0EiNS0_19identity_decomposerEEEEE10hipError_tT0_T1_T2_jT3_P12ihipStream_tbPNSt15iterator_traitsISK_E10value_typeEPNSQ_ISL_E10value_typeEPSM_NS1_7vsmem_tEENKUlT_SK_SL_SM_E_clISE_PiSF_SF_EESJ_SZ_SK_SL_SM_EUlSZ_E1_NS1_11comp_targetILNS1_3genE4ELNS1_11target_archE910ELNS1_3gpuE8ELNS1_3repE0EEENS1_36merge_oddeven_config_static_selectorELNS0_4arch9wavefront6targetE1EEEvSL_,@function
_ZN7rocprim17ROCPRIM_400000_NS6detail17trampoline_kernelINS0_14default_configENS1_38merge_sort_block_merge_config_selectorIiNS0_10empty_typeEEEZZNS1_27merge_sort_block_merge_implIS3_N6thrust23THRUST_200600_302600_NS6detail15normal_iteratorINS9_10device_ptrIiEEEEPS5_jNS1_19radix_merge_compareILb0ELb0EiNS0_19identity_decomposerEEEEE10hipError_tT0_T1_T2_jT3_P12ihipStream_tbPNSt15iterator_traitsISK_E10value_typeEPNSQ_ISL_E10value_typeEPSM_NS1_7vsmem_tEENKUlT_SK_SL_SM_E_clISE_PiSF_SF_EESJ_SZ_SK_SL_SM_EUlSZ_E1_NS1_11comp_targetILNS1_3genE4ELNS1_11target_archE910ELNS1_3gpuE8ELNS1_3repE0EEENS1_36merge_oddeven_config_static_selectorELNS0_4arch9wavefront6targetE1EEEvSL_: ; @_ZN7rocprim17ROCPRIM_400000_NS6detail17trampoline_kernelINS0_14default_configENS1_38merge_sort_block_merge_config_selectorIiNS0_10empty_typeEEEZZNS1_27merge_sort_block_merge_implIS3_N6thrust23THRUST_200600_302600_NS6detail15normal_iteratorINS9_10device_ptrIiEEEEPS5_jNS1_19radix_merge_compareILb0ELb0EiNS0_19identity_decomposerEEEEE10hipError_tT0_T1_T2_jT3_P12ihipStream_tbPNSt15iterator_traitsISK_E10value_typeEPNSQ_ISL_E10value_typeEPSM_NS1_7vsmem_tEENKUlT_SK_SL_SM_E_clISE_PiSF_SF_EESJ_SZ_SK_SL_SM_EUlSZ_E1_NS1_11comp_targetILNS1_3genE4ELNS1_11target_archE910ELNS1_3gpuE8ELNS1_3repE0EEENS1_36merge_oddeven_config_static_selectorELNS0_4arch9wavefront6targetE1EEEvSL_
; %bb.0:
	.section	.rodata,"a",@progbits
	.p2align	6, 0x0
	.amdhsa_kernel _ZN7rocprim17ROCPRIM_400000_NS6detail17trampoline_kernelINS0_14default_configENS1_38merge_sort_block_merge_config_selectorIiNS0_10empty_typeEEEZZNS1_27merge_sort_block_merge_implIS3_N6thrust23THRUST_200600_302600_NS6detail15normal_iteratorINS9_10device_ptrIiEEEEPS5_jNS1_19radix_merge_compareILb0ELb0EiNS0_19identity_decomposerEEEEE10hipError_tT0_T1_T2_jT3_P12ihipStream_tbPNSt15iterator_traitsISK_E10value_typeEPNSQ_ISL_E10value_typeEPSM_NS1_7vsmem_tEENKUlT_SK_SL_SM_E_clISE_PiSF_SF_EESJ_SZ_SK_SL_SM_EUlSZ_E1_NS1_11comp_targetILNS1_3genE4ELNS1_11target_archE910ELNS1_3gpuE8ELNS1_3repE0EEENS1_36merge_oddeven_config_static_selectorELNS0_4arch9wavefront6targetE1EEEvSL_
		.amdhsa_group_segment_fixed_size 0
		.amdhsa_private_segment_fixed_size 0
		.amdhsa_kernarg_size 48
		.amdhsa_user_sgpr_count 2
		.amdhsa_user_sgpr_dispatch_ptr 0
		.amdhsa_user_sgpr_queue_ptr 0
		.amdhsa_user_sgpr_kernarg_segment_ptr 1
		.amdhsa_user_sgpr_dispatch_id 0
		.amdhsa_user_sgpr_kernarg_preload_length 0
		.amdhsa_user_sgpr_kernarg_preload_offset 0
		.amdhsa_user_sgpr_private_segment_size 0
		.amdhsa_uses_dynamic_stack 0
		.amdhsa_enable_private_segment 0
		.amdhsa_system_sgpr_workgroup_id_x 1
		.amdhsa_system_sgpr_workgroup_id_y 0
		.amdhsa_system_sgpr_workgroup_id_z 0
		.amdhsa_system_sgpr_workgroup_info 0
		.amdhsa_system_vgpr_workitem_id 0
		.amdhsa_next_free_vgpr 1
		.amdhsa_next_free_sgpr 0
		.amdhsa_accum_offset 4
		.amdhsa_reserve_vcc 0
		.amdhsa_float_round_mode_32 0
		.amdhsa_float_round_mode_16_64 0
		.amdhsa_float_denorm_mode_32 3
		.amdhsa_float_denorm_mode_16_64 3
		.amdhsa_dx10_clamp 1
		.amdhsa_ieee_mode 1
		.amdhsa_fp16_overflow 0
		.amdhsa_tg_split 0
		.amdhsa_exception_fp_ieee_invalid_op 0
		.amdhsa_exception_fp_denorm_src 0
		.amdhsa_exception_fp_ieee_div_zero 0
		.amdhsa_exception_fp_ieee_overflow 0
		.amdhsa_exception_fp_ieee_underflow 0
		.amdhsa_exception_fp_ieee_inexact 0
		.amdhsa_exception_int_div_zero 0
	.end_amdhsa_kernel
	.section	.text._ZN7rocprim17ROCPRIM_400000_NS6detail17trampoline_kernelINS0_14default_configENS1_38merge_sort_block_merge_config_selectorIiNS0_10empty_typeEEEZZNS1_27merge_sort_block_merge_implIS3_N6thrust23THRUST_200600_302600_NS6detail15normal_iteratorINS9_10device_ptrIiEEEEPS5_jNS1_19radix_merge_compareILb0ELb0EiNS0_19identity_decomposerEEEEE10hipError_tT0_T1_T2_jT3_P12ihipStream_tbPNSt15iterator_traitsISK_E10value_typeEPNSQ_ISL_E10value_typeEPSM_NS1_7vsmem_tEENKUlT_SK_SL_SM_E_clISE_PiSF_SF_EESJ_SZ_SK_SL_SM_EUlSZ_E1_NS1_11comp_targetILNS1_3genE4ELNS1_11target_archE910ELNS1_3gpuE8ELNS1_3repE0EEENS1_36merge_oddeven_config_static_selectorELNS0_4arch9wavefront6targetE1EEEvSL_,"axG",@progbits,_ZN7rocprim17ROCPRIM_400000_NS6detail17trampoline_kernelINS0_14default_configENS1_38merge_sort_block_merge_config_selectorIiNS0_10empty_typeEEEZZNS1_27merge_sort_block_merge_implIS3_N6thrust23THRUST_200600_302600_NS6detail15normal_iteratorINS9_10device_ptrIiEEEEPS5_jNS1_19radix_merge_compareILb0ELb0EiNS0_19identity_decomposerEEEEE10hipError_tT0_T1_T2_jT3_P12ihipStream_tbPNSt15iterator_traitsISK_E10value_typeEPNSQ_ISL_E10value_typeEPSM_NS1_7vsmem_tEENKUlT_SK_SL_SM_E_clISE_PiSF_SF_EESJ_SZ_SK_SL_SM_EUlSZ_E1_NS1_11comp_targetILNS1_3genE4ELNS1_11target_archE910ELNS1_3gpuE8ELNS1_3repE0EEENS1_36merge_oddeven_config_static_selectorELNS0_4arch9wavefront6targetE1EEEvSL_,comdat
.Lfunc_end62:
	.size	_ZN7rocprim17ROCPRIM_400000_NS6detail17trampoline_kernelINS0_14default_configENS1_38merge_sort_block_merge_config_selectorIiNS0_10empty_typeEEEZZNS1_27merge_sort_block_merge_implIS3_N6thrust23THRUST_200600_302600_NS6detail15normal_iteratorINS9_10device_ptrIiEEEEPS5_jNS1_19radix_merge_compareILb0ELb0EiNS0_19identity_decomposerEEEEE10hipError_tT0_T1_T2_jT3_P12ihipStream_tbPNSt15iterator_traitsISK_E10value_typeEPNSQ_ISL_E10value_typeEPSM_NS1_7vsmem_tEENKUlT_SK_SL_SM_E_clISE_PiSF_SF_EESJ_SZ_SK_SL_SM_EUlSZ_E1_NS1_11comp_targetILNS1_3genE4ELNS1_11target_archE910ELNS1_3gpuE8ELNS1_3repE0EEENS1_36merge_oddeven_config_static_selectorELNS0_4arch9wavefront6targetE1EEEvSL_, .Lfunc_end62-_ZN7rocprim17ROCPRIM_400000_NS6detail17trampoline_kernelINS0_14default_configENS1_38merge_sort_block_merge_config_selectorIiNS0_10empty_typeEEEZZNS1_27merge_sort_block_merge_implIS3_N6thrust23THRUST_200600_302600_NS6detail15normal_iteratorINS9_10device_ptrIiEEEEPS5_jNS1_19radix_merge_compareILb0ELb0EiNS0_19identity_decomposerEEEEE10hipError_tT0_T1_T2_jT3_P12ihipStream_tbPNSt15iterator_traitsISK_E10value_typeEPNSQ_ISL_E10value_typeEPSM_NS1_7vsmem_tEENKUlT_SK_SL_SM_E_clISE_PiSF_SF_EESJ_SZ_SK_SL_SM_EUlSZ_E1_NS1_11comp_targetILNS1_3genE4ELNS1_11target_archE910ELNS1_3gpuE8ELNS1_3repE0EEENS1_36merge_oddeven_config_static_selectorELNS0_4arch9wavefront6targetE1EEEvSL_
                                        ; -- End function
	.set _ZN7rocprim17ROCPRIM_400000_NS6detail17trampoline_kernelINS0_14default_configENS1_38merge_sort_block_merge_config_selectorIiNS0_10empty_typeEEEZZNS1_27merge_sort_block_merge_implIS3_N6thrust23THRUST_200600_302600_NS6detail15normal_iteratorINS9_10device_ptrIiEEEEPS5_jNS1_19radix_merge_compareILb0ELb0EiNS0_19identity_decomposerEEEEE10hipError_tT0_T1_T2_jT3_P12ihipStream_tbPNSt15iterator_traitsISK_E10value_typeEPNSQ_ISL_E10value_typeEPSM_NS1_7vsmem_tEENKUlT_SK_SL_SM_E_clISE_PiSF_SF_EESJ_SZ_SK_SL_SM_EUlSZ_E1_NS1_11comp_targetILNS1_3genE4ELNS1_11target_archE910ELNS1_3gpuE8ELNS1_3repE0EEENS1_36merge_oddeven_config_static_selectorELNS0_4arch9wavefront6targetE1EEEvSL_.num_vgpr, 0
	.set _ZN7rocprim17ROCPRIM_400000_NS6detail17trampoline_kernelINS0_14default_configENS1_38merge_sort_block_merge_config_selectorIiNS0_10empty_typeEEEZZNS1_27merge_sort_block_merge_implIS3_N6thrust23THRUST_200600_302600_NS6detail15normal_iteratorINS9_10device_ptrIiEEEEPS5_jNS1_19radix_merge_compareILb0ELb0EiNS0_19identity_decomposerEEEEE10hipError_tT0_T1_T2_jT3_P12ihipStream_tbPNSt15iterator_traitsISK_E10value_typeEPNSQ_ISL_E10value_typeEPSM_NS1_7vsmem_tEENKUlT_SK_SL_SM_E_clISE_PiSF_SF_EESJ_SZ_SK_SL_SM_EUlSZ_E1_NS1_11comp_targetILNS1_3genE4ELNS1_11target_archE910ELNS1_3gpuE8ELNS1_3repE0EEENS1_36merge_oddeven_config_static_selectorELNS0_4arch9wavefront6targetE1EEEvSL_.num_agpr, 0
	.set _ZN7rocprim17ROCPRIM_400000_NS6detail17trampoline_kernelINS0_14default_configENS1_38merge_sort_block_merge_config_selectorIiNS0_10empty_typeEEEZZNS1_27merge_sort_block_merge_implIS3_N6thrust23THRUST_200600_302600_NS6detail15normal_iteratorINS9_10device_ptrIiEEEEPS5_jNS1_19radix_merge_compareILb0ELb0EiNS0_19identity_decomposerEEEEE10hipError_tT0_T1_T2_jT3_P12ihipStream_tbPNSt15iterator_traitsISK_E10value_typeEPNSQ_ISL_E10value_typeEPSM_NS1_7vsmem_tEENKUlT_SK_SL_SM_E_clISE_PiSF_SF_EESJ_SZ_SK_SL_SM_EUlSZ_E1_NS1_11comp_targetILNS1_3genE4ELNS1_11target_archE910ELNS1_3gpuE8ELNS1_3repE0EEENS1_36merge_oddeven_config_static_selectorELNS0_4arch9wavefront6targetE1EEEvSL_.numbered_sgpr, 0
	.set _ZN7rocprim17ROCPRIM_400000_NS6detail17trampoline_kernelINS0_14default_configENS1_38merge_sort_block_merge_config_selectorIiNS0_10empty_typeEEEZZNS1_27merge_sort_block_merge_implIS3_N6thrust23THRUST_200600_302600_NS6detail15normal_iteratorINS9_10device_ptrIiEEEEPS5_jNS1_19radix_merge_compareILb0ELb0EiNS0_19identity_decomposerEEEEE10hipError_tT0_T1_T2_jT3_P12ihipStream_tbPNSt15iterator_traitsISK_E10value_typeEPNSQ_ISL_E10value_typeEPSM_NS1_7vsmem_tEENKUlT_SK_SL_SM_E_clISE_PiSF_SF_EESJ_SZ_SK_SL_SM_EUlSZ_E1_NS1_11comp_targetILNS1_3genE4ELNS1_11target_archE910ELNS1_3gpuE8ELNS1_3repE0EEENS1_36merge_oddeven_config_static_selectorELNS0_4arch9wavefront6targetE1EEEvSL_.num_named_barrier, 0
	.set _ZN7rocprim17ROCPRIM_400000_NS6detail17trampoline_kernelINS0_14default_configENS1_38merge_sort_block_merge_config_selectorIiNS0_10empty_typeEEEZZNS1_27merge_sort_block_merge_implIS3_N6thrust23THRUST_200600_302600_NS6detail15normal_iteratorINS9_10device_ptrIiEEEEPS5_jNS1_19radix_merge_compareILb0ELb0EiNS0_19identity_decomposerEEEEE10hipError_tT0_T1_T2_jT3_P12ihipStream_tbPNSt15iterator_traitsISK_E10value_typeEPNSQ_ISL_E10value_typeEPSM_NS1_7vsmem_tEENKUlT_SK_SL_SM_E_clISE_PiSF_SF_EESJ_SZ_SK_SL_SM_EUlSZ_E1_NS1_11comp_targetILNS1_3genE4ELNS1_11target_archE910ELNS1_3gpuE8ELNS1_3repE0EEENS1_36merge_oddeven_config_static_selectorELNS0_4arch9wavefront6targetE1EEEvSL_.private_seg_size, 0
	.set _ZN7rocprim17ROCPRIM_400000_NS6detail17trampoline_kernelINS0_14default_configENS1_38merge_sort_block_merge_config_selectorIiNS0_10empty_typeEEEZZNS1_27merge_sort_block_merge_implIS3_N6thrust23THRUST_200600_302600_NS6detail15normal_iteratorINS9_10device_ptrIiEEEEPS5_jNS1_19radix_merge_compareILb0ELb0EiNS0_19identity_decomposerEEEEE10hipError_tT0_T1_T2_jT3_P12ihipStream_tbPNSt15iterator_traitsISK_E10value_typeEPNSQ_ISL_E10value_typeEPSM_NS1_7vsmem_tEENKUlT_SK_SL_SM_E_clISE_PiSF_SF_EESJ_SZ_SK_SL_SM_EUlSZ_E1_NS1_11comp_targetILNS1_3genE4ELNS1_11target_archE910ELNS1_3gpuE8ELNS1_3repE0EEENS1_36merge_oddeven_config_static_selectorELNS0_4arch9wavefront6targetE1EEEvSL_.uses_vcc, 0
	.set _ZN7rocprim17ROCPRIM_400000_NS6detail17trampoline_kernelINS0_14default_configENS1_38merge_sort_block_merge_config_selectorIiNS0_10empty_typeEEEZZNS1_27merge_sort_block_merge_implIS3_N6thrust23THRUST_200600_302600_NS6detail15normal_iteratorINS9_10device_ptrIiEEEEPS5_jNS1_19radix_merge_compareILb0ELb0EiNS0_19identity_decomposerEEEEE10hipError_tT0_T1_T2_jT3_P12ihipStream_tbPNSt15iterator_traitsISK_E10value_typeEPNSQ_ISL_E10value_typeEPSM_NS1_7vsmem_tEENKUlT_SK_SL_SM_E_clISE_PiSF_SF_EESJ_SZ_SK_SL_SM_EUlSZ_E1_NS1_11comp_targetILNS1_3genE4ELNS1_11target_archE910ELNS1_3gpuE8ELNS1_3repE0EEENS1_36merge_oddeven_config_static_selectorELNS0_4arch9wavefront6targetE1EEEvSL_.uses_flat_scratch, 0
	.set _ZN7rocprim17ROCPRIM_400000_NS6detail17trampoline_kernelINS0_14default_configENS1_38merge_sort_block_merge_config_selectorIiNS0_10empty_typeEEEZZNS1_27merge_sort_block_merge_implIS3_N6thrust23THRUST_200600_302600_NS6detail15normal_iteratorINS9_10device_ptrIiEEEEPS5_jNS1_19radix_merge_compareILb0ELb0EiNS0_19identity_decomposerEEEEE10hipError_tT0_T1_T2_jT3_P12ihipStream_tbPNSt15iterator_traitsISK_E10value_typeEPNSQ_ISL_E10value_typeEPSM_NS1_7vsmem_tEENKUlT_SK_SL_SM_E_clISE_PiSF_SF_EESJ_SZ_SK_SL_SM_EUlSZ_E1_NS1_11comp_targetILNS1_3genE4ELNS1_11target_archE910ELNS1_3gpuE8ELNS1_3repE0EEENS1_36merge_oddeven_config_static_selectorELNS0_4arch9wavefront6targetE1EEEvSL_.has_dyn_sized_stack, 0
	.set _ZN7rocprim17ROCPRIM_400000_NS6detail17trampoline_kernelINS0_14default_configENS1_38merge_sort_block_merge_config_selectorIiNS0_10empty_typeEEEZZNS1_27merge_sort_block_merge_implIS3_N6thrust23THRUST_200600_302600_NS6detail15normal_iteratorINS9_10device_ptrIiEEEEPS5_jNS1_19radix_merge_compareILb0ELb0EiNS0_19identity_decomposerEEEEE10hipError_tT0_T1_T2_jT3_P12ihipStream_tbPNSt15iterator_traitsISK_E10value_typeEPNSQ_ISL_E10value_typeEPSM_NS1_7vsmem_tEENKUlT_SK_SL_SM_E_clISE_PiSF_SF_EESJ_SZ_SK_SL_SM_EUlSZ_E1_NS1_11comp_targetILNS1_3genE4ELNS1_11target_archE910ELNS1_3gpuE8ELNS1_3repE0EEENS1_36merge_oddeven_config_static_selectorELNS0_4arch9wavefront6targetE1EEEvSL_.has_recursion, 0
	.set _ZN7rocprim17ROCPRIM_400000_NS6detail17trampoline_kernelINS0_14default_configENS1_38merge_sort_block_merge_config_selectorIiNS0_10empty_typeEEEZZNS1_27merge_sort_block_merge_implIS3_N6thrust23THRUST_200600_302600_NS6detail15normal_iteratorINS9_10device_ptrIiEEEEPS5_jNS1_19radix_merge_compareILb0ELb0EiNS0_19identity_decomposerEEEEE10hipError_tT0_T1_T2_jT3_P12ihipStream_tbPNSt15iterator_traitsISK_E10value_typeEPNSQ_ISL_E10value_typeEPSM_NS1_7vsmem_tEENKUlT_SK_SL_SM_E_clISE_PiSF_SF_EESJ_SZ_SK_SL_SM_EUlSZ_E1_NS1_11comp_targetILNS1_3genE4ELNS1_11target_archE910ELNS1_3gpuE8ELNS1_3repE0EEENS1_36merge_oddeven_config_static_selectorELNS0_4arch9wavefront6targetE1EEEvSL_.has_indirect_call, 0
	.section	.AMDGPU.csdata,"",@progbits
; Kernel info:
; codeLenInByte = 0
; TotalNumSgprs: 6
; NumVgprs: 0
; NumAgprs: 0
; TotalNumVgprs: 0
; ScratchSize: 0
; MemoryBound: 0
; FloatMode: 240
; IeeeMode: 1
; LDSByteSize: 0 bytes/workgroup (compile time only)
; SGPRBlocks: 0
; VGPRBlocks: 0
; NumSGPRsForWavesPerEU: 6
; NumVGPRsForWavesPerEU: 1
; AccumOffset: 4
; Occupancy: 8
; WaveLimiterHint : 0
; COMPUTE_PGM_RSRC2:SCRATCH_EN: 0
; COMPUTE_PGM_RSRC2:USER_SGPR: 2
; COMPUTE_PGM_RSRC2:TRAP_HANDLER: 0
; COMPUTE_PGM_RSRC2:TGID_X_EN: 1
; COMPUTE_PGM_RSRC2:TGID_Y_EN: 0
; COMPUTE_PGM_RSRC2:TGID_Z_EN: 0
; COMPUTE_PGM_RSRC2:TIDIG_COMP_CNT: 0
; COMPUTE_PGM_RSRC3_GFX90A:ACCUM_OFFSET: 0
; COMPUTE_PGM_RSRC3_GFX90A:TG_SPLIT: 0
	.section	.text._ZN7rocprim17ROCPRIM_400000_NS6detail17trampoline_kernelINS0_14default_configENS1_38merge_sort_block_merge_config_selectorIiNS0_10empty_typeEEEZZNS1_27merge_sort_block_merge_implIS3_N6thrust23THRUST_200600_302600_NS6detail15normal_iteratorINS9_10device_ptrIiEEEEPS5_jNS1_19radix_merge_compareILb0ELb0EiNS0_19identity_decomposerEEEEE10hipError_tT0_T1_T2_jT3_P12ihipStream_tbPNSt15iterator_traitsISK_E10value_typeEPNSQ_ISL_E10value_typeEPSM_NS1_7vsmem_tEENKUlT_SK_SL_SM_E_clISE_PiSF_SF_EESJ_SZ_SK_SL_SM_EUlSZ_E1_NS1_11comp_targetILNS1_3genE3ELNS1_11target_archE908ELNS1_3gpuE7ELNS1_3repE0EEENS1_36merge_oddeven_config_static_selectorELNS0_4arch9wavefront6targetE1EEEvSL_,"axG",@progbits,_ZN7rocprim17ROCPRIM_400000_NS6detail17trampoline_kernelINS0_14default_configENS1_38merge_sort_block_merge_config_selectorIiNS0_10empty_typeEEEZZNS1_27merge_sort_block_merge_implIS3_N6thrust23THRUST_200600_302600_NS6detail15normal_iteratorINS9_10device_ptrIiEEEEPS5_jNS1_19radix_merge_compareILb0ELb0EiNS0_19identity_decomposerEEEEE10hipError_tT0_T1_T2_jT3_P12ihipStream_tbPNSt15iterator_traitsISK_E10value_typeEPNSQ_ISL_E10value_typeEPSM_NS1_7vsmem_tEENKUlT_SK_SL_SM_E_clISE_PiSF_SF_EESJ_SZ_SK_SL_SM_EUlSZ_E1_NS1_11comp_targetILNS1_3genE3ELNS1_11target_archE908ELNS1_3gpuE7ELNS1_3repE0EEENS1_36merge_oddeven_config_static_selectorELNS0_4arch9wavefront6targetE1EEEvSL_,comdat
	.protected	_ZN7rocprim17ROCPRIM_400000_NS6detail17trampoline_kernelINS0_14default_configENS1_38merge_sort_block_merge_config_selectorIiNS0_10empty_typeEEEZZNS1_27merge_sort_block_merge_implIS3_N6thrust23THRUST_200600_302600_NS6detail15normal_iteratorINS9_10device_ptrIiEEEEPS5_jNS1_19radix_merge_compareILb0ELb0EiNS0_19identity_decomposerEEEEE10hipError_tT0_T1_T2_jT3_P12ihipStream_tbPNSt15iterator_traitsISK_E10value_typeEPNSQ_ISL_E10value_typeEPSM_NS1_7vsmem_tEENKUlT_SK_SL_SM_E_clISE_PiSF_SF_EESJ_SZ_SK_SL_SM_EUlSZ_E1_NS1_11comp_targetILNS1_3genE3ELNS1_11target_archE908ELNS1_3gpuE7ELNS1_3repE0EEENS1_36merge_oddeven_config_static_selectorELNS0_4arch9wavefront6targetE1EEEvSL_ ; -- Begin function _ZN7rocprim17ROCPRIM_400000_NS6detail17trampoline_kernelINS0_14default_configENS1_38merge_sort_block_merge_config_selectorIiNS0_10empty_typeEEEZZNS1_27merge_sort_block_merge_implIS3_N6thrust23THRUST_200600_302600_NS6detail15normal_iteratorINS9_10device_ptrIiEEEEPS5_jNS1_19radix_merge_compareILb0ELb0EiNS0_19identity_decomposerEEEEE10hipError_tT0_T1_T2_jT3_P12ihipStream_tbPNSt15iterator_traitsISK_E10value_typeEPNSQ_ISL_E10value_typeEPSM_NS1_7vsmem_tEENKUlT_SK_SL_SM_E_clISE_PiSF_SF_EESJ_SZ_SK_SL_SM_EUlSZ_E1_NS1_11comp_targetILNS1_3genE3ELNS1_11target_archE908ELNS1_3gpuE7ELNS1_3repE0EEENS1_36merge_oddeven_config_static_selectorELNS0_4arch9wavefront6targetE1EEEvSL_
	.globl	_ZN7rocprim17ROCPRIM_400000_NS6detail17trampoline_kernelINS0_14default_configENS1_38merge_sort_block_merge_config_selectorIiNS0_10empty_typeEEEZZNS1_27merge_sort_block_merge_implIS3_N6thrust23THRUST_200600_302600_NS6detail15normal_iteratorINS9_10device_ptrIiEEEEPS5_jNS1_19radix_merge_compareILb0ELb0EiNS0_19identity_decomposerEEEEE10hipError_tT0_T1_T2_jT3_P12ihipStream_tbPNSt15iterator_traitsISK_E10value_typeEPNSQ_ISL_E10value_typeEPSM_NS1_7vsmem_tEENKUlT_SK_SL_SM_E_clISE_PiSF_SF_EESJ_SZ_SK_SL_SM_EUlSZ_E1_NS1_11comp_targetILNS1_3genE3ELNS1_11target_archE908ELNS1_3gpuE7ELNS1_3repE0EEENS1_36merge_oddeven_config_static_selectorELNS0_4arch9wavefront6targetE1EEEvSL_
	.p2align	8
	.type	_ZN7rocprim17ROCPRIM_400000_NS6detail17trampoline_kernelINS0_14default_configENS1_38merge_sort_block_merge_config_selectorIiNS0_10empty_typeEEEZZNS1_27merge_sort_block_merge_implIS3_N6thrust23THRUST_200600_302600_NS6detail15normal_iteratorINS9_10device_ptrIiEEEEPS5_jNS1_19radix_merge_compareILb0ELb0EiNS0_19identity_decomposerEEEEE10hipError_tT0_T1_T2_jT3_P12ihipStream_tbPNSt15iterator_traitsISK_E10value_typeEPNSQ_ISL_E10value_typeEPSM_NS1_7vsmem_tEENKUlT_SK_SL_SM_E_clISE_PiSF_SF_EESJ_SZ_SK_SL_SM_EUlSZ_E1_NS1_11comp_targetILNS1_3genE3ELNS1_11target_archE908ELNS1_3gpuE7ELNS1_3repE0EEENS1_36merge_oddeven_config_static_selectorELNS0_4arch9wavefront6targetE1EEEvSL_,@function
_ZN7rocprim17ROCPRIM_400000_NS6detail17trampoline_kernelINS0_14default_configENS1_38merge_sort_block_merge_config_selectorIiNS0_10empty_typeEEEZZNS1_27merge_sort_block_merge_implIS3_N6thrust23THRUST_200600_302600_NS6detail15normal_iteratorINS9_10device_ptrIiEEEEPS5_jNS1_19radix_merge_compareILb0ELb0EiNS0_19identity_decomposerEEEEE10hipError_tT0_T1_T2_jT3_P12ihipStream_tbPNSt15iterator_traitsISK_E10value_typeEPNSQ_ISL_E10value_typeEPSM_NS1_7vsmem_tEENKUlT_SK_SL_SM_E_clISE_PiSF_SF_EESJ_SZ_SK_SL_SM_EUlSZ_E1_NS1_11comp_targetILNS1_3genE3ELNS1_11target_archE908ELNS1_3gpuE7ELNS1_3repE0EEENS1_36merge_oddeven_config_static_selectorELNS0_4arch9wavefront6targetE1EEEvSL_: ; @_ZN7rocprim17ROCPRIM_400000_NS6detail17trampoline_kernelINS0_14default_configENS1_38merge_sort_block_merge_config_selectorIiNS0_10empty_typeEEEZZNS1_27merge_sort_block_merge_implIS3_N6thrust23THRUST_200600_302600_NS6detail15normal_iteratorINS9_10device_ptrIiEEEEPS5_jNS1_19radix_merge_compareILb0ELb0EiNS0_19identity_decomposerEEEEE10hipError_tT0_T1_T2_jT3_P12ihipStream_tbPNSt15iterator_traitsISK_E10value_typeEPNSQ_ISL_E10value_typeEPSM_NS1_7vsmem_tEENKUlT_SK_SL_SM_E_clISE_PiSF_SF_EESJ_SZ_SK_SL_SM_EUlSZ_E1_NS1_11comp_targetILNS1_3genE3ELNS1_11target_archE908ELNS1_3gpuE7ELNS1_3repE0EEENS1_36merge_oddeven_config_static_selectorELNS0_4arch9wavefront6targetE1EEEvSL_
; %bb.0:
	.section	.rodata,"a",@progbits
	.p2align	6, 0x0
	.amdhsa_kernel _ZN7rocprim17ROCPRIM_400000_NS6detail17trampoline_kernelINS0_14default_configENS1_38merge_sort_block_merge_config_selectorIiNS0_10empty_typeEEEZZNS1_27merge_sort_block_merge_implIS3_N6thrust23THRUST_200600_302600_NS6detail15normal_iteratorINS9_10device_ptrIiEEEEPS5_jNS1_19radix_merge_compareILb0ELb0EiNS0_19identity_decomposerEEEEE10hipError_tT0_T1_T2_jT3_P12ihipStream_tbPNSt15iterator_traitsISK_E10value_typeEPNSQ_ISL_E10value_typeEPSM_NS1_7vsmem_tEENKUlT_SK_SL_SM_E_clISE_PiSF_SF_EESJ_SZ_SK_SL_SM_EUlSZ_E1_NS1_11comp_targetILNS1_3genE3ELNS1_11target_archE908ELNS1_3gpuE7ELNS1_3repE0EEENS1_36merge_oddeven_config_static_selectorELNS0_4arch9wavefront6targetE1EEEvSL_
		.amdhsa_group_segment_fixed_size 0
		.amdhsa_private_segment_fixed_size 0
		.amdhsa_kernarg_size 48
		.amdhsa_user_sgpr_count 2
		.amdhsa_user_sgpr_dispatch_ptr 0
		.amdhsa_user_sgpr_queue_ptr 0
		.amdhsa_user_sgpr_kernarg_segment_ptr 1
		.amdhsa_user_sgpr_dispatch_id 0
		.amdhsa_user_sgpr_kernarg_preload_length 0
		.amdhsa_user_sgpr_kernarg_preload_offset 0
		.amdhsa_user_sgpr_private_segment_size 0
		.amdhsa_uses_dynamic_stack 0
		.amdhsa_enable_private_segment 0
		.amdhsa_system_sgpr_workgroup_id_x 1
		.amdhsa_system_sgpr_workgroup_id_y 0
		.amdhsa_system_sgpr_workgroup_id_z 0
		.amdhsa_system_sgpr_workgroup_info 0
		.amdhsa_system_vgpr_workitem_id 0
		.amdhsa_next_free_vgpr 1
		.amdhsa_next_free_sgpr 0
		.amdhsa_accum_offset 4
		.amdhsa_reserve_vcc 0
		.amdhsa_float_round_mode_32 0
		.amdhsa_float_round_mode_16_64 0
		.amdhsa_float_denorm_mode_32 3
		.amdhsa_float_denorm_mode_16_64 3
		.amdhsa_dx10_clamp 1
		.amdhsa_ieee_mode 1
		.amdhsa_fp16_overflow 0
		.amdhsa_tg_split 0
		.amdhsa_exception_fp_ieee_invalid_op 0
		.amdhsa_exception_fp_denorm_src 0
		.amdhsa_exception_fp_ieee_div_zero 0
		.amdhsa_exception_fp_ieee_overflow 0
		.amdhsa_exception_fp_ieee_underflow 0
		.amdhsa_exception_fp_ieee_inexact 0
		.amdhsa_exception_int_div_zero 0
	.end_amdhsa_kernel
	.section	.text._ZN7rocprim17ROCPRIM_400000_NS6detail17trampoline_kernelINS0_14default_configENS1_38merge_sort_block_merge_config_selectorIiNS0_10empty_typeEEEZZNS1_27merge_sort_block_merge_implIS3_N6thrust23THRUST_200600_302600_NS6detail15normal_iteratorINS9_10device_ptrIiEEEEPS5_jNS1_19radix_merge_compareILb0ELb0EiNS0_19identity_decomposerEEEEE10hipError_tT0_T1_T2_jT3_P12ihipStream_tbPNSt15iterator_traitsISK_E10value_typeEPNSQ_ISL_E10value_typeEPSM_NS1_7vsmem_tEENKUlT_SK_SL_SM_E_clISE_PiSF_SF_EESJ_SZ_SK_SL_SM_EUlSZ_E1_NS1_11comp_targetILNS1_3genE3ELNS1_11target_archE908ELNS1_3gpuE7ELNS1_3repE0EEENS1_36merge_oddeven_config_static_selectorELNS0_4arch9wavefront6targetE1EEEvSL_,"axG",@progbits,_ZN7rocprim17ROCPRIM_400000_NS6detail17trampoline_kernelINS0_14default_configENS1_38merge_sort_block_merge_config_selectorIiNS0_10empty_typeEEEZZNS1_27merge_sort_block_merge_implIS3_N6thrust23THRUST_200600_302600_NS6detail15normal_iteratorINS9_10device_ptrIiEEEEPS5_jNS1_19radix_merge_compareILb0ELb0EiNS0_19identity_decomposerEEEEE10hipError_tT0_T1_T2_jT3_P12ihipStream_tbPNSt15iterator_traitsISK_E10value_typeEPNSQ_ISL_E10value_typeEPSM_NS1_7vsmem_tEENKUlT_SK_SL_SM_E_clISE_PiSF_SF_EESJ_SZ_SK_SL_SM_EUlSZ_E1_NS1_11comp_targetILNS1_3genE3ELNS1_11target_archE908ELNS1_3gpuE7ELNS1_3repE0EEENS1_36merge_oddeven_config_static_selectorELNS0_4arch9wavefront6targetE1EEEvSL_,comdat
.Lfunc_end63:
	.size	_ZN7rocprim17ROCPRIM_400000_NS6detail17trampoline_kernelINS0_14default_configENS1_38merge_sort_block_merge_config_selectorIiNS0_10empty_typeEEEZZNS1_27merge_sort_block_merge_implIS3_N6thrust23THRUST_200600_302600_NS6detail15normal_iteratorINS9_10device_ptrIiEEEEPS5_jNS1_19radix_merge_compareILb0ELb0EiNS0_19identity_decomposerEEEEE10hipError_tT0_T1_T2_jT3_P12ihipStream_tbPNSt15iterator_traitsISK_E10value_typeEPNSQ_ISL_E10value_typeEPSM_NS1_7vsmem_tEENKUlT_SK_SL_SM_E_clISE_PiSF_SF_EESJ_SZ_SK_SL_SM_EUlSZ_E1_NS1_11comp_targetILNS1_3genE3ELNS1_11target_archE908ELNS1_3gpuE7ELNS1_3repE0EEENS1_36merge_oddeven_config_static_selectorELNS0_4arch9wavefront6targetE1EEEvSL_, .Lfunc_end63-_ZN7rocprim17ROCPRIM_400000_NS6detail17trampoline_kernelINS0_14default_configENS1_38merge_sort_block_merge_config_selectorIiNS0_10empty_typeEEEZZNS1_27merge_sort_block_merge_implIS3_N6thrust23THRUST_200600_302600_NS6detail15normal_iteratorINS9_10device_ptrIiEEEEPS5_jNS1_19radix_merge_compareILb0ELb0EiNS0_19identity_decomposerEEEEE10hipError_tT0_T1_T2_jT3_P12ihipStream_tbPNSt15iterator_traitsISK_E10value_typeEPNSQ_ISL_E10value_typeEPSM_NS1_7vsmem_tEENKUlT_SK_SL_SM_E_clISE_PiSF_SF_EESJ_SZ_SK_SL_SM_EUlSZ_E1_NS1_11comp_targetILNS1_3genE3ELNS1_11target_archE908ELNS1_3gpuE7ELNS1_3repE0EEENS1_36merge_oddeven_config_static_selectorELNS0_4arch9wavefront6targetE1EEEvSL_
                                        ; -- End function
	.set _ZN7rocprim17ROCPRIM_400000_NS6detail17trampoline_kernelINS0_14default_configENS1_38merge_sort_block_merge_config_selectorIiNS0_10empty_typeEEEZZNS1_27merge_sort_block_merge_implIS3_N6thrust23THRUST_200600_302600_NS6detail15normal_iteratorINS9_10device_ptrIiEEEEPS5_jNS1_19radix_merge_compareILb0ELb0EiNS0_19identity_decomposerEEEEE10hipError_tT0_T1_T2_jT3_P12ihipStream_tbPNSt15iterator_traitsISK_E10value_typeEPNSQ_ISL_E10value_typeEPSM_NS1_7vsmem_tEENKUlT_SK_SL_SM_E_clISE_PiSF_SF_EESJ_SZ_SK_SL_SM_EUlSZ_E1_NS1_11comp_targetILNS1_3genE3ELNS1_11target_archE908ELNS1_3gpuE7ELNS1_3repE0EEENS1_36merge_oddeven_config_static_selectorELNS0_4arch9wavefront6targetE1EEEvSL_.num_vgpr, 0
	.set _ZN7rocprim17ROCPRIM_400000_NS6detail17trampoline_kernelINS0_14default_configENS1_38merge_sort_block_merge_config_selectorIiNS0_10empty_typeEEEZZNS1_27merge_sort_block_merge_implIS3_N6thrust23THRUST_200600_302600_NS6detail15normal_iteratorINS9_10device_ptrIiEEEEPS5_jNS1_19radix_merge_compareILb0ELb0EiNS0_19identity_decomposerEEEEE10hipError_tT0_T1_T2_jT3_P12ihipStream_tbPNSt15iterator_traitsISK_E10value_typeEPNSQ_ISL_E10value_typeEPSM_NS1_7vsmem_tEENKUlT_SK_SL_SM_E_clISE_PiSF_SF_EESJ_SZ_SK_SL_SM_EUlSZ_E1_NS1_11comp_targetILNS1_3genE3ELNS1_11target_archE908ELNS1_3gpuE7ELNS1_3repE0EEENS1_36merge_oddeven_config_static_selectorELNS0_4arch9wavefront6targetE1EEEvSL_.num_agpr, 0
	.set _ZN7rocprim17ROCPRIM_400000_NS6detail17trampoline_kernelINS0_14default_configENS1_38merge_sort_block_merge_config_selectorIiNS0_10empty_typeEEEZZNS1_27merge_sort_block_merge_implIS3_N6thrust23THRUST_200600_302600_NS6detail15normal_iteratorINS9_10device_ptrIiEEEEPS5_jNS1_19radix_merge_compareILb0ELb0EiNS0_19identity_decomposerEEEEE10hipError_tT0_T1_T2_jT3_P12ihipStream_tbPNSt15iterator_traitsISK_E10value_typeEPNSQ_ISL_E10value_typeEPSM_NS1_7vsmem_tEENKUlT_SK_SL_SM_E_clISE_PiSF_SF_EESJ_SZ_SK_SL_SM_EUlSZ_E1_NS1_11comp_targetILNS1_3genE3ELNS1_11target_archE908ELNS1_3gpuE7ELNS1_3repE0EEENS1_36merge_oddeven_config_static_selectorELNS0_4arch9wavefront6targetE1EEEvSL_.numbered_sgpr, 0
	.set _ZN7rocprim17ROCPRIM_400000_NS6detail17trampoline_kernelINS0_14default_configENS1_38merge_sort_block_merge_config_selectorIiNS0_10empty_typeEEEZZNS1_27merge_sort_block_merge_implIS3_N6thrust23THRUST_200600_302600_NS6detail15normal_iteratorINS9_10device_ptrIiEEEEPS5_jNS1_19radix_merge_compareILb0ELb0EiNS0_19identity_decomposerEEEEE10hipError_tT0_T1_T2_jT3_P12ihipStream_tbPNSt15iterator_traitsISK_E10value_typeEPNSQ_ISL_E10value_typeEPSM_NS1_7vsmem_tEENKUlT_SK_SL_SM_E_clISE_PiSF_SF_EESJ_SZ_SK_SL_SM_EUlSZ_E1_NS1_11comp_targetILNS1_3genE3ELNS1_11target_archE908ELNS1_3gpuE7ELNS1_3repE0EEENS1_36merge_oddeven_config_static_selectorELNS0_4arch9wavefront6targetE1EEEvSL_.num_named_barrier, 0
	.set _ZN7rocprim17ROCPRIM_400000_NS6detail17trampoline_kernelINS0_14default_configENS1_38merge_sort_block_merge_config_selectorIiNS0_10empty_typeEEEZZNS1_27merge_sort_block_merge_implIS3_N6thrust23THRUST_200600_302600_NS6detail15normal_iteratorINS9_10device_ptrIiEEEEPS5_jNS1_19radix_merge_compareILb0ELb0EiNS0_19identity_decomposerEEEEE10hipError_tT0_T1_T2_jT3_P12ihipStream_tbPNSt15iterator_traitsISK_E10value_typeEPNSQ_ISL_E10value_typeEPSM_NS1_7vsmem_tEENKUlT_SK_SL_SM_E_clISE_PiSF_SF_EESJ_SZ_SK_SL_SM_EUlSZ_E1_NS1_11comp_targetILNS1_3genE3ELNS1_11target_archE908ELNS1_3gpuE7ELNS1_3repE0EEENS1_36merge_oddeven_config_static_selectorELNS0_4arch9wavefront6targetE1EEEvSL_.private_seg_size, 0
	.set _ZN7rocprim17ROCPRIM_400000_NS6detail17trampoline_kernelINS0_14default_configENS1_38merge_sort_block_merge_config_selectorIiNS0_10empty_typeEEEZZNS1_27merge_sort_block_merge_implIS3_N6thrust23THRUST_200600_302600_NS6detail15normal_iteratorINS9_10device_ptrIiEEEEPS5_jNS1_19radix_merge_compareILb0ELb0EiNS0_19identity_decomposerEEEEE10hipError_tT0_T1_T2_jT3_P12ihipStream_tbPNSt15iterator_traitsISK_E10value_typeEPNSQ_ISL_E10value_typeEPSM_NS1_7vsmem_tEENKUlT_SK_SL_SM_E_clISE_PiSF_SF_EESJ_SZ_SK_SL_SM_EUlSZ_E1_NS1_11comp_targetILNS1_3genE3ELNS1_11target_archE908ELNS1_3gpuE7ELNS1_3repE0EEENS1_36merge_oddeven_config_static_selectorELNS0_4arch9wavefront6targetE1EEEvSL_.uses_vcc, 0
	.set _ZN7rocprim17ROCPRIM_400000_NS6detail17trampoline_kernelINS0_14default_configENS1_38merge_sort_block_merge_config_selectorIiNS0_10empty_typeEEEZZNS1_27merge_sort_block_merge_implIS3_N6thrust23THRUST_200600_302600_NS6detail15normal_iteratorINS9_10device_ptrIiEEEEPS5_jNS1_19radix_merge_compareILb0ELb0EiNS0_19identity_decomposerEEEEE10hipError_tT0_T1_T2_jT3_P12ihipStream_tbPNSt15iterator_traitsISK_E10value_typeEPNSQ_ISL_E10value_typeEPSM_NS1_7vsmem_tEENKUlT_SK_SL_SM_E_clISE_PiSF_SF_EESJ_SZ_SK_SL_SM_EUlSZ_E1_NS1_11comp_targetILNS1_3genE3ELNS1_11target_archE908ELNS1_3gpuE7ELNS1_3repE0EEENS1_36merge_oddeven_config_static_selectorELNS0_4arch9wavefront6targetE1EEEvSL_.uses_flat_scratch, 0
	.set _ZN7rocprim17ROCPRIM_400000_NS6detail17trampoline_kernelINS0_14default_configENS1_38merge_sort_block_merge_config_selectorIiNS0_10empty_typeEEEZZNS1_27merge_sort_block_merge_implIS3_N6thrust23THRUST_200600_302600_NS6detail15normal_iteratorINS9_10device_ptrIiEEEEPS5_jNS1_19radix_merge_compareILb0ELb0EiNS0_19identity_decomposerEEEEE10hipError_tT0_T1_T2_jT3_P12ihipStream_tbPNSt15iterator_traitsISK_E10value_typeEPNSQ_ISL_E10value_typeEPSM_NS1_7vsmem_tEENKUlT_SK_SL_SM_E_clISE_PiSF_SF_EESJ_SZ_SK_SL_SM_EUlSZ_E1_NS1_11comp_targetILNS1_3genE3ELNS1_11target_archE908ELNS1_3gpuE7ELNS1_3repE0EEENS1_36merge_oddeven_config_static_selectorELNS0_4arch9wavefront6targetE1EEEvSL_.has_dyn_sized_stack, 0
	.set _ZN7rocprim17ROCPRIM_400000_NS6detail17trampoline_kernelINS0_14default_configENS1_38merge_sort_block_merge_config_selectorIiNS0_10empty_typeEEEZZNS1_27merge_sort_block_merge_implIS3_N6thrust23THRUST_200600_302600_NS6detail15normal_iteratorINS9_10device_ptrIiEEEEPS5_jNS1_19radix_merge_compareILb0ELb0EiNS0_19identity_decomposerEEEEE10hipError_tT0_T1_T2_jT3_P12ihipStream_tbPNSt15iterator_traitsISK_E10value_typeEPNSQ_ISL_E10value_typeEPSM_NS1_7vsmem_tEENKUlT_SK_SL_SM_E_clISE_PiSF_SF_EESJ_SZ_SK_SL_SM_EUlSZ_E1_NS1_11comp_targetILNS1_3genE3ELNS1_11target_archE908ELNS1_3gpuE7ELNS1_3repE0EEENS1_36merge_oddeven_config_static_selectorELNS0_4arch9wavefront6targetE1EEEvSL_.has_recursion, 0
	.set _ZN7rocprim17ROCPRIM_400000_NS6detail17trampoline_kernelINS0_14default_configENS1_38merge_sort_block_merge_config_selectorIiNS0_10empty_typeEEEZZNS1_27merge_sort_block_merge_implIS3_N6thrust23THRUST_200600_302600_NS6detail15normal_iteratorINS9_10device_ptrIiEEEEPS5_jNS1_19radix_merge_compareILb0ELb0EiNS0_19identity_decomposerEEEEE10hipError_tT0_T1_T2_jT3_P12ihipStream_tbPNSt15iterator_traitsISK_E10value_typeEPNSQ_ISL_E10value_typeEPSM_NS1_7vsmem_tEENKUlT_SK_SL_SM_E_clISE_PiSF_SF_EESJ_SZ_SK_SL_SM_EUlSZ_E1_NS1_11comp_targetILNS1_3genE3ELNS1_11target_archE908ELNS1_3gpuE7ELNS1_3repE0EEENS1_36merge_oddeven_config_static_selectorELNS0_4arch9wavefront6targetE1EEEvSL_.has_indirect_call, 0
	.section	.AMDGPU.csdata,"",@progbits
; Kernel info:
; codeLenInByte = 0
; TotalNumSgprs: 6
; NumVgprs: 0
; NumAgprs: 0
; TotalNumVgprs: 0
; ScratchSize: 0
; MemoryBound: 0
; FloatMode: 240
; IeeeMode: 1
; LDSByteSize: 0 bytes/workgroup (compile time only)
; SGPRBlocks: 0
; VGPRBlocks: 0
; NumSGPRsForWavesPerEU: 6
; NumVGPRsForWavesPerEU: 1
; AccumOffset: 4
; Occupancy: 8
; WaveLimiterHint : 0
; COMPUTE_PGM_RSRC2:SCRATCH_EN: 0
; COMPUTE_PGM_RSRC2:USER_SGPR: 2
; COMPUTE_PGM_RSRC2:TRAP_HANDLER: 0
; COMPUTE_PGM_RSRC2:TGID_X_EN: 1
; COMPUTE_PGM_RSRC2:TGID_Y_EN: 0
; COMPUTE_PGM_RSRC2:TGID_Z_EN: 0
; COMPUTE_PGM_RSRC2:TIDIG_COMP_CNT: 0
; COMPUTE_PGM_RSRC3_GFX90A:ACCUM_OFFSET: 0
; COMPUTE_PGM_RSRC3_GFX90A:TG_SPLIT: 0
	.section	.text._ZN7rocprim17ROCPRIM_400000_NS6detail17trampoline_kernelINS0_14default_configENS1_38merge_sort_block_merge_config_selectorIiNS0_10empty_typeEEEZZNS1_27merge_sort_block_merge_implIS3_N6thrust23THRUST_200600_302600_NS6detail15normal_iteratorINS9_10device_ptrIiEEEEPS5_jNS1_19radix_merge_compareILb0ELb0EiNS0_19identity_decomposerEEEEE10hipError_tT0_T1_T2_jT3_P12ihipStream_tbPNSt15iterator_traitsISK_E10value_typeEPNSQ_ISL_E10value_typeEPSM_NS1_7vsmem_tEENKUlT_SK_SL_SM_E_clISE_PiSF_SF_EESJ_SZ_SK_SL_SM_EUlSZ_E1_NS1_11comp_targetILNS1_3genE2ELNS1_11target_archE906ELNS1_3gpuE6ELNS1_3repE0EEENS1_36merge_oddeven_config_static_selectorELNS0_4arch9wavefront6targetE1EEEvSL_,"axG",@progbits,_ZN7rocprim17ROCPRIM_400000_NS6detail17trampoline_kernelINS0_14default_configENS1_38merge_sort_block_merge_config_selectorIiNS0_10empty_typeEEEZZNS1_27merge_sort_block_merge_implIS3_N6thrust23THRUST_200600_302600_NS6detail15normal_iteratorINS9_10device_ptrIiEEEEPS5_jNS1_19radix_merge_compareILb0ELb0EiNS0_19identity_decomposerEEEEE10hipError_tT0_T1_T2_jT3_P12ihipStream_tbPNSt15iterator_traitsISK_E10value_typeEPNSQ_ISL_E10value_typeEPSM_NS1_7vsmem_tEENKUlT_SK_SL_SM_E_clISE_PiSF_SF_EESJ_SZ_SK_SL_SM_EUlSZ_E1_NS1_11comp_targetILNS1_3genE2ELNS1_11target_archE906ELNS1_3gpuE6ELNS1_3repE0EEENS1_36merge_oddeven_config_static_selectorELNS0_4arch9wavefront6targetE1EEEvSL_,comdat
	.protected	_ZN7rocprim17ROCPRIM_400000_NS6detail17trampoline_kernelINS0_14default_configENS1_38merge_sort_block_merge_config_selectorIiNS0_10empty_typeEEEZZNS1_27merge_sort_block_merge_implIS3_N6thrust23THRUST_200600_302600_NS6detail15normal_iteratorINS9_10device_ptrIiEEEEPS5_jNS1_19radix_merge_compareILb0ELb0EiNS0_19identity_decomposerEEEEE10hipError_tT0_T1_T2_jT3_P12ihipStream_tbPNSt15iterator_traitsISK_E10value_typeEPNSQ_ISL_E10value_typeEPSM_NS1_7vsmem_tEENKUlT_SK_SL_SM_E_clISE_PiSF_SF_EESJ_SZ_SK_SL_SM_EUlSZ_E1_NS1_11comp_targetILNS1_3genE2ELNS1_11target_archE906ELNS1_3gpuE6ELNS1_3repE0EEENS1_36merge_oddeven_config_static_selectorELNS0_4arch9wavefront6targetE1EEEvSL_ ; -- Begin function _ZN7rocprim17ROCPRIM_400000_NS6detail17trampoline_kernelINS0_14default_configENS1_38merge_sort_block_merge_config_selectorIiNS0_10empty_typeEEEZZNS1_27merge_sort_block_merge_implIS3_N6thrust23THRUST_200600_302600_NS6detail15normal_iteratorINS9_10device_ptrIiEEEEPS5_jNS1_19radix_merge_compareILb0ELb0EiNS0_19identity_decomposerEEEEE10hipError_tT0_T1_T2_jT3_P12ihipStream_tbPNSt15iterator_traitsISK_E10value_typeEPNSQ_ISL_E10value_typeEPSM_NS1_7vsmem_tEENKUlT_SK_SL_SM_E_clISE_PiSF_SF_EESJ_SZ_SK_SL_SM_EUlSZ_E1_NS1_11comp_targetILNS1_3genE2ELNS1_11target_archE906ELNS1_3gpuE6ELNS1_3repE0EEENS1_36merge_oddeven_config_static_selectorELNS0_4arch9wavefront6targetE1EEEvSL_
	.globl	_ZN7rocprim17ROCPRIM_400000_NS6detail17trampoline_kernelINS0_14default_configENS1_38merge_sort_block_merge_config_selectorIiNS0_10empty_typeEEEZZNS1_27merge_sort_block_merge_implIS3_N6thrust23THRUST_200600_302600_NS6detail15normal_iteratorINS9_10device_ptrIiEEEEPS5_jNS1_19radix_merge_compareILb0ELb0EiNS0_19identity_decomposerEEEEE10hipError_tT0_T1_T2_jT3_P12ihipStream_tbPNSt15iterator_traitsISK_E10value_typeEPNSQ_ISL_E10value_typeEPSM_NS1_7vsmem_tEENKUlT_SK_SL_SM_E_clISE_PiSF_SF_EESJ_SZ_SK_SL_SM_EUlSZ_E1_NS1_11comp_targetILNS1_3genE2ELNS1_11target_archE906ELNS1_3gpuE6ELNS1_3repE0EEENS1_36merge_oddeven_config_static_selectorELNS0_4arch9wavefront6targetE1EEEvSL_
	.p2align	8
	.type	_ZN7rocprim17ROCPRIM_400000_NS6detail17trampoline_kernelINS0_14default_configENS1_38merge_sort_block_merge_config_selectorIiNS0_10empty_typeEEEZZNS1_27merge_sort_block_merge_implIS3_N6thrust23THRUST_200600_302600_NS6detail15normal_iteratorINS9_10device_ptrIiEEEEPS5_jNS1_19radix_merge_compareILb0ELb0EiNS0_19identity_decomposerEEEEE10hipError_tT0_T1_T2_jT3_P12ihipStream_tbPNSt15iterator_traitsISK_E10value_typeEPNSQ_ISL_E10value_typeEPSM_NS1_7vsmem_tEENKUlT_SK_SL_SM_E_clISE_PiSF_SF_EESJ_SZ_SK_SL_SM_EUlSZ_E1_NS1_11comp_targetILNS1_3genE2ELNS1_11target_archE906ELNS1_3gpuE6ELNS1_3repE0EEENS1_36merge_oddeven_config_static_selectorELNS0_4arch9wavefront6targetE1EEEvSL_,@function
_ZN7rocprim17ROCPRIM_400000_NS6detail17trampoline_kernelINS0_14default_configENS1_38merge_sort_block_merge_config_selectorIiNS0_10empty_typeEEEZZNS1_27merge_sort_block_merge_implIS3_N6thrust23THRUST_200600_302600_NS6detail15normal_iteratorINS9_10device_ptrIiEEEEPS5_jNS1_19radix_merge_compareILb0ELb0EiNS0_19identity_decomposerEEEEE10hipError_tT0_T1_T2_jT3_P12ihipStream_tbPNSt15iterator_traitsISK_E10value_typeEPNSQ_ISL_E10value_typeEPSM_NS1_7vsmem_tEENKUlT_SK_SL_SM_E_clISE_PiSF_SF_EESJ_SZ_SK_SL_SM_EUlSZ_E1_NS1_11comp_targetILNS1_3genE2ELNS1_11target_archE906ELNS1_3gpuE6ELNS1_3repE0EEENS1_36merge_oddeven_config_static_selectorELNS0_4arch9wavefront6targetE1EEEvSL_: ; @_ZN7rocprim17ROCPRIM_400000_NS6detail17trampoline_kernelINS0_14default_configENS1_38merge_sort_block_merge_config_selectorIiNS0_10empty_typeEEEZZNS1_27merge_sort_block_merge_implIS3_N6thrust23THRUST_200600_302600_NS6detail15normal_iteratorINS9_10device_ptrIiEEEEPS5_jNS1_19radix_merge_compareILb0ELb0EiNS0_19identity_decomposerEEEEE10hipError_tT0_T1_T2_jT3_P12ihipStream_tbPNSt15iterator_traitsISK_E10value_typeEPNSQ_ISL_E10value_typeEPSM_NS1_7vsmem_tEENKUlT_SK_SL_SM_E_clISE_PiSF_SF_EESJ_SZ_SK_SL_SM_EUlSZ_E1_NS1_11comp_targetILNS1_3genE2ELNS1_11target_archE906ELNS1_3gpuE6ELNS1_3repE0EEENS1_36merge_oddeven_config_static_selectorELNS0_4arch9wavefront6targetE1EEEvSL_
; %bb.0:
	.section	.rodata,"a",@progbits
	.p2align	6, 0x0
	.amdhsa_kernel _ZN7rocprim17ROCPRIM_400000_NS6detail17trampoline_kernelINS0_14default_configENS1_38merge_sort_block_merge_config_selectorIiNS0_10empty_typeEEEZZNS1_27merge_sort_block_merge_implIS3_N6thrust23THRUST_200600_302600_NS6detail15normal_iteratorINS9_10device_ptrIiEEEEPS5_jNS1_19radix_merge_compareILb0ELb0EiNS0_19identity_decomposerEEEEE10hipError_tT0_T1_T2_jT3_P12ihipStream_tbPNSt15iterator_traitsISK_E10value_typeEPNSQ_ISL_E10value_typeEPSM_NS1_7vsmem_tEENKUlT_SK_SL_SM_E_clISE_PiSF_SF_EESJ_SZ_SK_SL_SM_EUlSZ_E1_NS1_11comp_targetILNS1_3genE2ELNS1_11target_archE906ELNS1_3gpuE6ELNS1_3repE0EEENS1_36merge_oddeven_config_static_selectorELNS0_4arch9wavefront6targetE1EEEvSL_
		.amdhsa_group_segment_fixed_size 0
		.amdhsa_private_segment_fixed_size 0
		.amdhsa_kernarg_size 48
		.amdhsa_user_sgpr_count 2
		.amdhsa_user_sgpr_dispatch_ptr 0
		.amdhsa_user_sgpr_queue_ptr 0
		.amdhsa_user_sgpr_kernarg_segment_ptr 1
		.amdhsa_user_sgpr_dispatch_id 0
		.amdhsa_user_sgpr_kernarg_preload_length 0
		.amdhsa_user_sgpr_kernarg_preload_offset 0
		.amdhsa_user_sgpr_private_segment_size 0
		.amdhsa_uses_dynamic_stack 0
		.amdhsa_enable_private_segment 0
		.amdhsa_system_sgpr_workgroup_id_x 1
		.amdhsa_system_sgpr_workgroup_id_y 0
		.amdhsa_system_sgpr_workgroup_id_z 0
		.amdhsa_system_sgpr_workgroup_info 0
		.amdhsa_system_vgpr_workitem_id 0
		.amdhsa_next_free_vgpr 1
		.amdhsa_next_free_sgpr 0
		.amdhsa_accum_offset 4
		.amdhsa_reserve_vcc 0
		.amdhsa_float_round_mode_32 0
		.amdhsa_float_round_mode_16_64 0
		.amdhsa_float_denorm_mode_32 3
		.amdhsa_float_denorm_mode_16_64 3
		.amdhsa_dx10_clamp 1
		.amdhsa_ieee_mode 1
		.amdhsa_fp16_overflow 0
		.amdhsa_tg_split 0
		.amdhsa_exception_fp_ieee_invalid_op 0
		.amdhsa_exception_fp_denorm_src 0
		.amdhsa_exception_fp_ieee_div_zero 0
		.amdhsa_exception_fp_ieee_overflow 0
		.amdhsa_exception_fp_ieee_underflow 0
		.amdhsa_exception_fp_ieee_inexact 0
		.amdhsa_exception_int_div_zero 0
	.end_amdhsa_kernel
	.section	.text._ZN7rocprim17ROCPRIM_400000_NS6detail17trampoline_kernelINS0_14default_configENS1_38merge_sort_block_merge_config_selectorIiNS0_10empty_typeEEEZZNS1_27merge_sort_block_merge_implIS3_N6thrust23THRUST_200600_302600_NS6detail15normal_iteratorINS9_10device_ptrIiEEEEPS5_jNS1_19radix_merge_compareILb0ELb0EiNS0_19identity_decomposerEEEEE10hipError_tT0_T1_T2_jT3_P12ihipStream_tbPNSt15iterator_traitsISK_E10value_typeEPNSQ_ISL_E10value_typeEPSM_NS1_7vsmem_tEENKUlT_SK_SL_SM_E_clISE_PiSF_SF_EESJ_SZ_SK_SL_SM_EUlSZ_E1_NS1_11comp_targetILNS1_3genE2ELNS1_11target_archE906ELNS1_3gpuE6ELNS1_3repE0EEENS1_36merge_oddeven_config_static_selectorELNS0_4arch9wavefront6targetE1EEEvSL_,"axG",@progbits,_ZN7rocprim17ROCPRIM_400000_NS6detail17trampoline_kernelINS0_14default_configENS1_38merge_sort_block_merge_config_selectorIiNS0_10empty_typeEEEZZNS1_27merge_sort_block_merge_implIS3_N6thrust23THRUST_200600_302600_NS6detail15normal_iteratorINS9_10device_ptrIiEEEEPS5_jNS1_19radix_merge_compareILb0ELb0EiNS0_19identity_decomposerEEEEE10hipError_tT0_T1_T2_jT3_P12ihipStream_tbPNSt15iterator_traitsISK_E10value_typeEPNSQ_ISL_E10value_typeEPSM_NS1_7vsmem_tEENKUlT_SK_SL_SM_E_clISE_PiSF_SF_EESJ_SZ_SK_SL_SM_EUlSZ_E1_NS1_11comp_targetILNS1_3genE2ELNS1_11target_archE906ELNS1_3gpuE6ELNS1_3repE0EEENS1_36merge_oddeven_config_static_selectorELNS0_4arch9wavefront6targetE1EEEvSL_,comdat
.Lfunc_end64:
	.size	_ZN7rocprim17ROCPRIM_400000_NS6detail17trampoline_kernelINS0_14default_configENS1_38merge_sort_block_merge_config_selectorIiNS0_10empty_typeEEEZZNS1_27merge_sort_block_merge_implIS3_N6thrust23THRUST_200600_302600_NS6detail15normal_iteratorINS9_10device_ptrIiEEEEPS5_jNS1_19radix_merge_compareILb0ELb0EiNS0_19identity_decomposerEEEEE10hipError_tT0_T1_T2_jT3_P12ihipStream_tbPNSt15iterator_traitsISK_E10value_typeEPNSQ_ISL_E10value_typeEPSM_NS1_7vsmem_tEENKUlT_SK_SL_SM_E_clISE_PiSF_SF_EESJ_SZ_SK_SL_SM_EUlSZ_E1_NS1_11comp_targetILNS1_3genE2ELNS1_11target_archE906ELNS1_3gpuE6ELNS1_3repE0EEENS1_36merge_oddeven_config_static_selectorELNS0_4arch9wavefront6targetE1EEEvSL_, .Lfunc_end64-_ZN7rocprim17ROCPRIM_400000_NS6detail17trampoline_kernelINS0_14default_configENS1_38merge_sort_block_merge_config_selectorIiNS0_10empty_typeEEEZZNS1_27merge_sort_block_merge_implIS3_N6thrust23THRUST_200600_302600_NS6detail15normal_iteratorINS9_10device_ptrIiEEEEPS5_jNS1_19radix_merge_compareILb0ELb0EiNS0_19identity_decomposerEEEEE10hipError_tT0_T1_T2_jT3_P12ihipStream_tbPNSt15iterator_traitsISK_E10value_typeEPNSQ_ISL_E10value_typeEPSM_NS1_7vsmem_tEENKUlT_SK_SL_SM_E_clISE_PiSF_SF_EESJ_SZ_SK_SL_SM_EUlSZ_E1_NS1_11comp_targetILNS1_3genE2ELNS1_11target_archE906ELNS1_3gpuE6ELNS1_3repE0EEENS1_36merge_oddeven_config_static_selectorELNS0_4arch9wavefront6targetE1EEEvSL_
                                        ; -- End function
	.set _ZN7rocprim17ROCPRIM_400000_NS6detail17trampoline_kernelINS0_14default_configENS1_38merge_sort_block_merge_config_selectorIiNS0_10empty_typeEEEZZNS1_27merge_sort_block_merge_implIS3_N6thrust23THRUST_200600_302600_NS6detail15normal_iteratorINS9_10device_ptrIiEEEEPS5_jNS1_19radix_merge_compareILb0ELb0EiNS0_19identity_decomposerEEEEE10hipError_tT0_T1_T2_jT3_P12ihipStream_tbPNSt15iterator_traitsISK_E10value_typeEPNSQ_ISL_E10value_typeEPSM_NS1_7vsmem_tEENKUlT_SK_SL_SM_E_clISE_PiSF_SF_EESJ_SZ_SK_SL_SM_EUlSZ_E1_NS1_11comp_targetILNS1_3genE2ELNS1_11target_archE906ELNS1_3gpuE6ELNS1_3repE0EEENS1_36merge_oddeven_config_static_selectorELNS0_4arch9wavefront6targetE1EEEvSL_.num_vgpr, 0
	.set _ZN7rocprim17ROCPRIM_400000_NS6detail17trampoline_kernelINS0_14default_configENS1_38merge_sort_block_merge_config_selectorIiNS0_10empty_typeEEEZZNS1_27merge_sort_block_merge_implIS3_N6thrust23THRUST_200600_302600_NS6detail15normal_iteratorINS9_10device_ptrIiEEEEPS5_jNS1_19radix_merge_compareILb0ELb0EiNS0_19identity_decomposerEEEEE10hipError_tT0_T1_T2_jT3_P12ihipStream_tbPNSt15iterator_traitsISK_E10value_typeEPNSQ_ISL_E10value_typeEPSM_NS1_7vsmem_tEENKUlT_SK_SL_SM_E_clISE_PiSF_SF_EESJ_SZ_SK_SL_SM_EUlSZ_E1_NS1_11comp_targetILNS1_3genE2ELNS1_11target_archE906ELNS1_3gpuE6ELNS1_3repE0EEENS1_36merge_oddeven_config_static_selectorELNS0_4arch9wavefront6targetE1EEEvSL_.num_agpr, 0
	.set _ZN7rocprim17ROCPRIM_400000_NS6detail17trampoline_kernelINS0_14default_configENS1_38merge_sort_block_merge_config_selectorIiNS0_10empty_typeEEEZZNS1_27merge_sort_block_merge_implIS3_N6thrust23THRUST_200600_302600_NS6detail15normal_iteratorINS9_10device_ptrIiEEEEPS5_jNS1_19radix_merge_compareILb0ELb0EiNS0_19identity_decomposerEEEEE10hipError_tT0_T1_T2_jT3_P12ihipStream_tbPNSt15iterator_traitsISK_E10value_typeEPNSQ_ISL_E10value_typeEPSM_NS1_7vsmem_tEENKUlT_SK_SL_SM_E_clISE_PiSF_SF_EESJ_SZ_SK_SL_SM_EUlSZ_E1_NS1_11comp_targetILNS1_3genE2ELNS1_11target_archE906ELNS1_3gpuE6ELNS1_3repE0EEENS1_36merge_oddeven_config_static_selectorELNS0_4arch9wavefront6targetE1EEEvSL_.numbered_sgpr, 0
	.set _ZN7rocprim17ROCPRIM_400000_NS6detail17trampoline_kernelINS0_14default_configENS1_38merge_sort_block_merge_config_selectorIiNS0_10empty_typeEEEZZNS1_27merge_sort_block_merge_implIS3_N6thrust23THRUST_200600_302600_NS6detail15normal_iteratorINS9_10device_ptrIiEEEEPS5_jNS1_19radix_merge_compareILb0ELb0EiNS0_19identity_decomposerEEEEE10hipError_tT0_T1_T2_jT3_P12ihipStream_tbPNSt15iterator_traitsISK_E10value_typeEPNSQ_ISL_E10value_typeEPSM_NS1_7vsmem_tEENKUlT_SK_SL_SM_E_clISE_PiSF_SF_EESJ_SZ_SK_SL_SM_EUlSZ_E1_NS1_11comp_targetILNS1_3genE2ELNS1_11target_archE906ELNS1_3gpuE6ELNS1_3repE0EEENS1_36merge_oddeven_config_static_selectorELNS0_4arch9wavefront6targetE1EEEvSL_.num_named_barrier, 0
	.set _ZN7rocprim17ROCPRIM_400000_NS6detail17trampoline_kernelINS0_14default_configENS1_38merge_sort_block_merge_config_selectorIiNS0_10empty_typeEEEZZNS1_27merge_sort_block_merge_implIS3_N6thrust23THRUST_200600_302600_NS6detail15normal_iteratorINS9_10device_ptrIiEEEEPS5_jNS1_19radix_merge_compareILb0ELb0EiNS0_19identity_decomposerEEEEE10hipError_tT0_T1_T2_jT3_P12ihipStream_tbPNSt15iterator_traitsISK_E10value_typeEPNSQ_ISL_E10value_typeEPSM_NS1_7vsmem_tEENKUlT_SK_SL_SM_E_clISE_PiSF_SF_EESJ_SZ_SK_SL_SM_EUlSZ_E1_NS1_11comp_targetILNS1_3genE2ELNS1_11target_archE906ELNS1_3gpuE6ELNS1_3repE0EEENS1_36merge_oddeven_config_static_selectorELNS0_4arch9wavefront6targetE1EEEvSL_.private_seg_size, 0
	.set _ZN7rocprim17ROCPRIM_400000_NS6detail17trampoline_kernelINS0_14default_configENS1_38merge_sort_block_merge_config_selectorIiNS0_10empty_typeEEEZZNS1_27merge_sort_block_merge_implIS3_N6thrust23THRUST_200600_302600_NS6detail15normal_iteratorINS9_10device_ptrIiEEEEPS5_jNS1_19radix_merge_compareILb0ELb0EiNS0_19identity_decomposerEEEEE10hipError_tT0_T1_T2_jT3_P12ihipStream_tbPNSt15iterator_traitsISK_E10value_typeEPNSQ_ISL_E10value_typeEPSM_NS1_7vsmem_tEENKUlT_SK_SL_SM_E_clISE_PiSF_SF_EESJ_SZ_SK_SL_SM_EUlSZ_E1_NS1_11comp_targetILNS1_3genE2ELNS1_11target_archE906ELNS1_3gpuE6ELNS1_3repE0EEENS1_36merge_oddeven_config_static_selectorELNS0_4arch9wavefront6targetE1EEEvSL_.uses_vcc, 0
	.set _ZN7rocprim17ROCPRIM_400000_NS6detail17trampoline_kernelINS0_14default_configENS1_38merge_sort_block_merge_config_selectorIiNS0_10empty_typeEEEZZNS1_27merge_sort_block_merge_implIS3_N6thrust23THRUST_200600_302600_NS6detail15normal_iteratorINS9_10device_ptrIiEEEEPS5_jNS1_19radix_merge_compareILb0ELb0EiNS0_19identity_decomposerEEEEE10hipError_tT0_T1_T2_jT3_P12ihipStream_tbPNSt15iterator_traitsISK_E10value_typeEPNSQ_ISL_E10value_typeEPSM_NS1_7vsmem_tEENKUlT_SK_SL_SM_E_clISE_PiSF_SF_EESJ_SZ_SK_SL_SM_EUlSZ_E1_NS1_11comp_targetILNS1_3genE2ELNS1_11target_archE906ELNS1_3gpuE6ELNS1_3repE0EEENS1_36merge_oddeven_config_static_selectorELNS0_4arch9wavefront6targetE1EEEvSL_.uses_flat_scratch, 0
	.set _ZN7rocprim17ROCPRIM_400000_NS6detail17trampoline_kernelINS0_14default_configENS1_38merge_sort_block_merge_config_selectorIiNS0_10empty_typeEEEZZNS1_27merge_sort_block_merge_implIS3_N6thrust23THRUST_200600_302600_NS6detail15normal_iteratorINS9_10device_ptrIiEEEEPS5_jNS1_19radix_merge_compareILb0ELb0EiNS0_19identity_decomposerEEEEE10hipError_tT0_T1_T2_jT3_P12ihipStream_tbPNSt15iterator_traitsISK_E10value_typeEPNSQ_ISL_E10value_typeEPSM_NS1_7vsmem_tEENKUlT_SK_SL_SM_E_clISE_PiSF_SF_EESJ_SZ_SK_SL_SM_EUlSZ_E1_NS1_11comp_targetILNS1_3genE2ELNS1_11target_archE906ELNS1_3gpuE6ELNS1_3repE0EEENS1_36merge_oddeven_config_static_selectorELNS0_4arch9wavefront6targetE1EEEvSL_.has_dyn_sized_stack, 0
	.set _ZN7rocprim17ROCPRIM_400000_NS6detail17trampoline_kernelINS0_14default_configENS1_38merge_sort_block_merge_config_selectorIiNS0_10empty_typeEEEZZNS1_27merge_sort_block_merge_implIS3_N6thrust23THRUST_200600_302600_NS6detail15normal_iteratorINS9_10device_ptrIiEEEEPS5_jNS1_19radix_merge_compareILb0ELb0EiNS0_19identity_decomposerEEEEE10hipError_tT0_T1_T2_jT3_P12ihipStream_tbPNSt15iterator_traitsISK_E10value_typeEPNSQ_ISL_E10value_typeEPSM_NS1_7vsmem_tEENKUlT_SK_SL_SM_E_clISE_PiSF_SF_EESJ_SZ_SK_SL_SM_EUlSZ_E1_NS1_11comp_targetILNS1_3genE2ELNS1_11target_archE906ELNS1_3gpuE6ELNS1_3repE0EEENS1_36merge_oddeven_config_static_selectorELNS0_4arch9wavefront6targetE1EEEvSL_.has_recursion, 0
	.set _ZN7rocprim17ROCPRIM_400000_NS6detail17trampoline_kernelINS0_14default_configENS1_38merge_sort_block_merge_config_selectorIiNS0_10empty_typeEEEZZNS1_27merge_sort_block_merge_implIS3_N6thrust23THRUST_200600_302600_NS6detail15normal_iteratorINS9_10device_ptrIiEEEEPS5_jNS1_19radix_merge_compareILb0ELb0EiNS0_19identity_decomposerEEEEE10hipError_tT0_T1_T2_jT3_P12ihipStream_tbPNSt15iterator_traitsISK_E10value_typeEPNSQ_ISL_E10value_typeEPSM_NS1_7vsmem_tEENKUlT_SK_SL_SM_E_clISE_PiSF_SF_EESJ_SZ_SK_SL_SM_EUlSZ_E1_NS1_11comp_targetILNS1_3genE2ELNS1_11target_archE906ELNS1_3gpuE6ELNS1_3repE0EEENS1_36merge_oddeven_config_static_selectorELNS0_4arch9wavefront6targetE1EEEvSL_.has_indirect_call, 0
	.section	.AMDGPU.csdata,"",@progbits
; Kernel info:
; codeLenInByte = 0
; TotalNumSgprs: 6
; NumVgprs: 0
; NumAgprs: 0
; TotalNumVgprs: 0
; ScratchSize: 0
; MemoryBound: 0
; FloatMode: 240
; IeeeMode: 1
; LDSByteSize: 0 bytes/workgroup (compile time only)
; SGPRBlocks: 0
; VGPRBlocks: 0
; NumSGPRsForWavesPerEU: 6
; NumVGPRsForWavesPerEU: 1
; AccumOffset: 4
; Occupancy: 8
; WaveLimiterHint : 0
; COMPUTE_PGM_RSRC2:SCRATCH_EN: 0
; COMPUTE_PGM_RSRC2:USER_SGPR: 2
; COMPUTE_PGM_RSRC2:TRAP_HANDLER: 0
; COMPUTE_PGM_RSRC2:TGID_X_EN: 1
; COMPUTE_PGM_RSRC2:TGID_Y_EN: 0
; COMPUTE_PGM_RSRC2:TGID_Z_EN: 0
; COMPUTE_PGM_RSRC2:TIDIG_COMP_CNT: 0
; COMPUTE_PGM_RSRC3_GFX90A:ACCUM_OFFSET: 0
; COMPUTE_PGM_RSRC3_GFX90A:TG_SPLIT: 0
	.section	.text._ZN7rocprim17ROCPRIM_400000_NS6detail17trampoline_kernelINS0_14default_configENS1_38merge_sort_block_merge_config_selectorIiNS0_10empty_typeEEEZZNS1_27merge_sort_block_merge_implIS3_N6thrust23THRUST_200600_302600_NS6detail15normal_iteratorINS9_10device_ptrIiEEEEPS5_jNS1_19radix_merge_compareILb0ELb0EiNS0_19identity_decomposerEEEEE10hipError_tT0_T1_T2_jT3_P12ihipStream_tbPNSt15iterator_traitsISK_E10value_typeEPNSQ_ISL_E10value_typeEPSM_NS1_7vsmem_tEENKUlT_SK_SL_SM_E_clISE_PiSF_SF_EESJ_SZ_SK_SL_SM_EUlSZ_E1_NS1_11comp_targetILNS1_3genE9ELNS1_11target_archE1100ELNS1_3gpuE3ELNS1_3repE0EEENS1_36merge_oddeven_config_static_selectorELNS0_4arch9wavefront6targetE1EEEvSL_,"axG",@progbits,_ZN7rocprim17ROCPRIM_400000_NS6detail17trampoline_kernelINS0_14default_configENS1_38merge_sort_block_merge_config_selectorIiNS0_10empty_typeEEEZZNS1_27merge_sort_block_merge_implIS3_N6thrust23THRUST_200600_302600_NS6detail15normal_iteratorINS9_10device_ptrIiEEEEPS5_jNS1_19radix_merge_compareILb0ELb0EiNS0_19identity_decomposerEEEEE10hipError_tT0_T1_T2_jT3_P12ihipStream_tbPNSt15iterator_traitsISK_E10value_typeEPNSQ_ISL_E10value_typeEPSM_NS1_7vsmem_tEENKUlT_SK_SL_SM_E_clISE_PiSF_SF_EESJ_SZ_SK_SL_SM_EUlSZ_E1_NS1_11comp_targetILNS1_3genE9ELNS1_11target_archE1100ELNS1_3gpuE3ELNS1_3repE0EEENS1_36merge_oddeven_config_static_selectorELNS0_4arch9wavefront6targetE1EEEvSL_,comdat
	.protected	_ZN7rocprim17ROCPRIM_400000_NS6detail17trampoline_kernelINS0_14default_configENS1_38merge_sort_block_merge_config_selectorIiNS0_10empty_typeEEEZZNS1_27merge_sort_block_merge_implIS3_N6thrust23THRUST_200600_302600_NS6detail15normal_iteratorINS9_10device_ptrIiEEEEPS5_jNS1_19radix_merge_compareILb0ELb0EiNS0_19identity_decomposerEEEEE10hipError_tT0_T1_T2_jT3_P12ihipStream_tbPNSt15iterator_traitsISK_E10value_typeEPNSQ_ISL_E10value_typeEPSM_NS1_7vsmem_tEENKUlT_SK_SL_SM_E_clISE_PiSF_SF_EESJ_SZ_SK_SL_SM_EUlSZ_E1_NS1_11comp_targetILNS1_3genE9ELNS1_11target_archE1100ELNS1_3gpuE3ELNS1_3repE0EEENS1_36merge_oddeven_config_static_selectorELNS0_4arch9wavefront6targetE1EEEvSL_ ; -- Begin function _ZN7rocprim17ROCPRIM_400000_NS6detail17trampoline_kernelINS0_14default_configENS1_38merge_sort_block_merge_config_selectorIiNS0_10empty_typeEEEZZNS1_27merge_sort_block_merge_implIS3_N6thrust23THRUST_200600_302600_NS6detail15normal_iteratorINS9_10device_ptrIiEEEEPS5_jNS1_19radix_merge_compareILb0ELb0EiNS0_19identity_decomposerEEEEE10hipError_tT0_T1_T2_jT3_P12ihipStream_tbPNSt15iterator_traitsISK_E10value_typeEPNSQ_ISL_E10value_typeEPSM_NS1_7vsmem_tEENKUlT_SK_SL_SM_E_clISE_PiSF_SF_EESJ_SZ_SK_SL_SM_EUlSZ_E1_NS1_11comp_targetILNS1_3genE9ELNS1_11target_archE1100ELNS1_3gpuE3ELNS1_3repE0EEENS1_36merge_oddeven_config_static_selectorELNS0_4arch9wavefront6targetE1EEEvSL_
	.globl	_ZN7rocprim17ROCPRIM_400000_NS6detail17trampoline_kernelINS0_14default_configENS1_38merge_sort_block_merge_config_selectorIiNS0_10empty_typeEEEZZNS1_27merge_sort_block_merge_implIS3_N6thrust23THRUST_200600_302600_NS6detail15normal_iteratorINS9_10device_ptrIiEEEEPS5_jNS1_19radix_merge_compareILb0ELb0EiNS0_19identity_decomposerEEEEE10hipError_tT0_T1_T2_jT3_P12ihipStream_tbPNSt15iterator_traitsISK_E10value_typeEPNSQ_ISL_E10value_typeEPSM_NS1_7vsmem_tEENKUlT_SK_SL_SM_E_clISE_PiSF_SF_EESJ_SZ_SK_SL_SM_EUlSZ_E1_NS1_11comp_targetILNS1_3genE9ELNS1_11target_archE1100ELNS1_3gpuE3ELNS1_3repE0EEENS1_36merge_oddeven_config_static_selectorELNS0_4arch9wavefront6targetE1EEEvSL_
	.p2align	8
	.type	_ZN7rocprim17ROCPRIM_400000_NS6detail17trampoline_kernelINS0_14default_configENS1_38merge_sort_block_merge_config_selectorIiNS0_10empty_typeEEEZZNS1_27merge_sort_block_merge_implIS3_N6thrust23THRUST_200600_302600_NS6detail15normal_iteratorINS9_10device_ptrIiEEEEPS5_jNS1_19radix_merge_compareILb0ELb0EiNS0_19identity_decomposerEEEEE10hipError_tT0_T1_T2_jT3_P12ihipStream_tbPNSt15iterator_traitsISK_E10value_typeEPNSQ_ISL_E10value_typeEPSM_NS1_7vsmem_tEENKUlT_SK_SL_SM_E_clISE_PiSF_SF_EESJ_SZ_SK_SL_SM_EUlSZ_E1_NS1_11comp_targetILNS1_3genE9ELNS1_11target_archE1100ELNS1_3gpuE3ELNS1_3repE0EEENS1_36merge_oddeven_config_static_selectorELNS0_4arch9wavefront6targetE1EEEvSL_,@function
_ZN7rocprim17ROCPRIM_400000_NS6detail17trampoline_kernelINS0_14default_configENS1_38merge_sort_block_merge_config_selectorIiNS0_10empty_typeEEEZZNS1_27merge_sort_block_merge_implIS3_N6thrust23THRUST_200600_302600_NS6detail15normal_iteratorINS9_10device_ptrIiEEEEPS5_jNS1_19radix_merge_compareILb0ELb0EiNS0_19identity_decomposerEEEEE10hipError_tT0_T1_T2_jT3_P12ihipStream_tbPNSt15iterator_traitsISK_E10value_typeEPNSQ_ISL_E10value_typeEPSM_NS1_7vsmem_tEENKUlT_SK_SL_SM_E_clISE_PiSF_SF_EESJ_SZ_SK_SL_SM_EUlSZ_E1_NS1_11comp_targetILNS1_3genE9ELNS1_11target_archE1100ELNS1_3gpuE3ELNS1_3repE0EEENS1_36merge_oddeven_config_static_selectorELNS0_4arch9wavefront6targetE1EEEvSL_: ; @_ZN7rocprim17ROCPRIM_400000_NS6detail17trampoline_kernelINS0_14default_configENS1_38merge_sort_block_merge_config_selectorIiNS0_10empty_typeEEEZZNS1_27merge_sort_block_merge_implIS3_N6thrust23THRUST_200600_302600_NS6detail15normal_iteratorINS9_10device_ptrIiEEEEPS5_jNS1_19radix_merge_compareILb0ELb0EiNS0_19identity_decomposerEEEEE10hipError_tT0_T1_T2_jT3_P12ihipStream_tbPNSt15iterator_traitsISK_E10value_typeEPNSQ_ISL_E10value_typeEPSM_NS1_7vsmem_tEENKUlT_SK_SL_SM_E_clISE_PiSF_SF_EESJ_SZ_SK_SL_SM_EUlSZ_E1_NS1_11comp_targetILNS1_3genE9ELNS1_11target_archE1100ELNS1_3gpuE3ELNS1_3repE0EEENS1_36merge_oddeven_config_static_selectorELNS0_4arch9wavefront6targetE1EEEvSL_
; %bb.0:
	.section	.rodata,"a",@progbits
	.p2align	6, 0x0
	.amdhsa_kernel _ZN7rocprim17ROCPRIM_400000_NS6detail17trampoline_kernelINS0_14default_configENS1_38merge_sort_block_merge_config_selectorIiNS0_10empty_typeEEEZZNS1_27merge_sort_block_merge_implIS3_N6thrust23THRUST_200600_302600_NS6detail15normal_iteratorINS9_10device_ptrIiEEEEPS5_jNS1_19radix_merge_compareILb0ELb0EiNS0_19identity_decomposerEEEEE10hipError_tT0_T1_T2_jT3_P12ihipStream_tbPNSt15iterator_traitsISK_E10value_typeEPNSQ_ISL_E10value_typeEPSM_NS1_7vsmem_tEENKUlT_SK_SL_SM_E_clISE_PiSF_SF_EESJ_SZ_SK_SL_SM_EUlSZ_E1_NS1_11comp_targetILNS1_3genE9ELNS1_11target_archE1100ELNS1_3gpuE3ELNS1_3repE0EEENS1_36merge_oddeven_config_static_selectorELNS0_4arch9wavefront6targetE1EEEvSL_
		.amdhsa_group_segment_fixed_size 0
		.amdhsa_private_segment_fixed_size 0
		.amdhsa_kernarg_size 48
		.amdhsa_user_sgpr_count 2
		.amdhsa_user_sgpr_dispatch_ptr 0
		.amdhsa_user_sgpr_queue_ptr 0
		.amdhsa_user_sgpr_kernarg_segment_ptr 1
		.amdhsa_user_sgpr_dispatch_id 0
		.amdhsa_user_sgpr_kernarg_preload_length 0
		.amdhsa_user_sgpr_kernarg_preload_offset 0
		.amdhsa_user_sgpr_private_segment_size 0
		.amdhsa_uses_dynamic_stack 0
		.amdhsa_enable_private_segment 0
		.amdhsa_system_sgpr_workgroup_id_x 1
		.amdhsa_system_sgpr_workgroup_id_y 0
		.amdhsa_system_sgpr_workgroup_id_z 0
		.amdhsa_system_sgpr_workgroup_info 0
		.amdhsa_system_vgpr_workitem_id 0
		.amdhsa_next_free_vgpr 1
		.amdhsa_next_free_sgpr 0
		.amdhsa_accum_offset 4
		.amdhsa_reserve_vcc 0
		.amdhsa_float_round_mode_32 0
		.amdhsa_float_round_mode_16_64 0
		.amdhsa_float_denorm_mode_32 3
		.amdhsa_float_denorm_mode_16_64 3
		.amdhsa_dx10_clamp 1
		.amdhsa_ieee_mode 1
		.amdhsa_fp16_overflow 0
		.amdhsa_tg_split 0
		.amdhsa_exception_fp_ieee_invalid_op 0
		.amdhsa_exception_fp_denorm_src 0
		.amdhsa_exception_fp_ieee_div_zero 0
		.amdhsa_exception_fp_ieee_overflow 0
		.amdhsa_exception_fp_ieee_underflow 0
		.amdhsa_exception_fp_ieee_inexact 0
		.amdhsa_exception_int_div_zero 0
	.end_amdhsa_kernel
	.section	.text._ZN7rocprim17ROCPRIM_400000_NS6detail17trampoline_kernelINS0_14default_configENS1_38merge_sort_block_merge_config_selectorIiNS0_10empty_typeEEEZZNS1_27merge_sort_block_merge_implIS3_N6thrust23THRUST_200600_302600_NS6detail15normal_iteratorINS9_10device_ptrIiEEEEPS5_jNS1_19radix_merge_compareILb0ELb0EiNS0_19identity_decomposerEEEEE10hipError_tT0_T1_T2_jT3_P12ihipStream_tbPNSt15iterator_traitsISK_E10value_typeEPNSQ_ISL_E10value_typeEPSM_NS1_7vsmem_tEENKUlT_SK_SL_SM_E_clISE_PiSF_SF_EESJ_SZ_SK_SL_SM_EUlSZ_E1_NS1_11comp_targetILNS1_3genE9ELNS1_11target_archE1100ELNS1_3gpuE3ELNS1_3repE0EEENS1_36merge_oddeven_config_static_selectorELNS0_4arch9wavefront6targetE1EEEvSL_,"axG",@progbits,_ZN7rocprim17ROCPRIM_400000_NS6detail17trampoline_kernelINS0_14default_configENS1_38merge_sort_block_merge_config_selectorIiNS0_10empty_typeEEEZZNS1_27merge_sort_block_merge_implIS3_N6thrust23THRUST_200600_302600_NS6detail15normal_iteratorINS9_10device_ptrIiEEEEPS5_jNS1_19radix_merge_compareILb0ELb0EiNS0_19identity_decomposerEEEEE10hipError_tT0_T1_T2_jT3_P12ihipStream_tbPNSt15iterator_traitsISK_E10value_typeEPNSQ_ISL_E10value_typeEPSM_NS1_7vsmem_tEENKUlT_SK_SL_SM_E_clISE_PiSF_SF_EESJ_SZ_SK_SL_SM_EUlSZ_E1_NS1_11comp_targetILNS1_3genE9ELNS1_11target_archE1100ELNS1_3gpuE3ELNS1_3repE0EEENS1_36merge_oddeven_config_static_selectorELNS0_4arch9wavefront6targetE1EEEvSL_,comdat
.Lfunc_end65:
	.size	_ZN7rocprim17ROCPRIM_400000_NS6detail17trampoline_kernelINS0_14default_configENS1_38merge_sort_block_merge_config_selectorIiNS0_10empty_typeEEEZZNS1_27merge_sort_block_merge_implIS3_N6thrust23THRUST_200600_302600_NS6detail15normal_iteratorINS9_10device_ptrIiEEEEPS5_jNS1_19radix_merge_compareILb0ELb0EiNS0_19identity_decomposerEEEEE10hipError_tT0_T1_T2_jT3_P12ihipStream_tbPNSt15iterator_traitsISK_E10value_typeEPNSQ_ISL_E10value_typeEPSM_NS1_7vsmem_tEENKUlT_SK_SL_SM_E_clISE_PiSF_SF_EESJ_SZ_SK_SL_SM_EUlSZ_E1_NS1_11comp_targetILNS1_3genE9ELNS1_11target_archE1100ELNS1_3gpuE3ELNS1_3repE0EEENS1_36merge_oddeven_config_static_selectorELNS0_4arch9wavefront6targetE1EEEvSL_, .Lfunc_end65-_ZN7rocprim17ROCPRIM_400000_NS6detail17trampoline_kernelINS0_14default_configENS1_38merge_sort_block_merge_config_selectorIiNS0_10empty_typeEEEZZNS1_27merge_sort_block_merge_implIS3_N6thrust23THRUST_200600_302600_NS6detail15normal_iteratorINS9_10device_ptrIiEEEEPS5_jNS1_19radix_merge_compareILb0ELb0EiNS0_19identity_decomposerEEEEE10hipError_tT0_T1_T2_jT3_P12ihipStream_tbPNSt15iterator_traitsISK_E10value_typeEPNSQ_ISL_E10value_typeEPSM_NS1_7vsmem_tEENKUlT_SK_SL_SM_E_clISE_PiSF_SF_EESJ_SZ_SK_SL_SM_EUlSZ_E1_NS1_11comp_targetILNS1_3genE9ELNS1_11target_archE1100ELNS1_3gpuE3ELNS1_3repE0EEENS1_36merge_oddeven_config_static_selectorELNS0_4arch9wavefront6targetE1EEEvSL_
                                        ; -- End function
	.set _ZN7rocprim17ROCPRIM_400000_NS6detail17trampoline_kernelINS0_14default_configENS1_38merge_sort_block_merge_config_selectorIiNS0_10empty_typeEEEZZNS1_27merge_sort_block_merge_implIS3_N6thrust23THRUST_200600_302600_NS6detail15normal_iteratorINS9_10device_ptrIiEEEEPS5_jNS1_19radix_merge_compareILb0ELb0EiNS0_19identity_decomposerEEEEE10hipError_tT0_T1_T2_jT3_P12ihipStream_tbPNSt15iterator_traitsISK_E10value_typeEPNSQ_ISL_E10value_typeEPSM_NS1_7vsmem_tEENKUlT_SK_SL_SM_E_clISE_PiSF_SF_EESJ_SZ_SK_SL_SM_EUlSZ_E1_NS1_11comp_targetILNS1_3genE9ELNS1_11target_archE1100ELNS1_3gpuE3ELNS1_3repE0EEENS1_36merge_oddeven_config_static_selectorELNS0_4arch9wavefront6targetE1EEEvSL_.num_vgpr, 0
	.set _ZN7rocprim17ROCPRIM_400000_NS6detail17trampoline_kernelINS0_14default_configENS1_38merge_sort_block_merge_config_selectorIiNS0_10empty_typeEEEZZNS1_27merge_sort_block_merge_implIS3_N6thrust23THRUST_200600_302600_NS6detail15normal_iteratorINS9_10device_ptrIiEEEEPS5_jNS1_19radix_merge_compareILb0ELb0EiNS0_19identity_decomposerEEEEE10hipError_tT0_T1_T2_jT3_P12ihipStream_tbPNSt15iterator_traitsISK_E10value_typeEPNSQ_ISL_E10value_typeEPSM_NS1_7vsmem_tEENKUlT_SK_SL_SM_E_clISE_PiSF_SF_EESJ_SZ_SK_SL_SM_EUlSZ_E1_NS1_11comp_targetILNS1_3genE9ELNS1_11target_archE1100ELNS1_3gpuE3ELNS1_3repE0EEENS1_36merge_oddeven_config_static_selectorELNS0_4arch9wavefront6targetE1EEEvSL_.num_agpr, 0
	.set _ZN7rocprim17ROCPRIM_400000_NS6detail17trampoline_kernelINS0_14default_configENS1_38merge_sort_block_merge_config_selectorIiNS0_10empty_typeEEEZZNS1_27merge_sort_block_merge_implIS3_N6thrust23THRUST_200600_302600_NS6detail15normal_iteratorINS9_10device_ptrIiEEEEPS5_jNS1_19radix_merge_compareILb0ELb0EiNS0_19identity_decomposerEEEEE10hipError_tT0_T1_T2_jT3_P12ihipStream_tbPNSt15iterator_traitsISK_E10value_typeEPNSQ_ISL_E10value_typeEPSM_NS1_7vsmem_tEENKUlT_SK_SL_SM_E_clISE_PiSF_SF_EESJ_SZ_SK_SL_SM_EUlSZ_E1_NS1_11comp_targetILNS1_3genE9ELNS1_11target_archE1100ELNS1_3gpuE3ELNS1_3repE0EEENS1_36merge_oddeven_config_static_selectorELNS0_4arch9wavefront6targetE1EEEvSL_.numbered_sgpr, 0
	.set _ZN7rocprim17ROCPRIM_400000_NS6detail17trampoline_kernelINS0_14default_configENS1_38merge_sort_block_merge_config_selectorIiNS0_10empty_typeEEEZZNS1_27merge_sort_block_merge_implIS3_N6thrust23THRUST_200600_302600_NS6detail15normal_iteratorINS9_10device_ptrIiEEEEPS5_jNS1_19radix_merge_compareILb0ELb0EiNS0_19identity_decomposerEEEEE10hipError_tT0_T1_T2_jT3_P12ihipStream_tbPNSt15iterator_traitsISK_E10value_typeEPNSQ_ISL_E10value_typeEPSM_NS1_7vsmem_tEENKUlT_SK_SL_SM_E_clISE_PiSF_SF_EESJ_SZ_SK_SL_SM_EUlSZ_E1_NS1_11comp_targetILNS1_3genE9ELNS1_11target_archE1100ELNS1_3gpuE3ELNS1_3repE0EEENS1_36merge_oddeven_config_static_selectorELNS0_4arch9wavefront6targetE1EEEvSL_.num_named_barrier, 0
	.set _ZN7rocprim17ROCPRIM_400000_NS6detail17trampoline_kernelINS0_14default_configENS1_38merge_sort_block_merge_config_selectorIiNS0_10empty_typeEEEZZNS1_27merge_sort_block_merge_implIS3_N6thrust23THRUST_200600_302600_NS6detail15normal_iteratorINS9_10device_ptrIiEEEEPS5_jNS1_19radix_merge_compareILb0ELb0EiNS0_19identity_decomposerEEEEE10hipError_tT0_T1_T2_jT3_P12ihipStream_tbPNSt15iterator_traitsISK_E10value_typeEPNSQ_ISL_E10value_typeEPSM_NS1_7vsmem_tEENKUlT_SK_SL_SM_E_clISE_PiSF_SF_EESJ_SZ_SK_SL_SM_EUlSZ_E1_NS1_11comp_targetILNS1_3genE9ELNS1_11target_archE1100ELNS1_3gpuE3ELNS1_3repE0EEENS1_36merge_oddeven_config_static_selectorELNS0_4arch9wavefront6targetE1EEEvSL_.private_seg_size, 0
	.set _ZN7rocprim17ROCPRIM_400000_NS6detail17trampoline_kernelINS0_14default_configENS1_38merge_sort_block_merge_config_selectorIiNS0_10empty_typeEEEZZNS1_27merge_sort_block_merge_implIS3_N6thrust23THRUST_200600_302600_NS6detail15normal_iteratorINS9_10device_ptrIiEEEEPS5_jNS1_19radix_merge_compareILb0ELb0EiNS0_19identity_decomposerEEEEE10hipError_tT0_T1_T2_jT3_P12ihipStream_tbPNSt15iterator_traitsISK_E10value_typeEPNSQ_ISL_E10value_typeEPSM_NS1_7vsmem_tEENKUlT_SK_SL_SM_E_clISE_PiSF_SF_EESJ_SZ_SK_SL_SM_EUlSZ_E1_NS1_11comp_targetILNS1_3genE9ELNS1_11target_archE1100ELNS1_3gpuE3ELNS1_3repE0EEENS1_36merge_oddeven_config_static_selectorELNS0_4arch9wavefront6targetE1EEEvSL_.uses_vcc, 0
	.set _ZN7rocprim17ROCPRIM_400000_NS6detail17trampoline_kernelINS0_14default_configENS1_38merge_sort_block_merge_config_selectorIiNS0_10empty_typeEEEZZNS1_27merge_sort_block_merge_implIS3_N6thrust23THRUST_200600_302600_NS6detail15normal_iteratorINS9_10device_ptrIiEEEEPS5_jNS1_19radix_merge_compareILb0ELb0EiNS0_19identity_decomposerEEEEE10hipError_tT0_T1_T2_jT3_P12ihipStream_tbPNSt15iterator_traitsISK_E10value_typeEPNSQ_ISL_E10value_typeEPSM_NS1_7vsmem_tEENKUlT_SK_SL_SM_E_clISE_PiSF_SF_EESJ_SZ_SK_SL_SM_EUlSZ_E1_NS1_11comp_targetILNS1_3genE9ELNS1_11target_archE1100ELNS1_3gpuE3ELNS1_3repE0EEENS1_36merge_oddeven_config_static_selectorELNS0_4arch9wavefront6targetE1EEEvSL_.uses_flat_scratch, 0
	.set _ZN7rocprim17ROCPRIM_400000_NS6detail17trampoline_kernelINS0_14default_configENS1_38merge_sort_block_merge_config_selectorIiNS0_10empty_typeEEEZZNS1_27merge_sort_block_merge_implIS3_N6thrust23THRUST_200600_302600_NS6detail15normal_iteratorINS9_10device_ptrIiEEEEPS5_jNS1_19radix_merge_compareILb0ELb0EiNS0_19identity_decomposerEEEEE10hipError_tT0_T1_T2_jT3_P12ihipStream_tbPNSt15iterator_traitsISK_E10value_typeEPNSQ_ISL_E10value_typeEPSM_NS1_7vsmem_tEENKUlT_SK_SL_SM_E_clISE_PiSF_SF_EESJ_SZ_SK_SL_SM_EUlSZ_E1_NS1_11comp_targetILNS1_3genE9ELNS1_11target_archE1100ELNS1_3gpuE3ELNS1_3repE0EEENS1_36merge_oddeven_config_static_selectorELNS0_4arch9wavefront6targetE1EEEvSL_.has_dyn_sized_stack, 0
	.set _ZN7rocprim17ROCPRIM_400000_NS6detail17trampoline_kernelINS0_14default_configENS1_38merge_sort_block_merge_config_selectorIiNS0_10empty_typeEEEZZNS1_27merge_sort_block_merge_implIS3_N6thrust23THRUST_200600_302600_NS6detail15normal_iteratorINS9_10device_ptrIiEEEEPS5_jNS1_19radix_merge_compareILb0ELb0EiNS0_19identity_decomposerEEEEE10hipError_tT0_T1_T2_jT3_P12ihipStream_tbPNSt15iterator_traitsISK_E10value_typeEPNSQ_ISL_E10value_typeEPSM_NS1_7vsmem_tEENKUlT_SK_SL_SM_E_clISE_PiSF_SF_EESJ_SZ_SK_SL_SM_EUlSZ_E1_NS1_11comp_targetILNS1_3genE9ELNS1_11target_archE1100ELNS1_3gpuE3ELNS1_3repE0EEENS1_36merge_oddeven_config_static_selectorELNS0_4arch9wavefront6targetE1EEEvSL_.has_recursion, 0
	.set _ZN7rocprim17ROCPRIM_400000_NS6detail17trampoline_kernelINS0_14default_configENS1_38merge_sort_block_merge_config_selectorIiNS0_10empty_typeEEEZZNS1_27merge_sort_block_merge_implIS3_N6thrust23THRUST_200600_302600_NS6detail15normal_iteratorINS9_10device_ptrIiEEEEPS5_jNS1_19radix_merge_compareILb0ELb0EiNS0_19identity_decomposerEEEEE10hipError_tT0_T1_T2_jT3_P12ihipStream_tbPNSt15iterator_traitsISK_E10value_typeEPNSQ_ISL_E10value_typeEPSM_NS1_7vsmem_tEENKUlT_SK_SL_SM_E_clISE_PiSF_SF_EESJ_SZ_SK_SL_SM_EUlSZ_E1_NS1_11comp_targetILNS1_3genE9ELNS1_11target_archE1100ELNS1_3gpuE3ELNS1_3repE0EEENS1_36merge_oddeven_config_static_selectorELNS0_4arch9wavefront6targetE1EEEvSL_.has_indirect_call, 0
	.section	.AMDGPU.csdata,"",@progbits
; Kernel info:
; codeLenInByte = 0
; TotalNumSgprs: 6
; NumVgprs: 0
; NumAgprs: 0
; TotalNumVgprs: 0
; ScratchSize: 0
; MemoryBound: 0
; FloatMode: 240
; IeeeMode: 1
; LDSByteSize: 0 bytes/workgroup (compile time only)
; SGPRBlocks: 0
; VGPRBlocks: 0
; NumSGPRsForWavesPerEU: 6
; NumVGPRsForWavesPerEU: 1
; AccumOffset: 4
; Occupancy: 8
; WaveLimiterHint : 0
; COMPUTE_PGM_RSRC2:SCRATCH_EN: 0
; COMPUTE_PGM_RSRC2:USER_SGPR: 2
; COMPUTE_PGM_RSRC2:TRAP_HANDLER: 0
; COMPUTE_PGM_RSRC2:TGID_X_EN: 1
; COMPUTE_PGM_RSRC2:TGID_Y_EN: 0
; COMPUTE_PGM_RSRC2:TGID_Z_EN: 0
; COMPUTE_PGM_RSRC2:TIDIG_COMP_CNT: 0
; COMPUTE_PGM_RSRC3_GFX90A:ACCUM_OFFSET: 0
; COMPUTE_PGM_RSRC3_GFX90A:TG_SPLIT: 0
	.section	.text._ZN7rocprim17ROCPRIM_400000_NS6detail17trampoline_kernelINS0_14default_configENS1_38merge_sort_block_merge_config_selectorIiNS0_10empty_typeEEEZZNS1_27merge_sort_block_merge_implIS3_N6thrust23THRUST_200600_302600_NS6detail15normal_iteratorINS9_10device_ptrIiEEEEPS5_jNS1_19radix_merge_compareILb0ELb0EiNS0_19identity_decomposerEEEEE10hipError_tT0_T1_T2_jT3_P12ihipStream_tbPNSt15iterator_traitsISK_E10value_typeEPNSQ_ISL_E10value_typeEPSM_NS1_7vsmem_tEENKUlT_SK_SL_SM_E_clISE_PiSF_SF_EESJ_SZ_SK_SL_SM_EUlSZ_E1_NS1_11comp_targetILNS1_3genE8ELNS1_11target_archE1030ELNS1_3gpuE2ELNS1_3repE0EEENS1_36merge_oddeven_config_static_selectorELNS0_4arch9wavefront6targetE1EEEvSL_,"axG",@progbits,_ZN7rocprim17ROCPRIM_400000_NS6detail17trampoline_kernelINS0_14default_configENS1_38merge_sort_block_merge_config_selectorIiNS0_10empty_typeEEEZZNS1_27merge_sort_block_merge_implIS3_N6thrust23THRUST_200600_302600_NS6detail15normal_iteratorINS9_10device_ptrIiEEEEPS5_jNS1_19radix_merge_compareILb0ELb0EiNS0_19identity_decomposerEEEEE10hipError_tT0_T1_T2_jT3_P12ihipStream_tbPNSt15iterator_traitsISK_E10value_typeEPNSQ_ISL_E10value_typeEPSM_NS1_7vsmem_tEENKUlT_SK_SL_SM_E_clISE_PiSF_SF_EESJ_SZ_SK_SL_SM_EUlSZ_E1_NS1_11comp_targetILNS1_3genE8ELNS1_11target_archE1030ELNS1_3gpuE2ELNS1_3repE0EEENS1_36merge_oddeven_config_static_selectorELNS0_4arch9wavefront6targetE1EEEvSL_,comdat
	.protected	_ZN7rocprim17ROCPRIM_400000_NS6detail17trampoline_kernelINS0_14default_configENS1_38merge_sort_block_merge_config_selectorIiNS0_10empty_typeEEEZZNS1_27merge_sort_block_merge_implIS3_N6thrust23THRUST_200600_302600_NS6detail15normal_iteratorINS9_10device_ptrIiEEEEPS5_jNS1_19radix_merge_compareILb0ELb0EiNS0_19identity_decomposerEEEEE10hipError_tT0_T1_T2_jT3_P12ihipStream_tbPNSt15iterator_traitsISK_E10value_typeEPNSQ_ISL_E10value_typeEPSM_NS1_7vsmem_tEENKUlT_SK_SL_SM_E_clISE_PiSF_SF_EESJ_SZ_SK_SL_SM_EUlSZ_E1_NS1_11comp_targetILNS1_3genE8ELNS1_11target_archE1030ELNS1_3gpuE2ELNS1_3repE0EEENS1_36merge_oddeven_config_static_selectorELNS0_4arch9wavefront6targetE1EEEvSL_ ; -- Begin function _ZN7rocprim17ROCPRIM_400000_NS6detail17trampoline_kernelINS0_14default_configENS1_38merge_sort_block_merge_config_selectorIiNS0_10empty_typeEEEZZNS1_27merge_sort_block_merge_implIS3_N6thrust23THRUST_200600_302600_NS6detail15normal_iteratorINS9_10device_ptrIiEEEEPS5_jNS1_19radix_merge_compareILb0ELb0EiNS0_19identity_decomposerEEEEE10hipError_tT0_T1_T2_jT3_P12ihipStream_tbPNSt15iterator_traitsISK_E10value_typeEPNSQ_ISL_E10value_typeEPSM_NS1_7vsmem_tEENKUlT_SK_SL_SM_E_clISE_PiSF_SF_EESJ_SZ_SK_SL_SM_EUlSZ_E1_NS1_11comp_targetILNS1_3genE8ELNS1_11target_archE1030ELNS1_3gpuE2ELNS1_3repE0EEENS1_36merge_oddeven_config_static_selectorELNS0_4arch9wavefront6targetE1EEEvSL_
	.globl	_ZN7rocprim17ROCPRIM_400000_NS6detail17trampoline_kernelINS0_14default_configENS1_38merge_sort_block_merge_config_selectorIiNS0_10empty_typeEEEZZNS1_27merge_sort_block_merge_implIS3_N6thrust23THRUST_200600_302600_NS6detail15normal_iteratorINS9_10device_ptrIiEEEEPS5_jNS1_19radix_merge_compareILb0ELb0EiNS0_19identity_decomposerEEEEE10hipError_tT0_T1_T2_jT3_P12ihipStream_tbPNSt15iterator_traitsISK_E10value_typeEPNSQ_ISL_E10value_typeEPSM_NS1_7vsmem_tEENKUlT_SK_SL_SM_E_clISE_PiSF_SF_EESJ_SZ_SK_SL_SM_EUlSZ_E1_NS1_11comp_targetILNS1_3genE8ELNS1_11target_archE1030ELNS1_3gpuE2ELNS1_3repE0EEENS1_36merge_oddeven_config_static_selectorELNS0_4arch9wavefront6targetE1EEEvSL_
	.p2align	8
	.type	_ZN7rocprim17ROCPRIM_400000_NS6detail17trampoline_kernelINS0_14default_configENS1_38merge_sort_block_merge_config_selectorIiNS0_10empty_typeEEEZZNS1_27merge_sort_block_merge_implIS3_N6thrust23THRUST_200600_302600_NS6detail15normal_iteratorINS9_10device_ptrIiEEEEPS5_jNS1_19radix_merge_compareILb0ELb0EiNS0_19identity_decomposerEEEEE10hipError_tT0_T1_T2_jT3_P12ihipStream_tbPNSt15iterator_traitsISK_E10value_typeEPNSQ_ISL_E10value_typeEPSM_NS1_7vsmem_tEENKUlT_SK_SL_SM_E_clISE_PiSF_SF_EESJ_SZ_SK_SL_SM_EUlSZ_E1_NS1_11comp_targetILNS1_3genE8ELNS1_11target_archE1030ELNS1_3gpuE2ELNS1_3repE0EEENS1_36merge_oddeven_config_static_selectorELNS0_4arch9wavefront6targetE1EEEvSL_,@function
_ZN7rocprim17ROCPRIM_400000_NS6detail17trampoline_kernelINS0_14default_configENS1_38merge_sort_block_merge_config_selectorIiNS0_10empty_typeEEEZZNS1_27merge_sort_block_merge_implIS3_N6thrust23THRUST_200600_302600_NS6detail15normal_iteratorINS9_10device_ptrIiEEEEPS5_jNS1_19radix_merge_compareILb0ELb0EiNS0_19identity_decomposerEEEEE10hipError_tT0_T1_T2_jT3_P12ihipStream_tbPNSt15iterator_traitsISK_E10value_typeEPNSQ_ISL_E10value_typeEPSM_NS1_7vsmem_tEENKUlT_SK_SL_SM_E_clISE_PiSF_SF_EESJ_SZ_SK_SL_SM_EUlSZ_E1_NS1_11comp_targetILNS1_3genE8ELNS1_11target_archE1030ELNS1_3gpuE2ELNS1_3repE0EEENS1_36merge_oddeven_config_static_selectorELNS0_4arch9wavefront6targetE1EEEvSL_: ; @_ZN7rocprim17ROCPRIM_400000_NS6detail17trampoline_kernelINS0_14default_configENS1_38merge_sort_block_merge_config_selectorIiNS0_10empty_typeEEEZZNS1_27merge_sort_block_merge_implIS3_N6thrust23THRUST_200600_302600_NS6detail15normal_iteratorINS9_10device_ptrIiEEEEPS5_jNS1_19radix_merge_compareILb0ELb0EiNS0_19identity_decomposerEEEEE10hipError_tT0_T1_T2_jT3_P12ihipStream_tbPNSt15iterator_traitsISK_E10value_typeEPNSQ_ISL_E10value_typeEPSM_NS1_7vsmem_tEENKUlT_SK_SL_SM_E_clISE_PiSF_SF_EESJ_SZ_SK_SL_SM_EUlSZ_E1_NS1_11comp_targetILNS1_3genE8ELNS1_11target_archE1030ELNS1_3gpuE2ELNS1_3repE0EEENS1_36merge_oddeven_config_static_selectorELNS0_4arch9wavefront6targetE1EEEvSL_
; %bb.0:
	.section	.rodata,"a",@progbits
	.p2align	6, 0x0
	.amdhsa_kernel _ZN7rocprim17ROCPRIM_400000_NS6detail17trampoline_kernelINS0_14default_configENS1_38merge_sort_block_merge_config_selectorIiNS0_10empty_typeEEEZZNS1_27merge_sort_block_merge_implIS3_N6thrust23THRUST_200600_302600_NS6detail15normal_iteratorINS9_10device_ptrIiEEEEPS5_jNS1_19radix_merge_compareILb0ELb0EiNS0_19identity_decomposerEEEEE10hipError_tT0_T1_T2_jT3_P12ihipStream_tbPNSt15iterator_traitsISK_E10value_typeEPNSQ_ISL_E10value_typeEPSM_NS1_7vsmem_tEENKUlT_SK_SL_SM_E_clISE_PiSF_SF_EESJ_SZ_SK_SL_SM_EUlSZ_E1_NS1_11comp_targetILNS1_3genE8ELNS1_11target_archE1030ELNS1_3gpuE2ELNS1_3repE0EEENS1_36merge_oddeven_config_static_selectorELNS0_4arch9wavefront6targetE1EEEvSL_
		.amdhsa_group_segment_fixed_size 0
		.amdhsa_private_segment_fixed_size 0
		.amdhsa_kernarg_size 48
		.amdhsa_user_sgpr_count 2
		.amdhsa_user_sgpr_dispatch_ptr 0
		.amdhsa_user_sgpr_queue_ptr 0
		.amdhsa_user_sgpr_kernarg_segment_ptr 1
		.amdhsa_user_sgpr_dispatch_id 0
		.amdhsa_user_sgpr_kernarg_preload_length 0
		.amdhsa_user_sgpr_kernarg_preload_offset 0
		.amdhsa_user_sgpr_private_segment_size 0
		.amdhsa_uses_dynamic_stack 0
		.amdhsa_enable_private_segment 0
		.amdhsa_system_sgpr_workgroup_id_x 1
		.amdhsa_system_sgpr_workgroup_id_y 0
		.amdhsa_system_sgpr_workgroup_id_z 0
		.amdhsa_system_sgpr_workgroup_info 0
		.amdhsa_system_vgpr_workitem_id 0
		.amdhsa_next_free_vgpr 1
		.amdhsa_next_free_sgpr 0
		.amdhsa_accum_offset 4
		.amdhsa_reserve_vcc 0
		.amdhsa_float_round_mode_32 0
		.amdhsa_float_round_mode_16_64 0
		.amdhsa_float_denorm_mode_32 3
		.amdhsa_float_denorm_mode_16_64 3
		.amdhsa_dx10_clamp 1
		.amdhsa_ieee_mode 1
		.amdhsa_fp16_overflow 0
		.amdhsa_tg_split 0
		.amdhsa_exception_fp_ieee_invalid_op 0
		.amdhsa_exception_fp_denorm_src 0
		.amdhsa_exception_fp_ieee_div_zero 0
		.amdhsa_exception_fp_ieee_overflow 0
		.amdhsa_exception_fp_ieee_underflow 0
		.amdhsa_exception_fp_ieee_inexact 0
		.amdhsa_exception_int_div_zero 0
	.end_amdhsa_kernel
	.section	.text._ZN7rocprim17ROCPRIM_400000_NS6detail17trampoline_kernelINS0_14default_configENS1_38merge_sort_block_merge_config_selectorIiNS0_10empty_typeEEEZZNS1_27merge_sort_block_merge_implIS3_N6thrust23THRUST_200600_302600_NS6detail15normal_iteratorINS9_10device_ptrIiEEEEPS5_jNS1_19radix_merge_compareILb0ELb0EiNS0_19identity_decomposerEEEEE10hipError_tT0_T1_T2_jT3_P12ihipStream_tbPNSt15iterator_traitsISK_E10value_typeEPNSQ_ISL_E10value_typeEPSM_NS1_7vsmem_tEENKUlT_SK_SL_SM_E_clISE_PiSF_SF_EESJ_SZ_SK_SL_SM_EUlSZ_E1_NS1_11comp_targetILNS1_3genE8ELNS1_11target_archE1030ELNS1_3gpuE2ELNS1_3repE0EEENS1_36merge_oddeven_config_static_selectorELNS0_4arch9wavefront6targetE1EEEvSL_,"axG",@progbits,_ZN7rocprim17ROCPRIM_400000_NS6detail17trampoline_kernelINS0_14default_configENS1_38merge_sort_block_merge_config_selectorIiNS0_10empty_typeEEEZZNS1_27merge_sort_block_merge_implIS3_N6thrust23THRUST_200600_302600_NS6detail15normal_iteratorINS9_10device_ptrIiEEEEPS5_jNS1_19radix_merge_compareILb0ELb0EiNS0_19identity_decomposerEEEEE10hipError_tT0_T1_T2_jT3_P12ihipStream_tbPNSt15iterator_traitsISK_E10value_typeEPNSQ_ISL_E10value_typeEPSM_NS1_7vsmem_tEENKUlT_SK_SL_SM_E_clISE_PiSF_SF_EESJ_SZ_SK_SL_SM_EUlSZ_E1_NS1_11comp_targetILNS1_3genE8ELNS1_11target_archE1030ELNS1_3gpuE2ELNS1_3repE0EEENS1_36merge_oddeven_config_static_selectorELNS0_4arch9wavefront6targetE1EEEvSL_,comdat
.Lfunc_end66:
	.size	_ZN7rocprim17ROCPRIM_400000_NS6detail17trampoline_kernelINS0_14default_configENS1_38merge_sort_block_merge_config_selectorIiNS0_10empty_typeEEEZZNS1_27merge_sort_block_merge_implIS3_N6thrust23THRUST_200600_302600_NS6detail15normal_iteratorINS9_10device_ptrIiEEEEPS5_jNS1_19radix_merge_compareILb0ELb0EiNS0_19identity_decomposerEEEEE10hipError_tT0_T1_T2_jT3_P12ihipStream_tbPNSt15iterator_traitsISK_E10value_typeEPNSQ_ISL_E10value_typeEPSM_NS1_7vsmem_tEENKUlT_SK_SL_SM_E_clISE_PiSF_SF_EESJ_SZ_SK_SL_SM_EUlSZ_E1_NS1_11comp_targetILNS1_3genE8ELNS1_11target_archE1030ELNS1_3gpuE2ELNS1_3repE0EEENS1_36merge_oddeven_config_static_selectorELNS0_4arch9wavefront6targetE1EEEvSL_, .Lfunc_end66-_ZN7rocprim17ROCPRIM_400000_NS6detail17trampoline_kernelINS0_14default_configENS1_38merge_sort_block_merge_config_selectorIiNS0_10empty_typeEEEZZNS1_27merge_sort_block_merge_implIS3_N6thrust23THRUST_200600_302600_NS6detail15normal_iteratorINS9_10device_ptrIiEEEEPS5_jNS1_19radix_merge_compareILb0ELb0EiNS0_19identity_decomposerEEEEE10hipError_tT0_T1_T2_jT3_P12ihipStream_tbPNSt15iterator_traitsISK_E10value_typeEPNSQ_ISL_E10value_typeEPSM_NS1_7vsmem_tEENKUlT_SK_SL_SM_E_clISE_PiSF_SF_EESJ_SZ_SK_SL_SM_EUlSZ_E1_NS1_11comp_targetILNS1_3genE8ELNS1_11target_archE1030ELNS1_3gpuE2ELNS1_3repE0EEENS1_36merge_oddeven_config_static_selectorELNS0_4arch9wavefront6targetE1EEEvSL_
                                        ; -- End function
	.set _ZN7rocprim17ROCPRIM_400000_NS6detail17trampoline_kernelINS0_14default_configENS1_38merge_sort_block_merge_config_selectorIiNS0_10empty_typeEEEZZNS1_27merge_sort_block_merge_implIS3_N6thrust23THRUST_200600_302600_NS6detail15normal_iteratorINS9_10device_ptrIiEEEEPS5_jNS1_19radix_merge_compareILb0ELb0EiNS0_19identity_decomposerEEEEE10hipError_tT0_T1_T2_jT3_P12ihipStream_tbPNSt15iterator_traitsISK_E10value_typeEPNSQ_ISL_E10value_typeEPSM_NS1_7vsmem_tEENKUlT_SK_SL_SM_E_clISE_PiSF_SF_EESJ_SZ_SK_SL_SM_EUlSZ_E1_NS1_11comp_targetILNS1_3genE8ELNS1_11target_archE1030ELNS1_3gpuE2ELNS1_3repE0EEENS1_36merge_oddeven_config_static_selectorELNS0_4arch9wavefront6targetE1EEEvSL_.num_vgpr, 0
	.set _ZN7rocprim17ROCPRIM_400000_NS6detail17trampoline_kernelINS0_14default_configENS1_38merge_sort_block_merge_config_selectorIiNS0_10empty_typeEEEZZNS1_27merge_sort_block_merge_implIS3_N6thrust23THRUST_200600_302600_NS6detail15normal_iteratorINS9_10device_ptrIiEEEEPS5_jNS1_19radix_merge_compareILb0ELb0EiNS0_19identity_decomposerEEEEE10hipError_tT0_T1_T2_jT3_P12ihipStream_tbPNSt15iterator_traitsISK_E10value_typeEPNSQ_ISL_E10value_typeEPSM_NS1_7vsmem_tEENKUlT_SK_SL_SM_E_clISE_PiSF_SF_EESJ_SZ_SK_SL_SM_EUlSZ_E1_NS1_11comp_targetILNS1_3genE8ELNS1_11target_archE1030ELNS1_3gpuE2ELNS1_3repE0EEENS1_36merge_oddeven_config_static_selectorELNS0_4arch9wavefront6targetE1EEEvSL_.num_agpr, 0
	.set _ZN7rocprim17ROCPRIM_400000_NS6detail17trampoline_kernelINS0_14default_configENS1_38merge_sort_block_merge_config_selectorIiNS0_10empty_typeEEEZZNS1_27merge_sort_block_merge_implIS3_N6thrust23THRUST_200600_302600_NS6detail15normal_iteratorINS9_10device_ptrIiEEEEPS5_jNS1_19radix_merge_compareILb0ELb0EiNS0_19identity_decomposerEEEEE10hipError_tT0_T1_T2_jT3_P12ihipStream_tbPNSt15iterator_traitsISK_E10value_typeEPNSQ_ISL_E10value_typeEPSM_NS1_7vsmem_tEENKUlT_SK_SL_SM_E_clISE_PiSF_SF_EESJ_SZ_SK_SL_SM_EUlSZ_E1_NS1_11comp_targetILNS1_3genE8ELNS1_11target_archE1030ELNS1_3gpuE2ELNS1_3repE0EEENS1_36merge_oddeven_config_static_selectorELNS0_4arch9wavefront6targetE1EEEvSL_.numbered_sgpr, 0
	.set _ZN7rocprim17ROCPRIM_400000_NS6detail17trampoline_kernelINS0_14default_configENS1_38merge_sort_block_merge_config_selectorIiNS0_10empty_typeEEEZZNS1_27merge_sort_block_merge_implIS3_N6thrust23THRUST_200600_302600_NS6detail15normal_iteratorINS9_10device_ptrIiEEEEPS5_jNS1_19radix_merge_compareILb0ELb0EiNS0_19identity_decomposerEEEEE10hipError_tT0_T1_T2_jT3_P12ihipStream_tbPNSt15iterator_traitsISK_E10value_typeEPNSQ_ISL_E10value_typeEPSM_NS1_7vsmem_tEENKUlT_SK_SL_SM_E_clISE_PiSF_SF_EESJ_SZ_SK_SL_SM_EUlSZ_E1_NS1_11comp_targetILNS1_3genE8ELNS1_11target_archE1030ELNS1_3gpuE2ELNS1_3repE0EEENS1_36merge_oddeven_config_static_selectorELNS0_4arch9wavefront6targetE1EEEvSL_.num_named_barrier, 0
	.set _ZN7rocprim17ROCPRIM_400000_NS6detail17trampoline_kernelINS0_14default_configENS1_38merge_sort_block_merge_config_selectorIiNS0_10empty_typeEEEZZNS1_27merge_sort_block_merge_implIS3_N6thrust23THRUST_200600_302600_NS6detail15normal_iteratorINS9_10device_ptrIiEEEEPS5_jNS1_19radix_merge_compareILb0ELb0EiNS0_19identity_decomposerEEEEE10hipError_tT0_T1_T2_jT3_P12ihipStream_tbPNSt15iterator_traitsISK_E10value_typeEPNSQ_ISL_E10value_typeEPSM_NS1_7vsmem_tEENKUlT_SK_SL_SM_E_clISE_PiSF_SF_EESJ_SZ_SK_SL_SM_EUlSZ_E1_NS1_11comp_targetILNS1_3genE8ELNS1_11target_archE1030ELNS1_3gpuE2ELNS1_3repE0EEENS1_36merge_oddeven_config_static_selectorELNS0_4arch9wavefront6targetE1EEEvSL_.private_seg_size, 0
	.set _ZN7rocprim17ROCPRIM_400000_NS6detail17trampoline_kernelINS0_14default_configENS1_38merge_sort_block_merge_config_selectorIiNS0_10empty_typeEEEZZNS1_27merge_sort_block_merge_implIS3_N6thrust23THRUST_200600_302600_NS6detail15normal_iteratorINS9_10device_ptrIiEEEEPS5_jNS1_19radix_merge_compareILb0ELb0EiNS0_19identity_decomposerEEEEE10hipError_tT0_T1_T2_jT3_P12ihipStream_tbPNSt15iterator_traitsISK_E10value_typeEPNSQ_ISL_E10value_typeEPSM_NS1_7vsmem_tEENKUlT_SK_SL_SM_E_clISE_PiSF_SF_EESJ_SZ_SK_SL_SM_EUlSZ_E1_NS1_11comp_targetILNS1_3genE8ELNS1_11target_archE1030ELNS1_3gpuE2ELNS1_3repE0EEENS1_36merge_oddeven_config_static_selectorELNS0_4arch9wavefront6targetE1EEEvSL_.uses_vcc, 0
	.set _ZN7rocprim17ROCPRIM_400000_NS6detail17trampoline_kernelINS0_14default_configENS1_38merge_sort_block_merge_config_selectorIiNS0_10empty_typeEEEZZNS1_27merge_sort_block_merge_implIS3_N6thrust23THRUST_200600_302600_NS6detail15normal_iteratorINS9_10device_ptrIiEEEEPS5_jNS1_19radix_merge_compareILb0ELb0EiNS0_19identity_decomposerEEEEE10hipError_tT0_T1_T2_jT3_P12ihipStream_tbPNSt15iterator_traitsISK_E10value_typeEPNSQ_ISL_E10value_typeEPSM_NS1_7vsmem_tEENKUlT_SK_SL_SM_E_clISE_PiSF_SF_EESJ_SZ_SK_SL_SM_EUlSZ_E1_NS1_11comp_targetILNS1_3genE8ELNS1_11target_archE1030ELNS1_3gpuE2ELNS1_3repE0EEENS1_36merge_oddeven_config_static_selectorELNS0_4arch9wavefront6targetE1EEEvSL_.uses_flat_scratch, 0
	.set _ZN7rocprim17ROCPRIM_400000_NS6detail17trampoline_kernelINS0_14default_configENS1_38merge_sort_block_merge_config_selectorIiNS0_10empty_typeEEEZZNS1_27merge_sort_block_merge_implIS3_N6thrust23THRUST_200600_302600_NS6detail15normal_iteratorINS9_10device_ptrIiEEEEPS5_jNS1_19radix_merge_compareILb0ELb0EiNS0_19identity_decomposerEEEEE10hipError_tT0_T1_T2_jT3_P12ihipStream_tbPNSt15iterator_traitsISK_E10value_typeEPNSQ_ISL_E10value_typeEPSM_NS1_7vsmem_tEENKUlT_SK_SL_SM_E_clISE_PiSF_SF_EESJ_SZ_SK_SL_SM_EUlSZ_E1_NS1_11comp_targetILNS1_3genE8ELNS1_11target_archE1030ELNS1_3gpuE2ELNS1_3repE0EEENS1_36merge_oddeven_config_static_selectorELNS0_4arch9wavefront6targetE1EEEvSL_.has_dyn_sized_stack, 0
	.set _ZN7rocprim17ROCPRIM_400000_NS6detail17trampoline_kernelINS0_14default_configENS1_38merge_sort_block_merge_config_selectorIiNS0_10empty_typeEEEZZNS1_27merge_sort_block_merge_implIS3_N6thrust23THRUST_200600_302600_NS6detail15normal_iteratorINS9_10device_ptrIiEEEEPS5_jNS1_19radix_merge_compareILb0ELb0EiNS0_19identity_decomposerEEEEE10hipError_tT0_T1_T2_jT3_P12ihipStream_tbPNSt15iterator_traitsISK_E10value_typeEPNSQ_ISL_E10value_typeEPSM_NS1_7vsmem_tEENKUlT_SK_SL_SM_E_clISE_PiSF_SF_EESJ_SZ_SK_SL_SM_EUlSZ_E1_NS1_11comp_targetILNS1_3genE8ELNS1_11target_archE1030ELNS1_3gpuE2ELNS1_3repE0EEENS1_36merge_oddeven_config_static_selectorELNS0_4arch9wavefront6targetE1EEEvSL_.has_recursion, 0
	.set _ZN7rocprim17ROCPRIM_400000_NS6detail17trampoline_kernelINS0_14default_configENS1_38merge_sort_block_merge_config_selectorIiNS0_10empty_typeEEEZZNS1_27merge_sort_block_merge_implIS3_N6thrust23THRUST_200600_302600_NS6detail15normal_iteratorINS9_10device_ptrIiEEEEPS5_jNS1_19radix_merge_compareILb0ELb0EiNS0_19identity_decomposerEEEEE10hipError_tT0_T1_T2_jT3_P12ihipStream_tbPNSt15iterator_traitsISK_E10value_typeEPNSQ_ISL_E10value_typeEPSM_NS1_7vsmem_tEENKUlT_SK_SL_SM_E_clISE_PiSF_SF_EESJ_SZ_SK_SL_SM_EUlSZ_E1_NS1_11comp_targetILNS1_3genE8ELNS1_11target_archE1030ELNS1_3gpuE2ELNS1_3repE0EEENS1_36merge_oddeven_config_static_selectorELNS0_4arch9wavefront6targetE1EEEvSL_.has_indirect_call, 0
	.section	.AMDGPU.csdata,"",@progbits
; Kernel info:
; codeLenInByte = 0
; TotalNumSgprs: 6
; NumVgprs: 0
; NumAgprs: 0
; TotalNumVgprs: 0
; ScratchSize: 0
; MemoryBound: 0
; FloatMode: 240
; IeeeMode: 1
; LDSByteSize: 0 bytes/workgroup (compile time only)
; SGPRBlocks: 0
; VGPRBlocks: 0
; NumSGPRsForWavesPerEU: 6
; NumVGPRsForWavesPerEU: 1
; AccumOffset: 4
; Occupancy: 8
; WaveLimiterHint : 0
; COMPUTE_PGM_RSRC2:SCRATCH_EN: 0
; COMPUTE_PGM_RSRC2:USER_SGPR: 2
; COMPUTE_PGM_RSRC2:TRAP_HANDLER: 0
; COMPUTE_PGM_RSRC2:TGID_X_EN: 1
; COMPUTE_PGM_RSRC2:TGID_Y_EN: 0
; COMPUTE_PGM_RSRC2:TGID_Z_EN: 0
; COMPUTE_PGM_RSRC2:TIDIG_COMP_CNT: 0
; COMPUTE_PGM_RSRC3_GFX90A:ACCUM_OFFSET: 0
; COMPUTE_PGM_RSRC3_GFX90A:TG_SPLIT: 0
	.section	.text._ZN7rocprim17ROCPRIM_400000_NS6detail17trampoline_kernelINS0_14default_configENS1_25transform_config_selectorIiLb0EEEZNS1_14transform_implILb0ES3_S5_PiN6thrust23THRUST_200600_302600_NS6detail15normal_iteratorINS9_10device_ptrIiEEEENS0_8identityIiEEEE10hipError_tT2_T3_mT4_P12ihipStream_tbEUlT_E_NS1_11comp_targetILNS1_3genE0ELNS1_11target_archE4294967295ELNS1_3gpuE0ELNS1_3repE0EEENS1_30default_config_static_selectorELNS0_4arch9wavefront6targetE1EEEvT1_,"axG",@progbits,_ZN7rocprim17ROCPRIM_400000_NS6detail17trampoline_kernelINS0_14default_configENS1_25transform_config_selectorIiLb0EEEZNS1_14transform_implILb0ES3_S5_PiN6thrust23THRUST_200600_302600_NS6detail15normal_iteratorINS9_10device_ptrIiEEEENS0_8identityIiEEEE10hipError_tT2_T3_mT4_P12ihipStream_tbEUlT_E_NS1_11comp_targetILNS1_3genE0ELNS1_11target_archE4294967295ELNS1_3gpuE0ELNS1_3repE0EEENS1_30default_config_static_selectorELNS0_4arch9wavefront6targetE1EEEvT1_,comdat
	.protected	_ZN7rocprim17ROCPRIM_400000_NS6detail17trampoline_kernelINS0_14default_configENS1_25transform_config_selectorIiLb0EEEZNS1_14transform_implILb0ES3_S5_PiN6thrust23THRUST_200600_302600_NS6detail15normal_iteratorINS9_10device_ptrIiEEEENS0_8identityIiEEEE10hipError_tT2_T3_mT4_P12ihipStream_tbEUlT_E_NS1_11comp_targetILNS1_3genE0ELNS1_11target_archE4294967295ELNS1_3gpuE0ELNS1_3repE0EEENS1_30default_config_static_selectorELNS0_4arch9wavefront6targetE1EEEvT1_ ; -- Begin function _ZN7rocprim17ROCPRIM_400000_NS6detail17trampoline_kernelINS0_14default_configENS1_25transform_config_selectorIiLb0EEEZNS1_14transform_implILb0ES3_S5_PiN6thrust23THRUST_200600_302600_NS6detail15normal_iteratorINS9_10device_ptrIiEEEENS0_8identityIiEEEE10hipError_tT2_T3_mT4_P12ihipStream_tbEUlT_E_NS1_11comp_targetILNS1_3genE0ELNS1_11target_archE4294967295ELNS1_3gpuE0ELNS1_3repE0EEENS1_30default_config_static_selectorELNS0_4arch9wavefront6targetE1EEEvT1_
	.globl	_ZN7rocprim17ROCPRIM_400000_NS6detail17trampoline_kernelINS0_14default_configENS1_25transform_config_selectorIiLb0EEEZNS1_14transform_implILb0ES3_S5_PiN6thrust23THRUST_200600_302600_NS6detail15normal_iteratorINS9_10device_ptrIiEEEENS0_8identityIiEEEE10hipError_tT2_T3_mT4_P12ihipStream_tbEUlT_E_NS1_11comp_targetILNS1_3genE0ELNS1_11target_archE4294967295ELNS1_3gpuE0ELNS1_3repE0EEENS1_30default_config_static_selectorELNS0_4arch9wavefront6targetE1EEEvT1_
	.p2align	8
	.type	_ZN7rocprim17ROCPRIM_400000_NS6detail17trampoline_kernelINS0_14default_configENS1_25transform_config_selectorIiLb0EEEZNS1_14transform_implILb0ES3_S5_PiN6thrust23THRUST_200600_302600_NS6detail15normal_iteratorINS9_10device_ptrIiEEEENS0_8identityIiEEEE10hipError_tT2_T3_mT4_P12ihipStream_tbEUlT_E_NS1_11comp_targetILNS1_3genE0ELNS1_11target_archE4294967295ELNS1_3gpuE0ELNS1_3repE0EEENS1_30default_config_static_selectorELNS0_4arch9wavefront6targetE1EEEvT1_,@function
_ZN7rocprim17ROCPRIM_400000_NS6detail17trampoline_kernelINS0_14default_configENS1_25transform_config_selectorIiLb0EEEZNS1_14transform_implILb0ES3_S5_PiN6thrust23THRUST_200600_302600_NS6detail15normal_iteratorINS9_10device_ptrIiEEEENS0_8identityIiEEEE10hipError_tT2_T3_mT4_P12ihipStream_tbEUlT_E_NS1_11comp_targetILNS1_3genE0ELNS1_11target_archE4294967295ELNS1_3gpuE0ELNS1_3repE0EEENS1_30default_config_static_selectorELNS0_4arch9wavefront6targetE1EEEvT1_: ; @_ZN7rocprim17ROCPRIM_400000_NS6detail17trampoline_kernelINS0_14default_configENS1_25transform_config_selectorIiLb0EEEZNS1_14transform_implILb0ES3_S5_PiN6thrust23THRUST_200600_302600_NS6detail15normal_iteratorINS9_10device_ptrIiEEEENS0_8identityIiEEEE10hipError_tT2_T3_mT4_P12ihipStream_tbEUlT_E_NS1_11comp_targetILNS1_3genE0ELNS1_11target_archE4294967295ELNS1_3gpuE0ELNS1_3repE0EEENS1_30default_config_static_selectorELNS0_4arch9wavefront6targetE1EEEvT1_
; %bb.0:
	s_load_dwordx8 s[4:11], s[0:1], 0x0
	s_load_dword s3, s[0:1], 0x28
	s_waitcnt lgkmcnt(0)
	s_lshl_b64 s[0:1], s[6:7], 2
	s_add_u32 s4, s4, s0
	s_addc_u32 s5, s5, s1
	s_add_u32 s9, s10, s0
	s_addc_u32 s12, s11, s1
	s_lshl_b32 s0, s2, 8
	s_mov_b32 s1, 0
	s_add_i32 s3, s3, -1
	s_lshl_b64 s[6:7], s[0:1], 2
	s_add_u32 s10, s4, s6
	s_addc_u32 s11, s5, s7
	s_cmp_lg_u32 s2, s3
	s_cbranch_scc0 .LBB67_2
; %bb.1:
	v_lshlrev_b32_e32 v2, 2, v0
	global_load_dword v6, v2, s[10:11]
	global_load_dword v1, v2, s[10:11] offset:512
	s_add_u32 s4, s9, s6
	v_mov_b32_e32 v3, 0
	s_addc_u32 s5, s12, s7
	v_lshl_add_u64 v[4:5], s[4:5], 0, v[2:3]
	s_mov_b64 s[4:5], -1
	s_waitcnt vmcnt(1)
	flat_store_dword v[4:5], v6
	s_cbranch_execz .LBB67_3
	s_branch .LBB67_12
.LBB67_2:
	s_mov_b64 s[4:5], 0
                                        ; implicit-def: $vgpr1
                                        ; implicit-def: $vgpr4_vgpr5
.LBB67_3:
	s_sub_i32 s2, s8, s0
	v_mov_b32_e32 v2, 0
	v_cmp_gt_u32_e32 vcc, s2, v0
	v_mov_b32_e32 v3, v2
	s_and_saveexec_b64 s[0:1], vcc
	s_cbranch_execz .LBB67_5
; %bb.4:
	s_waitcnt vmcnt(0)
	v_lshlrev_b32_e32 v1, 2, v0
	global_load_dword v4, v1, s[10:11]
	v_mov_b32_e32 v5, v2
	s_waitcnt vmcnt(0)
	v_mov_b64_e32 v[2:3], v[4:5]
.LBB67_5:
	s_or_b64 exec, exec, s[0:1]
	s_waitcnt vmcnt(0)
	v_or_b32_e32 v1, 0x80, v0
	v_cmp_gt_u32_e64 s[0:1], s2, v1
	v_cmp_le_u32_e64 s[2:3], s2, v1
	s_and_saveexec_b64 s[14:15], s[2:3]
	s_xor_b64 s[2:3], exec, s[14:15]
	s_andn2_saveexec_b64 s[2:3], s[2:3]
	s_cbranch_execz .LBB67_7
; %bb.6:
	v_lshlrev_b32_e32 v1, 2, v0
	global_load_dword v3, v1, s[10:11] offset:512
.LBB67_7:
	s_or_b64 exec, exec, s[2:3]
	s_add_u32 s2, s9, s6
	v_mov_b32_e32 v5, 0
	s_addc_u32 s3, s12, s7
	v_lshlrev_b32_e32 v4, 2, v0
	v_cndmask_b32_e32 v1, 0, v2, vcc
	v_lshl_add_u64 v[4:5], s[2:3], 0, v[4:5]
	s_and_saveexec_b64 s[2:3], vcc
	s_cbranch_execz .LBB67_9
; %bb.8:
	flat_store_dword v[4:5], v1
.LBB67_9:
	s_or_b64 exec, exec, s[2:3]
                                        ; implicit-def: $vgpr1
	s_and_saveexec_b64 s[2:3], s[0:1]
	s_cbranch_execz .LBB67_11
; %bb.10:
	s_waitcnt vmcnt(0)
	v_cndmask_b32_e64 v1, 0, v3, s[0:1]
	s_or_b64 s[4:5], s[4:5], exec
.LBB67_11:
	s_or_b64 exec, exec, s[2:3]
.LBB67_12:
	s_and_saveexec_b64 s[0:1], s[4:5]
	s_cbranch_execnz .LBB67_14
; %bb.13:
	s_endpgm
.LBB67_14:
	s_waitcnt vmcnt(0)
	flat_store_dword v[4:5], v1 offset:512
	s_endpgm
	.section	.rodata,"a",@progbits
	.p2align	6, 0x0
	.amdhsa_kernel _ZN7rocprim17ROCPRIM_400000_NS6detail17trampoline_kernelINS0_14default_configENS1_25transform_config_selectorIiLb0EEEZNS1_14transform_implILb0ES3_S5_PiN6thrust23THRUST_200600_302600_NS6detail15normal_iteratorINS9_10device_ptrIiEEEENS0_8identityIiEEEE10hipError_tT2_T3_mT4_P12ihipStream_tbEUlT_E_NS1_11comp_targetILNS1_3genE0ELNS1_11target_archE4294967295ELNS1_3gpuE0ELNS1_3repE0EEENS1_30default_config_static_selectorELNS0_4arch9wavefront6targetE1EEEvT1_
		.amdhsa_group_segment_fixed_size 0
		.amdhsa_private_segment_fixed_size 0
		.amdhsa_kernarg_size 296
		.amdhsa_user_sgpr_count 2
		.amdhsa_user_sgpr_dispatch_ptr 0
		.amdhsa_user_sgpr_queue_ptr 0
		.amdhsa_user_sgpr_kernarg_segment_ptr 1
		.amdhsa_user_sgpr_dispatch_id 0
		.amdhsa_user_sgpr_kernarg_preload_length 0
		.amdhsa_user_sgpr_kernarg_preload_offset 0
		.amdhsa_user_sgpr_private_segment_size 0
		.amdhsa_uses_dynamic_stack 0
		.amdhsa_enable_private_segment 0
		.amdhsa_system_sgpr_workgroup_id_x 1
		.amdhsa_system_sgpr_workgroup_id_y 0
		.amdhsa_system_sgpr_workgroup_id_z 0
		.amdhsa_system_sgpr_workgroup_info 0
		.amdhsa_system_vgpr_workitem_id 0
		.amdhsa_next_free_vgpr 7
		.amdhsa_next_free_sgpr 16
		.amdhsa_accum_offset 8
		.amdhsa_reserve_vcc 1
		.amdhsa_float_round_mode_32 0
		.amdhsa_float_round_mode_16_64 0
		.amdhsa_float_denorm_mode_32 3
		.amdhsa_float_denorm_mode_16_64 3
		.amdhsa_dx10_clamp 1
		.amdhsa_ieee_mode 1
		.amdhsa_fp16_overflow 0
		.amdhsa_tg_split 0
		.amdhsa_exception_fp_ieee_invalid_op 0
		.amdhsa_exception_fp_denorm_src 0
		.amdhsa_exception_fp_ieee_div_zero 0
		.amdhsa_exception_fp_ieee_overflow 0
		.amdhsa_exception_fp_ieee_underflow 0
		.amdhsa_exception_fp_ieee_inexact 0
		.amdhsa_exception_int_div_zero 0
	.end_amdhsa_kernel
	.section	.text._ZN7rocprim17ROCPRIM_400000_NS6detail17trampoline_kernelINS0_14default_configENS1_25transform_config_selectorIiLb0EEEZNS1_14transform_implILb0ES3_S5_PiN6thrust23THRUST_200600_302600_NS6detail15normal_iteratorINS9_10device_ptrIiEEEENS0_8identityIiEEEE10hipError_tT2_T3_mT4_P12ihipStream_tbEUlT_E_NS1_11comp_targetILNS1_3genE0ELNS1_11target_archE4294967295ELNS1_3gpuE0ELNS1_3repE0EEENS1_30default_config_static_selectorELNS0_4arch9wavefront6targetE1EEEvT1_,"axG",@progbits,_ZN7rocprim17ROCPRIM_400000_NS6detail17trampoline_kernelINS0_14default_configENS1_25transform_config_selectorIiLb0EEEZNS1_14transform_implILb0ES3_S5_PiN6thrust23THRUST_200600_302600_NS6detail15normal_iteratorINS9_10device_ptrIiEEEENS0_8identityIiEEEE10hipError_tT2_T3_mT4_P12ihipStream_tbEUlT_E_NS1_11comp_targetILNS1_3genE0ELNS1_11target_archE4294967295ELNS1_3gpuE0ELNS1_3repE0EEENS1_30default_config_static_selectorELNS0_4arch9wavefront6targetE1EEEvT1_,comdat
.Lfunc_end67:
	.size	_ZN7rocprim17ROCPRIM_400000_NS6detail17trampoline_kernelINS0_14default_configENS1_25transform_config_selectorIiLb0EEEZNS1_14transform_implILb0ES3_S5_PiN6thrust23THRUST_200600_302600_NS6detail15normal_iteratorINS9_10device_ptrIiEEEENS0_8identityIiEEEE10hipError_tT2_T3_mT4_P12ihipStream_tbEUlT_E_NS1_11comp_targetILNS1_3genE0ELNS1_11target_archE4294967295ELNS1_3gpuE0ELNS1_3repE0EEENS1_30default_config_static_selectorELNS0_4arch9wavefront6targetE1EEEvT1_, .Lfunc_end67-_ZN7rocprim17ROCPRIM_400000_NS6detail17trampoline_kernelINS0_14default_configENS1_25transform_config_selectorIiLb0EEEZNS1_14transform_implILb0ES3_S5_PiN6thrust23THRUST_200600_302600_NS6detail15normal_iteratorINS9_10device_ptrIiEEEENS0_8identityIiEEEE10hipError_tT2_T3_mT4_P12ihipStream_tbEUlT_E_NS1_11comp_targetILNS1_3genE0ELNS1_11target_archE4294967295ELNS1_3gpuE0ELNS1_3repE0EEENS1_30default_config_static_selectorELNS0_4arch9wavefront6targetE1EEEvT1_
                                        ; -- End function
	.set _ZN7rocprim17ROCPRIM_400000_NS6detail17trampoline_kernelINS0_14default_configENS1_25transform_config_selectorIiLb0EEEZNS1_14transform_implILb0ES3_S5_PiN6thrust23THRUST_200600_302600_NS6detail15normal_iteratorINS9_10device_ptrIiEEEENS0_8identityIiEEEE10hipError_tT2_T3_mT4_P12ihipStream_tbEUlT_E_NS1_11comp_targetILNS1_3genE0ELNS1_11target_archE4294967295ELNS1_3gpuE0ELNS1_3repE0EEENS1_30default_config_static_selectorELNS0_4arch9wavefront6targetE1EEEvT1_.num_vgpr, 7
	.set _ZN7rocprim17ROCPRIM_400000_NS6detail17trampoline_kernelINS0_14default_configENS1_25transform_config_selectorIiLb0EEEZNS1_14transform_implILb0ES3_S5_PiN6thrust23THRUST_200600_302600_NS6detail15normal_iteratorINS9_10device_ptrIiEEEENS0_8identityIiEEEE10hipError_tT2_T3_mT4_P12ihipStream_tbEUlT_E_NS1_11comp_targetILNS1_3genE0ELNS1_11target_archE4294967295ELNS1_3gpuE0ELNS1_3repE0EEENS1_30default_config_static_selectorELNS0_4arch9wavefront6targetE1EEEvT1_.num_agpr, 0
	.set _ZN7rocprim17ROCPRIM_400000_NS6detail17trampoline_kernelINS0_14default_configENS1_25transform_config_selectorIiLb0EEEZNS1_14transform_implILb0ES3_S5_PiN6thrust23THRUST_200600_302600_NS6detail15normal_iteratorINS9_10device_ptrIiEEEENS0_8identityIiEEEE10hipError_tT2_T3_mT4_P12ihipStream_tbEUlT_E_NS1_11comp_targetILNS1_3genE0ELNS1_11target_archE4294967295ELNS1_3gpuE0ELNS1_3repE0EEENS1_30default_config_static_selectorELNS0_4arch9wavefront6targetE1EEEvT1_.numbered_sgpr, 16
	.set _ZN7rocprim17ROCPRIM_400000_NS6detail17trampoline_kernelINS0_14default_configENS1_25transform_config_selectorIiLb0EEEZNS1_14transform_implILb0ES3_S5_PiN6thrust23THRUST_200600_302600_NS6detail15normal_iteratorINS9_10device_ptrIiEEEENS0_8identityIiEEEE10hipError_tT2_T3_mT4_P12ihipStream_tbEUlT_E_NS1_11comp_targetILNS1_3genE0ELNS1_11target_archE4294967295ELNS1_3gpuE0ELNS1_3repE0EEENS1_30default_config_static_selectorELNS0_4arch9wavefront6targetE1EEEvT1_.num_named_barrier, 0
	.set _ZN7rocprim17ROCPRIM_400000_NS6detail17trampoline_kernelINS0_14default_configENS1_25transform_config_selectorIiLb0EEEZNS1_14transform_implILb0ES3_S5_PiN6thrust23THRUST_200600_302600_NS6detail15normal_iteratorINS9_10device_ptrIiEEEENS0_8identityIiEEEE10hipError_tT2_T3_mT4_P12ihipStream_tbEUlT_E_NS1_11comp_targetILNS1_3genE0ELNS1_11target_archE4294967295ELNS1_3gpuE0ELNS1_3repE0EEENS1_30default_config_static_selectorELNS0_4arch9wavefront6targetE1EEEvT1_.private_seg_size, 0
	.set _ZN7rocprim17ROCPRIM_400000_NS6detail17trampoline_kernelINS0_14default_configENS1_25transform_config_selectorIiLb0EEEZNS1_14transform_implILb0ES3_S5_PiN6thrust23THRUST_200600_302600_NS6detail15normal_iteratorINS9_10device_ptrIiEEEENS0_8identityIiEEEE10hipError_tT2_T3_mT4_P12ihipStream_tbEUlT_E_NS1_11comp_targetILNS1_3genE0ELNS1_11target_archE4294967295ELNS1_3gpuE0ELNS1_3repE0EEENS1_30default_config_static_selectorELNS0_4arch9wavefront6targetE1EEEvT1_.uses_vcc, 1
	.set _ZN7rocprim17ROCPRIM_400000_NS6detail17trampoline_kernelINS0_14default_configENS1_25transform_config_selectorIiLb0EEEZNS1_14transform_implILb0ES3_S5_PiN6thrust23THRUST_200600_302600_NS6detail15normal_iteratorINS9_10device_ptrIiEEEENS0_8identityIiEEEE10hipError_tT2_T3_mT4_P12ihipStream_tbEUlT_E_NS1_11comp_targetILNS1_3genE0ELNS1_11target_archE4294967295ELNS1_3gpuE0ELNS1_3repE0EEENS1_30default_config_static_selectorELNS0_4arch9wavefront6targetE1EEEvT1_.uses_flat_scratch, 0
	.set _ZN7rocprim17ROCPRIM_400000_NS6detail17trampoline_kernelINS0_14default_configENS1_25transform_config_selectorIiLb0EEEZNS1_14transform_implILb0ES3_S5_PiN6thrust23THRUST_200600_302600_NS6detail15normal_iteratorINS9_10device_ptrIiEEEENS0_8identityIiEEEE10hipError_tT2_T3_mT4_P12ihipStream_tbEUlT_E_NS1_11comp_targetILNS1_3genE0ELNS1_11target_archE4294967295ELNS1_3gpuE0ELNS1_3repE0EEENS1_30default_config_static_selectorELNS0_4arch9wavefront6targetE1EEEvT1_.has_dyn_sized_stack, 0
	.set _ZN7rocprim17ROCPRIM_400000_NS6detail17trampoline_kernelINS0_14default_configENS1_25transform_config_selectorIiLb0EEEZNS1_14transform_implILb0ES3_S5_PiN6thrust23THRUST_200600_302600_NS6detail15normal_iteratorINS9_10device_ptrIiEEEENS0_8identityIiEEEE10hipError_tT2_T3_mT4_P12ihipStream_tbEUlT_E_NS1_11comp_targetILNS1_3genE0ELNS1_11target_archE4294967295ELNS1_3gpuE0ELNS1_3repE0EEENS1_30default_config_static_selectorELNS0_4arch9wavefront6targetE1EEEvT1_.has_recursion, 0
	.set _ZN7rocprim17ROCPRIM_400000_NS6detail17trampoline_kernelINS0_14default_configENS1_25transform_config_selectorIiLb0EEEZNS1_14transform_implILb0ES3_S5_PiN6thrust23THRUST_200600_302600_NS6detail15normal_iteratorINS9_10device_ptrIiEEEENS0_8identityIiEEEE10hipError_tT2_T3_mT4_P12ihipStream_tbEUlT_E_NS1_11comp_targetILNS1_3genE0ELNS1_11target_archE4294967295ELNS1_3gpuE0ELNS1_3repE0EEENS1_30default_config_static_selectorELNS0_4arch9wavefront6targetE1EEEvT1_.has_indirect_call, 0
	.section	.AMDGPU.csdata,"",@progbits
; Kernel info:
; codeLenInByte = 360
; TotalNumSgprs: 22
; NumVgprs: 7
; NumAgprs: 0
; TotalNumVgprs: 7
; ScratchSize: 0
; MemoryBound: 0
; FloatMode: 240
; IeeeMode: 1
; LDSByteSize: 0 bytes/workgroup (compile time only)
; SGPRBlocks: 2
; VGPRBlocks: 0
; NumSGPRsForWavesPerEU: 22
; NumVGPRsForWavesPerEU: 7
; AccumOffset: 8
; Occupancy: 8
; WaveLimiterHint : 1
; COMPUTE_PGM_RSRC2:SCRATCH_EN: 0
; COMPUTE_PGM_RSRC2:USER_SGPR: 2
; COMPUTE_PGM_RSRC2:TRAP_HANDLER: 0
; COMPUTE_PGM_RSRC2:TGID_X_EN: 1
; COMPUTE_PGM_RSRC2:TGID_Y_EN: 0
; COMPUTE_PGM_RSRC2:TGID_Z_EN: 0
; COMPUTE_PGM_RSRC2:TIDIG_COMP_CNT: 0
; COMPUTE_PGM_RSRC3_GFX90A:ACCUM_OFFSET: 1
; COMPUTE_PGM_RSRC3_GFX90A:TG_SPLIT: 0
	.section	.text._ZN7rocprim17ROCPRIM_400000_NS6detail17trampoline_kernelINS0_14default_configENS1_25transform_config_selectorIiLb0EEEZNS1_14transform_implILb0ES3_S5_PiN6thrust23THRUST_200600_302600_NS6detail15normal_iteratorINS9_10device_ptrIiEEEENS0_8identityIiEEEE10hipError_tT2_T3_mT4_P12ihipStream_tbEUlT_E_NS1_11comp_targetILNS1_3genE5ELNS1_11target_archE942ELNS1_3gpuE9ELNS1_3repE0EEENS1_30default_config_static_selectorELNS0_4arch9wavefront6targetE1EEEvT1_,"axG",@progbits,_ZN7rocprim17ROCPRIM_400000_NS6detail17trampoline_kernelINS0_14default_configENS1_25transform_config_selectorIiLb0EEEZNS1_14transform_implILb0ES3_S5_PiN6thrust23THRUST_200600_302600_NS6detail15normal_iteratorINS9_10device_ptrIiEEEENS0_8identityIiEEEE10hipError_tT2_T3_mT4_P12ihipStream_tbEUlT_E_NS1_11comp_targetILNS1_3genE5ELNS1_11target_archE942ELNS1_3gpuE9ELNS1_3repE0EEENS1_30default_config_static_selectorELNS0_4arch9wavefront6targetE1EEEvT1_,comdat
	.protected	_ZN7rocprim17ROCPRIM_400000_NS6detail17trampoline_kernelINS0_14default_configENS1_25transform_config_selectorIiLb0EEEZNS1_14transform_implILb0ES3_S5_PiN6thrust23THRUST_200600_302600_NS6detail15normal_iteratorINS9_10device_ptrIiEEEENS0_8identityIiEEEE10hipError_tT2_T3_mT4_P12ihipStream_tbEUlT_E_NS1_11comp_targetILNS1_3genE5ELNS1_11target_archE942ELNS1_3gpuE9ELNS1_3repE0EEENS1_30default_config_static_selectorELNS0_4arch9wavefront6targetE1EEEvT1_ ; -- Begin function _ZN7rocprim17ROCPRIM_400000_NS6detail17trampoline_kernelINS0_14default_configENS1_25transform_config_selectorIiLb0EEEZNS1_14transform_implILb0ES3_S5_PiN6thrust23THRUST_200600_302600_NS6detail15normal_iteratorINS9_10device_ptrIiEEEENS0_8identityIiEEEE10hipError_tT2_T3_mT4_P12ihipStream_tbEUlT_E_NS1_11comp_targetILNS1_3genE5ELNS1_11target_archE942ELNS1_3gpuE9ELNS1_3repE0EEENS1_30default_config_static_selectorELNS0_4arch9wavefront6targetE1EEEvT1_
	.globl	_ZN7rocprim17ROCPRIM_400000_NS6detail17trampoline_kernelINS0_14default_configENS1_25transform_config_selectorIiLb0EEEZNS1_14transform_implILb0ES3_S5_PiN6thrust23THRUST_200600_302600_NS6detail15normal_iteratorINS9_10device_ptrIiEEEENS0_8identityIiEEEE10hipError_tT2_T3_mT4_P12ihipStream_tbEUlT_E_NS1_11comp_targetILNS1_3genE5ELNS1_11target_archE942ELNS1_3gpuE9ELNS1_3repE0EEENS1_30default_config_static_selectorELNS0_4arch9wavefront6targetE1EEEvT1_
	.p2align	8
	.type	_ZN7rocprim17ROCPRIM_400000_NS6detail17trampoline_kernelINS0_14default_configENS1_25transform_config_selectorIiLb0EEEZNS1_14transform_implILb0ES3_S5_PiN6thrust23THRUST_200600_302600_NS6detail15normal_iteratorINS9_10device_ptrIiEEEENS0_8identityIiEEEE10hipError_tT2_T3_mT4_P12ihipStream_tbEUlT_E_NS1_11comp_targetILNS1_3genE5ELNS1_11target_archE942ELNS1_3gpuE9ELNS1_3repE0EEENS1_30default_config_static_selectorELNS0_4arch9wavefront6targetE1EEEvT1_,@function
_ZN7rocprim17ROCPRIM_400000_NS6detail17trampoline_kernelINS0_14default_configENS1_25transform_config_selectorIiLb0EEEZNS1_14transform_implILb0ES3_S5_PiN6thrust23THRUST_200600_302600_NS6detail15normal_iteratorINS9_10device_ptrIiEEEENS0_8identityIiEEEE10hipError_tT2_T3_mT4_P12ihipStream_tbEUlT_E_NS1_11comp_targetILNS1_3genE5ELNS1_11target_archE942ELNS1_3gpuE9ELNS1_3repE0EEENS1_30default_config_static_selectorELNS0_4arch9wavefront6targetE1EEEvT1_: ; @_ZN7rocprim17ROCPRIM_400000_NS6detail17trampoline_kernelINS0_14default_configENS1_25transform_config_selectorIiLb0EEEZNS1_14transform_implILb0ES3_S5_PiN6thrust23THRUST_200600_302600_NS6detail15normal_iteratorINS9_10device_ptrIiEEEENS0_8identityIiEEEE10hipError_tT2_T3_mT4_P12ihipStream_tbEUlT_E_NS1_11comp_targetILNS1_3genE5ELNS1_11target_archE942ELNS1_3gpuE9ELNS1_3repE0EEENS1_30default_config_static_selectorELNS0_4arch9wavefront6targetE1EEEvT1_
; %bb.0:
	.section	.rodata,"a",@progbits
	.p2align	6, 0x0
	.amdhsa_kernel _ZN7rocprim17ROCPRIM_400000_NS6detail17trampoline_kernelINS0_14default_configENS1_25transform_config_selectorIiLb0EEEZNS1_14transform_implILb0ES3_S5_PiN6thrust23THRUST_200600_302600_NS6detail15normal_iteratorINS9_10device_ptrIiEEEENS0_8identityIiEEEE10hipError_tT2_T3_mT4_P12ihipStream_tbEUlT_E_NS1_11comp_targetILNS1_3genE5ELNS1_11target_archE942ELNS1_3gpuE9ELNS1_3repE0EEENS1_30default_config_static_selectorELNS0_4arch9wavefront6targetE1EEEvT1_
		.amdhsa_group_segment_fixed_size 0
		.amdhsa_private_segment_fixed_size 0
		.amdhsa_kernarg_size 40
		.amdhsa_user_sgpr_count 2
		.amdhsa_user_sgpr_dispatch_ptr 0
		.amdhsa_user_sgpr_queue_ptr 0
		.amdhsa_user_sgpr_kernarg_segment_ptr 1
		.amdhsa_user_sgpr_dispatch_id 0
		.amdhsa_user_sgpr_kernarg_preload_length 0
		.amdhsa_user_sgpr_kernarg_preload_offset 0
		.amdhsa_user_sgpr_private_segment_size 0
		.amdhsa_uses_dynamic_stack 0
		.amdhsa_enable_private_segment 0
		.amdhsa_system_sgpr_workgroup_id_x 1
		.amdhsa_system_sgpr_workgroup_id_y 0
		.amdhsa_system_sgpr_workgroup_id_z 0
		.amdhsa_system_sgpr_workgroup_info 0
		.amdhsa_system_vgpr_workitem_id 0
		.amdhsa_next_free_vgpr 1
		.amdhsa_next_free_sgpr 0
		.amdhsa_accum_offset 4
		.amdhsa_reserve_vcc 0
		.amdhsa_float_round_mode_32 0
		.amdhsa_float_round_mode_16_64 0
		.amdhsa_float_denorm_mode_32 3
		.amdhsa_float_denorm_mode_16_64 3
		.amdhsa_dx10_clamp 1
		.amdhsa_ieee_mode 1
		.amdhsa_fp16_overflow 0
		.amdhsa_tg_split 0
		.amdhsa_exception_fp_ieee_invalid_op 0
		.amdhsa_exception_fp_denorm_src 0
		.amdhsa_exception_fp_ieee_div_zero 0
		.amdhsa_exception_fp_ieee_overflow 0
		.amdhsa_exception_fp_ieee_underflow 0
		.amdhsa_exception_fp_ieee_inexact 0
		.amdhsa_exception_int_div_zero 0
	.end_amdhsa_kernel
	.section	.text._ZN7rocprim17ROCPRIM_400000_NS6detail17trampoline_kernelINS0_14default_configENS1_25transform_config_selectorIiLb0EEEZNS1_14transform_implILb0ES3_S5_PiN6thrust23THRUST_200600_302600_NS6detail15normal_iteratorINS9_10device_ptrIiEEEENS0_8identityIiEEEE10hipError_tT2_T3_mT4_P12ihipStream_tbEUlT_E_NS1_11comp_targetILNS1_3genE5ELNS1_11target_archE942ELNS1_3gpuE9ELNS1_3repE0EEENS1_30default_config_static_selectorELNS0_4arch9wavefront6targetE1EEEvT1_,"axG",@progbits,_ZN7rocprim17ROCPRIM_400000_NS6detail17trampoline_kernelINS0_14default_configENS1_25transform_config_selectorIiLb0EEEZNS1_14transform_implILb0ES3_S5_PiN6thrust23THRUST_200600_302600_NS6detail15normal_iteratorINS9_10device_ptrIiEEEENS0_8identityIiEEEE10hipError_tT2_T3_mT4_P12ihipStream_tbEUlT_E_NS1_11comp_targetILNS1_3genE5ELNS1_11target_archE942ELNS1_3gpuE9ELNS1_3repE0EEENS1_30default_config_static_selectorELNS0_4arch9wavefront6targetE1EEEvT1_,comdat
.Lfunc_end68:
	.size	_ZN7rocprim17ROCPRIM_400000_NS6detail17trampoline_kernelINS0_14default_configENS1_25transform_config_selectorIiLb0EEEZNS1_14transform_implILb0ES3_S5_PiN6thrust23THRUST_200600_302600_NS6detail15normal_iteratorINS9_10device_ptrIiEEEENS0_8identityIiEEEE10hipError_tT2_T3_mT4_P12ihipStream_tbEUlT_E_NS1_11comp_targetILNS1_3genE5ELNS1_11target_archE942ELNS1_3gpuE9ELNS1_3repE0EEENS1_30default_config_static_selectorELNS0_4arch9wavefront6targetE1EEEvT1_, .Lfunc_end68-_ZN7rocprim17ROCPRIM_400000_NS6detail17trampoline_kernelINS0_14default_configENS1_25transform_config_selectorIiLb0EEEZNS1_14transform_implILb0ES3_S5_PiN6thrust23THRUST_200600_302600_NS6detail15normal_iteratorINS9_10device_ptrIiEEEENS0_8identityIiEEEE10hipError_tT2_T3_mT4_P12ihipStream_tbEUlT_E_NS1_11comp_targetILNS1_3genE5ELNS1_11target_archE942ELNS1_3gpuE9ELNS1_3repE0EEENS1_30default_config_static_selectorELNS0_4arch9wavefront6targetE1EEEvT1_
                                        ; -- End function
	.set _ZN7rocprim17ROCPRIM_400000_NS6detail17trampoline_kernelINS0_14default_configENS1_25transform_config_selectorIiLb0EEEZNS1_14transform_implILb0ES3_S5_PiN6thrust23THRUST_200600_302600_NS6detail15normal_iteratorINS9_10device_ptrIiEEEENS0_8identityIiEEEE10hipError_tT2_T3_mT4_P12ihipStream_tbEUlT_E_NS1_11comp_targetILNS1_3genE5ELNS1_11target_archE942ELNS1_3gpuE9ELNS1_3repE0EEENS1_30default_config_static_selectorELNS0_4arch9wavefront6targetE1EEEvT1_.num_vgpr, 0
	.set _ZN7rocprim17ROCPRIM_400000_NS6detail17trampoline_kernelINS0_14default_configENS1_25transform_config_selectorIiLb0EEEZNS1_14transform_implILb0ES3_S5_PiN6thrust23THRUST_200600_302600_NS6detail15normal_iteratorINS9_10device_ptrIiEEEENS0_8identityIiEEEE10hipError_tT2_T3_mT4_P12ihipStream_tbEUlT_E_NS1_11comp_targetILNS1_3genE5ELNS1_11target_archE942ELNS1_3gpuE9ELNS1_3repE0EEENS1_30default_config_static_selectorELNS0_4arch9wavefront6targetE1EEEvT1_.num_agpr, 0
	.set _ZN7rocprim17ROCPRIM_400000_NS6detail17trampoline_kernelINS0_14default_configENS1_25transform_config_selectorIiLb0EEEZNS1_14transform_implILb0ES3_S5_PiN6thrust23THRUST_200600_302600_NS6detail15normal_iteratorINS9_10device_ptrIiEEEENS0_8identityIiEEEE10hipError_tT2_T3_mT4_P12ihipStream_tbEUlT_E_NS1_11comp_targetILNS1_3genE5ELNS1_11target_archE942ELNS1_3gpuE9ELNS1_3repE0EEENS1_30default_config_static_selectorELNS0_4arch9wavefront6targetE1EEEvT1_.numbered_sgpr, 0
	.set _ZN7rocprim17ROCPRIM_400000_NS6detail17trampoline_kernelINS0_14default_configENS1_25transform_config_selectorIiLb0EEEZNS1_14transform_implILb0ES3_S5_PiN6thrust23THRUST_200600_302600_NS6detail15normal_iteratorINS9_10device_ptrIiEEEENS0_8identityIiEEEE10hipError_tT2_T3_mT4_P12ihipStream_tbEUlT_E_NS1_11comp_targetILNS1_3genE5ELNS1_11target_archE942ELNS1_3gpuE9ELNS1_3repE0EEENS1_30default_config_static_selectorELNS0_4arch9wavefront6targetE1EEEvT1_.num_named_barrier, 0
	.set _ZN7rocprim17ROCPRIM_400000_NS6detail17trampoline_kernelINS0_14default_configENS1_25transform_config_selectorIiLb0EEEZNS1_14transform_implILb0ES3_S5_PiN6thrust23THRUST_200600_302600_NS6detail15normal_iteratorINS9_10device_ptrIiEEEENS0_8identityIiEEEE10hipError_tT2_T3_mT4_P12ihipStream_tbEUlT_E_NS1_11comp_targetILNS1_3genE5ELNS1_11target_archE942ELNS1_3gpuE9ELNS1_3repE0EEENS1_30default_config_static_selectorELNS0_4arch9wavefront6targetE1EEEvT1_.private_seg_size, 0
	.set _ZN7rocprim17ROCPRIM_400000_NS6detail17trampoline_kernelINS0_14default_configENS1_25transform_config_selectorIiLb0EEEZNS1_14transform_implILb0ES3_S5_PiN6thrust23THRUST_200600_302600_NS6detail15normal_iteratorINS9_10device_ptrIiEEEENS0_8identityIiEEEE10hipError_tT2_T3_mT4_P12ihipStream_tbEUlT_E_NS1_11comp_targetILNS1_3genE5ELNS1_11target_archE942ELNS1_3gpuE9ELNS1_3repE0EEENS1_30default_config_static_selectorELNS0_4arch9wavefront6targetE1EEEvT1_.uses_vcc, 0
	.set _ZN7rocprim17ROCPRIM_400000_NS6detail17trampoline_kernelINS0_14default_configENS1_25transform_config_selectorIiLb0EEEZNS1_14transform_implILb0ES3_S5_PiN6thrust23THRUST_200600_302600_NS6detail15normal_iteratorINS9_10device_ptrIiEEEENS0_8identityIiEEEE10hipError_tT2_T3_mT4_P12ihipStream_tbEUlT_E_NS1_11comp_targetILNS1_3genE5ELNS1_11target_archE942ELNS1_3gpuE9ELNS1_3repE0EEENS1_30default_config_static_selectorELNS0_4arch9wavefront6targetE1EEEvT1_.uses_flat_scratch, 0
	.set _ZN7rocprim17ROCPRIM_400000_NS6detail17trampoline_kernelINS0_14default_configENS1_25transform_config_selectorIiLb0EEEZNS1_14transform_implILb0ES3_S5_PiN6thrust23THRUST_200600_302600_NS6detail15normal_iteratorINS9_10device_ptrIiEEEENS0_8identityIiEEEE10hipError_tT2_T3_mT4_P12ihipStream_tbEUlT_E_NS1_11comp_targetILNS1_3genE5ELNS1_11target_archE942ELNS1_3gpuE9ELNS1_3repE0EEENS1_30default_config_static_selectorELNS0_4arch9wavefront6targetE1EEEvT1_.has_dyn_sized_stack, 0
	.set _ZN7rocprim17ROCPRIM_400000_NS6detail17trampoline_kernelINS0_14default_configENS1_25transform_config_selectorIiLb0EEEZNS1_14transform_implILb0ES3_S5_PiN6thrust23THRUST_200600_302600_NS6detail15normal_iteratorINS9_10device_ptrIiEEEENS0_8identityIiEEEE10hipError_tT2_T3_mT4_P12ihipStream_tbEUlT_E_NS1_11comp_targetILNS1_3genE5ELNS1_11target_archE942ELNS1_3gpuE9ELNS1_3repE0EEENS1_30default_config_static_selectorELNS0_4arch9wavefront6targetE1EEEvT1_.has_recursion, 0
	.set _ZN7rocprim17ROCPRIM_400000_NS6detail17trampoline_kernelINS0_14default_configENS1_25transform_config_selectorIiLb0EEEZNS1_14transform_implILb0ES3_S5_PiN6thrust23THRUST_200600_302600_NS6detail15normal_iteratorINS9_10device_ptrIiEEEENS0_8identityIiEEEE10hipError_tT2_T3_mT4_P12ihipStream_tbEUlT_E_NS1_11comp_targetILNS1_3genE5ELNS1_11target_archE942ELNS1_3gpuE9ELNS1_3repE0EEENS1_30default_config_static_selectorELNS0_4arch9wavefront6targetE1EEEvT1_.has_indirect_call, 0
	.section	.AMDGPU.csdata,"",@progbits
; Kernel info:
; codeLenInByte = 0
; TotalNumSgprs: 6
; NumVgprs: 0
; NumAgprs: 0
; TotalNumVgprs: 0
; ScratchSize: 0
; MemoryBound: 0
; FloatMode: 240
; IeeeMode: 1
; LDSByteSize: 0 bytes/workgroup (compile time only)
; SGPRBlocks: 0
; VGPRBlocks: 0
; NumSGPRsForWavesPerEU: 6
; NumVGPRsForWavesPerEU: 1
; AccumOffset: 4
; Occupancy: 8
; WaveLimiterHint : 0
; COMPUTE_PGM_RSRC2:SCRATCH_EN: 0
; COMPUTE_PGM_RSRC2:USER_SGPR: 2
; COMPUTE_PGM_RSRC2:TRAP_HANDLER: 0
; COMPUTE_PGM_RSRC2:TGID_X_EN: 1
; COMPUTE_PGM_RSRC2:TGID_Y_EN: 0
; COMPUTE_PGM_RSRC2:TGID_Z_EN: 0
; COMPUTE_PGM_RSRC2:TIDIG_COMP_CNT: 0
; COMPUTE_PGM_RSRC3_GFX90A:ACCUM_OFFSET: 0
; COMPUTE_PGM_RSRC3_GFX90A:TG_SPLIT: 0
	.section	.text._ZN7rocprim17ROCPRIM_400000_NS6detail17trampoline_kernelINS0_14default_configENS1_25transform_config_selectorIiLb0EEEZNS1_14transform_implILb0ES3_S5_PiN6thrust23THRUST_200600_302600_NS6detail15normal_iteratorINS9_10device_ptrIiEEEENS0_8identityIiEEEE10hipError_tT2_T3_mT4_P12ihipStream_tbEUlT_E_NS1_11comp_targetILNS1_3genE4ELNS1_11target_archE910ELNS1_3gpuE8ELNS1_3repE0EEENS1_30default_config_static_selectorELNS0_4arch9wavefront6targetE1EEEvT1_,"axG",@progbits,_ZN7rocprim17ROCPRIM_400000_NS6detail17trampoline_kernelINS0_14default_configENS1_25transform_config_selectorIiLb0EEEZNS1_14transform_implILb0ES3_S5_PiN6thrust23THRUST_200600_302600_NS6detail15normal_iteratorINS9_10device_ptrIiEEEENS0_8identityIiEEEE10hipError_tT2_T3_mT4_P12ihipStream_tbEUlT_E_NS1_11comp_targetILNS1_3genE4ELNS1_11target_archE910ELNS1_3gpuE8ELNS1_3repE0EEENS1_30default_config_static_selectorELNS0_4arch9wavefront6targetE1EEEvT1_,comdat
	.protected	_ZN7rocprim17ROCPRIM_400000_NS6detail17trampoline_kernelINS0_14default_configENS1_25transform_config_selectorIiLb0EEEZNS1_14transform_implILb0ES3_S5_PiN6thrust23THRUST_200600_302600_NS6detail15normal_iteratorINS9_10device_ptrIiEEEENS0_8identityIiEEEE10hipError_tT2_T3_mT4_P12ihipStream_tbEUlT_E_NS1_11comp_targetILNS1_3genE4ELNS1_11target_archE910ELNS1_3gpuE8ELNS1_3repE0EEENS1_30default_config_static_selectorELNS0_4arch9wavefront6targetE1EEEvT1_ ; -- Begin function _ZN7rocprim17ROCPRIM_400000_NS6detail17trampoline_kernelINS0_14default_configENS1_25transform_config_selectorIiLb0EEEZNS1_14transform_implILb0ES3_S5_PiN6thrust23THRUST_200600_302600_NS6detail15normal_iteratorINS9_10device_ptrIiEEEENS0_8identityIiEEEE10hipError_tT2_T3_mT4_P12ihipStream_tbEUlT_E_NS1_11comp_targetILNS1_3genE4ELNS1_11target_archE910ELNS1_3gpuE8ELNS1_3repE0EEENS1_30default_config_static_selectorELNS0_4arch9wavefront6targetE1EEEvT1_
	.globl	_ZN7rocprim17ROCPRIM_400000_NS6detail17trampoline_kernelINS0_14default_configENS1_25transform_config_selectorIiLb0EEEZNS1_14transform_implILb0ES3_S5_PiN6thrust23THRUST_200600_302600_NS6detail15normal_iteratorINS9_10device_ptrIiEEEENS0_8identityIiEEEE10hipError_tT2_T3_mT4_P12ihipStream_tbEUlT_E_NS1_11comp_targetILNS1_3genE4ELNS1_11target_archE910ELNS1_3gpuE8ELNS1_3repE0EEENS1_30default_config_static_selectorELNS0_4arch9wavefront6targetE1EEEvT1_
	.p2align	8
	.type	_ZN7rocprim17ROCPRIM_400000_NS6detail17trampoline_kernelINS0_14default_configENS1_25transform_config_selectorIiLb0EEEZNS1_14transform_implILb0ES3_S5_PiN6thrust23THRUST_200600_302600_NS6detail15normal_iteratorINS9_10device_ptrIiEEEENS0_8identityIiEEEE10hipError_tT2_T3_mT4_P12ihipStream_tbEUlT_E_NS1_11comp_targetILNS1_3genE4ELNS1_11target_archE910ELNS1_3gpuE8ELNS1_3repE0EEENS1_30default_config_static_selectorELNS0_4arch9wavefront6targetE1EEEvT1_,@function
_ZN7rocprim17ROCPRIM_400000_NS6detail17trampoline_kernelINS0_14default_configENS1_25transform_config_selectorIiLb0EEEZNS1_14transform_implILb0ES3_S5_PiN6thrust23THRUST_200600_302600_NS6detail15normal_iteratorINS9_10device_ptrIiEEEENS0_8identityIiEEEE10hipError_tT2_T3_mT4_P12ihipStream_tbEUlT_E_NS1_11comp_targetILNS1_3genE4ELNS1_11target_archE910ELNS1_3gpuE8ELNS1_3repE0EEENS1_30default_config_static_selectorELNS0_4arch9wavefront6targetE1EEEvT1_: ; @_ZN7rocprim17ROCPRIM_400000_NS6detail17trampoline_kernelINS0_14default_configENS1_25transform_config_selectorIiLb0EEEZNS1_14transform_implILb0ES3_S5_PiN6thrust23THRUST_200600_302600_NS6detail15normal_iteratorINS9_10device_ptrIiEEEENS0_8identityIiEEEE10hipError_tT2_T3_mT4_P12ihipStream_tbEUlT_E_NS1_11comp_targetILNS1_3genE4ELNS1_11target_archE910ELNS1_3gpuE8ELNS1_3repE0EEENS1_30default_config_static_selectorELNS0_4arch9wavefront6targetE1EEEvT1_
; %bb.0:
	.section	.rodata,"a",@progbits
	.p2align	6, 0x0
	.amdhsa_kernel _ZN7rocprim17ROCPRIM_400000_NS6detail17trampoline_kernelINS0_14default_configENS1_25transform_config_selectorIiLb0EEEZNS1_14transform_implILb0ES3_S5_PiN6thrust23THRUST_200600_302600_NS6detail15normal_iteratorINS9_10device_ptrIiEEEENS0_8identityIiEEEE10hipError_tT2_T3_mT4_P12ihipStream_tbEUlT_E_NS1_11comp_targetILNS1_3genE4ELNS1_11target_archE910ELNS1_3gpuE8ELNS1_3repE0EEENS1_30default_config_static_selectorELNS0_4arch9wavefront6targetE1EEEvT1_
		.amdhsa_group_segment_fixed_size 0
		.amdhsa_private_segment_fixed_size 0
		.amdhsa_kernarg_size 40
		.amdhsa_user_sgpr_count 2
		.amdhsa_user_sgpr_dispatch_ptr 0
		.amdhsa_user_sgpr_queue_ptr 0
		.amdhsa_user_sgpr_kernarg_segment_ptr 1
		.amdhsa_user_sgpr_dispatch_id 0
		.amdhsa_user_sgpr_kernarg_preload_length 0
		.amdhsa_user_sgpr_kernarg_preload_offset 0
		.amdhsa_user_sgpr_private_segment_size 0
		.amdhsa_uses_dynamic_stack 0
		.amdhsa_enable_private_segment 0
		.amdhsa_system_sgpr_workgroup_id_x 1
		.amdhsa_system_sgpr_workgroup_id_y 0
		.amdhsa_system_sgpr_workgroup_id_z 0
		.amdhsa_system_sgpr_workgroup_info 0
		.amdhsa_system_vgpr_workitem_id 0
		.amdhsa_next_free_vgpr 1
		.amdhsa_next_free_sgpr 0
		.amdhsa_accum_offset 4
		.amdhsa_reserve_vcc 0
		.amdhsa_float_round_mode_32 0
		.amdhsa_float_round_mode_16_64 0
		.amdhsa_float_denorm_mode_32 3
		.amdhsa_float_denorm_mode_16_64 3
		.amdhsa_dx10_clamp 1
		.amdhsa_ieee_mode 1
		.amdhsa_fp16_overflow 0
		.amdhsa_tg_split 0
		.amdhsa_exception_fp_ieee_invalid_op 0
		.amdhsa_exception_fp_denorm_src 0
		.amdhsa_exception_fp_ieee_div_zero 0
		.amdhsa_exception_fp_ieee_overflow 0
		.amdhsa_exception_fp_ieee_underflow 0
		.amdhsa_exception_fp_ieee_inexact 0
		.amdhsa_exception_int_div_zero 0
	.end_amdhsa_kernel
	.section	.text._ZN7rocprim17ROCPRIM_400000_NS6detail17trampoline_kernelINS0_14default_configENS1_25transform_config_selectorIiLb0EEEZNS1_14transform_implILb0ES3_S5_PiN6thrust23THRUST_200600_302600_NS6detail15normal_iteratorINS9_10device_ptrIiEEEENS0_8identityIiEEEE10hipError_tT2_T3_mT4_P12ihipStream_tbEUlT_E_NS1_11comp_targetILNS1_3genE4ELNS1_11target_archE910ELNS1_3gpuE8ELNS1_3repE0EEENS1_30default_config_static_selectorELNS0_4arch9wavefront6targetE1EEEvT1_,"axG",@progbits,_ZN7rocprim17ROCPRIM_400000_NS6detail17trampoline_kernelINS0_14default_configENS1_25transform_config_selectorIiLb0EEEZNS1_14transform_implILb0ES3_S5_PiN6thrust23THRUST_200600_302600_NS6detail15normal_iteratorINS9_10device_ptrIiEEEENS0_8identityIiEEEE10hipError_tT2_T3_mT4_P12ihipStream_tbEUlT_E_NS1_11comp_targetILNS1_3genE4ELNS1_11target_archE910ELNS1_3gpuE8ELNS1_3repE0EEENS1_30default_config_static_selectorELNS0_4arch9wavefront6targetE1EEEvT1_,comdat
.Lfunc_end69:
	.size	_ZN7rocprim17ROCPRIM_400000_NS6detail17trampoline_kernelINS0_14default_configENS1_25transform_config_selectorIiLb0EEEZNS1_14transform_implILb0ES3_S5_PiN6thrust23THRUST_200600_302600_NS6detail15normal_iteratorINS9_10device_ptrIiEEEENS0_8identityIiEEEE10hipError_tT2_T3_mT4_P12ihipStream_tbEUlT_E_NS1_11comp_targetILNS1_3genE4ELNS1_11target_archE910ELNS1_3gpuE8ELNS1_3repE0EEENS1_30default_config_static_selectorELNS0_4arch9wavefront6targetE1EEEvT1_, .Lfunc_end69-_ZN7rocprim17ROCPRIM_400000_NS6detail17trampoline_kernelINS0_14default_configENS1_25transform_config_selectorIiLb0EEEZNS1_14transform_implILb0ES3_S5_PiN6thrust23THRUST_200600_302600_NS6detail15normal_iteratorINS9_10device_ptrIiEEEENS0_8identityIiEEEE10hipError_tT2_T3_mT4_P12ihipStream_tbEUlT_E_NS1_11comp_targetILNS1_3genE4ELNS1_11target_archE910ELNS1_3gpuE8ELNS1_3repE0EEENS1_30default_config_static_selectorELNS0_4arch9wavefront6targetE1EEEvT1_
                                        ; -- End function
	.set _ZN7rocprim17ROCPRIM_400000_NS6detail17trampoline_kernelINS0_14default_configENS1_25transform_config_selectorIiLb0EEEZNS1_14transform_implILb0ES3_S5_PiN6thrust23THRUST_200600_302600_NS6detail15normal_iteratorINS9_10device_ptrIiEEEENS0_8identityIiEEEE10hipError_tT2_T3_mT4_P12ihipStream_tbEUlT_E_NS1_11comp_targetILNS1_3genE4ELNS1_11target_archE910ELNS1_3gpuE8ELNS1_3repE0EEENS1_30default_config_static_selectorELNS0_4arch9wavefront6targetE1EEEvT1_.num_vgpr, 0
	.set _ZN7rocprim17ROCPRIM_400000_NS6detail17trampoline_kernelINS0_14default_configENS1_25transform_config_selectorIiLb0EEEZNS1_14transform_implILb0ES3_S5_PiN6thrust23THRUST_200600_302600_NS6detail15normal_iteratorINS9_10device_ptrIiEEEENS0_8identityIiEEEE10hipError_tT2_T3_mT4_P12ihipStream_tbEUlT_E_NS1_11comp_targetILNS1_3genE4ELNS1_11target_archE910ELNS1_3gpuE8ELNS1_3repE0EEENS1_30default_config_static_selectorELNS0_4arch9wavefront6targetE1EEEvT1_.num_agpr, 0
	.set _ZN7rocprim17ROCPRIM_400000_NS6detail17trampoline_kernelINS0_14default_configENS1_25transform_config_selectorIiLb0EEEZNS1_14transform_implILb0ES3_S5_PiN6thrust23THRUST_200600_302600_NS6detail15normal_iteratorINS9_10device_ptrIiEEEENS0_8identityIiEEEE10hipError_tT2_T3_mT4_P12ihipStream_tbEUlT_E_NS1_11comp_targetILNS1_3genE4ELNS1_11target_archE910ELNS1_3gpuE8ELNS1_3repE0EEENS1_30default_config_static_selectorELNS0_4arch9wavefront6targetE1EEEvT1_.numbered_sgpr, 0
	.set _ZN7rocprim17ROCPRIM_400000_NS6detail17trampoline_kernelINS0_14default_configENS1_25transform_config_selectorIiLb0EEEZNS1_14transform_implILb0ES3_S5_PiN6thrust23THRUST_200600_302600_NS6detail15normal_iteratorINS9_10device_ptrIiEEEENS0_8identityIiEEEE10hipError_tT2_T3_mT4_P12ihipStream_tbEUlT_E_NS1_11comp_targetILNS1_3genE4ELNS1_11target_archE910ELNS1_3gpuE8ELNS1_3repE0EEENS1_30default_config_static_selectorELNS0_4arch9wavefront6targetE1EEEvT1_.num_named_barrier, 0
	.set _ZN7rocprim17ROCPRIM_400000_NS6detail17trampoline_kernelINS0_14default_configENS1_25transform_config_selectorIiLb0EEEZNS1_14transform_implILb0ES3_S5_PiN6thrust23THRUST_200600_302600_NS6detail15normal_iteratorINS9_10device_ptrIiEEEENS0_8identityIiEEEE10hipError_tT2_T3_mT4_P12ihipStream_tbEUlT_E_NS1_11comp_targetILNS1_3genE4ELNS1_11target_archE910ELNS1_3gpuE8ELNS1_3repE0EEENS1_30default_config_static_selectorELNS0_4arch9wavefront6targetE1EEEvT1_.private_seg_size, 0
	.set _ZN7rocprim17ROCPRIM_400000_NS6detail17trampoline_kernelINS0_14default_configENS1_25transform_config_selectorIiLb0EEEZNS1_14transform_implILb0ES3_S5_PiN6thrust23THRUST_200600_302600_NS6detail15normal_iteratorINS9_10device_ptrIiEEEENS0_8identityIiEEEE10hipError_tT2_T3_mT4_P12ihipStream_tbEUlT_E_NS1_11comp_targetILNS1_3genE4ELNS1_11target_archE910ELNS1_3gpuE8ELNS1_3repE0EEENS1_30default_config_static_selectorELNS0_4arch9wavefront6targetE1EEEvT1_.uses_vcc, 0
	.set _ZN7rocprim17ROCPRIM_400000_NS6detail17trampoline_kernelINS0_14default_configENS1_25transform_config_selectorIiLb0EEEZNS1_14transform_implILb0ES3_S5_PiN6thrust23THRUST_200600_302600_NS6detail15normal_iteratorINS9_10device_ptrIiEEEENS0_8identityIiEEEE10hipError_tT2_T3_mT4_P12ihipStream_tbEUlT_E_NS1_11comp_targetILNS1_3genE4ELNS1_11target_archE910ELNS1_3gpuE8ELNS1_3repE0EEENS1_30default_config_static_selectorELNS0_4arch9wavefront6targetE1EEEvT1_.uses_flat_scratch, 0
	.set _ZN7rocprim17ROCPRIM_400000_NS6detail17trampoline_kernelINS0_14default_configENS1_25transform_config_selectorIiLb0EEEZNS1_14transform_implILb0ES3_S5_PiN6thrust23THRUST_200600_302600_NS6detail15normal_iteratorINS9_10device_ptrIiEEEENS0_8identityIiEEEE10hipError_tT2_T3_mT4_P12ihipStream_tbEUlT_E_NS1_11comp_targetILNS1_3genE4ELNS1_11target_archE910ELNS1_3gpuE8ELNS1_3repE0EEENS1_30default_config_static_selectorELNS0_4arch9wavefront6targetE1EEEvT1_.has_dyn_sized_stack, 0
	.set _ZN7rocprim17ROCPRIM_400000_NS6detail17trampoline_kernelINS0_14default_configENS1_25transform_config_selectorIiLb0EEEZNS1_14transform_implILb0ES3_S5_PiN6thrust23THRUST_200600_302600_NS6detail15normal_iteratorINS9_10device_ptrIiEEEENS0_8identityIiEEEE10hipError_tT2_T3_mT4_P12ihipStream_tbEUlT_E_NS1_11comp_targetILNS1_3genE4ELNS1_11target_archE910ELNS1_3gpuE8ELNS1_3repE0EEENS1_30default_config_static_selectorELNS0_4arch9wavefront6targetE1EEEvT1_.has_recursion, 0
	.set _ZN7rocprim17ROCPRIM_400000_NS6detail17trampoline_kernelINS0_14default_configENS1_25transform_config_selectorIiLb0EEEZNS1_14transform_implILb0ES3_S5_PiN6thrust23THRUST_200600_302600_NS6detail15normal_iteratorINS9_10device_ptrIiEEEENS0_8identityIiEEEE10hipError_tT2_T3_mT4_P12ihipStream_tbEUlT_E_NS1_11comp_targetILNS1_3genE4ELNS1_11target_archE910ELNS1_3gpuE8ELNS1_3repE0EEENS1_30default_config_static_selectorELNS0_4arch9wavefront6targetE1EEEvT1_.has_indirect_call, 0
	.section	.AMDGPU.csdata,"",@progbits
; Kernel info:
; codeLenInByte = 0
; TotalNumSgprs: 6
; NumVgprs: 0
; NumAgprs: 0
; TotalNumVgprs: 0
; ScratchSize: 0
; MemoryBound: 0
; FloatMode: 240
; IeeeMode: 1
; LDSByteSize: 0 bytes/workgroup (compile time only)
; SGPRBlocks: 0
; VGPRBlocks: 0
; NumSGPRsForWavesPerEU: 6
; NumVGPRsForWavesPerEU: 1
; AccumOffset: 4
; Occupancy: 8
; WaveLimiterHint : 0
; COMPUTE_PGM_RSRC2:SCRATCH_EN: 0
; COMPUTE_PGM_RSRC2:USER_SGPR: 2
; COMPUTE_PGM_RSRC2:TRAP_HANDLER: 0
; COMPUTE_PGM_RSRC2:TGID_X_EN: 1
; COMPUTE_PGM_RSRC2:TGID_Y_EN: 0
; COMPUTE_PGM_RSRC2:TGID_Z_EN: 0
; COMPUTE_PGM_RSRC2:TIDIG_COMP_CNT: 0
; COMPUTE_PGM_RSRC3_GFX90A:ACCUM_OFFSET: 0
; COMPUTE_PGM_RSRC3_GFX90A:TG_SPLIT: 0
	.section	.text._ZN7rocprim17ROCPRIM_400000_NS6detail17trampoline_kernelINS0_14default_configENS1_25transform_config_selectorIiLb0EEEZNS1_14transform_implILb0ES3_S5_PiN6thrust23THRUST_200600_302600_NS6detail15normal_iteratorINS9_10device_ptrIiEEEENS0_8identityIiEEEE10hipError_tT2_T3_mT4_P12ihipStream_tbEUlT_E_NS1_11comp_targetILNS1_3genE3ELNS1_11target_archE908ELNS1_3gpuE7ELNS1_3repE0EEENS1_30default_config_static_selectorELNS0_4arch9wavefront6targetE1EEEvT1_,"axG",@progbits,_ZN7rocprim17ROCPRIM_400000_NS6detail17trampoline_kernelINS0_14default_configENS1_25transform_config_selectorIiLb0EEEZNS1_14transform_implILb0ES3_S5_PiN6thrust23THRUST_200600_302600_NS6detail15normal_iteratorINS9_10device_ptrIiEEEENS0_8identityIiEEEE10hipError_tT2_T3_mT4_P12ihipStream_tbEUlT_E_NS1_11comp_targetILNS1_3genE3ELNS1_11target_archE908ELNS1_3gpuE7ELNS1_3repE0EEENS1_30default_config_static_selectorELNS0_4arch9wavefront6targetE1EEEvT1_,comdat
	.protected	_ZN7rocprim17ROCPRIM_400000_NS6detail17trampoline_kernelINS0_14default_configENS1_25transform_config_selectorIiLb0EEEZNS1_14transform_implILb0ES3_S5_PiN6thrust23THRUST_200600_302600_NS6detail15normal_iteratorINS9_10device_ptrIiEEEENS0_8identityIiEEEE10hipError_tT2_T3_mT4_P12ihipStream_tbEUlT_E_NS1_11comp_targetILNS1_3genE3ELNS1_11target_archE908ELNS1_3gpuE7ELNS1_3repE0EEENS1_30default_config_static_selectorELNS0_4arch9wavefront6targetE1EEEvT1_ ; -- Begin function _ZN7rocprim17ROCPRIM_400000_NS6detail17trampoline_kernelINS0_14default_configENS1_25transform_config_selectorIiLb0EEEZNS1_14transform_implILb0ES3_S5_PiN6thrust23THRUST_200600_302600_NS6detail15normal_iteratorINS9_10device_ptrIiEEEENS0_8identityIiEEEE10hipError_tT2_T3_mT4_P12ihipStream_tbEUlT_E_NS1_11comp_targetILNS1_3genE3ELNS1_11target_archE908ELNS1_3gpuE7ELNS1_3repE0EEENS1_30default_config_static_selectorELNS0_4arch9wavefront6targetE1EEEvT1_
	.globl	_ZN7rocprim17ROCPRIM_400000_NS6detail17trampoline_kernelINS0_14default_configENS1_25transform_config_selectorIiLb0EEEZNS1_14transform_implILb0ES3_S5_PiN6thrust23THRUST_200600_302600_NS6detail15normal_iteratorINS9_10device_ptrIiEEEENS0_8identityIiEEEE10hipError_tT2_T3_mT4_P12ihipStream_tbEUlT_E_NS1_11comp_targetILNS1_3genE3ELNS1_11target_archE908ELNS1_3gpuE7ELNS1_3repE0EEENS1_30default_config_static_selectorELNS0_4arch9wavefront6targetE1EEEvT1_
	.p2align	8
	.type	_ZN7rocprim17ROCPRIM_400000_NS6detail17trampoline_kernelINS0_14default_configENS1_25transform_config_selectorIiLb0EEEZNS1_14transform_implILb0ES3_S5_PiN6thrust23THRUST_200600_302600_NS6detail15normal_iteratorINS9_10device_ptrIiEEEENS0_8identityIiEEEE10hipError_tT2_T3_mT4_P12ihipStream_tbEUlT_E_NS1_11comp_targetILNS1_3genE3ELNS1_11target_archE908ELNS1_3gpuE7ELNS1_3repE0EEENS1_30default_config_static_selectorELNS0_4arch9wavefront6targetE1EEEvT1_,@function
_ZN7rocprim17ROCPRIM_400000_NS6detail17trampoline_kernelINS0_14default_configENS1_25transform_config_selectorIiLb0EEEZNS1_14transform_implILb0ES3_S5_PiN6thrust23THRUST_200600_302600_NS6detail15normal_iteratorINS9_10device_ptrIiEEEENS0_8identityIiEEEE10hipError_tT2_T3_mT4_P12ihipStream_tbEUlT_E_NS1_11comp_targetILNS1_3genE3ELNS1_11target_archE908ELNS1_3gpuE7ELNS1_3repE0EEENS1_30default_config_static_selectorELNS0_4arch9wavefront6targetE1EEEvT1_: ; @_ZN7rocprim17ROCPRIM_400000_NS6detail17trampoline_kernelINS0_14default_configENS1_25transform_config_selectorIiLb0EEEZNS1_14transform_implILb0ES3_S5_PiN6thrust23THRUST_200600_302600_NS6detail15normal_iteratorINS9_10device_ptrIiEEEENS0_8identityIiEEEE10hipError_tT2_T3_mT4_P12ihipStream_tbEUlT_E_NS1_11comp_targetILNS1_3genE3ELNS1_11target_archE908ELNS1_3gpuE7ELNS1_3repE0EEENS1_30default_config_static_selectorELNS0_4arch9wavefront6targetE1EEEvT1_
; %bb.0:
	.section	.rodata,"a",@progbits
	.p2align	6, 0x0
	.amdhsa_kernel _ZN7rocprim17ROCPRIM_400000_NS6detail17trampoline_kernelINS0_14default_configENS1_25transform_config_selectorIiLb0EEEZNS1_14transform_implILb0ES3_S5_PiN6thrust23THRUST_200600_302600_NS6detail15normal_iteratorINS9_10device_ptrIiEEEENS0_8identityIiEEEE10hipError_tT2_T3_mT4_P12ihipStream_tbEUlT_E_NS1_11comp_targetILNS1_3genE3ELNS1_11target_archE908ELNS1_3gpuE7ELNS1_3repE0EEENS1_30default_config_static_selectorELNS0_4arch9wavefront6targetE1EEEvT1_
		.amdhsa_group_segment_fixed_size 0
		.amdhsa_private_segment_fixed_size 0
		.amdhsa_kernarg_size 40
		.amdhsa_user_sgpr_count 2
		.amdhsa_user_sgpr_dispatch_ptr 0
		.amdhsa_user_sgpr_queue_ptr 0
		.amdhsa_user_sgpr_kernarg_segment_ptr 1
		.amdhsa_user_sgpr_dispatch_id 0
		.amdhsa_user_sgpr_kernarg_preload_length 0
		.amdhsa_user_sgpr_kernarg_preload_offset 0
		.amdhsa_user_sgpr_private_segment_size 0
		.amdhsa_uses_dynamic_stack 0
		.amdhsa_enable_private_segment 0
		.amdhsa_system_sgpr_workgroup_id_x 1
		.amdhsa_system_sgpr_workgroup_id_y 0
		.amdhsa_system_sgpr_workgroup_id_z 0
		.amdhsa_system_sgpr_workgroup_info 0
		.amdhsa_system_vgpr_workitem_id 0
		.amdhsa_next_free_vgpr 1
		.amdhsa_next_free_sgpr 0
		.amdhsa_accum_offset 4
		.amdhsa_reserve_vcc 0
		.amdhsa_float_round_mode_32 0
		.amdhsa_float_round_mode_16_64 0
		.amdhsa_float_denorm_mode_32 3
		.amdhsa_float_denorm_mode_16_64 3
		.amdhsa_dx10_clamp 1
		.amdhsa_ieee_mode 1
		.amdhsa_fp16_overflow 0
		.amdhsa_tg_split 0
		.amdhsa_exception_fp_ieee_invalid_op 0
		.amdhsa_exception_fp_denorm_src 0
		.amdhsa_exception_fp_ieee_div_zero 0
		.amdhsa_exception_fp_ieee_overflow 0
		.amdhsa_exception_fp_ieee_underflow 0
		.amdhsa_exception_fp_ieee_inexact 0
		.amdhsa_exception_int_div_zero 0
	.end_amdhsa_kernel
	.section	.text._ZN7rocprim17ROCPRIM_400000_NS6detail17trampoline_kernelINS0_14default_configENS1_25transform_config_selectorIiLb0EEEZNS1_14transform_implILb0ES3_S5_PiN6thrust23THRUST_200600_302600_NS6detail15normal_iteratorINS9_10device_ptrIiEEEENS0_8identityIiEEEE10hipError_tT2_T3_mT4_P12ihipStream_tbEUlT_E_NS1_11comp_targetILNS1_3genE3ELNS1_11target_archE908ELNS1_3gpuE7ELNS1_3repE0EEENS1_30default_config_static_selectorELNS0_4arch9wavefront6targetE1EEEvT1_,"axG",@progbits,_ZN7rocprim17ROCPRIM_400000_NS6detail17trampoline_kernelINS0_14default_configENS1_25transform_config_selectorIiLb0EEEZNS1_14transform_implILb0ES3_S5_PiN6thrust23THRUST_200600_302600_NS6detail15normal_iteratorINS9_10device_ptrIiEEEENS0_8identityIiEEEE10hipError_tT2_T3_mT4_P12ihipStream_tbEUlT_E_NS1_11comp_targetILNS1_3genE3ELNS1_11target_archE908ELNS1_3gpuE7ELNS1_3repE0EEENS1_30default_config_static_selectorELNS0_4arch9wavefront6targetE1EEEvT1_,comdat
.Lfunc_end70:
	.size	_ZN7rocprim17ROCPRIM_400000_NS6detail17trampoline_kernelINS0_14default_configENS1_25transform_config_selectorIiLb0EEEZNS1_14transform_implILb0ES3_S5_PiN6thrust23THRUST_200600_302600_NS6detail15normal_iteratorINS9_10device_ptrIiEEEENS0_8identityIiEEEE10hipError_tT2_T3_mT4_P12ihipStream_tbEUlT_E_NS1_11comp_targetILNS1_3genE3ELNS1_11target_archE908ELNS1_3gpuE7ELNS1_3repE0EEENS1_30default_config_static_selectorELNS0_4arch9wavefront6targetE1EEEvT1_, .Lfunc_end70-_ZN7rocprim17ROCPRIM_400000_NS6detail17trampoline_kernelINS0_14default_configENS1_25transform_config_selectorIiLb0EEEZNS1_14transform_implILb0ES3_S5_PiN6thrust23THRUST_200600_302600_NS6detail15normal_iteratorINS9_10device_ptrIiEEEENS0_8identityIiEEEE10hipError_tT2_T3_mT4_P12ihipStream_tbEUlT_E_NS1_11comp_targetILNS1_3genE3ELNS1_11target_archE908ELNS1_3gpuE7ELNS1_3repE0EEENS1_30default_config_static_selectorELNS0_4arch9wavefront6targetE1EEEvT1_
                                        ; -- End function
	.set _ZN7rocprim17ROCPRIM_400000_NS6detail17trampoline_kernelINS0_14default_configENS1_25transform_config_selectorIiLb0EEEZNS1_14transform_implILb0ES3_S5_PiN6thrust23THRUST_200600_302600_NS6detail15normal_iteratorINS9_10device_ptrIiEEEENS0_8identityIiEEEE10hipError_tT2_T3_mT4_P12ihipStream_tbEUlT_E_NS1_11comp_targetILNS1_3genE3ELNS1_11target_archE908ELNS1_3gpuE7ELNS1_3repE0EEENS1_30default_config_static_selectorELNS0_4arch9wavefront6targetE1EEEvT1_.num_vgpr, 0
	.set _ZN7rocprim17ROCPRIM_400000_NS6detail17trampoline_kernelINS0_14default_configENS1_25transform_config_selectorIiLb0EEEZNS1_14transform_implILb0ES3_S5_PiN6thrust23THRUST_200600_302600_NS6detail15normal_iteratorINS9_10device_ptrIiEEEENS0_8identityIiEEEE10hipError_tT2_T3_mT4_P12ihipStream_tbEUlT_E_NS1_11comp_targetILNS1_3genE3ELNS1_11target_archE908ELNS1_3gpuE7ELNS1_3repE0EEENS1_30default_config_static_selectorELNS0_4arch9wavefront6targetE1EEEvT1_.num_agpr, 0
	.set _ZN7rocprim17ROCPRIM_400000_NS6detail17trampoline_kernelINS0_14default_configENS1_25transform_config_selectorIiLb0EEEZNS1_14transform_implILb0ES3_S5_PiN6thrust23THRUST_200600_302600_NS6detail15normal_iteratorINS9_10device_ptrIiEEEENS0_8identityIiEEEE10hipError_tT2_T3_mT4_P12ihipStream_tbEUlT_E_NS1_11comp_targetILNS1_3genE3ELNS1_11target_archE908ELNS1_3gpuE7ELNS1_3repE0EEENS1_30default_config_static_selectorELNS0_4arch9wavefront6targetE1EEEvT1_.numbered_sgpr, 0
	.set _ZN7rocprim17ROCPRIM_400000_NS6detail17trampoline_kernelINS0_14default_configENS1_25transform_config_selectorIiLb0EEEZNS1_14transform_implILb0ES3_S5_PiN6thrust23THRUST_200600_302600_NS6detail15normal_iteratorINS9_10device_ptrIiEEEENS0_8identityIiEEEE10hipError_tT2_T3_mT4_P12ihipStream_tbEUlT_E_NS1_11comp_targetILNS1_3genE3ELNS1_11target_archE908ELNS1_3gpuE7ELNS1_3repE0EEENS1_30default_config_static_selectorELNS0_4arch9wavefront6targetE1EEEvT1_.num_named_barrier, 0
	.set _ZN7rocprim17ROCPRIM_400000_NS6detail17trampoline_kernelINS0_14default_configENS1_25transform_config_selectorIiLb0EEEZNS1_14transform_implILb0ES3_S5_PiN6thrust23THRUST_200600_302600_NS6detail15normal_iteratorINS9_10device_ptrIiEEEENS0_8identityIiEEEE10hipError_tT2_T3_mT4_P12ihipStream_tbEUlT_E_NS1_11comp_targetILNS1_3genE3ELNS1_11target_archE908ELNS1_3gpuE7ELNS1_3repE0EEENS1_30default_config_static_selectorELNS0_4arch9wavefront6targetE1EEEvT1_.private_seg_size, 0
	.set _ZN7rocprim17ROCPRIM_400000_NS6detail17trampoline_kernelINS0_14default_configENS1_25transform_config_selectorIiLb0EEEZNS1_14transform_implILb0ES3_S5_PiN6thrust23THRUST_200600_302600_NS6detail15normal_iteratorINS9_10device_ptrIiEEEENS0_8identityIiEEEE10hipError_tT2_T3_mT4_P12ihipStream_tbEUlT_E_NS1_11comp_targetILNS1_3genE3ELNS1_11target_archE908ELNS1_3gpuE7ELNS1_3repE0EEENS1_30default_config_static_selectorELNS0_4arch9wavefront6targetE1EEEvT1_.uses_vcc, 0
	.set _ZN7rocprim17ROCPRIM_400000_NS6detail17trampoline_kernelINS0_14default_configENS1_25transform_config_selectorIiLb0EEEZNS1_14transform_implILb0ES3_S5_PiN6thrust23THRUST_200600_302600_NS6detail15normal_iteratorINS9_10device_ptrIiEEEENS0_8identityIiEEEE10hipError_tT2_T3_mT4_P12ihipStream_tbEUlT_E_NS1_11comp_targetILNS1_3genE3ELNS1_11target_archE908ELNS1_3gpuE7ELNS1_3repE0EEENS1_30default_config_static_selectorELNS0_4arch9wavefront6targetE1EEEvT1_.uses_flat_scratch, 0
	.set _ZN7rocprim17ROCPRIM_400000_NS6detail17trampoline_kernelINS0_14default_configENS1_25transform_config_selectorIiLb0EEEZNS1_14transform_implILb0ES3_S5_PiN6thrust23THRUST_200600_302600_NS6detail15normal_iteratorINS9_10device_ptrIiEEEENS0_8identityIiEEEE10hipError_tT2_T3_mT4_P12ihipStream_tbEUlT_E_NS1_11comp_targetILNS1_3genE3ELNS1_11target_archE908ELNS1_3gpuE7ELNS1_3repE0EEENS1_30default_config_static_selectorELNS0_4arch9wavefront6targetE1EEEvT1_.has_dyn_sized_stack, 0
	.set _ZN7rocprim17ROCPRIM_400000_NS6detail17trampoline_kernelINS0_14default_configENS1_25transform_config_selectorIiLb0EEEZNS1_14transform_implILb0ES3_S5_PiN6thrust23THRUST_200600_302600_NS6detail15normal_iteratorINS9_10device_ptrIiEEEENS0_8identityIiEEEE10hipError_tT2_T3_mT4_P12ihipStream_tbEUlT_E_NS1_11comp_targetILNS1_3genE3ELNS1_11target_archE908ELNS1_3gpuE7ELNS1_3repE0EEENS1_30default_config_static_selectorELNS0_4arch9wavefront6targetE1EEEvT1_.has_recursion, 0
	.set _ZN7rocprim17ROCPRIM_400000_NS6detail17trampoline_kernelINS0_14default_configENS1_25transform_config_selectorIiLb0EEEZNS1_14transform_implILb0ES3_S5_PiN6thrust23THRUST_200600_302600_NS6detail15normal_iteratorINS9_10device_ptrIiEEEENS0_8identityIiEEEE10hipError_tT2_T3_mT4_P12ihipStream_tbEUlT_E_NS1_11comp_targetILNS1_3genE3ELNS1_11target_archE908ELNS1_3gpuE7ELNS1_3repE0EEENS1_30default_config_static_selectorELNS0_4arch9wavefront6targetE1EEEvT1_.has_indirect_call, 0
	.section	.AMDGPU.csdata,"",@progbits
; Kernel info:
; codeLenInByte = 0
; TotalNumSgprs: 6
; NumVgprs: 0
; NumAgprs: 0
; TotalNumVgprs: 0
; ScratchSize: 0
; MemoryBound: 0
; FloatMode: 240
; IeeeMode: 1
; LDSByteSize: 0 bytes/workgroup (compile time only)
; SGPRBlocks: 0
; VGPRBlocks: 0
; NumSGPRsForWavesPerEU: 6
; NumVGPRsForWavesPerEU: 1
; AccumOffset: 4
; Occupancy: 8
; WaveLimiterHint : 0
; COMPUTE_PGM_RSRC2:SCRATCH_EN: 0
; COMPUTE_PGM_RSRC2:USER_SGPR: 2
; COMPUTE_PGM_RSRC2:TRAP_HANDLER: 0
; COMPUTE_PGM_RSRC2:TGID_X_EN: 1
; COMPUTE_PGM_RSRC2:TGID_Y_EN: 0
; COMPUTE_PGM_RSRC2:TGID_Z_EN: 0
; COMPUTE_PGM_RSRC2:TIDIG_COMP_CNT: 0
; COMPUTE_PGM_RSRC3_GFX90A:ACCUM_OFFSET: 0
; COMPUTE_PGM_RSRC3_GFX90A:TG_SPLIT: 0
	.section	.text._ZN7rocprim17ROCPRIM_400000_NS6detail17trampoline_kernelINS0_14default_configENS1_25transform_config_selectorIiLb0EEEZNS1_14transform_implILb0ES3_S5_PiN6thrust23THRUST_200600_302600_NS6detail15normal_iteratorINS9_10device_ptrIiEEEENS0_8identityIiEEEE10hipError_tT2_T3_mT4_P12ihipStream_tbEUlT_E_NS1_11comp_targetILNS1_3genE2ELNS1_11target_archE906ELNS1_3gpuE6ELNS1_3repE0EEENS1_30default_config_static_selectorELNS0_4arch9wavefront6targetE1EEEvT1_,"axG",@progbits,_ZN7rocprim17ROCPRIM_400000_NS6detail17trampoline_kernelINS0_14default_configENS1_25transform_config_selectorIiLb0EEEZNS1_14transform_implILb0ES3_S5_PiN6thrust23THRUST_200600_302600_NS6detail15normal_iteratorINS9_10device_ptrIiEEEENS0_8identityIiEEEE10hipError_tT2_T3_mT4_P12ihipStream_tbEUlT_E_NS1_11comp_targetILNS1_3genE2ELNS1_11target_archE906ELNS1_3gpuE6ELNS1_3repE0EEENS1_30default_config_static_selectorELNS0_4arch9wavefront6targetE1EEEvT1_,comdat
	.protected	_ZN7rocprim17ROCPRIM_400000_NS6detail17trampoline_kernelINS0_14default_configENS1_25transform_config_selectorIiLb0EEEZNS1_14transform_implILb0ES3_S5_PiN6thrust23THRUST_200600_302600_NS6detail15normal_iteratorINS9_10device_ptrIiEEEENS0_8identityIiEEEE10hipError_tT2_T3_mT4_P12ihipStream_tbEUlT_E_NS1_11comp_targetILNS1_3genE2ELNS1_11target_archE906ELNS1_3gpuE6ELNS1_3repE0EEENS1_30default_config_static_selectorELNS0_4arch9wavefront6targetE1EEEvT1_ ; -- Begin function _ZN7rocprim17ROCPRIM_400000_NS6detail17trampoline_kernelINS0_14default_configENS1_25transform_config_selectorIiLb0EEEZNS1_14transform_implILb0ES3_S5_PiN6thrust23THRUST_200600_302600_NS6detail15normal_iteratorINS9_10device_ptrIiEEEENS0_8identityIiEEEE10hipError_tT2_T3_mT4_P12ihipStream_tbEUlT_E_NS1_11comp_targetILNS1_3genE2ELNS1_11target_archE906ELNS1_3gpuE6ELNS1_3repE0EEENS1_30default_config_static_selectorELNS0_4arch9wavefront6targetE1EEEvT1_
	.globl	_ZN7rocprim17ROCPRIM_400000_NS6detail17trampoline_kernelINS0_14default_configENS1_25transform_config_selectorIiLb0EEEZNS1_14transform_implILb0ES3_S5_PiN6thrust23THRUST_200600_302600_NS6detail15normal_iteratorINS9_10device_ptrIiEEEENS0_8identityIiEEEE10hipError_tT2_T3_mT4_P12ihipStream_tbEUlT_E_NS1_11comp_targetILNS1_3genE2ELNS1_11target_archE906ELNS1_3gpuE6ELNS1_3repE0EEENS1_30default_config_static_selectorELNS0_4arch9wavefront6targetE1EEEvT1_
	.p2align	8
	.type	_ZN7rocprim17ROCPRIM_400000_NS6detail17trampoline_kernelINS0_14default_configENS1_25transform_config_selectorIiLb0EEEZNS1_14transform_implILb0ES3_S5_PiN6thrust23THRUST_200600_302600_NS6detail15normal_iteratorINS9_10device_ptrIiEEEENS0_8identityIiEEEE10hipError_tT2_T3_mT4_P12ihipStream_tbEUlT_E_NS1_11comp_targetILNS1_3genE2ELNS1_11target_archE906ELNS1_3gpuE6ELNS1_3repE0EEENS1_30default_config_static_selectorELNS0_4arch9wavefront6targetE1EEEvT1_,@function
_ZN7rocprim17ROCPRIM_400000_NS6detail17trampoline_kernelINS0_14default_configENS1_25transform_config_selectorIiLb0EEEZNS1_14transform_implILb0ES3_S5_PiN6thrust23THRUST_200600_302600_NS6detail15normal_iteratorINS9_10device_ptrIiEEEENS0_8identityIiEEEE10hipError_tT2_T3_mT4_P12ihipStream_tbEUlT_E_NS1_11comp_targetILNS1_3genE2ELNS1_11target_archE906ELNS1_3gpuE6ELNS1_3repE0EEENS1_30default_config_static_selectorELNS0_4arch9wavefront6targetE1EEEvT1_: ; @_ZN7rocprim17ROCPRIM_400000_NS6detail17trampoline_kernelINS0_14default_configENS1_25transform_config_selectorIiLb0EEEZNS1_14transform_implILb0ES3_S5_PiN6thrust23THRUST_200600_302600_NS6detail15normal_iteratorINS9_10device_ptrIiEEEENS0_8identityIiEEEE10hipError_tT2_T3_mT4_P12ihipStream_tbEUlT_E_NS1_11comp_targetILNS1_3genE2ELNS1_11target_archE906ELNS1_3gpuE6ELNS1_3repE0EEENS1_30default_config_static_selectorELNS0_4arch9wavefront6targetE1EEEvT1_
; %bb.0:
	.section	.rodata,"a",@progbits
	.p2align	6, 0x0
	.amdhsa_kernel _ZN7rocprim17ROCPRIM_400000_NS6detail17trampoline_kernelINS0_14default_configENS1_25transform_config_selectorIiLb0EEEZNS1_14transform_implILb0ES3_S5_PiN6thrust23THRUST_200600_302600_NS6detail15normal_iteratorINS9_10device_ptrIiEEEENS0_8identityIiEEEE10hipError_tT2_T3_mT4_P12ihipStream_tbEUlT_E_NS1_11comp_targetILNS1_3genE2ELNS1_11target_archE906ELNS1_3gpuE6ELNS1_3repE0EEENS1_30default_config_static_selectorELNS0_4arch9wavefront6targetE1EEEvT1_
		.amdhsa_group_segment_fixed_size 0
		.amdhsa_private_segment_fixed_size 0
		.amdhsa_kernarg_size 40
		.amdhsa_user_sgpr_count 2
		.amdhsa_user_sgpr_dispatch_ptr 0
		.amdhsa_user_sgpr_queue_ptr 0
		.amdhsa_user_sgpr_kernarg_segment_ptr 1
		.amdhsa_user_sgpr_dispatch_id 0
		.amdhsa_user_sgpr_kernarg_preload_length 0
		.amdhsa_user_sgpr_kernarg_preload_offset 0
		.amdhsa_user_sgpr_private_segment_size 0
		.amdhsa_uses_dynamic_stack 0
		.amdhsa_enable_private_segment 0
		.amdhsa_system_sgpr_workgroup_id_x 1
		.amdhsa_system_sgpr_workgroup_id_y 0
		.amdhsa_system_sgpr_workgroup_id_z 0
		.amdhsa_system_sgpr_workgroup_info 0
		.amdhsa_system_vgpr_workitem_id 0
		.amdhsa_next_free_vgpr 1
		.amdhsa_next_free_sgpr 0
		.amdhsa_accum_offset 4
		.amdhsa_reserve_vcc 0
		.amdhsa_float_round_mode_32 0
		.amdhsa_float_round_mode_16_64 0
		.amdhsa_float_denorm_mode_32 3
		.amdhsa_float_denorm_mode_16_64 3
		.amdhsa_dx10_clamp 1
		.amdhsa_ieee_mode 1
		.amdhsa_fp16_overflow 0
		.amdhsa_tg_split 0
		.amdhsa_exception_fp_ieee_invalid_op 0
		.amdhsa_exception_fp_denorm_src 0
		.amdhsa_exception_fp_ieee_div_zero 0
		.amdhsa_exception_fp_ieee_overflow 0
		.amdhsa_exception_fp_ieee_underflow 0
		.amdhsa_exception_fp_ieee_inexact 0
		.amdhsa_exception_int_div_zero 0
	.end_amdhsa_kernel
	.section	.text._ZN7rocprim17ROCPRIM_400000_NS6detail17trampoline_kernelINS0_14default_configENS1_25transform_config_selectorIiLb0EEEZNS1_14transform_implILb0ES3_S5_PiN6thrust23THRUST_200600_302600_NS6detail15normal_iteratorINS9_10device_ptrIiEEEENS0_8identityIiEEEE10hipError_tT2_T3_mT4_P12ihipStream_tbEUlT_E_NS1_11comp_targetILNS1_3genE2ELNS1_11target_archE906ELNS1_3gpuE6ELNS1_3repE0EEENS1_30default_config_static_selectorELNS0_4arch9wavefront6targetE1EEEvT1_,"axG",@progbits,_ZN7rocprim17ROCPRIM_400000_NS6detail17trampoline_kernelINS0_14default_configENS1_25transform_config_selectorIiLb0EEEZNS1_14transform_implILb0ES3_S5_PiN6thrust23THRUST_200600_302600_NS6detail15normal_iteratorINS9_10device_ptrIiEEEENS0_8identityIiEEEE10hipError_tT2_T3_mT4_P12ihipStream_tbEUlT_E_NS1_11comp_targetILNS1_3genE2ELNS1_11target_archE906ELNS1_3gpuE6ELNS1_3repE0EEENS1_30default_config_static_selectorELNS0_4arch9wavefront6targetE1EEEvT1_,comdat
.Lfunc_end71:
	.size	_ZN7rocprim17ROCPRIM_400000_NS6detail17trampoline_kernelINS0_14default_configENS1_25transform_config_selectorIiLb0EEEZNS1_14transform_implILb0ES3_S5_PiN6thrust23THRUST_200600_302600_NS6detail15normal_iteratorINS9_10device_ptrIiEEEENS0_8identityIiEEEE10hipError_tT2_T3_mT4_P12ihipStream_tbEUlT_E_NS1_11comp_targetILNS1_3genE2ELNS1_11target_archE906ELNS1_3gpuE6ELNS1_3repE0EEENS1_30default_config_static_selectorELNS0_4arch9wavefront6targetE1EEEvT1_, .Lfunc_end71-_ZN7rocprim17ROCPRIM_400000_NS6detail17trampoline_kernelINS0_14default_configENS1_25transform_config_selectorIiLb0EEEZNS1_14transform_implILb0ES3_S5_PiN6thrust23THRUST_200600_302600_NS6detail15normal_iteratorINS9_10device_ptrIiEEEENS0_8identityIiEEEE10hipError_tT2_T3_mT4_P12ihipStream_tbEUlT_E_NS1_11comp_targetILNS1_3genE2ELNS1_11target_archE906ELNS1_3gpuE6ELNS1_3repE0EEENS1_30default_config_static_selectorELNS0_4arch9wavefront6targetE1EEEvT1_
                                        ; -- End function
	.set _ZN7rocprim17ROCPRIM_400000_NS6detail17trampoline_kernelINS0_14default_configENS1_25transform_config_selectorIiLb0EEEZNS1_14transform_implILb0ES3_S5_PiN6thrust23THRUST_200600_302600_NS6detail15normal_iteratorINS9_10device_ptrIiEEEENS0_8identityIiEEEE10hipError_tT2_T3_mT4_P12ihipStream_tbEUlT_E_NS1_11comp_targetILNS1_3genE2ELNS1_11target_archE906ELNS1_3gpuE6ELNS1_3repE0EEENS1_30default_config_static_selectorELNS0_4arch9wavefront6targetE1EEEvT1_.num_vgpr, 0
	.set _ZN7rocprim17ROCPRIM_400000_NS6detail17trampoline_kernelINS0_14default_configENS1_25transform_config_selectorIiLb0EEEZNS1_14transform_implILb0ES3_S5_PiN6thrust23THRUST_200600_302600_NS6detail15normal_iteratorINS9_10device_ptrIiEEEENS0_8identityIiEEEE10hipError_tT2_T3_mT4_P12ihipStream_tbEUlT_E_NS1_11comp_targetILNS1_3genE2ELNS1_11target_archE906ELNS1_3gpuE6ELNS1_3repE0EEENS1_30default_config_static_selectorELNS0_4arch9wavefront6targetE1EEEvT1_.num_agpr, 0
	.set _ZN7rocprim17ROCPRIM_400000_NS6detail17trampoline_kernelINS0_14default_configENS1_25transform_config_selectorIiLb0EEEZNS1_14transform_implILb0ES3_S5_PiN6thrust23THRUST_200600_302600_NS6detail15normal_iteratorINS9_10device_ptrIiEEEENS0_8identityIiEEEE10hipError_tT2_T3_mT4_P12ihipStream_tbEUlT_E_NS1_11comp_targetILNS1_3genE2ELNS1_11target_archE906ELNS1_3gpuE6ELNS1_3repE0EEENS1_30default_config_static_selectorELNS0_4arch9wavefront6targetE1EEEvT1_.numbered_sgpr, 0
	.set _ZN7rocprim17ROCPRIM_400000_NS6detail17trampoline_kernelINS0_14default_configENS1_25transform_config_selectorIiLb0EEEZNS1_14transform_implILb0ES3_S5_PiN6thrust23THRUST_200600_302600_NS6detail15normal_iteratorINS9_10device_ptrIiEEEENS0_8identityIiEEEE10hipError_tT2_T3_mT4_P12ihipStream_tbEUlT_E_NS1_11comp_targetILNS1_3genE2ELNS1_11target_archE906ELNS1_3gpuE6ELNS1_3repE0EEENS1_30default_config_static_selectorELNS0_4arch9wavefront6targetE1EEEvT1_.num_named_barrier, 0
	.set _ZN7rocprim17ROCPRIM_400000_NS6detail17trampoline_kernelINS0_14default_configENS1_25transform_config_selectorIiLb0EEEZNS1_14transform_implILb0ES3_S5_PiN6thrust23THRUST_200600_302600_NS6detail15normal_iteratorINS9_10device_ptrIiEEEENS0_8identityIiEEEE10hipError_tT2_T3_mT4_P12ihipStream_tbEUlT_E_NS1_11comp_targetILNS1_3genE2ELNS1_11target_archE906ELNS1_3gpuE6ELNS1_3repE0EEENS1_30default_config_static_selectorELNS0_4arch9wavefront6targetE1EEEvT1_.private_seg_size, 0
	.set _ZN7rocprim17ROCPRIM_400000_NS6detail17trampoline_kernelINS0_14default_configENS1_25transform_config_selectorIiLb0EEEZNS1_14transform_implILb0ES3_S5_PiN6thrust23THRUST_200600_302600_NS6detail15normal_iteratorINS9_10device_ptrIiEEEENS0_8identityIiEEEE10hipError_tT2_T3_mT4_P12ihipStream_tbEUlT_E_NS1_11comp_targetILNS1_3genE2ELNS1_11target_archE906ELNS1_3gpuE6ELNS1_3repE0EEENS1_30default_config_static_selectorELNS0_4arch9wavefront6targetE1EEEvT1_.uses_vcc, 0
	.set _ZN7rocprim17ROCPRIM_400000_NS6detail17trampoline_kernelINS0_14default_configENS1_25transform_config_selectorIiLb0EEEZNS1_14transform_implILb0ES3_S5_PiN6thrust23THRUST_200600_302600_NS6detail15normal_iteratorINS9_10device_ptrIiEEEENS0_8identityIiEEEE10hipError_tT2_T3_mT4_P12ihipStream_tbEUlT_E_NS1_11comp_targetILNS1_3genE2ELNS1_11target_archE906ELNS1_3gpuE6ELNS1_3repE0EEENS1_30default_config_static_selectorELNS0_4arch9wavefront6targetE1EEEvT1_.uses_flat_scratch, 0
	.set _ZN7rocprim17ROCPRIM_400000_NS6detail17trampoline_kernelINS0_14default_configENS1_25transform_config_selectorIiLb0EEEZNS1_14transform_implILb0ES3_S5_PiN6thrust23THRUST_200600_302600_NS6detail15normal_iteratorINS9_10device_ptrIiEEEENS0_8identityIiEEEE10hipError_tT2_T3_mT4_P12ihipStream_tbEUlT_E_NS1_11comp_targetILNS1_3genE2ELNS1_11target_archE906ELNS1_3gpuE6ELNS1_3repE0EEENS1_30default_config_static_selectorELNS0_4arch9wavefront6targetE1EEEvT1_.has_dyn_sized_stack, 0
	.set _ZN7rocprim17ROCPRIM_400000_NS6detail17trampoline_kernelINS0_14default_configENS1_25transform_config_selectorIiLb0EEEZNS1_14transform_implILb0ES3_S5_PiN6thrust23THRUST_200600_302600_NS6detail15normal_iteratorINS9_10device_ptrIiEEEENS0_8identityIiEEEE10hipError_tT2_T3_mT4_P12ihipStream_tbEUlT_E_NS1_11comp_targetILNS1_3genE2ELNS1_11target_archE906ELNS1_3gpuE6ELNS1_3repE0EEENS1_30default_config_static_selectorELNS0_4arch9wavefront6targetE1EEEvT1_.has_recursion, 0
	.set _ZN7rocprim17ROCPRIM_400000_NS6detail17trampoline_kernelINS0_14default_configENS1_25transform_config_selectorIiLb0EEEZNS1_14transform_implILb0ES3_S5_PiN6thrust23THRUST_200600_302600_NS6detail15normal_iteratorINS9_10device_ptrIiEEEENS0_8identityIiEEEE10hipError_tT2_T3_mT4_P12ihipStream_tbEUlT_E_NS1_11comp_targetILNS1_3genE2ELNS1_11target_archE906ELNS1_3gpuE6ELNS1_3repE0EEENS1_30default_config_static_selectorELNS0_4arch9wavefront6targetE1EEEvT1_.has_indirect_call, 0
	.section	.AMDGPU.csdata,"",@progbits
; Kernel info:
; codeLenInByte = 0
; TotalNumSgprs: 6
; NumVgprs: 0
; NumAgprs: 0
; TotalNumVgprs: 0
; ScratchSize: 0
; MemoryBound: 0
; FloatMode: 240
; IeeeMode: 1
; LDSByteSize: 0 bytes/workgroup (compile time only)
; SGPRBlocks: 0
; VGPRBlocks: 0
; NumSGPRsForWavesPerEU: 6
; NumVGPRsForWavesPerEU: 1
; AccumOffset: 4
; Occupancy: 8
; WaveLimiterHint : 0
; COMPUTE_PGM_RSRC2:SCRATCH_EN: 0
; COMPUTE_PGM_RSRC2:USER_SGPR: 2
; COMPUTE_PGM_RSRC2:TRAP_HANDLER: 0
; COMPUTE_PGM_RSRC2:TGID_X_EN: 1
; COMPUTE_PGM_RSRC2:TGID_Y_EN: 0
; COMPUTE_PGM_RSRC2:TGID_Z_EN: 0
; COMPUTE_PGM_RSRC2:TIDIG_COMP_CNT: 0
; COMPUTE_PGM_RSRC3_GFX90A:ACCUM_OFFSET: 0
; COMPUTE_PGM_RSRC3_GFX90A:TG_SPLIT: 0
	.section	.text._ZN7rocprim17ROCPRIM_400000_NS6detail17trampoline_kernelINS0_14default_configENS1_25transform_config_selectorIiLb0EEEZNS1_14transform_implILb0ES3_S5_PiN6thrust23THRUST_200600_302600_NS6detail15normal_iteratorINS9_10device_ptrIiEEEENS0_8identityIiEEEE10hipError_tT2_T3_mT4_P12ihipStream_tbEUlT_E_NS1_11comp_targetILNS1_3genE10ELNS1_11target_archE1201ELNS1_3gpuE5ELNS1_3repE0EEENS1_30default_config_static_selectorELNS0_4arch9wavefront6targetE1EEEvT1_,"axG",@progbits,_ZN7rocprim17ROCPRIM_400000_NS6detail17trampoline_kernelINS0_14default_configENS1_25transform_config_selectorIiLb0EEEZNS1_14transform_implILb0ES3_S5_PiN6thrust23THRUST_200600_302600_NS6detail15normal_iteratorINS9_10device_ptrIiEEEENS0_8identityIiEEEE10hipError_tT2_T3_mT4_P12ihipStream_tbEUlT_E_NS1_11comp_targetILNS1_3genE10ELNS1_11target_archE1201ELNS1_3gpuE5ELNS1_3repE0EEENS1_30default_config_static_selectorELNS0_4arch9wavefront6targetE1EEEvT1_,comdat
	.protected	_ZN7rocprim17ROCPRIM_400000_NS6detail17trampoline_kernelINS0_14default_configENS1_25transform_config_selectorIiLb0EEEZNS1_14transform_implILb0ES3_S5_PiN6thrust23THRUST_200600_302600_NS6detail15normal_iteratorINS9_10device_ptrIiEEEENS0_8identityIiEEEE10hipError_tT2_T3_mT4_P12ihipStream_tbEUlT_E_NS1_11comp_targetILNS1_3genE10ELNS1_11target_archE1201ELNS1_3gpuE5ELNS1_3repE0EEENS1_30default_config_static_selectorELNS0_4arch9wavefront6targetE1EEEvT1_ ; -- Begin function _ZN7rocprim17ROCPRIM_400000_NS6detail17trampoline_kernelINS0_14default_configENS1_25transform_config_selectorIiLb0EEEZNS1_14transform_implILb0ES3_S5_PiN6thrust23THRUST_200600_302600_NS6detail15normal_iteratorINS9_10device_ptrIiEEEENS0_8identityIiEEEE10hipError_tT2_T3_mT4_P12ihipStream_tbEUlT_E_NS1_11comp_targetILNS1_3genE10ELNS1_11target_archE1201ELNS1_3gpuE5ELNS1_3repE0EEENS1_30default_config_static_selectorELNS0_4arch9wavefront6targetE1EEEvT1_
	.globl	_ZN7rocprim17ROCPRIM_400000_NS6detail17trampoline_kernelINS0_14default_configENS1_25transform_config_selectorIiLb0EEEZNS1_14transform_implILb0ES3_S5_PiN6thrust23THRUST_200600_302600_NS6detail15normal_iteratorINS9_10device_ptrIiEEEENS0_8identityIiEEEE10hipError_tT2_T3_mT4_P12ihipStream_tbEUlT_E_NS1_11comp_targetILNS1_3genE10ELNS1_11target_archE1201ELNS1_3gpuE5ELNS1_3repE0EEENS1_30default_config_static_selectorELNS0_4arch9wavefront6targetE1EEEvT1_
	.p2align	8
	.type	_ZN7rocprim17ROCPRIM_400000_NS6detail17trampoline_kernelINS0_14default_configENS1_25transform_config_selectorIiLb0EEEZNS1_14transform_implILb0ES3_S5_PiN6thrust23THRUST_200600_302600_NS6detail15normal_iteratorINS9_10device_ptrIiEEEENS0_8identityIiEEEE10hipError_tT2_T3_mT4_P12ihipStream_tbEUlT_E_NS1_11comp_targetILNS1_3genE10ELNS1_11target_archE1201ELNS1_3gpuE5ELNS1_3repE0EEENS1_30default_config_static_selectorELNS0_4arch9wavefront6targetE1EEEvT1_,@function
_ZN7rocprim17ROCPRIM_400000_NS6detail17trampoline_kernelINS0_14default_configENS1_25transform_config_selectorIiLb0EEEZNS1_14transform_implILb0ES3_S5_PiN6thrust23THRUST_200600_302600_NS6detail15normal_iteratorINS9_10device_ptrIiEEEENS0_8identityIiEEEE10hipError_tT2_T3_mT4_P12ihipStream_tbEUlT_E_NS1_11comp_targetILNS1_3genE10ELNS1_11target_archE1201ELNS1_3gpuE5ELNS1_3repE0EEENS1_30default_config_static_selectorELNS0_4arch9wavefront6targetE1EEEvT1_: ; @_ZN7rocprim17ROCPRIM_400000_NS6detail17trampoline_kernelINS0_14default_configENS1_25transform_config_selectorIiLb0EEEZNS1_14transform_implILb0ES3_S5_PiN6thrust23THRUST_200600_302600_NS6detail15normal_iteratorINS9_10device_ptrIiEEEENS0_8identityIiEEEE10hipError_tT2_T3_mT4_P12ihipStream_tbEUlT_E_NS1_11comp_targetILNS1_3genE10ELNS1_11target_archE1201ELNS1_3gpuE5ELNS1_3repE0EEENS1_30default_config_static_selectorELNS0_4arch9wavefront6targetE1EEEvT1_
; %bb.0:
	.section	.rodata,"a",@progbits
	.p2align	6, 0x0
	.amdhsa_kernel _ZN7rocprim17ROCPRIM_400000_NS6detail17trampoline_kernelINS0_14default_configENS1_25transform_config_selectorIiLb0EEEZNS1_14transform_implILb0ES3_S5_PiN6thrust23THRUST_200600_302600_NS6detail15normal_iteratorINS9_10device_ptrIiEEEENS0_8identityIiEEEE10hipError_tT2_T3_mT4_P12ihipStream_tbEUlT_E_NS1_11comp_targetILNS1_3genE10ELNS1_11target_archE1201ELNS1_3gpuE5ELNS1_3repE0EEENS1_30default_config_static_selectorELNS0_4arch9wavefront6targetE1EEEvT1_
		.amdhsa_group_segment_fixed_size 0
		.amdhsa_private_segment_fixed_size 0
		.amdhsa_kernarg_size 40
		.amdhsa_user_sgpr_count 2
		.amdhsa_user_sgpr_dispatch_ptr 0
		.amdhsa_user_sgpr_queue_ptr 0
		.amdhsa_user_sgpr_kernarg_segment_ptr 1
		.amdhsa_user_sgpr_dispatch_id 0
		.amdhsa_user_sgpr_kernarg_preload_length 0
		.amdhsa_user_sgpr_kernarg_preload_offset 0
		.amdhsa_user_sgpr_private_segment_size 0
		.amdhsa_uses_dynamic_stack 0
		.amdhsa_enable_private_segment 0
		.amdhsa_system_sgpr_workgroup_id_x 1
		.amdhsa_system_sgpr_workgroup_id_y 0
		.amdhsa_system_sgpr_workgroup_id_z 0
		.amdhsa_system_sgpr_workgroup_info 0
		.amdhsa_system_vgpr_workitem_id 0
		.amdhsa_next_free_vgpr 1
		.amdhsa_next_free_sgpr 0
		.amdhsa_accum_offset 4
		.amdhsa_reserve_vcc 0
		.amdhsa_float_round_mode_32 0
		.amdhsa_float_round_mode_16_64 0
		.amdhsa_float_denorm_mode_32 3
		.amdhsa_float_denorm_mode_16_64 3
		.amdhsa_dx10_clamp 1
		.amdhsa_ieee_mode 1
		.amdhsa_fp16_overflow 0
		.amdhsa_tg_split 0
		.amdhsa_exception_fp_ieee_invalid_op 0
		.amdhsa_exception_fp_denorm_src 0
		.amdhsa_exception_fp_ieee_div_zero 0
		.amdhsa_exception_fp_ieee_overflow 0
		.amdhsa_exception_fp_ieee_underflow 0
		.amdhsa_exception_fp_ieee_inexact 0
		.amdhsa_exception_int_div_zero 0
	.end_amdhsa_kernel
	.section	.text._ZN7rocprim17ROCPRIM_400000_NS6detail17trampoline_kernelINS0_14default_configENS1_25transform_config_selectorIiLb0EEEZNS1_14transform_implILb0ES3_S5_PiN6thrust23THRUST_200600_302600_NS6detail15normal_iteratorINS9_10device_ptrIiEEEENS0_8identityIiEEEE10hipError_tT2_T3_mT4_P12ihipStream_tbEUlT_E_NS1_11comp_targetILNS1_3genE10ELNS1_11target_archE1201ELNS1_3gpuE5ELNS1_3repE0EEENS1_30default_config_static_selectorELNS0_4arch9wavefront6targetE1EEEvT1_,"axG",@progbits,_ZN7rocprim17ROCPRIM_400000_NS6detail17trampoline_kernelINS0_14default_configENS1_25transform_config_selectorIiLb0EEEZNS1_14transform_implILb0ES3_S5_PiN6thrust23THRUST_200600_302600_NS6detail15normal_iteratorINS9_10device_ptrIiEEEENS0_8identityIiEEEE10hipError_tT2_T3_mT4_P12ihipStream_tbEUlT_E_NS1_11comp_targetILNS1_3genE10ELNS1_11target_archE1201ELNS1_3gpuE5ELNS1_3repE0EEENS1_30default_config_static_selectorELNS0_4arch9wavefront6targetE1EEEvT1_,comdat
.Lfunc_end72:
	.size	_ZN7rocprim17ROCPRIM_400000_NS6detail17trampoline_kernelINS0_14default_configENS1_25transform_config_selectorIiLb0EEEZNS1_14transform_implILb0ES3_S5_PiN6thrust23THRUST_200600_302600_NS6detail15normal_iteratorINS9_10device_ptrIiEEEENS0_8identityIiEEEE10hipError_tT2_T3_mT4_P12ihipStream_tbEUlT_E_NS1_11comp_targetILNS1_3genE10ELNS1_11target_archE1201ELNS1_3gpuE5ELNS1_3repE0EEENS1_30default_config_static_selectorELNS0_4arch9wavefront6targetE1EEEvT1_, .Lfunc_end72-_ZN7rocprim17ROCPRIM_400000_NS6detail17trampoline_kernelINS0_14default_configENS1_25transform_config_selectorIiLb0EEEZNS1_14transform_implILb0ES3_S5_PiN6thrust23THRUST_200600_302600_NS6detail15normal_iteratorINS9_10device_ptrIiEEEENS0_8identityIiEEEE10hipError_tT2_T3_mT4_P12ihipStream_tbEUlT_E_NS1_11comp_targetILNS1_3genE10ELNS1_11target_archE1201ELNS1_3gpuE5ELNS1_3repE0EEENS1_30default_config_static_selectorELNS0_4arch9wavefront6targetE1EEEvT1_
                                        ; -- End function
	.set _ZN7rocprim17ROCPRIM_400000_NS6detail17trampoline_kernelINS0_14default_configENS1_25transform_config_selectorIiLb0EEEZNS1_14transform_implILb0ES3_S5_PiN6thrust23THRUST_200600_302600_NS6detail15normal_iteratorINS9_10device_ptrIiEEEENS0_8identityIiEEEE10hipError_tT2_T3_mT4_P12ihipStream_tbEUlT_E_NS1_11comp_targetILNS1_3genE10ELNS1_11target_archE1201ELNS1_3gpuE5ELNS1_3repE0EEENS1_30default_config_static_selectorELNS0_4arch9wavefront6targetE1EEEvT1_.num_vgpr, 0
	.set _ZN7rocprim17ROCPRIM_400000_NS6detail17trampoline_kernelINS0_14default_configENS1_25transform_config_selectorIiLb0EEEZNS1_14transform_implILb0ES3_S5_PiN6thrust23THRUST_200600_302600_NS6detail15normal_iteratorINS9_10device_ptrIiEEEENS0_8identityIiEEEE10hipError_tT2_T3_mT4_P12ihipStream_tbEUlT_E_NS1_11comp_targetILNS1_3genE10ELNS1_11target_archE1201ELNS1_3gpuE5ELNS1_3repE0EEENS1_30default_config_static_selectorELNS0_4arch9wavefront6targetE1EEEvT1_.num_agpr, 0
	.set _ZN7rocprim17ROCPRIM_400000_NS6detail17trampoline_kernelINS0_14default_configENS1_25transform_config_selectorIiLb0EEEZNS1_14transform_implILb0ES3_S5_PiN6thrust23THRUST_200600_302600_NS6detail15normal_iteratorINS9_10device_ptrIiEEEENS0_8identityIiEEEE10hipError_tT2_T3_mT4_P12ihipStream_tbEUlT_E_NS1_11comp_targetILNS1_3genE10ELNS1_11target_archE1201ELNS1_3gpuE5ELNS1_3repE0EEENS1_30default_config_static_selectorELNS0_4arch9wavefront6targetE1EEEvT1_.numbered_sgpr, 0
	.set _ZN7rocprim17ROCPRIM_400000_NS6detail17trampoline_kernelINS0_14default_configENS1_25transform_config_selectorIiLb0EEEZNS1_14transform_implILb0ES3_S5_PiN6thrust23THRUST_200600_302600_NS6detail15normal_iteratorINS9_10device_ptrIiEEEENS0_8identityIiEEEE10hipError_tT2_T3_mT4_P12ihipStream_tbEUlT_E_NS1_11comp_targetILNS1_3genE10ELNS1_11target_archE1201ELNS1_3gpuE5ELNS1_3repE0EEENS1_30default_config_static_selectorELNS0_4arch9wavefront6targetE1EEEvT1_.num_named_barrier, 0
	.set _ZN7rocprim17ROCPRIM_400000_NS6detail17trampoline_kernelINS0_14default_configENS1_25transform_config_selectorIiLb0EEEZNS1_14transform_implILb0ES3_S5_PiN6thrust23THRUST_200600_302600_NS6detail15normal_iteratorINS9_10device_ptrIiEEEENS0_8identityIiEEEE10hipError_tT2_T3_mT4_P12ihipStream_tbEUlT_E_NS1_11comp_targetILNS1_3genE10ELNS1_11target_archE1201ELNS1_3gpuE5ELNS1_3repE0EEENS1_30default_config_static_selectorELNS0_4arch9wavefront6targetE1EEEvT1_.private_seg_size, 0
	.set _ZN7rocprim17ROCPRIM_400000_NS6detail17trampoline_kernelINS0_14default_configENS1_25transform_config_selectorIiLb0EEEZNS1_14transform_implILb0ES3_S5_PiN6thrust23THRUST_200600_302600_NS6detail15normal_iteratorINS9_10device_ptrIiEEEENS0_8identityIiEEEE10hipError_tT2_T3_mT4_P12ihipStream_tbEUlT_E_NS1_11comp_targetILNS1_3genE10ELNS1_11target_archE1201ELNS1_3gpuE5ELNS1_3repE0EEENS1_30default_config_static_selectorELNS0_4arch9wavefront6targetE1EEEvT1_.uses_vcc, 0
	.set _ZN7rocprim17ROCPRIM_400000_NS6detail17trampoline_kernelINS0_14default_configENS1_25transform_config_selectorIiLb0EEEZNS1_14transform_implILb0ES3_S5_PiN6thrust23THRUST_200600_302600_NS6detail15normal_iteratorINS9_10device_ptrIiEEEENS0_8identityIiEEEE10hipError_tT2_T3_mT4_P12ihipStream_tbEUlT_E_NS1_11comp_targetILNS1_3genE10ELNS1_11target_archE1201ELNS1_3gpuE5ELNS1_3repE0EEENS1_30default_config_static_selectorELNS0_4arch9wavefront6targetE1EEEvT1_.uses_flat_scratch, 0
	.set _ZN7rocprim17ROCPRIM_400000_NS6detail17trampoline_kernelINS0_14default_configENS1_25transform_config_selectorIiLb0EEEZNS1_14transform_implILb0ES3_S5_PiN6thrust23THRUST_200600_302600_NS6detail15normal_iteratorINS9_10device_ptrIiEEEENS0_8identityIiEEEE10hipError_tT2_T3_mT4_P12ihipStream_tbEUlT_E_NS1_11comp_targetILNS1_3genE10ELNS1_11target_archE1201ELNS1_3gpuE5ELNS1_3repE0EEENS1_30default_config_static_selectorELNS0_4arch9wavefront6targetE1EEEvT1_.has_dyn_sized_stack, 0
	.set _ZN7rocprim17ROCPRIM_400000_NS6detail17trampoline_kernelINS0_14default_configENS1_25transform_config_selectorIiLb0EEEZNS1_14transform_implILb0ES3_S5_PiN6thrust23THRUST_200600_302600_NS6detail15normal_iteratorINS9_10device_ptrIiEEEENS0_8identityIiEEEE10hipError_tT2_T3_mT4_P12ihipStream_tbEUlT_E_NS1_11comp_targetILNS1_3genE10ELNS1_11target_archE1201ELNS1_3gpuE5ELNS1_3repE0EEENS1_30default_config_static_selectorELNS0_4arch9wavefront6targetE1EEEvT1_.has_recursion, 0
	.set _ZN7rocprim17ROCPRIM_400000_NS6detail17trampoline_kernelINS0_14default_configENS1_25transform_config_selectorIiLb0EEEZNS1_14transform_implILb0ES3_S5_PiN6thrust23THRUST_200600_302600_NS6detail15normal_iteratorINS9_10device_ptrIiEEEENS0_8identityIiEEEE10hipError_tT2_T3_mT4_P12ihipStream_tbEUlT_E_NS1_11comp_targetILNS1_3genE10ELNS1_11target_archE1201ELNS1_3gpuE5ELNS1_3repE0EEENS1_30default_config_static_selectorELNS0_4arch9wavefront6targetE1EEEvT1_.has_indirect_call, 0
	.section	.AMDGPU.csdata,"",@progbits
; Kernel info:
; codeLenInByte = 0
; TotalNumSgprs: 6
; NumVgprs: 0
; NumAgprs: 0
; TotalNumVgprs: 0
; ScratchSize: 0
; MemoryBound: 0
; FloatMode: 240
; IeeeMode: 1
; LDSByteSize: 0 bytes/workgroup (compile time only)
; SGPRBlocks: 0
; VGPRBlocks: 0
; NumSGPRsForWavesPerEU: 6
; NumVGPRsForWavesPerEU: 1
; AccumOffset: 4
; Occupancy: 8
; WaveLimiterHint : 0
; COMPUTE_PGM_RSRC2:SCRATCH_EN: 0
; COMPUTE_PGM_RSRC2:USER_SGPR: 2
; COMPUTE_PGM_RSRC2:TRAP_HANDLER: 0
; COMPUTE_PGM_RSRC2:TGID_X_EN: 1
; COMPUTE_PGM_RSRC2:TGID_Y_EN: 0
; COMPUTE_PGM_RSRC2:TGID_Z_EN: 0
; COMPUTE_PGM_RSRC2:TIDIG_COMP_CNT: 0
; COMPUTE_PGM_RSRC3_GFX90A:ACCUM_OFFSET: 0
; COMPUTE_PGM_RSRC3_GFX90A:TG_SPLIT: 0
	.section	.text._ZN7rocprim17ROCPRIM_400000_NS6detail17trampoline_kernelINS0_14default_configENS1_25transform_config_selectorIiLb0EEEZNS1_14transform_implILb0ES3_S5_PiN6thrust23THRUST_200600_302600_NS6detail15normal_iteratorINS9_10device_ptrIiEEEENS0_8identityIiEEEE10hipError_tT2_T3_mT4_P12ihipStream_tbEUlT_E_NS1_11comp_targetILNS1_3genE10ELNS1_11target_archE1200ELNS1_3gpuE4ELNS1_3repE0EEENS1_30default_config_static_selectorELNS0_4arch9wavefront6targetE1EEEvT1_,"axG",@progbits,_ZN7rocprim17ROCPRIM_400000_NS6detail17trampoline_kernelINS0_14default_configENS1_25transform_config_selectorIiLb0EEEZNS1_14transform_implILb0ES3_S5_PiN6thrust23THRUST_200600_302600_NS6detail15normal_iteratorINS9_10device_ptrIiEEEENS0_8identityIiEEEE10hipError_tT2_T3_mT4_P12ihipStream_tbEUlT_E_NS1_11comp_targetILNS1_3genE10ELNS1_11target_archE1200ELNS1_3gpuE4ELNS1_3repE0EEENS1_30default_config_static_selectorELNS0_4arch9wavefront6targetE1EEEvT1_,comdat
	.protected	_ZN7rocprim17ROCPRIM_400000_NS6detail17trampoline_kernelINS0_14default_configENS1_25transform_config_selectorIiLb0EEEZNS1_14transform_implILb0ES3_S5_PiN6thrust23THRUST_200600_302600_NS6detail15normal_iteratorINS9_10device_ptrIiEEEENS0_8identityIiEEEE10hipError_tT2_T3_mT4_P12ihipStream_tbEUlT_E_NS1_11comp_targetILNS1_3genE10ELNS1_11target_archE1200ELNS1_3gpuE4ELNS1_3repE0EEENS1_30default_config_static_selectorELNS0_4arch9wavefront6targetE1EEEvT1_ ; -- Begin function _ZN7rocprim17ROCPRIM_400000_NS6detail17trampoline_kernelINS0_14default_configENS1_25transform_config_selectorIiLb0EEEZNS1_14transform_implILb0ES3_S5_PiN6thrust23THRUST_200600_302600_NS6detail15normal_iteratorINS9_10device_ptrIiEEEENS0_8identityIiEEEE10hipError_tT2_T3_mT4_P12ihipStream_tbEUlT_E_NS1_11comp_targetILNS1_3genE10ELNS1_11target_archE1200ELNS1_3gpuE4ELNS1_3repE0EEENS1_30default_config_static_selectorELNS0_4arch9wavefront6targetE1EEEvT1_
	.globl	_ZN7rocprim17ROCPRIM_400000_NS6detail17trampoline_kernelINS0_14default_configENS1_25transform_config_selectorIiLb0EEEZNS1_14transform_implILb0ES3_S5_PiN6thrust23THRUST_200600_302600_NS6detail15normal_iteratorINS9_10device_ptrIiEEEENS0_8identityIiEEEE10hipError_tT2_T3_mT4_P12ihipStream_tbEUlT_E_NS1_11comp_targetILNS1_3genE10ELNS1_11target_archE1200ELNS1_3gpuE4ELNS1_3repE0EEENS1_30default_config_static_selectorELNS0_4arch9wavefront6targetE1EEEvT1_
	.p2align	8
	.type	_ZN7rocprim17ROCPRIM_400000_NS6detail17trampoline_kernelINS0_14default_configENS1_25transform_config_selectorIiLb0EEEZNS1_14transform_implILb0ES3_S5_PiN6thrust23THRUST_200600_302600_NS6detail15normal_iteratorINS9_10device_ptrIiEEEENS0_8identityIiEEEE10hipError_tT2_T3_mT4_P12ihipStream_tbEUlT_E_NS1_11comp_targetILNS1_3genE10ELNS1_11target_archE1200ELNS1_3gpuE4ELNS1_3repE0EEENS1_30default_config_static_selectorELNS0_4arch9wavefront6targetE1EEEvT1_,@function
_ZN7rocprim17ROCPRIM_400000_NS6detail17trampoline_kernelINS0_14default_configENS1_25transform_config_selectorIiLb0EEEZNS1_14transform_implILb0ES3_S5_PiN6thrust23THRUST_200600_302600_NS6detail15normal_iteratorINS9_10device_ptrIiEEEENS0_8identityIiEEEE10hipError_tT2_T3_mT4_P12ihipStream_tbEUlT_E_NS1_11comp_targetILNS1_3genE10ELNS1_11target_archE1200ELNS1_3gpuE4ELNS1_3repE0EEENS1_30default_config_static_selectorELNS0_4arch9wavefront6targetE1EEEvT1_: ; @_ZN7rocprim17ROCPRIM_400000_NS6detail17trampoline_kernelINS0_14default_configENS1_25transform_config_selectorIiLb0EEEZNS1_14transform_implILb0ES3_S5_PiN6thrust23THRUST_200600_302600_NS6detail15normal_iteratorINS9_10device_ptrIiEEEENS0_8identityIiEEEE10hipError_tT2_T3_mT4_P12ihipStream_tbEUlT_E_NS1_11comp_targetILNS1_3genE10ELNS1_11target_archE1200ELNS1_3gpuE4ELNS1_3repE0EEENS1_30default_config_static_selectorELNS0_4arch9wavefront6targetE1EEEvT1_
; %bb.0:
	.section	.rodata,"a",@progbits
	.p2align	6, 0x0
	.amdhsa_kernel _ZN7rocprim17ROCPRIM_400000_NS6detail17trampoline_kernelINS0_14default_configENS1_25transform_config_selectorIiLb0EEEZNS1_14transform_implILb0ES3_S5_PiN6thrust23THRUST_200600_302600_NS6detail15normal_iteratorINS9_10device_ptrIiEEEENS0_8identityIiEEEE10hipError_tT2_T3_mT4_P12ihipStream_tbEUlT_E_NS1_11comp_targetILNS1_3genE10ELNS1_11target_archE1200ELNS1_3gpuE4ELNS1_3repE0EEENS1_30default_config_static_selectorELNS0_4arch9wavefront6targetE1EEEvT1_
		.amdhsa_group_segment_fixed_size 0
		.amdhsa_private_segment_fixed_size 0
		.amdhsa_kernarg_size 40
		.amdhsa_user_sgpr_count 2
		.amdhsa_user_sgpr_dispatch_ptr 0
		.amdhsa_user_sgpr_queue_ptr 0
		.amdhsa_user_sgpr_kernarg_segment_ptr 1
		.amdhsa_user_sgpr_dispatch_id 0
		.amdhsa_user_sgpr_kernarg_preload_length 0
		.amdhsa_user_sgpr_kernarg_preload_offset 0
		.amdhsa_user_sgpr_private_segment_size 0
		.amdhsa_uses_dynamic_stack 0
		.amdhsa_enable_private_segment 0
		.amdhsa_system_sgpr_workgroup_id_x 1
		.amdhsa_system_sgpr_workgroup_id_y 0
		.amdhsa_system_sgpr_workgroup_id_z 0
		.amdhsa_system_sgpr_workgroup_info 0
		.amdhsa_system_vgpr_workitem_id 0
		.amdhsa_next_free_vgpr 1
		.amdhsa_next_free_sgpr 0
		.amdhsa_accum_offset 4
		.amdhsa_reserve_vcc 0
		.amdhsa_float_round_mode_32 0
		.amdhsa_float_round_mode_16_64 0
		.amdhsa_float_denorm_mode_32 3
		.amdhsa_float_denorm_mode_16_64 3
		.amdhsa_dx10_clamp 1
		.amdhsa_ieee_mode 1
		.amdhsa_fp16_overflow 0
		.amdhsa_tg_split 0
		.amdhsa_exception_fp_ieee_invalid_op 0
		.amdhsa_exception_fp_denorm_src 0
		.amdhsa_exception_fp_ieee_div_zero 0
		.amdhsa_exception_fp_ieee_overflow 0
		.amdhsa_exception_fp_ieee_underflow 0
		.amdhsa_exception_fp_ieee_inexact 0
		.amdhsa_exception_int_div_zero 0
	.end_amdhsa_kernel
	.section	.text._ZN7rocprim17ROCPRIM_400000_NS6detail17trampoline_kernelINS0_14default_configENS1_25transform_config_selectorIiLb0EEEZNS1_14transform_implILb0ES3_S5_PiN6thrust23THRUST_200600_302600_NS6detail15normal_iteratorINS9_10device_ptrIiEEEENS0_8identityIiEEEE10hipError_tT2_T3_mT4_P12ihipStream_tbEUlT_E_NS1_11comp_targetILNS1_3genE10ELNS1_11target_archE1200ELNS1_3gpuE4ELNS1_3repE0EEENS1_30default_config_static_selectorELNS0_4arch9wavefront6targetE1EEEvT1_,"axG",@progbits,_ZN7rocprim17ROCPRIM_400000_NS6detail17trampoline_kernelINS0_14default_configENS1_25transform_config_selectorIiLb0EEEZNS1_14transform_implILb0ES3_S5_PiN6thrust23THRUST_200600_302600_NS6detail15normal_iteratorINS9_10device_ptrIiEEEENS0_8identityIiEEEE10hipError_tT2_T3_mT4_P12ihipStream_tbEUlT_E_NS1_11comp_targetILNS1_3genE10ELNS1_11target_archE1200ELNS1_3gpuE4ELNS1_3repE0EEENS1_30default_config_static_selectorELNS0_4arch9wavefront6targetE1EEEvT1_,comdat
.Lfunc_end73:
	.size	_ZN7rocprim17ROCPRIM_400000_NS6detail17trampoline_kernelINS0_14default_configENS1_25transform_config_selectorIiLb0EEEZNS1_14transform_implILb0ES3_S5_PiN6thrust23THRUST_200600_302600_NS6detail15normal_iteratorINS9_10device_ptrIiEEEENS0_8identityIiEEEE10hipError_tT2_T3_mT4_P12ihipStream_tbEUlT_E_NS1_11comp_targetILNS1_3genE10ELNS1_11target_archE1200ELNS1_3gpuE4ELNS1_3repE0EEENS1_30default_config_static_selectorELNS0_4arch9wavefront6targetE1EEEvT1_, .Lfunc_end73-_ZN7rocprim17ROCPRIM_400000_NS6detail17trampoline_kernelINS0_14default_configENS1_25transform_config_selectorIiLb0EEEZNS1_14transform_implILb0ES3_S5_PiN6thrust23THRUST_200600_302600_NS6detail15normal_iteratorINS9_10device_ptrIiEEEENS0_8identityIiEEEE10hipError_tT2_T3_mT4_P12ihipStream_tbEUlT_E_NS1_11comp_targetILNS1_3genE10ELNS1_11target_archE1200ELNS1_3gpuE4ELNS1_3repE0EEENS1_30default_config_static_selectorELNS0_4arch9wavefront6targetE1EEEvT1_
                                        ; -- End function
	.set _ZN7rocprim17ROCPRIM_400000_NS6detail17trampoline_kernelINS0_14default_configENS1_25transform_config_selectorIiLb0EEEZNS1_14transform_implILb0ES3_S5_PiN6thrust23THRUST_200600_302600_NS6detail15normal_iteratorINS9_10device_ptrIiEEEENS0_8identityIiEEEE10hipError_tT2_T3_mT4_P12ihipStream_tbEUlT_E_NS1_11comp_targetILNS1_3genE10ELNS1_11target_archE1200ELNS1_3gpuE4ELNS1_3repE0EEENS1_30default_config_static_selectorELNS0_4arch9wavefront6targetE1EEEvT1_.num_vgpr, 0
	.set _ZN7rocprim17ROCPRIM_400000_NS6detail17trampoline_kernelINS0_14default_configENS1_25transform_config_selectorIiLb0EEEZNS1_14transform_implILb0ES3_S5_PiN6thrust23THRUST_200600_302600_NS6detail15normal_iteratorINS9_10device_ptrIiEEEENS0_8identityIiEEEE10hipError_tT2_T3_mT4_P12ihipStream_tbEUlT_E_NS1_11comp_targetILNS1_3genE10ELNS1_11target_archE1200ELNS1_3gpuE4ELNS1_3repE0EEENS1_30default_config_static_selectorELNS0_4arch9wavefront6targetE1EEEvT1_.num_agpr, 0
	.set _ZN7rocprim17ROCPRIM_400000_NS6detail17trampoline_kernelINS0_14default_configENS1_25transform_config_selectorIiLb0EEEZNS1_14transform_implILb0ES3_S5_PiN6thrust23THRUST_200600_302600_NS6detail15normal_iteratorINS9_10device_ptrIiEEEENS0_8identityIiEEEE10hipError_tT2_T3_mT4_P12ihipStream_tbEUlT_E_NS1_11comp_targetILNS1_3genE10ELNS1_11target_archE1200ELNS1_3gpuE4ELNS1_3repE0EEENS1_30default_config_static_selectorELNS0_4arch9wavefront6targetE1EEEvT1_.numbered_sgpr, 0
	.set _ZN7rocprim17ROCPRIM_400000_NS6detail17trampoline_kernelINS0_14default_configENS1_25transform_config_selectorIiLb0EEEZNS1_14transform_implILb0ES3_S5_PiN6thrust23THRUST_200600_302600_NS6detail15normal_iteratorINS9_10device_ptrIiEEEENS0_8identityIiEEEE10hipError_tT2_T3_mT4_P12ihipStream_tbEUlT_E_NS1_11comp_targetILNS1_3genE10ELNS1_11target_archE1200ELNS1_3gpuE4ELNS1_3repE0EEENS1_30default_config_static_selectorELNS0_4arch9wavefront6targetE1EEEvT1_.num_named_barrier, 0
	.set _ZN7rocprim17ROCPRIM_400000_NS6detail17trampoline_kernelINS0_14default_configENS1_25transform_config_selectorIiLb0EEEZNS1_14transform_implILb0ES3_S5_PiN6thrust23THRUST_200600_302600_NS6detail15normal_iteratorINS9_10device_ptrIiEEEENS0_8identityIiEEEE10hipError_tT2_T3_mT4_P12ihipStream_tbEUlT_E_NS1_11comp_targetILNS1_3genE10ELNS1_11target_archE1200ELNS1_3gpuE4ELNS1_3repE0EEENS1_30default_config_static_selectorELNS0_4arch9wavefront6targetE1EEEvT1_.private_seg_size, 0
	.set _ZN7rocprim17ROCPRIM_400000_NS6detail17trampoline_kernelINS0_14default_configENS1_25transform_config_selectorIiLb0EEEZNS1_14transform_implILb0ES3_S5_PiN6thrust23THRUST_200600_302600_NS6detail15normal_iteratorINS9_10device_ptrIiEEEENS0_8identityIiEEEE10hipError_tT2_T3_mT4_P12ihipStream_tbEUlT_E_NS1_11comp_targetILNS1_3genE10ELNS1_11target_archE1200ELNS1_3gpuE4ELNS1_3repE0EEENS1_30default_config_static_selectorELNS0_4arch9wavefront6targetE1EEEvT1_.uses_vcc, 0
	.set _ZN7rocprim17ROCPRIM_400000_NS6detail17trampoline_kernelINS0_14default_configENS1_25transform_config_selectorIiLb0EEEZNS1_14transform_implILb0ES3_S5_PiN6thrust23THRUST_200600_302600_NS6detail15normal_iteratorINS9_10device_ptrIiEEEENS0_8identityIiEEEE10hipError_tT2_T3_mT4_P12ihipStream_tbEUlT_E_NS1_11comp_targetILNS1_3genE10ELNS1_11target_archE1200ELNS1_3gpuE4ELNS1_3repE0EEENS1_30default_config_static_selectorELNS0_4arch9wavefront6targetE1EEEvT1_.uses_flat_scratch, 0
	.set _ZN7rocprim17ROCPRIM_400000_NS6detail17trampoline_kernelINS0_14default_configENS1_25transform_config_selectorIiLb0EEEZNS1_14transform_implILb0ES3_S5_PiN6thrust23THRUST_200600_302600_NS6detail15normal_iteratorINS9_10device_ptrIiEEEENS0_8identityIiEEEE10hipError_tT2_T3_mT4_P12ihipStream_tbEUlT_E_NS1_11comp_targetILNS1_3genE10ELNS1_11target_archE1200ELNS1_3gpuE4ELNS1_3repE0EEENS1_30default_config_static_selectorELNS0_4arch9wavefront6targetE1EEEvT1_.has_dyn_sized_stack, 0
	.set _ZN7rocprim17ROCPRIM_400000_NS6detail17trampoline_kernelINS0_14default_configENS1_25transform_config_selectorIiLb0EEEZNS1_14transform_implILb0ES3_S5_PiN6thrust23THRUST_200600_302600_NS6detail15normal_iteratorINS9_10device_ptrIiEEEENS0_8identityIiEEEE10hipError_tT2_T3_mT4_P12ihipStream_tbEUlT_E_NS1_11comp_targetILNS1_3genE10ELNS1_11target_archE1200ELNS1_3gpuE4ELNS1_3repE0EEENS1_30default_config_static_selectorELNS0_4arch9wavefront6targetE1EEEvT1_.has_recursion, 0
	.set _ZN7rocprim17ROCPRIM_400000_NS6detail17trampoline_kernelINS0_14default_configENS1_25transform_config_selectorIiLb0EEEZNS1_14transform_implILb0ES3_S5_PiN6thrust23THRUST_200600_302600_NS6detail15normal_iteratorINS9_10device_ptrIiEEEENS0_8identityIiEEEE10hipError_tT2_T3_mT4_P12ihipStream_tbEUlT_E_NS1_11comp_targetILNS1_3genE10ELNS1_11target_archE1200ELNS1_3gpuE4ELNS1_3repE0EEENS1_30default_config_static_selectorELNS0_4arch9wavefront6targetE1EEEvT1_.has_indirect_call, 0
	.section	.AMDGPU.csdata,"",@progbits
; Kernel info:
; codeLenInByte = 0
; TotalNumSgprs: 6
; NumVgprs: 0
; NumAgprs: 0
; TotalNumVgprs: 0
; ScratchSize: 0
; MemoryBound: 0
; FloatMode: 240
; IeeeMode: 1
; LDSByteSize: 0 bytes/workgroup (compile time only)
; SGPRBlocks: 0
; VGPRBlocks: 0
; NumSGPRsForWavesPerEU: 6
; NumVGPRsForWavesPerEU: 1
; AccumOffset: 4
; Occupancy: 8
; WaveLimiterHint : 0
; COMPUTE_PGM_RSRC2:SCRATCH_EN: 0
; COMPUTE_PGM_RSRC2:USER_SGPR: 2
; COMPUTE_PGM_RSRC2:TRAP_HANDLER: 0
; COMPUTE_PGM_RSRC2:TGID_X_EN: 1
; COMPUTE_PGM_RSRC2:TGID_Y_EN: 0
; COMPUTE_PGM_RSRC2:TGID_Z_EN: 0
; COMPUTE_PGM_RSRC2:TIDIG_COMP_CNT: 0
; COMPUTE_PGM_RSRC3_GFX90A:ACCUM_OFFSET: 0
; COMPUTE_PGM_RSRC3_GFX90A:TG_SPLIT: 0
	.section	.text._ZN7rocprim17ROCPRIM_400000_NS6detail17trampoline_kernelINS0_14default_configENS1_25transform_config_selectorIiLb0EEEZNS1_14transform_implILb0ES3_S5_PiN6thrust23THRUST_200600_302600_NS6detail15normal_iteratorINS9_10device_ptrIiEEEENS0_8identityIiEEEE10hipError_tT2_T3_mT4_P12ihipStream_tbEUlT_E_NS1_11comp_targetILNS1_3genE9ELNS1_11target_archE1100ELNS1_3gpuE3ELNS1_3repE0EEENS1_30default_config_static_selectorELNS0_4arch9wavefront6targetE1EEEvT1_,"axG",@progbits,_ZN7rocprim17ROCPRIM_400000_NS6detail17trampoline_kernelINS0_14default_configENS1_25transform_config_selectorIiLb0EEEZNS1_14transform_implILb0ES3_S5_PiN6thrust23THRUST_200600_302600_NS6detail15normal_iteratorINS9_10device_ptrIiEEEENS0_8identityIiEEEE10hipError_tT2_T3_mT4_P12ihipStream_tbEUlT_E_NS1_11comp_targetILNS1_3genE9ELNS1_11target_archE1100ELNS1_3gpuE3ELNS1_3repE0EEENS1_30default_config_static_selectorELNS0_4arch9wavefront6targetE1EEEvT1_,comdat
	.protected	_ZN7rocprim17ROCPRIM_400000_NS6detail17trampoline_kernelINS0_14default_configENS1_25transform_config_selectorIiLb0EEEZNS1_14transform_implILb0ES3_S5_PiN6thrust23THRUST_200600_302600_NS6detail15normal_iteratorINS9_10device_ptrIiEEEENS0_8identityIiEEEE10hipError_tT2_T3_mT4_P12ihipStream_tbEUlT_E_NS1_11comp_targetILNS1_3genE9ELNS1_11target_archE1100ELNS1_3gpuE3ELNS1_3repE0EEENS1_30default_config_static_selectorELNS0_4arch9wavefront6targetE1EEEvT1_ ; -- Begin function _ZN7rocprim17ROCPRIM_400000_NS6detail17trampoline_kernelINS0_14default_configENS1_25transform_config_selectorIiLb0EEEZNS1_14transform_implILb0ES3_S5_PiN6thrust23THRUST_200600_302600_NS6detail15normal_iteratorINS9_10device_ptrIiEEEENS0_8identityIiEEEE10hipError_tT2_T3_mT4_P12ihipStream_tbEUlT_E_NS1_11comp_targetILNS1_3genE9ELNS1_11target_archE1100ELNS1_3gpuE3ELNS1_3repE0EEENS1_30default_config_static_selectorELNS0_4arch9wavefront6targetE1EEEvT1_
	.globl	_ZN7rocprim17ROCPRIM_400000_NS6detail17trampoline_kernelINS0_14default_configENS1_25transform_config_selectorIiLb0EEEZNS1_14transform_implILb0ES3_S5_PiN6thrust23THRUST_200600_302600_NS6detail15normal_iteratorINS9_10device_ptrIiEEEENS0_8identityIiEEEE10hipError_tT2_T3_mT4_P12ihipStream_tbEUlT_E_NS1_11comp_targetILNS1_3genE9ELNS1_11target_archE1100ELNS1_3gpuE3ELNS1_3repE0EEENS1_30default_config_static_selectorELNS0_4arch9wavefront6targetE1EEEvT1_
	.p2align	8
	.type	_ZN7rocprim17ROCPRIM_400000_NS6detail17trampoline_kernelINS0_14default_configENS1_25transform_config_selectorIiLb0EEEZNS1_14transform_implILb0ES3_S5_PiN6thrust23THRUST_200600_302600_NS6detail15normal_iteratorINS9_10device_ptrIiEEEENS0_8identityIiEEEE10hipError_tT2_T3_mT4_P12ihipStream_tbEUlT_E_NS1_11comp_targetILNS1_3genE9ELNS1_11target_archE1100ELNS1_3gpuE3ELNS1_3repE0EEENS1_30default_config_static_selectorELNS0_4arch9wavefront6targetE1EEEvT1_,@function
_ZN7rocprim17ROCPRIM_400000_NS6detail17trampoline_kernelINS0_14default_configENS1_25transform_config_selectorIiLb0EEEZNS1_14transform_implILb0ES3_S5_PiN6thrust23THRUST_200600_302600_NS6detail15normal_iteratorINS9_10device_ptrIiEEEENS0_8identityIiEEEE10hipError_tT2_T3_mT4_P12ihipStream_tbEUlT_E_NS1_11comp_targetILNS1_3genE9ELNS1_11target_archE1100ELNS1_3gpuE3ELNS1_3repE0EEENS1_30default_config_static_selectorELNS0_4arch9wavefront6targetE1EEEvT1_: ; @_ZN7rocprim17ROCPRIM_400000_NS6detail17trampoline_kernelINS0_14default_configENS1_25transform_config_selectorIiLb0EEEZNS1_14transform_implILb0ES3_S5_PiN6thrust23THRUST_200600_302600_NS6detail15normal_iteratorINS9_10device_ptrIiEEEENS0_8identityIiEEEE10hipError_tT2_T3_mT4_P12ihipStream_tbEUlT_E_NS1_11comp_targetILNS1_3genE9ELNS1_11target_archE1100ELNS1_3gpuE3ELNS1_3repE0EEENS1_30default_config_static_selectorELNS0_4arch9wavefront6targetE1EEEvT1_
; %bb.0:
	.section	.rodata,"a",@progbits
	.p2align	6, 0x0
	.amdhsa_kernel _ZN7rocprim17ROCPRIM_400000_NS6detail17trampoline_kernelINS0_14default_configENS1_25transform_config_selectorIiLb0EEEZNS1_14transform_implILb0ES3_S5_PiN6thrust23THRUST_200600_302600_NS6detail15normal_iteratorINS9_10device_ptrIiEEEENS0_8identityIiEEEE10hipError_tT2_T3_mT4_P12ihipStream_tbEUlT_E_NS1_11comp_targetILNS1_3genE9ELNS1_11target_archE1100ELNS1_3gpuE3ELNS1_3repE0EEENS1_30default_config_static_selectorELNS0_4arch9wavefront6targetE1EEEvT1_
		.amdhsa_group_segment_fixed_size 0
		.amdhsa_private_segment_fixed_size 0
		.amdhsa_kernarg_size 40
		.amdhsa_user_sgpr_count 2
		.amdhsa_user_sgpr_dispatch_ptr 0
		.amdhsa_user_sgpr_queue_ptr 0
		.amdhsa_user_sgpr_kernarg_segment_ptr 1
		.amdhsa_user_sgpr_dispatch_id 0
		.amdhsa_user_sgpr_kernarg_preload_length 0
		.amdhsa_user_sgpr_kernarg_preload_offset 0
		.amdhsa_user_sgpr_private_segment_size 0
		.amdhsa_uses_dynamic_stack 0
		.amdhsa_enable_private_segment 0
		.amdhsa_system_sgpr_workgroup_id_x 1
		.amdhsa_system_sgpr_workgroup_id_y 0
		.amdhsa_system_sgpr_workgroup_id_z 0
		.amdhsa_system_sgpr_workgroup_info 0
		.amdhsa_system_vgpr_workitem_id 0
		.amdhsa_next_free_vgpr 1
		.amdhsa_next_free_sgpr 0
		.amdhsa_accum_offset 4
		.amdhsa_reserve_vcc 0
		.amdhsa_float_round_mode_32 0
		.amdhsa_float_round_mode_16_64 0
		.amdhsa_float_denorm_mode_32 3
		.amdhsa_float_denorm_mode_16_64 3
		.amdhsa_dx10_clamp 1
		.amdhsa_ieee_mode 1
		.amdhsa_fp16_overflow 0
		.amdhsa_tg_split 0
		.amdhsa_exception_fp_ieee_invalid_op 0
		.amdhsa_exception_fp_denorm_src 0
		.amdhsa_exception_fp_ieee_div_zero 0
		.amdhsa_exception_fp_ieee_overflow 0
		.amdhsa_exception_fp_ieee_underflow 0
		.amdhsa_exception_fp_ieee_inexact 0
		.amdhsa_exception_int_div_zero 0
	.end_amdhsa_kernel
	.section	.text._ZN7rocprim17ROCPRIM_400000_NS6detail17trampoline_kernelINS0_14default_configENS1_25transform_config_selectorIiLb0EEEZNS1_14transform_implILb0ES3_S5_PiN6thrust23THRUST_200600_302600_NS6detail15normal_iteratorINS9_10device_ptrIiEEEENS0_8identityIiEEEE10hipError_tT2_T3_mT4_P12ihipStream_tbEUlT_E_NS1_11comp_targetILNS1_3genE9ELNS1_11target_archE1100ELNS1_3gpuE3ELNS1_3repE0EEENS1_30default_config_static_selectorELNS0_4arch9wavefront6targetE1EEEvT1_,"axG",@progbits,_ZN7rocprim17ROCPRIM_400000_NS6detail17trampoline_kernelINS0_14default_configENS1_25transform_config_selectorIiLb0EEEZNS1_14transform_implILb0ES3_S5_PiN6thrust23THRUST_200600_302600_NS6detail15normal_iteratorINS9_10device_ptrIiEEEENS0_8identityIiEEEE10hipError_tT2_T3_mT4_P12ihipStream_tbEUlT_E_NS1_11comp_targetILNS1_3genE9ELNS1_11target_archE1100ELNS1_3gpuE3ELNS1_3repE0EEENS1_30default_config_static_selectorELNS0_4arch9wavefront6targetE1EEEvT1_,comdat
.Lfunc_end74:
	.size	_ZN7rocprim17ROCPRIM_400000_NS6detail17trampoline_kernelINS0_14default_configENS1_25transform_config_selectorIiLb0EEEZNS1_14transform_implILb0ES3_S5_PiN6thrust23THRUST_200600_302600_NS6detail15normal_iteratorINS9_10device_ptrIiEEEENS0_8identityIiEEEE10hipError_tT2_T3_mT4_P12ihipStream_tbEUlT_E_NS1_11comp_targetILNS1_3genE9ELNS1_11target_archE1100ELNS1_3gpuE3ELNS1_3repE0EEENS1_30default_config_static_selectorELNS0_4arch9wavefront6targetE1EEEvT1_, .Lfunc_end74-_ZN7rocprim17ROCPRIM_400000_NS6detail17trampoline_kernelINS0_14default_configENS1_25transform_config_selectorIiLb0EEEZNS1_14transform_implILb0ES3_S5_PiN6thrust23THRUST_200600_302600_NS6detail15normal_iteratorINS9_10device_ptrIiEEEENS0_8identityIiEEEE10hipError_tT2_T3_mT4_P12ihipStream_tbEUlT_E_NS1_11comp_targetILNS1_3genE9ELNS1_11target_archE1100ELNS1_3gpuE3ELNS1_3repE0EEENS1_30default_config_static_selectorELNS0_4arch9wavefront6targetE1EEEvT1_
                                        ; -- End function
	.set _ZN7rocprim17ROCPRIM_400000_NS6detail17trampoline_kernelINS0_14default_configENS1_25transform_config_selectorIiLb0EEEZNS1_14transform_implILb0ES3_S5_PiN6thrust23THRUST_200600_302600_NS6detail15normal_iteratorINS9_10device_ptrIiEEEENS0_8identityIiEEEE10hipError_tT2_T3_mT4_P12ihipStream_tbEUlT_E_NS1_11comp_targetILNS1_3genE9ELNS1_11target_archE1100ELNS1_3gpuE3ELNS1_3repE0EEENS1_30default_config_static_selectorELNS0_4arch9wavefront6targetE1EEEvT1_.num_vgpr, 0
	.set _ZN7rocprim17ROCPRIM_400000_NS6detail17trampoline_kernelINS0_14default_configENS1_25transform_config_selectorIiLb0EEEZNS1_14transform_implILb0ES3_S5_PiN6thrust23THRUST_200600_302600_NS6detail15normal_iteratorINS9_10device_ptrIiEEEENS0_8identityIiEEEE10hipError_tT2_T3_mT4_P12ihipStream_tbEUlT_E_NS1_11comp_targetILNS1_3genE9ELNS1_11target_archE1100ELNS1_3gpuE3ELNS1_3repE0EEENS1_30default_config_static_selectorELNS0_4arch9wavefront6targetE1EEEvT1_.num_agpr, 0
	.set _ZN7rocprim17ROCPRIM_400000_NS6detail17trampoline_kernelINS0_14default_configENS1_25transform_config_selectorIiLb0EEEZNS1_14transform_implILb0ES3_S5_PiN6thrust23THRUST_200600_302600_NS6detail15normal_iteratorINS9_10device_ptrIiEEEENS0_8identityIiEEEE10hipError_tT2_T3_mT4_P12ihipStream_tbEUlT_E_NS1_11comp_targetILNS1_3genE9ELNS1_11target_archE1100ELNS1_3gpuE3ELNS1_3repE0EEENS1_30default_config_static_selectorELNS0_4arch9wavefront6targetE1EEEvT1_.numbered_sgpr, 0
	.set _ZN7rocprim17ROCPRIM_400000_NS6detail17trampoline_kernelINS0_14default_configENS1_25transform_config_selectorIiLb0EEEZNS1_14transform_implILb0ES3_S5_PiN6thrust23THRUST_200600_302600_NS6detail15normal_iteratorINS9_10device_ptrIiEEEENS0_8identityIiEEEE10hipError_tT2_T3_mT4_P12ihipStream_tbEUlT_E_NS1_11comp_targetILNS1_3genE9ELNS1_11target_archE1100ELNS1_3gpuE3ELNS1_3repE0EEENS1_30default_config_static_selectorELNS0_4arch9wavefront6targetE1EEEvT1_.num_named_barrier, 0
	.set _ZN7rocprim17ROCPRIM_400000_NS6detail17trampoline_kernelINS0_14default_configENS1_25transform_config_selectorIiLb0EEEZNS1_14transform_implILb0ES3_S5_PiN6thrust23THRUST_200600_302600_NS6detail15normal_iteratorINS9_10device_ptrIiEEEENS0_8identityIiEEEE10hipError_tT2_T3_mT4_P12ihipStream_tbEUlT_E_NS1_11comp_targetILNS1_3genE9ELNS1_11target_archE1100ELNS1_3gpuE3ELNS1_3repE0EEENS1_30default_config_static_selectorELNS0_4arch9wavefront6targetE1EEEvT1_.private_seg_size, 0
	.set _ZN7rocprim17ROCPRIM_400000_NS6detail17trampoline_kernelINS0_14default_configENS1_25transform_config_selectorIiLb0EEEZNS1_14transform_implILb0ES3_S5_PiN6thrust23THRUST_200600_302600_NS6detail15normal_iteratorINS9_10device_ptrIiEEEENS0_8identityIiEEEE10hipError_tT2_T3_mT4_P12ihipStream_tbEUlT_E_NS1_11comp_targetILNS1_3genE9ELNS1_11target_archE1100ELNS1_3gpuE3ELNS1_3repE0EEENS1_30default_config_static_selectorELNS0_4arch9wavefront6targetE1EEEvT1_.uses_vcc, 0
	.set _ZN7rocprim17ROCPRIM_400000_NS6detail17trampoline_kernelINS0_14default_configENS1_25transform_config_selectorIiLb0EEEZNS1_14transform_implILb0ES3_S5_PiN6thrust23THRUST_200600_302600_NS6detail15normal_iteratorINS9_10device_ptrIiEEEENS0_8identityIiEEEE10hipError_tT2_T3_mT4_P12ihipStream_tbEUlT_E_NS1_11comp_targetILNS1_3genE9ELNS1_11target_archE1100ELNS1_3gpuE3ELNS1_3repE0EEENS1_30default_config_static_selectorELNS0_4arch9wavefront6targetE1EEEvT1_.uses_flat_scratch, 0
	.set _ZN7rocprim17ROCPRIM_400000_NS6detail17trampoline_kernelINS0_14default_configENS1_25transform_config_selectorIiLb0EEEZNS1_14transform_implILb0ES3_S5_PiN6thrust23THRUST_200600_302600_NS6detail15normal_iteratorINS9_10device_ptrIiEEEENS0_8identityIiEEEE10hipError_tT2_T3_mT4_P12ihipStream_tbEUlT_E_NS1_11comp_targetILNS1_3genE9ELNS1_11target_archE1100ELNS1_3gpuE3ELNS1_3repE0EEENS1_30default_config_static_selectorELNS0_4arch9wavefront6targetE1EEEvT1_.has_dyn_sized_stack, 0
	.set _ZN7rocprim17ROCPRIM_400000_NS6detail17trampoline_kernelINS0_14default_configENS1_25transform_config_selectorIiLb0EEEZNS1_14transform_implILb0ES3_S5_PiN6thrust23THRUST_200600_302600_NS6detail15normal_iteratorINS9_10device_ptrIiEEEENS0_8identityIiEEEE10hipError_tT2_T3_mT4_P12ihipStream_tbEUlT_E_NS1_11comp_targetILNS1_3genE9ELNS1_11target_archE1100ELNS1_3gpuE3ELNS1_3repE0EEENS1_30default_config_static_selectorELNS0_4arch9wavefront6targetE1EEEvT1_.has_recursion, 0
	.set _ZN7rocprim17ROCPRIM_400000_NS6detail17trampoline_kernelINS0_14default_configENS1_25transform_config_selectorIiLb0EEEZNS1_14transform_implILb0ES3_S5_PiN6thrust23THRUST_200600_302600_NS6detail15normal_iteratorINS9_10device_ptrIiEEEENS0_8identityIiEEEE10hipError_tT2_T3_mT4_P12ihipStream_tbEUlT_E_NS1_11comp_targetILNS1_3genE9ELNS1_11target_archE1100ELNS1_3gpuE3ELNS1_3repE0EEENS1_30default_config_static_selectorELNS0_4arch9wavefront6targetE1EEEvT1_.has_indirect_call, 0
	.section	.AMDGPU.csdata,"",@progbits
; Kernel info:
; codeLenInByte = 0
; TotalNumSgprs: 6
; NumVgprs: 0
; NumAgprs: 0
; TotalNumVgprs: 0
; ScratchSize: 0
; MemoryBound: 0
; FloatMode: 240
; IeeeMode: 1
; LDSByteSize: 0 bytes/workgroup (compile time only)
; SGPRBlocks: 0
; VGPRBlocks: 0
; NumSGPRsForWavesPerEU: 6
; NumVGPRsForWavesPerEU: 1
; AccumOffset: 4
; Occupancy: 8
; WaveLimiterHint : 0
; COMPUTE_PGM_RSRC2:SCRATCH_EN: 0
; COMPUTE_PGM_RSRC2:USER_SGPR: 2
; COMPUTE_PGM_RSRC2:TRAP_HANDLER: 0
; COMPUTE_PGM_RSRC2:TGID_X_EN: 1
; COMPUTE_PGM_RSRC2:TGID_Y_EN: 0
; COMPUTE_PGM_RSRC2:TGID_Z_EN: 0
; COMPUTE_PGM_RSRC2:TIDIG_COMP_CNT: 0
; COMPUTE_PGM_RSRC3_GFX90A:ACCUM_OFFSET: 0
; COMPUTE_PGM_RSRC3_GFX90A:TG_SPLIT: 0
	.section	.text._ZN7rocprim17ROCPRIM_400000_NS6detail17trampoline_kernelINS0_14default_configENS1_25transform_config_selectorIiLb0EEEZNS1_14transform_implILb0ES3_S5_PiN6thrust23THRUST_200600_302600_NS6detail15normal_iteratorINS9_10device_ptrIiEEEENS0_8identityIiEEEE10hipError_tT2_T3_mT4_P12ihipStream_tbEUlT_E_NS1_11comp_targetILNS1_3genE8ELNS1_11target_archE1030ELNS1_3gpuE2ELNS1_3repE0EEENS1_30default_config_static_selectorELNS0_4arch9wavefront6targetE1EEEvT1_,"axG",@progbits,_ZN7rocprim17ROCPRIM_400000_NS6detail17trampoline_kernelINS0_14default_configENS1_25transform_config_selectorIiLb0EEEZNS1_14transform_implILb0ES3_S5_PiN6thrust23THRUST_200600_302600_NS6detail15normal_iteratorINS9_10device_ptrIiEEEENS0_8identityIiEEEE10hipError_tT2_T3_mT4_P12ihipStream_tbEUlT_E_NS1_11comp_targetILNS1_3genE8ELNS1_11target_archE1030ELNS1_3gpuE2ELNS1_3repE0EEENS1_30default_config_static_selectorELNS0_4arch9wavefront6targetE1EEEvT1_,comdat
	.protected	_ZN7rocprim17ROCPRIM_400000_NS6detail17trampoline_kernelINS0_14default_configENS1_25transform_config_selectorIiLb0EEEZNS1_14transform_implILb0ES3_S5_PiN6thrust23THRUST_200600_302600_NS6detail15normal_iteratorINS9_10device_ptrIiEEEENS0_8identityIiEEEE10hipError_tT2_T3_mT4_P12ihipStream_tbEUlT_E_NS1_11comp_targetILNS1_3genE8ELNS1_11target_archE1030ELNS1_3gpuE2ELNS1_3repE0EEENS1_30default_config_static_selectorELNS0_4arch9wavefront6targetE1EEEvT1_ ; -- Begin function _ZN7rocprim17ROCPRIM_400000_NS6detail17trampoline_kernelINS0_14default_configENS1_25transform_config_selectorIiLb0EEEZNS1_14transform_implILb0ES3_S5_PiN6thrust23THRUST_200600_302600_NS6detail15normal_iteratorINS9_10device_ptrIiEEEENS0_8identityIiEEEE10hipError_tT2_T3_mT4_P12ihipStream_tbEUlT_E_NS1_11comp_targetILNS1_3genE8ELNS1_11target_archE1030ELNS1_3gpuE2ELNS1_3repE0EEENS1_30default_config_static_selectorELNS0_4arch9wavefront6targetE1EEEvT1_
	.globl	_ZN7rocprim17ROCPRIM_400000_NS6detail17trampoline_kernelINS0_14default_configENS1_25transform_config_selectorIiLb0EEEZNS1_14transform_implILb0ES3_S5_PiN6thrust23THRUST_200600_302600_NS6detail15normal_iteratorINS9_10device_ptrIiEEEENS0_8identityIiEEEE10hipError_tT2_T3_mT4_P12ihipStream_tbEUlT_E_NS1_11comp_targetILNS1_3genE8ELNS1_11target_archE1030ELNS1_3gpuE2ELNS1_3repE0EEENS1_30default_config_static_selectorELNS0_4arch9wavefront6targetE1EEEvT1_
	.p2align	8
	.type	_ZN7rocprim17ROCPRIM_400000_NS6detail17trampoline_kernelINS0_14default_configENS1_25transform_config_selectorIiLb0EEEZNS1_14transform_implILb0ES3_S5_PiN6thrust23THRUST_200600_302600_NS6detail15normal_iteratorINS9_10device_ptrIiEEEENS0_8identityIiEEEE10hipError_tT2_T3_mT4_P12ihipStream_tbEUlT_E_NS1_11comp_targetILNS1_3genE8ELNS1_11target_archE1030ELNS1_3gpuE2ELNS1_3repE0EEENS1_30default_config_static_selectorELNS0_4arch9wavefront6targetE1EEEvT1_,@function
_ZN7rocprim17ROCPRIM_400000_NS6detail17trampoline_kernelINS0_14default_configENS1_25transform_config_selectorIiLb0EEEZNS1_14transform_implILb0ES3_S5_PiN6thrust23THRUST_200600_302600_NS6detail15normal_iteratorINS9_10device_ptrIiEEEENS0_8identityIiEEEE10hipError_tT2_T3_mT4_P12ihipStream_tbEUlT_E_NS1_11comp_targetILNS1_3genE8ELNS1_11target_archE1030ELNS1_3gpuE2ELNS1_3repE0EEENS1_30default_config_static_selectorELNS0_4arch9wavefront6targetE1EEEvT1_: ; @_ZN7rocprim17ROCPRIM_400000_NS6detail17trampoline_kernelINS0_14default_configENS1_25transform_config_selectorIiLb0EEEZNS1_14transform_implILb0ES3_S5_PiN6thrust23THRUST_200600_302600_NS6detail15normal_iteratorINS9_10device_ptrIiEEEENS0_8identityIiEEEE10hipError_tT2_T3_mT4_P12ihipStream_tbEUlT_E_NS1_11comp_targetILNS1_3genE8ELNS1_11target_archE1030ELNS1_3gpuE2ELNS1_3repE0EEENS1_30default_config_static_selectorELNS0_4arch9wavefront6targetE1EEEvT1_
; %bb.0:
	.section	.rodata,"a",@progbits
	.p2align	6, 0x0
	.amdhsa_kernel _ZN7rocprim17ROCPRIM_400000_NS6detail17trampoline_kernelINS0_14default_configENS1_25transform_config_selectorIiLb0EEEZNS1_14transform_implILb0ES3_S5_PiN6thrust23THRUST_200600_302600_NS6detail15normal_iteratorINS9_10device_ptrIiEEEENS0_8identityIiEEEE10hipError_tT2_T3_mT4_P12ihipStream_tbEUlT_E_NS1_11comp_targetILNS1_3genE8ELNS1_11target_archE1030ELNS1_3gpuE2ELNS1_3repE0EEENS1_30default_config_static_selectorELNS0_4arch9wavefront6targetE1EEEvT1_
		.amdhsa_group_segment_fixed_size 0
		.amdhsa_private_segment_fixed_size 0
		.amdhsa_kernarg_size 40
		.amdhsa_user_sgpr_count 2
		.amdhsa_user_sgpr_dispatch_ptr 0
		.amdhsa_user_sgpr_queue_ptr 0
		.amdhsa_user_sgpr_kernarg_segment_ptr 1
		.amdhsa_user_sgpr_dispatch_id 0
		.amdhsa_user_sgpr_kernarg_preload_length 0
		.amdhsa_user_sgpr_kernarg_preload_offset 0
		.amdhsa_user_sgpr_private_segment_size 0
		.amdhsa_uses_dynamic_stack 0
		.amdhsa_enable_private_segment 0
		.amdhsa_system_sgpr_workgroup_id_x 1
		.amdhsa_system_sgpr_workgroup_id_y 0
		.amdhsa_system_sgpr_workgroup_id_z 0
		.amdhsa_system_sgpr_workgroup_info 0
		.amdhsa_system_vgpr_workitem_id 0
		.amdhsa_next_free_vgpr 1
		.amdhsa_next_free_sgpr 0
		.amdhsa_accum_offset 4
		.amdhsa_reserve_vcc 0
		.amdhsa_float_round_mode_32 0
		.amdhsa_float_round_mode_16_64 0
		.amdhsa_float_denorm_mode_32 3
		.amdhsa_float_denorm_mode_16_64 3
		.amdhsa_dx10_clamp 1
		.amdhsa_ieee_mode 1
		.amdhsa_fp16_overflow 0
		.amdhsa_tg_split 0
		.amdhsa_exception_fp_ieee_invalid_op 0
		.amdhsa_exception_fp_denorm_src 0
		.amdhsa_exception_fp_ieee_div_zero 0
		.amdhsa_exception_fp_ieee_overflow 0
		.amdhsa_exception_fp_ieee_underflow 0
		.amdhsa_exception_fp_ieee_inexact 0
		.amdhsa_exception_int_div_zero 0
	.end_amdhsa_kernel
	.section	.text._ZN7rocprim17ROCPRIM_400000_NS6detail17trampoline_kernelINS0_14default_configENS1_25transform_config_selectorIiLb0EEEZNS1_14transform_implILb0ES3_S5_PiN6thrust23THRUST_200600_302600_NS6detail15normal_iteratorINS9_10device_ptrIiEEEENS0_8identityIiEEEE10hipError_tT2_T3_mT4_P12ihipStream_tbEUlT_E_NS1_11comp_targetILNS1_3genE8ELNS1_11target_archE1030ELNS1_3gpuE2ELNS1_3repE0EEENS1_30default_config_static_selectorELNS0_4arch9wavefront6targetE1EEEvT1_,"axG",@progbits,_ZN7rocprim17ROCPRIM_400000_NS6detail17trampoline_kernelINS0_14default_configENS1_25transform_config_selectorIiLb0EEEZNS1_14transform_implILb0ES3_S5_PiN6thrust23THRUST_200600_302600_NS6detail15normal_iteratorINS9_10device_ptrIiEEEENS0_8identityIiEEEE10hipError_tT2_T3_mT4_P12ihipStream_tbEUlT_E_NS1_11comp_targetILNS1_3genE8ELNS1_11target_archE1030ELNS1_3gpuE2ELNS1_3repE0EEENS1_30default_config_static_selectorELNS0_4arch9wavefront6targetE1EEEvT1_,comdat
.Lfunc_end75:
	.size	_ZN7rocprim17ROCPRIM_400000_NS6detail17trampoline_kernelINS0_14default_configENS1_25transform_config_selectorIiLb0EEEZNS1_14transform_implILb0ES3_S5_PiN6thrust23THRUST_200600_302600_NS6detail15normal_iteratorINS9_10device_ptrIiEEEENS0_8identityIiEEEE10hipError_tT2_T3_mT4_P12ihipStream_tbEUlT_E_NS1_11comp_targetILNS1_3genE8ELNS1_11target_archE1030ELNS1_3gpuE2ELNS1_3repE0EEENS1_30default_config_static_selectorELNS0_4arch9wavefront6targetE1EEEvT1_, .Lfunc_end75-_ZN7rocprim17ROCPRIM_400000_NS6detail17trampoline_kernelINS0_14default_configENS1_25transform_config_selectorIiLb0EEEZNS1_14transform_implILb0ES3_S5_PiN6thrust23THRUST_200600_302600_NS6detail15normal_iteratorINS9_10device_ptrIiEEEENS0_8identityIiEEEE10hipError_tT2_T3_mT4_P12ihipStream_tbEUlT_E_NS1_11comp_targetILNS1_3genE8ELNS1_11target_archE1030ELNS1_3gpuE2ELNS1_3repE0EEENS1_30default_config_static_selectorELNS0_4arch9wavefront6targetE1EEEvT1_
                                        ; -- End function
	.set _ZN7rocprim17ROCPRIM_400000_NS6detail17trampoline_kernelINS0_14default_configENS1_25transform_config_selectorIiLb0EEEZNS1_14transform_implILb0ES3_S5_PiN6thrust23THRUST_200600_302600_NS6detail15normal_iteratorINS9_10device_ptrIiEEEENS0_8identityIiEEEE10hipError_tT2_T3_mT4_P12ihipStream_tbEUlT_E_NS1_11comp_targetILNS1_3genE8ELNS1_11target_archE1030ELNS1_3gpuE2ELNS1_3repE0EEENS1_30default_config_static_selectorELNS0_4arch9wavefront6targetE1EEEvT1_.num_vgpr, 0
	.set _ZN7rocprim17ROCPRIM_400000_NS6detail17trampoline_kernelINS0_14default_configENS1_25transform_config_selectorIiLb0EEEZNS1_14transform_implILb0ES3_S5_PiN6thrust23THRUST_200600_302600_NS6detail15normal_iteratorINS9_10device_ptrIiEEEENS0_8identityIiEEEE10hipError_tT2_T3_mT4_P12ihipStream_tbEUlT_E_NS1_11comp_targetILNS1_3genE8ELNS1_11target_archE1030ELNS1_3gpuE2ELNS1_3repE0EEENS1_30default_config_static_selectorELNS0_4arch9wavefront6targetE1EEEvT1_.num_agpr, 0
	.set _ZN7rocprim17ROCPRIM_400000_NS6detail17trampoline_kernelINS0_14default_configENS1_25transform_config_selectorIiLb0EEEZNS1_14transform_implILb0ES3_S5_PiN6thrust23THRUST_200600_302600_NS6detail15normal_iteratorINS9_10device_ptrIiEEEENS0_8identityIiEEEE10hipError_tT2_T3_mT4_P12ihipStream_tbEUlT_E_NS1_11comp_targetILNS1_3genE8ELNS1_11target_archE1030ELNS1_3gpuE2ELNS1_3repE0EEENS1_30default_config_static_selectorELNS0_4arch9wavefront6targetE1EEEvT1_.numbered_sgpr, 0
	.set _ZN7rocprim17ROCPRIM_400000_NS6detail17trampoline_kernelINS0_14default_configENS1_25transform_config_selectorIiLb0EEEZNS1_14transform_implILb0ES3_S5_PiN6thrust23THRUST_200600_302600_NS6detail15normal_iteratorINS9_10device_ptrIiEEEENS0_8identityIiEEEE10hipError_tT2_T3_mT4_P12ihipStream_tbEUlT_E_NS1_11comp_targetILNS1_3genE8ELNS1_11target_archE1030ELNS1_3gpuE2ELNS1_3repE0EEENS1_30default_config_static_selectorELNS0_4arch9wavefront6targetE1EEEvT1_.num_named_barrier, 0
	.set _ZN7rocprim17ROCPRIM_400000_NS6detail17trampoline_kernelINS0_14default_configENS1_25transform_config_selectorIiLb0EEEZNS1_14transform_implILb0ES3_S5_PiN6thrust23THRUST_200600_302600_NS6detail15normal_iteratorINS9_10device_ptrIiEEEENS0_8identityIiEEEE10hipError_tT2_T3_mT4_P12ihipStream_tbEUlT_E_NS1_11comp_targetILNS1_3genE8ELNS1_11target_archE1030ELNS1_3gpuE2ELNS1_3repE0EEENS1_30default_config_static_selectorELNS0_4arch9wavefront6targetE1EEEvT1_.private_seg_size, 0
	.set _ZN7rocprim17ROCPRIM_400000_NS6detail17trampoline_kernelINS0_14default_configENS1_25transform_config_selectorIiLb0EEEZNS1_14transform_implILb0ES3_S5_PiN6thrust23THRUST_200600_302600_NS6detail15normal_iteratorINS9_10device_ptrIiEEEENS0_8identityIiEEEE10hipError_tT2_T3_mT4_P12ihipStream_tbEUlT_E_NS1_11comp_targetILNS1_3genE8ELNS1_11target_archE1030ELNS1_3gpuE2ELNS1_3repE0EEENS1_30default_config_static_selectorELNS0_4arch9wavefront6targetE1EEEvT1_.uses_vcc, 0
	.set _ZN7rocprim17ROCPRIM_400000_NS6detail17trampoline_kernelINS0_14default_configENS1_25transform_config_selectorIiLb0EEEZNS1_14transform_implILb0ES3_S5_PiN6thrust23THRUST_200600_302600_NS6detail15normal_iteratorINS9_10device_ptrIiEEEENS0_8identityIiEEEE10hipError_tT2_T3_mT4_P12ihipStream_tbEUlT_E_NS1_11comp_targetILNS1_3genE8ELNS1_11target_archE1030ELNS1_3gpuE2ELNS1_3repE0EEENS1_30default_config_static_selectorELNS0_4arch9wavefront6targetE1EEEvT1_.uses_flat_scratch, 0
	.set _ZN7rocprim17ROCPRIM_400000_NS6detail17trampoline_kernelINS0_14default_configENS1_25transform_config_selectorIiLb0EEEZNS1_14transform_implILb0ES3_S5_PiN6thrust23THRUST_200600_302600_NS6detail15normal_iteratorINS9_10device_ptrIiEEEENS0_8identityIiEEEE10hipError_tT2_T3_mT4_P12ihipStream_tbEUlT_E_NS1_11comp_targetILNS1_3genE8ELNS1_11target_archE1030ELNS1_3gpuE2ELNS1_3repE0EEENS1_30default_config_static_selectorELNS0_4arch9wavefront6targetE1EEEvT1_.has_dyn_sized_stack, 0
	.set _ZN7rocprim17ROCPRIM_400000_NS6detail17trampoline_kernelINS0_14default_configENS1_25transform_config_selectorIiLb0EEEZNS1_14transform_implILb0ES3_S5_PiN6thrust23THRUST_200600_302600_NS6detail15normal_iteratorINS9_10device_ptrIiEEEENS0_8identityIiEEEE10hipError_tT2_T3_mT4_P12ihipStream_tbEUlT_E_NS1_11comp_targetILNS1_3genE8ELNS1_11target_archE1030ELNS1_3gpuE2ELNS1_3repE0EEENS1_30default_config_static_selectorELNS0_4arch9wavefront6targetE1EEEvT1_.has_recursion, 0
	.set _ZN7rocprim17ROCPRIM_400000_NS6detail17trampoline_kernelINS0_14default_configENS1_25transform_config_selectorIiLb0EEEZNS1_14transform_implILb0ES3_S5_PiN6thrust23THRUST_200600_302600_NS6detail15normal_iteratorINS9_10device_ptrIiEEEENS0_8identityIiEEEE10hipError_tT2_T3_mT4_P12ihipStream_tbEUlT_E_NS1_11comp_targetILNS1_3genE8ELNS1_11target_archE1030ELNS1_3gpuE2ELNS1_3repE0EEENS1_30default_config_static_selectorELNS0_4arch9wavefront6targetE1EEEvT1_.has_indirect_call, 0
	.section	.AMDGPU.csdata,"",@progbits
; Kernel info:
; codeLenInByte = 0
; TotalNumSgprs: 6
; NumVgprs: 0
; NumAgprs: 0
; TotalNumVgprs: 0
; ScratchSize: 0
; MemoryBound: 0
; FloatMode: 240
; IeeeMode: 1
; LDSByteSize: 0 bytes/workgroup (compile time only)
; SGPRBlocks: 0
; VGPRBlocks: 0
; NumSGPRsForWavesPerEU: 6
; NumVGPRsForWavesPerEU: 1
; AccumOffset: 4
; Occupancy: 8
; WaveLimiterHint : 0
; COMPUTE_PGM_RSRC2:SCRATCH_EN: 0
; COMPUTE_PGM_RSRC2:USER_SGPR: 2
; COMPUTE_PGM_RSRC2:TRAP_HANDLER: 0
; COMPUTE_PGM_RSRC2:TGID_X_EN: 1
; COMPUTE_PGM_RSRC2:TGID_Y_EN: 0
; COMPUTE_PGM_RSRC2:TGID_Z_EN: 0
; COMPUTE_PGM_RSRC2:TIDIG_COMP_CNT: 0
; COMPUTE_PGM_RSRC3_GFX90A:ACCUM_OFFSET: 0
; COMPUTE_PGM_RSRC3_GFX90A:TG_SPLIT: 0
	.section	.text._ZN7rocprim17ROCPRIM_400000_NS6detail17trampoline_kernelINS0_14default_configENS1_25transform_config_selectorINS0_10empty_typeELb1EEEZNS1_14transform_implILb1ES3_S6_PS5_S8_NS0_8identityIS5_EEEE10hipError_tT2_T3_mT4_P12ihipStream_tbEUlT_E_NS1_11comp_targetILNS1_3genE0ELNS1_11target_archE4294967295ELNS1_3gpuE0ELNS1_3repE0EEENS1_30default_config_static_selectorELNS0_4arch9wavefront6targetE1EEEvT1_,"axG",@progbits,_ZN7rocprim17ROCPRIM_400000_NS6detail17trampoline_kernelINS0_14default_configENS1_25transform_config_selectorINS0_10empty_typeELb1EEEZNS1_14transform_implILb1ES3_S6_PS5_S8_NS0_8identityIS5_EEEE10hipError_tT2_T3_mT4_P12ihipStream_tbEUlT_E_NS1_11comp_targetILNS1_3genE0ELNS1_11target_archE4294967295ELNS1_3gpuE0ELNS1_3repE0EEENS1_30default_config_static_selectorELNS0_4arch9wavefront6targetE1EEEvT1_,comdat
	.protected	_ZN7rocprim17ROCPRIM_400000_NS6detail17trampoline_kernelINS0_14default_configENS1_25transform_config_selectorINS0_10empty_typeELb1EEEZNS1_14transform_implILb1ES3_S6_PS5_S8_NS0_8identityIS5_EEEE10hipError_tT2_T3_mT4_P12ihipStream_tbEUlT_E_NS1_11comp_targetILNS1_3genE0ELNS1_11target_archE4294967295ELNS1_3gpuE0ELNS1_3repE0EEENS1_30default_config_static_selectorELNS0_4arch9wavefront6targetE1EEEvT1_ ; -- Begin function _ZN7rocprim17ROCPRIM_400000_NS6detail17trampoline_kernelINS0_14default_configENS1_25transform_config_selectorINS0_10empty_typeELb1EEEZNS1_14transform_implILb1ES3_S6_PS5_S8_NS0_8identityIS5_EEEE10hipError_tT2_T3_mT4_P12ihipStream_tbEUlT_E_NS1_11comp_targetILNS1_3genE0ELNS1_11target_archE4294967295ELNS1_3gpuE0ELNS1_3repE0EEENS1_30default_config_static_selectorELNS0_4arch9wavefront6targetE1EEEvT1_
	.globl	_ZN7rocprim17ROCPRIM_400000_NS6detail17trampoline_kernelINS0_14default_configENS1_25transform_config_selectorINS0_10empty_typeELb1EEEZNS1_14transform_implILb1ES3_S6_PS5_S8_NS0_8identityIS5_EEEE10hipError_tT2_T3_mT4_P12ihipStream_tbEUlT_E_NS1_11comp_targetILNS1_3genE0ELNS1_11target_archE4294967295ELNS1_3gpuE0ELNS1_3repE0EEENS1_30default_config_static_selectorELNS0_4arch9wavefront6targetE1EEEvT1_
	.p2align	8
	.type	_ZN7rocprim17ROCPRIM_400000_NS6detail17trampoline_kernelINS0_14default_configENS1_25transform_config_selectorINS0_10empty_typeELb1EEEZNS1_14transform_implILb1ES3_S6_PS5_S8_NS0_8identityIS5_EEEE10hipError_tT2_T3_mT4_P12ihipStream_tbEUlT_E_NS1_11comp_targetILNS1_3genE0ELNS1_11target_archE4294967295ELNS1_3gpuE0ELNS1_3repE0EEENS1_30default_config_static_selectorELNS0_4arch9wavefront6targetE1EEEvT1_,@function
_ZN7rocprim17ROCPRIM_400000_NS6detail17trampoline_kernelINS0_14default_configENS1_25transform_config_selectorINS0_10empty_typeELb1EEEZNS1_14transform_implILb1ES3_S6_PS5_S8_NS0_8identityIS5_EEEE10hipError_tT2_T3_mT4_P12ihipStream_tbEUlT_E_NS1_11comp_targetILNS1_3genE0ELNS1_11target_archE4294967295ELNS1_3gpuE0ELNS1_3repE0EEENS1_30default_config_static_selectorELNS0_4arch9wavefront6targetE1EEEvT1_: ; @_ZN7rocprim17ROCPRIM_400000_NS6detail17trampoline_kernelINS0_14default_configENS1_25transform_config_selectorINS0_10empty_typeELb1EEEZNS1_14transform_implILb1ES3_S6_PS5_S8_NS0_8identityIS5_EEEE10hipError_tT2_T3_mT4_P12ihipStream_tbEUlT_E_NS1_11comp_targetILNS1_3genE0ELNS1_11target_archE4294967295ELNS1_3gpuE0ELNS1_3repE0EEENS1_30default_config_static_selectorELNS0_4arch9wavefront6targetE1EEEvT1_
; %bb.0:
	s_endpgm
	.section	.rodata,"a",@progbits
	.p2align	6, 0x0
	.amdhsa_kernel _ZN7rocprim17ROCPRIM_400000_NS6detail17trampoline_kernelINS0_14default_configENS1_25transform_config_selectorINS0_10empty_typeELb1EEEZNS1_14transform_implILb1ES3_S6_PS5_S8_NS0_8identityIS5_EEEE10hipError_tT2_T3_mT4_P12ihipStream_tbEUlT_E_NS1_11comp_targetILNS1_3genE0ELNS1_11target_archE4294967295ELNS1_3gpuE0ELNS1_3repE0EEENS1_30default_config_static_selectorELNS0_4arch9wavefront6targetE1EEEvT1_
		.amdhsa_group_segment_fixed_size 0
		.amdhsa_private_segment_fixed_size 0
		.amdhsa_kernarg_size 40
		.amdhsa_user_sgpr_count 2
		.amdhsa_user_sgpr_dispatch_ptr 0
		.amdhsa_user_sgpr_queue_ptr 0
		.amdhsa_user_sgpr_kernarg_segment_ptr 1
		.amdhsa_user_sgpr_dispatch_id 0
		.amdhsa_user_sgpr_kernarg_preload_length 0
		.amdhsa_user_sgpr_kernarg_preload_offset 0
		.amdhsa_user_sgpr_private_segment_size 0
		.amdhsa_uses_dynamic_stack 0
		.amdhsa_enable_private_segment 0
		.amdhsa_system_sgpr_workgroup_id_x 1
		.amdhsa_system_sgpr_workgroup_id_y 0
		.amdhsa_system_sgpr_workgroup_id_z 0
		.amdhsa_system_sgpr_workgroup_info 0
		.amdhsa_system_vgpr_workitem_id 0
		.amdhsa_next_free_vgpr 1
		.amdhsa_next_free_sgpr 0
		.amdhsa_accum_offset 4
		.amdhsa_reserve_vcc 0
		.amdhsa_float_round_mode_32 0
		.amdhsa_float_round_mode_16_64 0
		.amdhsa_float_denorm_mode_32 3
		.amdhsa_float_denorm_mode_16_64 3
		.amdhsa_dx10_clamp 1
		.amdhsa_ieee_mode 1
		.amdhsa_fp16_overflow 0
		.amdhsa_tg_split 0
		.amdhsa_exception_fp_ieee_invalid_op 0
		.amdhsa_exception_fp_denorm_src 0
		.amdhsa_exception_fp_ieee_div_zero 0
		.amdhsa_exception_fp_ieee_overflow 0
		.amdhsa_exception_fp_ieee_underflow 0
		.amdhsa_exception_fp_ieee_inexact 0
		.amdhsa_exception_int_div_zero 0
	.end_amdhsa_kernel
	.section	.text._ZN7rocprim17ROCPRIM_400000_NS6detail17trampoline_kernelINS0_14default_configENS1_25transform_config_selectorINS0_10empty_typeELb1EEEZNS1_14transform_implILb1ES3_S6_PS5_S8_NS0_8identityIS5_EEEE10hipError_tT2_T3_mT4_P12ihipStream_tbEUlT_E_NS1_11comp_targetILNS1_3genE0ELNS1_11target_archE4294967295ELNS1_3gpuE0ELNS1_3repE0EEENS1_30default_config_static_selectorELNS0_4arch9wavefront6targetE1EEEvT1_,"axG",@progbits,_ZN7rocprim17ROCPRIM_400000_NS6detail17trampoline_kernelINS0_14default_configENS1_25transform_config_selectorINS0_10empty_typeELb1EEEZNS1_14transform_implILb1ES3_S6_PS5_S8_NS0_8identityIS5_EEEE10hipError_tT2_T3_mT4_P12ihipStream_tbEUlT_E_NS1_11comp_targetILNS1_3genE0ELNS1_11target_archE4294967295ELNS1_3gpuE0ELNS1_3repE0EEENS1_30default_config_static_selectorELNS0_4arch9wavefront6targetE1EEEvT1_,comdat
.Lfunc_end76:
	.size	_ZN7rocprim17ROCPRIM_400000_NS6detail17trampoline_kernelINS0_14default_configENS1_25transform_config_selectorINS0_10empty_typeELb1EEEZNS1_14transform_implILb1ES3_S6_PS5_S8_NS0_8identityIS5_EEEE10hipError_tT2_T3_mT4_P12ihipStream_tbEUlT_E_NS1_11comp_targetILNS1_3genE0ELNS1_11target_archE4294967295ELNS1_3gpuE0ELNS1_3repE0EEENS1_30default_config_static_selectorELNS0_4arch9wavefront6targetE1EEEvT1_, .Lfunc_end76-_ZN7rocprim17ROCPRIM_400000_NS6detail17trampoline_kernelINS0_14default_configENS1_25transform_config_selectorINS0_10empty_typeELb1EEEZNS1_14transform_implILb1ES3_S6_PS5_S8_NS0_8identityIS5_EEEE10hipError_tT2_T3_mT4_P12ihipStream_tbEUlT_E_NS1_11comp_targetILNS1_3genE0ELNS1_11target_archE4294967295ELNS1_3gpuE0ELNS1_3repE0EEENS1_30default_config_static_selectorELNS0_4arch9wavefront6targetE1EEEvT1_
                                        ; -- End function
	.set _ZN7rocprim17ROCPRIM_400000_NS6detail17trampoline_kernelINS0_14default_configENS1_25transform_config_selectorINS0_10empty_typeELb1EEEZNS1_14transform_implILb1ES3_S6_PS5_S8_NS0_8identityIS5_EEEE10hipError_tT2_T3_mT4_P12ihipStream_tbEUlT_E_NS1_11comp_targetILNS1_3genE0ELNS1_11target_archE4294967295ELNS1_3gpuE0ELNS1_3repE0EEENS1_30default_config_static_selectorELNS0_4arch9wavefront6targetE1EEEvT1_.num_vgpr, 0
	.set _ZN7rocprim17ROCPRIM_400000_NS6detail17trampoline_kernelINS0_14default_configENS1_25transform_config_selectorINS0_10empty_typeELb1EEEZNS1_14transform_implILb1ES3_S6_PS5_S8_NS0_8identityIS5_EEEE10hipError_tT2_T3_mT4_P12ihipStream_tbEUlT_E_NS1_11comp_targetILNS1_3genE0ELNS1_11target_archE4294967295ELNS1_3gpuE0ELNS1_3repE0EEENS1_30default_config_static_selectorELNS0_4arch9wavefront6targetE1EEEvT1_.num_agpr, 0
	.set _ZN7rocprim17ROCPRIM_400000_NS6detail17trampoline_kernelINS0_14default_configENS1_25transform_config_selectorINS0_10empty_typeELb1EEEZNS1_14transform_implILb1ES3_S6_PS5_S8_NS0_8identityIS5_EEEE10hipError_tT2_T3_mT4_P12ihipStream_tbEUlT_E_NS1_11comp_targetILNS1_3genE0ELNS1_11target_archE4294967295ELNS1_3gpuE0ELNS1_3repE0EEENS1_30default_config_static_selectorELNS0_4arch9wavefront6targetE1EEEvT1_.numbered_sgpr, 0
	.set _ZN7rocprim17ROCPRIM_400000_NS6detail17trampoline_kernelINS0_14default_configENS1_25transform_config_selectorINS0_10empty_typeELb1EEEZNS1_14transform_implILb1ES3_S6_PS5_S8_NS0_8identityIS5_EEEE10hipError_tT2_T3_mT4_P12ihipStream_tbEUlT_E_NS1_11comp_targetILNS1_3genE0ELNS1_11target_archE4294967295ELNS1_3gpuE0ELNS1_3repE0EEENS1_30default_config_static_selectorELNS0_4arch9wavefront6targetE1EEEvT1_.num_named_barrier, 0
	.set _ZN7rocprim17ROCPRIM_400000_NS6detail17trampoline_kernelINS0_14default_configENS1_25transform_config_selectorINS0_10empty_typeELb1EEEZNS1_14transform_implILb1ES3_S6_PS5_S8_NS0_8identityIS5_EEEE10hipError_tT2_T3_mT4_P12ihipStream_tbEUlT_E_NS1_11comp_targetILNS1_3genE0ELNS1_11target_archE4294967295ELNS1_3gpuE0ELNS1_3repE0EEENS1_30default_config_static_selectorELNS0_4arch9wavefront6targetE1EEEvT1_.private_seg_size, 0
	.set _ZN7rocprim17ROCPRIM_400000_NS6detail17trampoline_kernelINS0_14default_configENS1_25transform_config_selectorINS0_10empty_typeELb1EEEZNS1_14transform_implILb1ES3_S6_PS5_S8_NS0_8identityIS5_EEEE10hipError_tT2_T3_mT4_P12ihipStream_tbEUlT_E_NS1_11comp_targetILNS1_3genE0ELNS1_11target_archE4294967295ELNS1_3gpuE0ELNS1_3repE0EEENS1_30default_config_static_selectorELNS0_4arch9wavefront6targetE1EEEvT1_.uses_vcc, 0
	.set _ZN7rocprim17ROCPRIM_400000_NS6detail17trampoline_kernelINS0_14default_configENS1_25transform_config_selectorINS0_10empty_typeELb1EEEZNS1_14transform_implILb1ES3_S6_PS5_S8_NS0_8identityIS5_EEEE10hipError_tT2_T3_mT4_P12ihipStream_tbEUlT_E_NS1_11comp_targetILNS1_3genE0ELNS1_11target_archE4294967295ELNS1_3gpuE0ELNS1_3repE0EEENS1_30default_config_static_selectorELNS0_4arch9wavefront6targetE1EEEvT1_.uses_flat_scratch, 0
	.set _ZN7rocprim17ROCPRIM_400000_NS6detail17trampoline_kernelINS0_14default_configENS1_25transform_config_selectorINS0_10empty_typeELb1EEEZNS1_14transform_implILb1ES3_S6_PS5_S8_NS0_8identityIS5_EEEE10hipError_tT2_T3_mT4_P12ihipStream_tbEUlT_E_NS1_11comp_targetILNS1_3genE0ELNS1_11target_archE4294967295ELNS1_3gpuE0ELNS1_3repE0EEENS1_30default_config_static_selectorELNS0_4arch9wavefront6targetE1EEEvT1_.has_dyn_sized_stack, 0
	.set _ZN7rocprim17ROCPRIM_400000_NS6detail17trampoline_kernelINS0_14default_configENS1_25transform_config_selectorINS0_10empty_typeELb1EEEZNS1_14transform_implILb1ES3_S6_PS5_S8_NS0_8identityIS5_EEEE10hipError_tT2_T3_mT4_P12ihipStream_tbEUlT_E_NS1_11comp_targetILNS1_3genE0ELNS1_11target_archE4294967295ELNS1_3gpuE0ELNS1_3repE0EEENS1_30default_config_static_selectorELNS0_4arch9wavefront6targetE1EEEvT1_.has_recursion, 0
	.set _ZN7rocprim17ROCPRIM_400000_NS6detail17trampoline_kernelINS0_14default_configENS1_25transform_config_selectorINS0_10empty_typeELb1EEEZNS1_14transform_implILb1ES3_S6_PS5_S8_NS0_8identityIS5_EEEE10hipError_tT2_T3_mT4_P12ihipStream_tbEUlT_E_NS1_11comp_targetILNS1_3genE0ELNS1_11target_archE4294967295ELNS1_3gpuE0ELNS1_3repE0EEENS1_30default_config_static_selectorELNS0_4arch9wavefront6targetE1EEEvT1_.has_indirect_call, 0
	.section	.AMDGPU.csdata,"",@progbits
; Kernel info:
; codeLenInByte = 4
; TotalNumSgprs: 6
; NumVgprs: 0
; NumAgprs: 0
; TotalNumVgprs: 0
; ScratchSize: 0
; MemoryBound: 0
; FloatMode: 240
; IeeeMode: 1
; LDSByteSize: 0 bytes/workgroup (compile time only)
; SGPRBlocks: 0
; VGPRBlocks: 0
; NumSGPRsForWavesPerEU: 6
; NumVGPRsForWavesPerEU: 1
; AccumOffset: 4
; Occupancy: 8
; WaveLimiterHint : 0
; COMPUTE_PGM_RSRC2:SCRATCH_EN: 0
; COMPUTE_PGM_RSRC2:USER_SGPR: 2
; COMPUTE_PGM_RSRC2:TRAP_HANDLER: 0
; COMPUTE_PGM_RSRC2:TGID_X_EN: 1
; COMPUTE_PGM_RSRC2:TGID_Y_EN: 0
; COMPUTE_PGM_RSRC2:TGID_Z_EN: 0
; COMPUTE_PGM_RSRC2:TIDIG_COMP_CNT: 0
; COMPUTE_PGM_RSRC3_GFX90A:ACCUM_OFFSET: 0
; COMPUTE_PGM_RSRC3_GFX90A:TG_SPLIT: 0
	.section	.text._ZN7rocprim17ROCPRIM_400000_NS6detail17trampoline_kernelINS0_14default_configENS1_25transform_config_selectorINS0_10empty_typeELb1EEEZNS1_14transform_implILb1ES3_S6_PS5_S8_NS0_8identityIS5_EEEE10hipError_tT2_T3_mT4_P12ihipStream_tbEUlT_E_NS1_11comp_targetILNS1_3genE10ELNS1_11target_archE1201ELNS1_3gpuE5ELNS1_3repE0EEENS1_30default_config_static_selectorELNS0_4arch9wavefront6targetE1EEEvT1_,"axG",@progbits,_ZN7rocprim17ROCPRIM_400000_NS6detail17trampoline_kernelINS0_14default_configENS1_25transform_config_selectorINS0_10empty_typeELb1EEEZNS1_14transform_implILb1ES3_S6_PS5_S8_NS0_8identityIS5_EEEE10hipError_tT2_T3_mT4_P12ihipStream_tbEUlT_E_NS1_11comp_targetILNS1_3genE10ELNS1_11target_archE1201ELNS1_3gpuE5ELNS1_3repE0EEENS1_30default_config_static_selectorELNS0_4arch9wavefront6targetE1EEEvT1_,comdat
	.protected	_ZN7rocprim17ROCPRIM_400000_NS6detail17trampoline_kernelINS0_14default_configENS1_25transform_config_selectorINS0_10empty_typeELb1EEEZNS1_14transform_implILb1ES3_S6_PS5_S8_NS0_8identityIS5_EEEE10hipError_tT2_T3_mT4_P12ihipStream_tbEUlT_E_NS1_11comp_targetILNS1_3genE10ELNS1_11target_archE1201ELNS1_3gpuE5ELNS1_3repE0EEENS1_30default_config_static_selectorELNS0_4arch9wavefront6targetE1EEEvT1_ ; -- Begin function _ZN7rocprim17ROCPRIM_400000_NS6detail17trampoline_kernelINS0_14default_configENS1_25transform_config_selectorINS0_10empty_typeELb1EEEZNS1_14transform_implILb1ES3_S6_PS5_S8_NS0_8identityIS5_EEEE10hipError_tT2_T3_mT4_P12ihipStream_tbEUlT_E_NS1_11comp_targetILNS1_3genE10ELNS1_11target_archE1201ELNS1_3gpuE5ELNS1_3repE0EEENS1_30default_config_static_selectorELNS0_4arch9wavefront6targetE1EEEvT1_
	.globl	_ZN7rocprim17ROCPRIM_400000_NS6detail17trampoline_kernelINS0_14default_configENS1_25transform_config_selectorINS0_10empty_typeELb1EEEZNS1_14transform_implILb1ES3_S6_PS5_S8_NS0_8identityIS5_EEEE10hipError_tT2_T3_mT4_P12ihipStream_tbEUlT_E_NS1_11comp_targetILNS1_3genE10ELNS1_11target_archE1201ELNS1_3gpuE5ELNS1_3repE0EEENS1_30default_config_static_selectorELNS0_4arch9wavefront6targetE1EEEvT1_
	.p2align	8
	.type	_ZN7rocprim17ROCPRIM_400000_NS6detail17trampoline_kernelINS0_14default_configENS1_25transform_config_selectorINS0_10empty_typeELb1EEEZNS1_14transform_implILb1ES3_S6_PS5_S8_NS0_8identityIS5_EEEE10hipError_tT2_T3_mT4_P12ihipStream_tbEUlT_E_NS1_11comp_targetILNS1_3genE10ELNS1_11target_archE1201ELNS1_3gpuE5ELNS1_3repE0EEENS1_30default_config_static_selectorELNS0_4arch9wavefront6targetE1EEEvT1_,@function
_ZN7rocprim17ROCPRIM_400000_NS6detail17trampoline_kernelINS0_14default_configENS1_25transform_config_selectorINS0_10empty_typeELb1EEEZNS1_14transform_implILb1ES3_S6_PS5_S8_NS0_8identityIS5_EEEE10hipError_tT2_T3_mT4_P12ihipStream_tbEUlT_E_NS1_11comp_targetILNS1_3genE10ELNS1_11target_archE1201ELNS1_3gpuE5ELNS1_3repE0EEENS1_30default_config_static_selectorELNS0_4arch9wavefront6targetE1EEEvT1_: ; @_ZN7rocprim17ROCPRIM_400000_NS6detail17trampoline_kernelINS0_14default_configENS1_25transform_config_selectorINS0_10empty_typeELb1EEEZNS1_14transform_implILb1ES3_S6_PS5_S8_NS0_8identityIS5_EEEE10hipError_tT2_T3_mT4_P12ihipStream_tbEUlT_E_NS1_11comp_targetILNS1_3genE10ELNS1_11target_archE1201ELNS1_3gpuE5ELNS1_3repE0EEENS1_30default_config_static_selectorELNS0_4arch9wavefront6targetE1EEEvT1_
; %bb.0:
	.section	.rodata,"a",@progbits
	.p2align	6, 0x0
	.amdhsa_kernel _ZN7rocprim17ROCPRIM_400000_NS6detail17trampoline_kernelINS0_14default_configENS1_25transform_config_selectorINS0_10empty_typeELb1EEEZNS1_14transform_implILb1ES3_S6_PS5_S8_NS0_8identityIS5_EEEE10hipError_tT2_T3_mT4_P12ihipStream_tbEUlT_E_NS1_11comp_targetILNS1_3genE10ELNS1_11target_archE1201ELNS1_3gpuE5ELNS1_3repE0EEENS1_30default_config_static_selectorELNS0_4arch9wavefront6targetE1EEEvT1_
		.amdhsa_group_segment_fixed_size 0
		.amdhsa_private_segment_fixed_size 0
		.amdhsa_kernarg_size 40
		.amdhsa_user_sgpr_count 2
		.amdhsa_user_sgpr_dispatch_ptr 0
		.amdhsa_user_sgpr_queue_ptr 0
		.amdhsa_user_sgpr_kernarg_segment_ptr 1
		.amdhsa_user_sgpr_dispatch_id 0
		.amdhsa_user_sgpr_kernarg_preload_length 0
		.amdhsa_user_sgpr_kernarg_preload_offset 0
		.amdhsa_user_sgpr_private_segment_size 0
		.amdhsa_uses_dynamic_stack 0
		.amdhsa_enable_private_segment 0
		.amdhsa_system_sgpr_workgroup_id_x 1
		.amdhsa_system_sgpr_workgroup_id_y 0
		.amdhsa_system_sgpr_workgroup_id_z 0
		.amdhsa_system_sgpr_workgroup_info 0
		.amdhsa_system_vgpr_workitem_id 0
		.amdhsa_next_free_vgpr 1
		.amdhsa_next_free_sgpr 0
		.amdhsa_accum_offset 4
		.amdhsa_reserve_vcc 0
		.amdhsa_float_round_mode_32 0
		.amdhsa_float_round_mode_16_64 0
		.amdhsa_float_denorm_mode_32 3
		.amdhsa_float_denorm_mode_16_64 3
		.amdhsa_dx10_clamp 1
		.amdhsa_ieee_mode 1
		.amdhsa_fp16_overflow 0
		.amdhsa_tg_split 0
		.amdhsa_exception_fp_ieee_invalid_op 0
		.amdhsa_exception_fp_denorm_src 0
		.amdhsa_exception_fp_ieee_div_zero 0
		.amdhsa_exception_fp_ieee_overflow 0
		.amdhsa_exception_fp_ieee_underflow 0
		.amdhsa_exception_fp_ieee_inexact 0
		.amdhsa_exception_int_div_zero 0
	.end_amdhsa_kernel
	.section	.text._ZN7rocprim17ROCPRIM_400000_NS6detail17trampoline_kernelINS0_14default_configENS1_25transform_config_selectorINS0_10empty_typeELb1EEEZNS1_14transform_implILb1ES3_S6_PS5_S8_NS0_8identityIS5_EEEE10hipError_tT2_T3_mT4_P12ihipStream_tbEUlT_E_NS1_11comp_targetILNS1_3genE10ELNS1_11target_archE1201ELNS1_3gpuE5ELNS1_3repE0EEENS1_30default_config_static_selectorELNS0_4arch9wavefront6targetE1EEEvT1_,"axG",@progbits,_ZN7rocprim17ROCPRIM_400000_NS6detail17trampoline_kernelINS0_14default_configENS1_25transform_config_selectorINS0_10empty_typeELb1EEEZNS1_14transform_implILb1ES3_S6_PS5_S8_NS0_8identityIS5_EEEE10hipError_tT2_T3_mT4_P12ihipStream_tbEUlT_E_NS1_11comp_targetILNS1_3genE10ELNS1_11target_archE1201ELNS1_3gpuE5ELNS1_3repE0EEENS1_30default_config_static_selectorELNS0_4arch9wavefront6targetE1EEEvT1_,comdat
.Lfunc_end77:
	.size	_ZN7rocprim17ROCPRIM_400000_NS6detail17trampoline_kernelINS0_14default_configENS1_25transform_config_selectorINS0_10empty_typeELb1EEEZNS1_14transform_implILb1ES3_S6_PS5_S8_NS0_8identityIS5_EEEE10hipError_tT2_T3_mT4_P12ihipStream_tbEUlT_E_NS1_11comp_targetILNS1_3genE10ELNS1_11target_archE1201ELNS1_3gpuE5ELNS1_3repE0EEENS1_30default_config_static_selectorELNS0_4arch9wavefront6targetE1EEEvT1_, .Lfunc_end77-_ZN7rocprim17ROCPRIM_400000_NS6detail17trampoline_kernelINS0_14default_configENS1_25transform_config_selectorINS0_10empty_typeELb1EEEZNS1_14transform_implILb1ES3_S6_PS5_S8_NS0_8identityIS5_EEEE10hipError_tT2_T3_mT4_P12ihipStream_tbEUlT_E_NS1_11comp_targetILNS1_3genE10ELNS1_11target_archE1201ELNS1_3gpuE5ELNS1_3repE0EEENS1_30default_config_static_selectorELNS0_4arch9wavefront6targetE1EEEvT1_
                                        ; -- End function
	.set _ZN7rocprim17ROCPRIM_400000_NS6detail17trampoline_kernelINS0_14default_configENS1_25transform_config_selectorINS0_10empty_typeELb1EEEZNS1_14transform_implILb1ES3_S6_PS5_S8_NS0_8identityIS5_EEEE10hipError_tT2_T3_mT4_P12ihipStream_tbEUlT_E_NS1_11comp_targetILNS1_3genE10ELNS1_11target_archE1201ELNS1_3gpuE5ELNS1_3repE0EEENS1_30default_config_static_selectorELNS0_4arch9wavefront6targetE1EEEvT1_.num_vgpr, 0
	.set _ZN7rocprim17ROCPRIM_400000_NS6detail17trampoline_kernelINS0_14default_configENS1_25transform_config_selectorINS0_10empty_typeELb1EEEZNS1_14transform_implILb1ES3_S6_PS5_S8_NS0_8identityIS5_EEEE10hipError_tT2_T3_mT4_P12ihipStream_tbEUlT_E_NS1_11comp_targetILNS1_3genE10ELNS1_11target_archE1201ELNS1_3gpuE5ELNS1_3repE0EEENS1_30default_config_static_selectorELNS0_4arch9wavefront6targetE1EEEvT1_.num_agpr, 0
	.set _ZN7rocprim17ROCPRIM_400000_NS6detail17trampoline_kernelINS0_14default_configENS1_25transform_config_selectorINS0_10empty_typeELb1EEEZNS1_14transform_implILb1ES3_S6_PS5_S8_NS0_8identityIS5_EEEE10hipError_tT2_T3_mT4_P12ihipStream_tbEUlT_E_NS1_11comp_targetILNS1_3genE10ELNS1_11target_archE1201ELNS1_3gpuE5ELNS1_3repE0EEENS1_30default_config_static_selectorELNS0_4arch9wavefront6targetE1EEEvT1_.numbered_sgpr, 0
	.set _ZN7rocprim17ROCPRIM_400000_NS6detail17trampoline_kernelINS0_14default_configENS1_25transform_config_selectorINS0_10empty_typeELb1EEEZNS1_14transform_implILb1ES3_S6_PS5_S8_NS0_8identityIS5_EEEE10hipError_tT2_T3_mT4_P12ihipStream_tbEUlT_E_NS1_11comp_targetILNS1_3genE10ELNS1_11target_archE1201ELNS1_3gpuE5ELNS1_3repE0EEENS1_30default_config_static_selectorELNS0_4arch9wavefront6targetE1EEEvT1_.num_named_barrier, 0
	.set _ZN7rocprim17ROCPRIM_400000_NS6detail17trampoline_kernelINS0_14default_configENS1_25transform_config_selectorINS0_10empty_typeELb1EEEZNS1_14transform_implILb1ES3_S6_PS5_S8_NS0_8identityIS5_EEEE10hipError_tT2_T3_mT4_P12ihipStream_tbEUlT_E_NS1_11comp_targetILNS1_3genE10ELNS1_11target_archE1201ELNS1_3gpuE5ELNS1_3repE0EEENS1_30default_config_static_selectorELNS0_4arch9wavefront6targetE1EEEvT1_.private_seg_size, 0
	.set _ZN7rocprim17ROCPRIM_400000_NS6detail17trampoline_kernelINS0_14default_configENS1_25transform_config_selectorINS0_10empty_typeELb1EEEZNS1_14transform_implILb1ES3_S6_PS5_S8_NS0_8identityIS5_EEEE10hipError_tT2_T3_mT4_P12ihipStream_tbEUlT_E_NS1_11comp_targetILNS1_3genE10ELNS1_11target_archE1201ELNS1_3gpuE5ELNS1_3repE0EEENS1_30default_config_static_selectorELNS0_4arch9wavefront6targetE1EEEvT1_.uses_vcc, 0
	.set _ZN7rocprim17ROCPRIM_400000_NS6detail17trampoline_kernelINS0_14default_configENS1_25transform_config_selectorINS0_10empty_typeELb1EEEZNS1_14transform_implILb1ES3_S6_PS5_S8_NS0_8identityIS5_EEEE10hipError_tT2_T3_mT4_P12ihipStream_tbEUlT_E_NS1_11comp_targetILNS1_3genE10ELNS1_11target_archE1201ELNS1_3gpuE5ELNS1_3repE0EEENS1_30default_config_static_selectorELNS0_4arch9wavefront6targetE1EEEvT1_.uses_flat_scratch, 0
	.set _ZN7rocprim17ROCPRIM_400000_NS6detail17trampoline_kernelINS0_14default_configENS1_25transform_config_selectorINS0_10empty_typeELb1EEEZNS1_14transform_implILb1ES3_S6_PS5_S8_NS0_8identityIS5_EEEE10hipError_tT2_T3_mT4_P12ihipStream_tbEUlT_E_NS1_11comp_targetILNS1_3genE10ELNS1_11target_archE1201ELNS1_3gpuE5ELNS1_3repE0EEENS1_30default_config_static_selectorELNS0_4arch9wavefront6targetE1EEEvT1_.has_dyn_sized_stack, 0
	.set _ZN7rocprim17ROCPRIM_400000_NS6detail17trampoline_kernelINS0_14default_configENS1_25transform_config_selectorINS0_10empty_typeELb1EEEZNS1_14transform_implILb1ES3_S6_PS5_S8_NS0_8identityIS5_EEEE10hipError_tT2_T3_mT4_P12ihipStream_tbEUlT_E_NS1_11comp_targetILNS1_3genE10ELNS1_11target_archE1201ELNS1_3gpuE5ELNS1_3repE0EEENS1_30default_config_static_selectorELNS0_4arch9wavefront6targetE1EEEvT1_.has_recursion, 0
	.set _ZN7rocprim17ROCPRIM_400000_NS6detail17trampoline_kernelINS0_14default_configENS1_25transform_config_selectorINS0_10empty_typeELb1EEEZNS1_14transform_implILb1ES3_S6_PS5_S8_NS0_8identityIS5_EEEE10hipError_tT2_T3_mT4_P12ihipStream_tbEUlT_E_NS1_11comp_targetILNS1_3genE10ELNS1_11target_archE1201ELNS1_3gpuE5ELNS1_3repE0EEENS1_30default_config_static_selectorELNS0_4arch9wavefront6targetE1EEEvT1_.has_indirect_call, 0
	.section	.AMDGPU.csdata,"",@progbits
; Kernel info:
; codeLenInByte = 0
; TotalNumSgprs: 6
; NumVgprs: 0
; NumAgprs: 0
; TotalNumVgprs: 0
; ScratchSize: 0
; MemoryBound: 0
; FloatMode: 240
; IeeeMode: 1
; LDSByteSize: 0 bytes/workgroup (compile time only)
; SGPRBlocks: 0
; VGPRBlocks: 0
; NumSGPRsForWavesPerEU: 6
; NumVGPRsForWavesPerEU: 1
; AccumOffset: 4
; Occupancy: 8
; WaveLimiterHint : 0
; COMPUTE_PGM_RSRC2:SCRATCH_EN: 0
; COMPUTE_PGM_RSRC2:USER_SGPR: 2
; COMPUTE_PGM_RSRC2:TRAP_HANDLER: 0
; COMPUTE_PGM_RSRC2:TGID_X_EN: 1
; COMPUTE_PGM_RSRC2:TGID_Y_EN: 0
; COMPUTE_PGM_RSRC2:TGID_Z_EN: 0
; COMPUTE_PGM_RSRC2:TIDIG_COMP_CNT: 0
; COMPUTE_PGM_RSRC3_GFX90A:ACCUM_OFFSET: 0
; COMPUTE_PGM_RSRC3_GFX90A:TG_SPLIT: 0
	.section	.text._ZN7rocprim17ROCPRIM_400000_NS6detail17trampoline_kernelINS0_14default_configENS1_25transform_config_selectorINS0_10empty_typeELb1EEEZNS1_14transform_implILb1ES3_S6_PS5_S8_NS0_8identityIS5_EEEE10hipError_tT2_T3_mT4_P12ihipStream_tbEUlT_E_NS1_11comp_targetILNS1_3genE5ELNS1_11target_archE942ELNS1_3gpuE9ELNS1_3repE0EEENS1_30default_config_static_selectorELNS0_4arch9wavefront6targetE1EEEvT1_,"axG",@progbits,_ZN7rocprim17ROCPRIM_400000_NS6detail17trampoline_kernelINS0_14default_configENS1_25transform_config_selectorINS0_10empty_typeELb1EEEZNS1_14transform_implILb1ES3_S6_PS5_S8_NS0_8identityIS5_EEEE10hipError_tT2_T3_mT4_P12ihipStream_tbEUlT_E_NS1_11comp_targetILNS1_3genE5ELNS1_11target_archE942ELNS1_3gpuE9ELNS1_3repE0EEENS1_30default_config_static_selectorELNS0_4arch9wavefront6targetE1EEEvT1_,comdat
	.protected	_ZN7rocprim17ROCPRIM_400000_NS6detail17trampoline_kernelINS0_14default_configENS1_25transform_config_selectorINS0_10empty_typeELb1EEEZNS1_14transform_implILb1ES3_S6_PS5_S8_NS0_8identityIS5_EEEE10hipError_tT2_T3_mT4_P12ihipStream_tbEUlT_E_NS1_11comp_targetILNS1_3genE5ELNS1_11target_archE942ELNS1_3gpuE9ELNS1_3repE0EEENS1_30default_config_static_selectorELNS0_4arch9wavefront6targetE1EEEvT1_ ; -- Begin function _ZN7rocprim17ROCPRIM_400000_NS6detail17trampoline_kernelINS0_14default_configENS1_25transform_config_selectorINS0_10empty_typeELb1EEEZNS1_14transform_implILb1ES3_S6_PS5_S8_NS0_8identityIS5_EEEE10hipError_tT2_T3_mT4_P12ihipStream_tbEUlT_E_NS1_11comp_targetILNS1_3genE5ELNS1_11target_archE942ELNS1_3gpuE9ELNS1_3repE0EEENS1_30default_config_static_selectorELNS0_4arch9wavefront6targetE1EEEvT1_
	.globl	_ZN7rocprim17ROCPRIM_400000_NS6detail17trampoline_kernelINS0_14default_configENS1_25transform_config_selectorINS0_10empty_typeELb1EEEZNS1_14transform_implILb1ES3_S6_PS5_S8_NS0_8identityIS5_EEEE10hipError_tT2_T3_mT4_P12ihipStream_tbEUlT_E_NS1_11comp_targetILNS1_3genE5ELNS1_11target_archE942ELNS1_3gpuE9ELNS1_3repE0EEENS1_30default_config_static_selectorELNS0_4arch9wavefront6targetE1EEEvT1_
	.p2align	8
	.type	_ZN7rocprim17ROCPRIM_400000_NS6detail17trampoline_kernelINS0_14default_configENS1_25transform_config_selectorINS0_10empty_typeELb1EEEZNS1_14transform_implILb1ES3_S6_PS5_S8_NS0_8identityIS5_EEEE10hipError_tT2_T3_mT4_P12ihipStream_tbEUlT_E_NS1_11comp_targetILNS1_3genE5ELNS1_11target_archE942ELNS1_3gpuE9ELNS1_3repE0EEENS1_30default_config_static_selectorELNS0_4arch9wavefront6targetE1EEEvT1_,@function
_ZN7rocprim17ROCPRIM_400000_NS6detail17trampoline_kernelINS0_14default_configENS1_25transform_config_selectorINS0_10empty_typeELb1EEEZNS1_14transform_implILb1ES3_S6_PS5_S8_NS0_8identityIS5_EEEE10hipError_tT2_T3_mT4_P12ihipStream_tbEUlT_E_NS1_11comp_targetILNS1_3genE5ELNS1_11target_archE942ELNS1_3gpuE9ELNS1_3repE0EEENS1_30default_config_static_selectorELNS0_4arch9wavefront6targetE1EEEvT1_: ; @_ZN7rocprim17ROCPRIM_400000_NS6detail17trampoline_kernelINS0_14default_configENS1_25transform_config_selectorINS0_10empty_typeELb1EEEZNS1_14transform_implILb1ES3_S6_PS5_S8_NS0_8identityIS5_EEEE10hipError_tT2_T3_mT4_P12ihipStream_tbEUlT_E_NS1_11comp_targetILNS1_3genE5ELNS1_11target_archE942ELNS1_3gpuE9ELNS1_3repE0EEENS1_30default_config_static_selectorELNS0_4arch9wavefront6targetE1EEEvT1_
; %bb.0:
	.section	.rodata,"a",@progbits
	.p2align	6, 0x0
	.amdhsa_kernel _ZN7rocprim17ROCPRIM_400000_NS6detail17trampoline_kernelINS0_14default_configENS1_25transform_config_selectorINS0_10empty_typeELb1EEEZNS1_14transform_implILb1ES3_S6_PS5_S8_NS0_8identityIS5_EEEE10hipError_tT2_T3_mT4_P12ihipStream_tbEUlT_E_NS1_11comp_targetILNS1_3genE5ELNS1_11target_archE942ELNS1_3gpuE9ELNS1_3repE0EEENS1_30default_config_static_selectorELNS0_4arch9wavefront6targetE1EEEvT1_
		.amdhsa_group_segment_fixed_size 0
		.amdhsa_private_segment_fixed_size 0
		.amdhsa_kernarg_size 40
		.amdhsa_user_sgpr_count 2
		.amdhsa_user_sgpr_dispatch_ptr 0
		.amdhsa_user_sgpr_queue_ptr 0
		.amdhsa_user_sgpr_kernarg_segment_ptr 1
		.amdhsa_user_sgpr_dispatch_id 0
		.amdhsa_user_sgpr_kernarg_preload_length 0
		.amdhsa_user_sgpr_kernarg_preload_offset 0
		.amdhsa_user_sgpr_private_segment_size 0
		.amdhsa_uses_dynamic_stack 0
		.amdhsa_enable_private_segment 0
		.amdhsa_system_sgpr_workgroup_id_x 1
		.amdhsa_system_sgpr_workgroup_id_y 0
		.amdhsa_system_sgpr_workgroup_id_z 0
		.amdhsa_system_sgpr_workgroup_info 0
		.amdhsa_system_vgpr_workitem_id 0
		.amdhsa_next_free_vgpr 1
		.amdhsa_next_free_sgpr 0
		.amdhsa_accum_offset 4
		.amdhsa_reserve_vcc 0
		.amdhsa_float_round_mode_32 0
		.amdhsa_float_round_mode_16_64 0
		.amdhsa_float_denorm_mode_32 3
		.amdhsa_float_denorm_mode_16_64 3
		.amdhsa_dx10_clamp 1
		.amdhsa_ieee_mode 1
		.amdhsa_fp16_overflow 0
		.amdhsa_tg_split 0
		.amdhsa_exception_fp_ieee_invalid_op 0
		.amdhsa_exception_fp_denorm_src 0
		.amdhsa_exception_fp_ieee_div_zero 0
		.amdhsa_exception_fp_ieee_overflow 0
		.amdhsa_exception_fp_ieee_underflow 0
		.amdhsa_exception_fp_ieee_inexact 0
		.amdhsa_exception_int_div_zero 0
	.end_amdhsa_kernel
	.section	.text._ZN7rocprim17ROCPRIM_400000_NS6detail17trampoline_kernelINS0_14default_configENS1_25transform_config_selectorINS0_10empty_typeELb1EEEZNS1_14transform_implILb1ES3_S6_PS5_S8_NS0_8identityIS5_EEEE10hipError_tT2_T3_mT4_P12ihipStream_tbEUlT_E_NS1_11comp_targetILNS1_3genE5ELNS1_11target_archE942ELNS1_3gpuE9ELNS1_3repE0EEENS1_30default_config_static_selectorELNS0_4arch9wavefront6targetE1EEEvT1_,"axG",@progbits,_ZN7rocprim17ROCPRIM_400000_NS6detail17trampoline_kernelINS0_14default_configENS1_25transform_config_selectorINS0_10empty_typeELb1EEEZNS1_14transform_implILb1ES3_S6_PS5_S8_NS0_8identityIS5_EEEE10hipError_tT2_T3_mT4_P12ihipStream_tbEUlT_E_NS1_11comp_targetILNS1_3genE5ELNS1_11target_archE942ELNS1_3gpuE9ELNS1_3repE0EEENS1_30default_config_static_selectorELNS0_4arch9wavefront6targetE1EEEvT1_,comdat
.Lfunc_end78:
	.size	_ZN7rocprim17ROCPRIM_400000_NS6detail17trampoline_kernelINS0_14default_configENS1_25transform_config_selectorINS0_10empty_typeELb1EEEZNS1_14transform_implILb1ES3_S6_PS5_S8_NS0_8identityIS5_EEEE10hipError_tT2_T3_mT4_P12ihipStream_tbEUlT_E_NS1_11comp_targetILNS1_3genE5ELNS1_11target_archE942ELNS1_3gpuE9ELNS1_3repE0EEENS1_30default_config_static_selectorELNS0_4arch9wavefront6targetE1EEEvT1_, .Lfunc_end78-_ZN7rocprim17ROCPRIM_400000_NS6detail17trampoline_kernelINS0_14default_configENS1_25transform_config_selectorINS0_10empty_typeELb1EEEZNS1_14transform_implILb1ES3_S6_PS5_S8_NS0_8identityIS5_EEEE10hipError_tT2_T3_mT4_P12ihipStream_tbEUlT_E_NS1_11comp_targetILNS1_3genE5ELNS1_11target_archE942ELNS1_3gpuE9ELNS1_3repE0EEENS1_30default_config_static_selectorELNS0_4arch9wavefront6targetE1EEEvT1_
                                        ; -- End function
	.set _ZN7rocprim17ROCPRIM_400000_NS6detail17trampoline_kernelINS0_14default_configENS1_25transform_config_selectorINS0_10empty_typeELb1EEEZNS1_14transform_implILb1ES3_S6_PS5_S8_NS0_8identityIS5_EEEE10hipError_tT2_T3_mT4_P12ihipStream_tbEUlT_E_NS1_11comp_targetILNS1_3genE5ELNS1_11target_archE942ELNS1_3gpuE9ELNS1_3repE0EEENS1_30default_config_static_selectorELNS0_4arch9wavefront6targetE1EEEvT1_.num_vgpr, 0
	.set _ZN7rocprim17ROCPRIM_400000_NS6detail17trampoline_kernelINS0_14default_configENS1_25transform_config_selectorINS0_10empty_typeELb1EEEZNS1_14transform_implILb1ES3_S6_PS5_S8_NS0_8identityIS5_EEEE10hipError_tT2_T3_mT4_P12ihipStream_tbEUlT_E_NS1_11comp_targetILNS1_3genE5ELNS1_11target_archE942ELNS1_3gpuE9ELNS1_3repE0EEENS1_30default_config_static_selectorELNS0_4arch9wavefront6targetE1EEEvT1_.num_agpr, 0
	.set _ZN7rocprim17ROCPRIM_400000_NS6detail17trampoline_kernelINS0_14default_configENS1_25transform_config_selectorINS0_10empty_typeELb1EEEZNS1_14transform_implILb1ES3_S6_PS5_S8_NS0_8identityIS5_EEEE10hipError_tT2_T3_mT4_P12ihipStream_tbEUlT_E_NS1_11comp_targetILNS1_3genE5ELNS1_11target_archE942ELNS1_3gpuE9ELNS1_3repE0EEENS1_30default_config_static_selectorELNS0_4arch9wavefront6targetE1EEEvT1_.numbered_sgpr, 0
	.set _ZN7rocprim17ROCPRIM_400000_NS6detail17trampoline_kernelINS0_14default_configENS1_25transform_config_selectorINS0_10empty_typeELb1EEEZNS1_14transform_implILb1ES3_S6_PS5_S8_NS0_8identityIS5_EEEE10hipError_tT2_T3_mT4_P12ihipStream_tbEUlT_E_NS1_11comp_targetILNS1_3genE5ELNS1_11target_archE942ELNS1_3gpuE9ELNS1_3repE0EEENS1_30default_config_static_selectorELNS0_4arch9wavefront6targetE1EEEvT1_.num_named_barrier, 0
	.set _ZN7rocprim17ROCPRIM_400000_NS6detail17trampoline_kernelINS0_14default_configENS1_25transform_config_selectorINS0_10empty_typeELb1EEEZNS1_14transform_implILb1ES3_S6_PS5_S8_NS0_8identityIS5_EEEE10hipError_tT2_T3_mT4_P12ihipStream_tbEUlT_E_NS1_11comp_targetILNS1_3genE5ELNS1_11target_archE942ELNS1_3gpuE9ELNS1_3repE0EEENS1_30default_config_static_selectorELNS0_4arch9wavefront6targetE1EEEvT1_.private_seg_size, 0
	.set _ZN7rocprim17ROCPRIM_400000_NS6detail17trampoline_kernelINS0_14default_configENS1_25transform_config_selectorINS0_10empty_typeELb1EEEZNS1_14transform_implILb1ES3_S6_PS5_S8_NS0_8identityIS5_EEEE10hipError_tT2_T3_mT4_P12ihipStream_tbEUlT_E_NS1_11comp_targetILNS1_3genE5ELNS1_11target_archE942ELNS1_3gpuE9ELNS1_3repE0EEENS1_30default_config_static_selectorELNS0_4arch9wavefront6targetE1EEEvT1_.uses_vcc, 0
	.set _ZN7rocprim17ROCPRIM_400000_NS6detail17trampoline_kernelINS0_14default_configENS1_25transform_config_selectorINS0_10empty_typeELb1EEEZNS1_14transform_implILb1ES3_S6_PS5_S8_NS0_8identityIS5_EEEE10hipError_tT2_T3_mT4_P12ihipStream_tbEUlT_E_NS1_11comp_targetILNS1_3genE5ELNS1_11target_archE942ELNS1_3gpuE9ELNS1_3repE0EEENS1_30default_config_static_selectorELNS0_4arch9wavefront6targetE1EEEvT1_.uses_flat_scratch, 0
	.set _ZN7rocprim17ROCPRIM_400000_NS6detail17trampoline_kernelINS0_14default_configENS1_25transform_config_selectorINS0_10empty_typeELb1EEEZNS1_14transform_implILb1ES3_S6_PS5_S8_NS0_8identityIS5_EEEE10hipError_tT2_T3_mT4_P12ihipStream_tbEUlT_E_NS1_11comp_targetILNS1_3genE5ELNS1_11target_archE942ELNS1_3gpuE9ELNS1_3repE0EEENS1_30default_config_static_selectorELNS0_4arch9wavefront6targetE1EEEvT1_.has_dyn_sized_stack, 0
	.set _ZN7rocprim17ROCPRIM_400000_NS6detail17trampoline_kernelINS0_14default_configENS1_25transform_config_selectorINS0_10empty_typeELb1EEEZNS1_14transform_implILb1ES3_S6_PS5_S8_NS0_8identityIS5_EEEE10hipError_tT2_T3_mT4_P12ihipStream_tbEUlT_E_NS1_11comp_targetILNS1_3genE5ELNS1_11target_archE942ELNS1_3gpuE9ELNS1_3repE0EEENS1_30default_config_static_selectorELNS0_4arch9wavefront6targetE1EEEvT1_.has_recursion, 0
	.set _ZN7rocprim17ROCPRIM_400000_NS6detail17trampoline_kernelINS0_14default_configENS1_25transform_config_selectorINS0_10empty_typeELb1EEEZNS1_14transform_implILb1ES3_S6_PS5_S8_NS0_8identityIS5_EEEE10hipError_tT2_T3_mT4_P12ihipStream_tbEUlT_E_NS1_11comp_targetILNS1_3genE5ELNS1_11target_archE942ELNS1_3gpuE9ELNS1_3repE0EEENS1_30default_config_static_selectorELNS0_4arch9wavefront6targetE1EEEvT1_.has_indirect_call, 0
	.section	.AMDGPU.csdata,"",@progbits
; Kernel info:
; codeLenInByte = 0
; TotalNumSgprs: 6
; NumVgprs: 0
; NumAgprs: 0
; TotalNumVgprs: 0
; ScratchSize: 0
; MemoryBound: 0
; FloatMode: 240
; IeeeMode: 1
; LDSByteSize: 0 bytes/workgroup (compile time only)
; SGPRBlocks: 0
; VGPRBlocks: 0
; NumSGPRsForWavesPerEU: 6
; NumVGPRsForWavesPerEU: 1
; AccumOffset: 4
; Occupancy: 8
; WaveLimiterHint : 0
; COMPUTE_PGM_RSRC2:SCRATCH_EN: 0
; COMPUTE_PGM_RSRC2:USER_SGPR: 2
; COMPUTE_PGM_RSRC2:TRAP_HANDLER: 0
; COMPUTE_PGM_RSRC2:TGID_X_EN: 1
; COMPUTE_PGM_RSRC2:TGID_Y_EN: 0
; COMPUTE_PGM_RSRC2:TGID_Z_EN: 0
; COMPUTE_PGM_RSRC2:TIDIG_COMP_CNT: 0
; COMPUTE_PGM_RSRC3_GFX90A:ACCUM_OFFSET: 0
; COMPUTE_PGM_RSRC3_GFX90A:TG_SPLIT: 0
	.section	.text._ZN7rocprim17ROCPRIM_400000_NS6detail17trampoline_kernelINS0_14default_configENS1_25transform_config_selectorINS0_10empty_typeELb1EEEZNS1_14transform_implILb1ES3_S6_PS5_S8_NS0_8identityIS5_EEEE10hipError_tT2_T3_mT4_P12ihipStream_tbEUlT_E_NS1_11comp_targetILNS1_3genE4ELNS1_11target_archE910ELNS1_3gpuE8ELNS1_3repE0EEENS1_30default_config_static_selectorELNS0_4arch9wavefront6targetE1EEEvT1_,"axG",@progbits,_ZN7rocprim17ROCPRIM_400000_NS6detail17trampoline_kernelINS0_14default_configENS1_25transform_config_selectorINS0_10empty_typeELb1EEEZNS1_14transform_implILb1ES3_S6_PS5_S8_NS0_8identityIS5_EEEE10hipError_tT2_T3_mT4_P12ihipStream_tbEUlT_E_NS1_11comp_targetILNS1_3genE4ELNS1_11target_archE910ELNS1_3gpuE8ELNS1_3repE0EEENS1_30default_config_static_selectorELNS0_4arch9wavefront6targetE1EEEvT1_,comdat
	.protected	_ZN7rocprim17ROCPRIM_400000_NS6detail17trampoline_kernelINS0_14default_configENS1_25transform_config_selectorINS0_10empty_typeELb1EEEZNS1_14transform_implILb1ES3_S6_PS5_S8_NS0_8identityIS5_EEEE10hipError_tT2_T3_mT4_P12ihipStream_tbEUlT_E_NS1_11comp_targetILNS1_3genE4ELNS1_11target_archE910ELNS1_3gpuE8ELNS1_3repE0EEENS1_30default_config_static_selectorELNS0_4arch9wavefront6targetE1EEEvT1_ ; -- Begin function _ZN7rocprim17ROCPRIM_400000_NS6detail17trampoline_kernelINS0_14default_configENS1_25transform_config_selectorINS0_10empty_typeELb1EEEZNS1_14transform_implILb1ES3_S6_PS5_S8_NS0_8identityIS5_EEEE10hipError_tT2_T3_mT4_P12ihipStream_tbEUlT_E_NS1_11comp_targetILNS1_3genE4ELNS1_11target_archE910ELNS1_3gpuE8ELNS1_3repE0EEENS1_30default_config_static_selectorELNS0_4arch9wavefront6targetE1EEEvT1_
	.globl	_ZN7rocprim17ROCPRIM_400000_NS6detail17trampoline_kernelINS0_14default_configENS1_25transform_config_selectorINS0_10empty_typeELb1EEEZNS1_14transform_implILb1ES3_S6_PS5_S8_NS0_8identityIS5_EEEE10hipError_tT2_T3_mT4_P12ihipStream_tbEUlT_E_NS1_11comp_targetILNS1_3genE4ELNS1_11target_archE910ELNS1_3gpuE8ELNS1_3repE0EEENS1_30default_config_static_selectorELNS0_4arch9wavefront6targetE1EEEvT1_
	.p2align	8
	.type	_ZN7rocprim17ROCPRIM_400000_NS6detail17trampoline_kernelINS0_14default_configENS1_25transform_config_selectorINS0_10empty_typeELb1EEEZNS1_14transform_implILb1ES3_S6_PS5_S8_NS0_8identityIS5_EEEE10hipError_tT2_T3_mT4_P12ihipStream_tbEUlT_E_NS1_11comp_targetILNS1_3genE4ELNS1_11target_archE910ELNS1_3gpuE8ELNS1_3repE0EEENS1_30default_config_static_selectorELNS0_4arch9wavefront6targetE1EEEvT1_,@function
_ZN7rocprim17ROCPRIM_400000_NS6detail17trampoline_kernelINS0_14default_configENS1_25transform_config_selectorINS0_10empty_typeELb1EEEZNS1_14transform_implILb1ES3_S6_PS5_S8_NS0_8identityIS5_EEEE10hipError_tT2_T3_mT4_P12ihipStream_tbEUlT_E_NS1_11comp_targetILNS1_3genE4ELNS1_11target_archE910ELNS1_3gpuE8ELNS1_3repE0EEENS1_30default_config_static_selectorELNS0_4arch9wavefront6targetE1EEEvT1_: ; @_ZN7rocprim17ROCPRIM_400000_NS6detail17trampoline_kernelINS0_14default_configENS1_25transform_config_selectorINS0_10empty_typeELb1EEEZNS1_14transform_implILb1ES3_S6_PS5_S8_NS0_8identityIS5_EEEE10hipError_tT2_T3_mT4_P12ihipStream_tbEUlT_E_NS1_11comp_targetILNS1_3genE4ELNS1_11target_archE910ELNS1_3gpuE8ELNS1_3repE0EEENS1_30default_config_static_selectorELNS0_4arch9wavefront6targetE1EEEvT1_
; %bb.0:
	.section	.rodata,"a",@progbits
	.p2align	6, 0x0
	.amdhsa_kernel _ZN7rocprim17ROCPRIM_400000_NS6detail17trampoline_kernelINS0_14default_configENS1_25transform_config_selectorINS0_10empty_typeELb1EEEZNS1_14transform_implILb1ES3_S6_PS5_S8_NS0_8identityIS5_EEEE10hipError_tT2_T3_mT4_P12ihipStream_tbEUlT_E_NS1_11comp_targetILNS1_3genE4ELNS1_11target_archE910ELNS1_3gpuE8ELNS1_3repE0EEENS1_30default_config_static_selectorELNS0_4arch9wavefront6targetE1EEEvT1_
		.amdhsa_group_segment_fixed_size 0
		.amdhsa_private_segment_fixed_size 0
		.amdhsa_kernarg_size 40
		.amdhsa_user_sgpr_count 2
		.amdhsa_user_sgpr_dispatch_ptr 0
		.amdhsa_user_sgpr_queue_ptr 0
		.amdhsa_user_sgpr_kernarg_segment_ptr 1
		.amdhsa_user_sgpr_dispatch_id 0
		.amdhsa_user_sgpr_kernarg_preload_length 0
		.amdhsa_user_sgpr_kernarg_preload_offset 0
		.amdhsa_user_sgpr_private_segment_size 0
		.amdhsa_uses_dynamic_stack 0
		.amdhsa_enable_private_segment 0
		.amdhsa_system_sgpr_workgroup_id_x 1
		.amdhsa_system_sgpr_workgroup_id_y 0
		.amdhsa_system_sgpr_workgroup_id_z 0
		.amdhsa_system_sgpr_workgroup_info 0
		.amdhsa_system_vgpr_workitem_id 0
		.amdhsa_next_free_vgpr 1
		.amdhsa_next_free_sgpr 0
		.amdhsa_accum_offset 4
		.amdhsa_reserve_vcc 0
		.amdhsa_float_round_mode_32 0
		.amdhsa_float_round_mode_16_64 0
		.amdhsa_float_denorm_mode_32 3
		.amdhsa_float_denorm_mode_16_64 3
		.amdhsa_dx10_clamp 1
		.amdhsa_ieee_mode 1
		.amdhsa_fp16_overflow 0
		.amdhsa_tg_split 0
		.amdhsa_exception_fp_ieee_invalid_op 0
		.amdhsa_exception_fp_denorm_src 0
		.amdhsa_exception_fp_ieee_div_zero 0
		.amdhsa_exception_fp_ieee_overflow 0
		.amdhsa_exception_fp_ieee_underflow 0
		.amdhsa_exception_fp_ieee_inexact 0
		.amdhsa_exception_int_div_zero 0
	.end_amdhsa_kernel
	.section	.text._ZN7rocprim17ROCPRIM_400000_NS6detail17trampoline_kernelINS0_14default_configENS1_25transform_config_selectorINS0_10empty_typeELb1EEEZNS1_14transform_implILb1ES3_S6_PS5_S8_NS0_8identityIS5_EEEE10hipError_tT2_T3_mT4_P12ihipStream_tbEUlT_E_NS1_11comp_targetILNS1_3genE4ELNS1_11target_archE910ELNS1_3gpuE8ELNS1_3repE0EEENS1_30default_config_static_selectorELNS0_4arch9wavefront6targetE1EEEvT1_,"axG",@progbits,_ZN7rocprim17ROCPRIM_400000_NS6detail17trampoline_kernelINS0_14default_configENS1_25transform_config_selectorINS0_10empty_typeELb1EEEZNS1_14transform_implILb1ES3_S6_PS5_S8_NS0_8identityIS5_EEEE10hipError_tT2_T3_mT4_P12ihipStream_tbEUlT_E_NS1_11comp_targetILNS1_3genE4ELNS1_11target_archE910ELNS1_3gpuE8ELNS1_3repE0EEENS1_30default_config_static_selectorELNS0_4arch9wavefront6targetE1EEEvT1_,comdat
.Lfunc_end79:
	.size	_ZN7rocprim17ROCPRIM_400000_NS6detail17trampoline_kernelINS0_14default_configENS1_25transform_config_selectorINS0_10empty_typeELb1EEEZNS1_14transform_implILb1ES3_S6_PS5_S8_NS0_8identityIS5_EEEE10hipError_tT2_T3_mT4_P12ihipStream_tbEUlT_E_NS1_11comp_targetILNS1_3genE4ELNS1_11target_archE910ELNS1_3gpuE8ELNS1_3repE0EEENS1_30default_config_static_selectorELNS0_4arch9wavefront6targetE1EEEvT1_, .Lfunc_end79-_ZN7rocprim17ROCPRIM_400000_NS6detail17trampoline_kernelINS0_14default_configENS1_25transform_config_selectorINS0_10empty_typeELb1EEEZNS1_14transform_implILb1ES3_S6_PS5_S8_NS0_8identityIS5_EEEE10hipError_tT2_T3_mT4_P12ihipStream_tbEUlT_E_NS1_11comp_targetILNS1_3genE4ELNS1_11target_archE910ELNS1_3gpuE8ELNS1_3repE0EEENS1_30default_config_static_selectorELNS0_4arch9wavefront6targetE1EEEvT1_
                                        ; -- End function
	.set _ZN7rocprim17ROCPRIM_400000_NS6detail17trampoline_kernelINS0_14default_configENS1_25transform_config_selectorINS0_10empty_typeELb1EEEZNS1_14transform_implILb1ES3_S6_PS5_S8_NS0_8identityIS5_EEEE10hipError_tT2_T3_mT4_P12ihipStream_tbEUlT_E_NS1_11comp_targetILNS1_3genE4ELNS1_11target_archE910ELNS1_3gpuE8ELNS1_3repE0EEENS1_30default_config_static_selectorELNS0_4arch9wavefront6targetE1EEEvT1_.num_vgpr, 0
	.set _ZN7rocprim17ROCPRIM_400000_NS6detail17trampoline_kernelINS0_14default_configENS1_25transform_config_selectorINS0_10empty_typeELb1EEEZNS1_14transform_implILb1ES3_S6_PS5_S8_NS0_8identityIS5_EEEE10hipError_tT2_T3_mT4_P12ihipStream_tbEUlT_E_NS1_11comp_targetILNS1_3genE4ELNS1_11target_archE910ELNS1_3gpuE8ELNS1_3repE0EEENS1_30default_config_static_selectorELNS0_4arch9wavefront6targetE1EEEvT1_.num_agpr, 0
	.set _ZN7rocprim17ROCPRIM_400000_NS6detail17trampoline_kernelINS0_14default_configENS1_25transform_config_selectorINS0_10empty_typeELb1EEEZNS1_14transform_implILb1ES3_S6_PS5_S8_NS0_8identityIS5_EEEE10hipError_tT2_T3_mT4_P12ihipStream_tbEUlT_E_NS1_11comp_targetILNS1_3genE4ELNS1_11target_archE910ELNS1_3gpuE8ELNS1_3repE0EEENS1_30default_config_static_selectorELNS0_4arch9wavefront6targetE1EEEvT1_.numbered_sgpr, 0
	.set _ZN7rocprim17ROCPRIM_400000_NS6detail17trampoline_kernelINS0_14default_configENS1_25transform_config_selectorINS0_10empty_typeELb1EEEZNS1_14transform_implILb1ES3_S6_PS5_S8_NS0_8identityIS5_EEEE10hipError_tT2_T3_mT4_P12ihipStream_tbEUlT_E_NS1_11comp_targetILNS1_3genE4ELNS1_11target_archE910ELNS1_3gpuE8ELNS1_3repE0EEENS1_30default_config_static_selectorELNS0_4arch9wavefront6targetE1EEEvT1_.num_named_barrier, 0
	.set _ZN7rocprim17ROCPRIM_400000_NS6detail17trampoline_kernelINS0_14default_configENS1_25transform_config_selectorINS0_10empty_typeELb1EEEZNS1_14transform_implILb1ES3_S6_PS5_S8_NS0_8identityIS5_EEEE10hipError_tT2_T3_mT4_P12ihipStream_tbEUlT_E_NS1_11comp_targetILNS1_3genE4ELNS1_11target_archE910ELNS1_3gpuE8ELNS1_3repE0EEENS1_30default_config_static_selectorELNS0_4arch9wavefront6targetE1EEEvT1_.private_seg_size, 0
	.set _ZN7rocprim17ROCPRIM_400000_NS6detail17trampoline_kernelINS0_14default_configENS1_25transform_config_selectorINS0_10empty_typeELb1EEEZNS1_14transform_implILb1ES3_S6_PS5_S8_NS0_8identityIS5_EEEE10hipError_tT2_T3_mT4_P12ihipStream_tbEUlT_E_NS1_11comp_targetILNS1_3genE4ELNS1_11target_archE910ELNS1_3gpuE8ELNS1_3repE0EEENS1_30default_config_static_selectorELNS0_4arch9wavefront6targetE1EEEvT1_.uses_vcc, 0
	.set _ZN7rocprim17ROCPRIM_400000_NS6detail17trampoline_kernelINS0_14default_configENS1_25transform_config_selectorINS0_10empty_typeELb1EEEZNS1_14transform_implILb1ES3_S6_PS5_S8_NS0_8identityIS5_EEEE10hipError_tT2_T3_mT4_P12ihipStream_tbEUlT_E_NS1_11comp_targetILNS1_3genE4ELNS1_11target_archE910ELNS1_3gpuE8ELNS1_3repE0EEENS1_30default_config_static_selectorELNS0_4arch9wavefront6targetE1EEEvT1_.uses_flat_scratch, 0
	.set _ZN7rocprim17ROCPRIM_400000_NS6detail17trampoline_kernelINS0_14default_configENS1_25transform_config_selectorINS0_10empty_typeELb1EEEZNS1_14transform_implILb1ES3_S6_PS5_S8_NS0_8identityIS5_EEEE10hipError_tT2_T3_mT4_P12ihipStream_tbEUlT_E_NS1_11comp_targetILNS1_3genE4ELNS1_11target_archE910ELNS1_3gpuE8ELNS1_3repE0EEENS1_30default_config_static_selectorELNS0_4arch9wavefront6targetE1EEEvT1_.has_dyn_sized_stack, 0
	.set _ZN7rocprim17ROCPRIM_400000_NS6detail17trampoline_kernelINS0_14default_configENS1_25transform_config_selectorINS0_10empty_typeELb1EEEZNS1_14transform_implILb1ES3_S6_PS5_S8_NS0_8identityIS5_EEEE10hipError_tT2_T3_mT4_P12ihipStream_tbEUlT_E_NS1_11comp_targetILNS1_3genE4ELNS1_11target_archE910ELNS1_3gpuE8ELNS1_3repE0EEENS1_30default_config_static_selectorELNS0_4arch9wavefront6targetE1EEEvT1_.has_recursion, 0
	.set _ZN7rocprim17ROCPRIM_400000_NS6detail17trampoline_kernelINS0_14default_configENS1_25transform_config_selectorINS0_10empty_typeELb1EEEZNS1_14transform_implILb1ES3_S6_PS5_S8_NS0_8identityIS5_EEEE10hipError_tT2_T3_mT4_P12ihipStream_tbEUlT_E_NS1_11comp_targetILNS1_3genE4ELNS1_11target_archE910ELNS1_3gpuE8ELNS1_3repE0EEENS1_30default_config_static_selectorELNS0_4arch9wavefront6targetE1EEEvT1_.has_indirect_call, 0
	.section	.AMDGPU.csdata,"",@progbits
; Kernel info:
; codeLenInByte = 0
; TotalNumSgprs: 6
; NumVgprs: 0
; NumAgprs: 0
; TotalNumVgprs: 0
; ScratchSize: 0
; MemoryBound: 0
; FloatMode: 240
; IeeeMode: 1
; LDSByteSize: 0 bytes/workgroup (compile time only)
; SGPRBlocks: 0
; VGPRBlocks: 0
; NumSGPRsForWavesPerEU: 6
; NumVGPRsForWavesPerEU: 1
; AccumOffset: 4
; Occupancy: 8
; WaveLimiterHint : 0
; COMPUTE_PGM_RSRC2:SCRATCH_EN: 0
; COMPUTE_PGM_RSRC2:USER_SGPR: 2
; COMPUTE_PGM_RSRC2:TRAP_HANDLER: 0
; COMPUTE_PGM_RSRC2:TGID_X_EN: 1
; COMPUTE_PGM_RSRC2:TGID_Y_EN: 0
; COMPUTE_PGM_RSRC2:TGID_Z_EN: 0
; COMPUTE_PGM_RSRC2:TIDIG_COMP_CNT: 0
; COMPUTE_PGM_RSRC3_GFX90A:ACCUM_OFFSET: 0
; COMPUTE_PGM_RSRC3_GFX90A:TG_SPLIT: 0
	.section	.text._ZN7rocprim17ROCPRIM_400000_NS6detail17trampoline_kernelINS0_14default_configENS1_25transform_config_selectorINS0_10empty_typeELb1EEEZNS1_14transform_implILb1ES3_S6_PS5_S8_NS0_8identityIS5_EEEE10hipError_tT2_T3_mT4_P12ihipStream_tbEUlT_E_NS1_11comp_targetILNS1_3genE3ELNS1_11target_archE908ELNS1_3gpuE7ELNS1_3repE0EEENS1_30default_config_static_selectorELNS0_4arch9wavefront6targetE1EEEvT1_,"axG",@progbits,_ZN7rocprim17ROCPRIM_400000_NS6detail17trampoline_kernelINS0_14default_configENS1_25transform_config_selectorINS0_10empty_typeELb1EEEZNS1_14transform_implILb1ES3_S6_PS5_S8_NS0_8identityIS5_EEEE10hipError_tT2_T3_mT4_P12ihipStream_tbEUlT_E_NS1_11comp_targetILNS1_3genE3ELNS1_11target_archE908ELNS1_3gpuE7ELNS1_3repE0EEENS1_30default_config_static_selectorELNS0_4arch9wavefront6targetE1EEEvT1_,comdat
	.protected	_ZN7rocprim17ROCPRIM_400000_NS6detail17trampoline_kernelINS0_14default_configENS1_25transform_config_selectorINS0_10empty_typeELb1EEEZNS1_14transform_implILb1ES3_S6_PS5_S8_NS0_8identityIS5_EEEE10hipError_tT2_T3_mT4_P12ihipStream_tbEUlT_E_NS1_11comp_targetILNS1_3genE3ELNS1_11target_archE908ELNS1_3gpuE7ELNS1_3repE0EEENS1_30default_config_static_selectorELNS0_4arch9wavefront6targetE1EEEvT1_ ; -- Begin function _ZN7rocprim17ROCPRIM_400000_NS6detail17trampoline_kernelINS0_14default_configENS1_25transform_config_selectorINS0_10empty_typeELb1EEEZNS1_14transform_implILb1ES3_S6_PS5_S8_NS0_8identityIS5_EEEE10hipError_tT2_T3_mT4_P12ihipStream_tbEUlT_E_NS1_11comp_targetILNS1_3genE3ELNS1_11target_archE908ELNS1_3gpuE7ELNS1_3repE0EEENS1_30default_config_static_selectorELNS0_4arch9wavefront6targetE1EEEvT1_
	.globl	_ZN7rocprim17ROCPRIM_400000_NS6detail17trampoline_kernelINS0_14default_configENS1_25transform_config_selectorINS0_10empty_typeELb1EEEZNS1_14transform_implILb1ES3_S6_PS5_S8_NS0_8identityIS5_EEEE10hipError_tT2_T3_mT4_P12ihipStream_tbEUlT_E_NS1_11comp_targetILNS1_3genE3ELNS1_11target_archE908ELNS1_3gpuE7ELNS1_3repE0EEENS1_30default_config_static_selectorELNS0_4arch9wavefront6targetE1EEEvT1_
	.p2align	8
	.type	_ZN7rocprim17ROCPRIM_400000_NS6detail17trampoline_kernelINS0_14default_configENS1_25transform_config_selectorINS0_10empty_typeELb1EEEZNS1_14transform_implILb1ES3_S6_PS5_S8_NS0_8identityIS5_EEEE10hipError_tT2_T3_mT4_P12ihipStream_tbEUlT_E_NS1_11comp_targetILNS1_3genE3ELNS1_11target_archE908ELNS1_3gpuE7ELNS1_3repE0EEENS1_30default_config_static_selectorELNS0_4arch9wavefront6targetE1EEEvT1_,@function
_ZN7rocprim17ROCPRIM_400000_NS6detail17trampoline_kernelINS0_14default_configENS1_25transform_config_selectorINS0_10empty_typeELb1EEEZNS1_14transform_implILb1ES3_S6_PS5_S8_NS0_8identityIS5_EEEE10hipError_tT2_T3_mT4_P12ihipStream_tbEUlT_E_NS1_11comp_targetILNS1_3genE3ELNS1_11target_archE908ELNS1_3gpuE7ELNS1_3repE0EEENS1_30default_config_static_selectorELNS0_4arch9wavefront6targetE1EEEvT1_: ; @_ZN7rocprim17ROCPRIM_400000_NS6detail17trampoline_kernelINS0_14default_configENS1_25transform_config_selectorINS0_10empty_typeELb1EEEZNS1_14transform_implILb1ES3_S6_PS5_S8_NS0_8identityIS5_EEEE10hipError_tT2_T3_mT4_P12ihipStream_tbEUlT_E_NS1_11comp_targetILNS1_3genE3ELNS1_11target_archE908ELNS1_3gpuE7ELNS1_3repE0EEENS1_30default_config_static_selectorELNS0_4arch9wavefront6targetE1EEEvT1_
; %bb.0:
	.section	.rodata,"a",@progbits
	.p2align	6, 0x0
	.amdhsa_kernel _ZN7rocprim17ROCPRIM_400000_NS6detail17trampoline_kernelINS0_14default_configENS1_25transform_config_selectorINS0_10empty_typeELb1EEEZNS1_14transform_implILb1ES3_S6_PS5_S8_NS0_8identityIS5_EEEE10hipError_tT2_T3_mT4_P12ihipStream_tbEUlT_E_NS1_11comp_targetILNS1_3genE3ELNS1_11target_archE908ELNS1_3gpuE7ELNS1_3repE0EEENS1_30default_config_static_selectorELNS0_4arch9wavefront6targetE1EEEvT1_
		.amdhsa_group_segment_fixed_size 0
		.amdhsa_private_segment_fixed_size 0
		.amdhsa_kernarg_size 40
		.amdhsa_user_sgpr_count 2
		.amdhsa_user_sgpr_dispatch_ptr 0
		.amdhsa_user_sgpr_queue_ptr 0
		.amdhsa_user_sgpr_kernarg_segment_ptr 1
		.amdhsa_user_sgpr_dispatch_id 0
		.amdhsa_user_sgpr_kernarg_preload_length 0
		.amdhsa_user_sgpr_kernarg_preload_offset 0
		.amdhsa_user_sgpr_private_segment_size 0
		.amdhsa_uses_dynamic_stack 0
		.amdhsa_enable_private_segment 0
		.amdhsa_system_sgpr_workgroup_id_x 1
		.amdhsa_system_sgpr_workgroup_id_y 0
		.amdhsa_system_sgpr_workgroup_id_z 0
		.amdhsa_system_sgpr_workgroup_info 0
		.amdhsa_system_vgpr_workitem_id 0
		.amdhsa_next_free_vgpr 1
		.amdhsa_next_free_sgpr 0
		.amdhsa_accum_offset 4
		.amdhsa_reserve_vcc 0
		.amdhsa_float_round_mode_32 0
		.amdhsa_float_round_mode_16_64 0
		.amdhsa_float_denorm_mode_32 3
		.amdhsa_float_denorm_mode_16_64 3
		.amdhsa_dx10_clamp 1
		.amdhsa_ieee_mode 1
		.amdhsa_fp16_overflow 0
		.amdhsa_tg_split 0
		.amdhsa_exception_fp_ieee_invalid_op 0
		.amdhsa_exception_fp_denorm_src 0
		.amdhsa_exception_fp_ieee_div_zero 0
		.amdhsa_exception_fp_ieee_overflow 0
		.amdhsa_exception_fp_ieee_underflow 0
		.amdhsa_exception_fp_ieee_inexact 0
		.amdhsa_exception_int_div_zero 0
	.end_amdhsa_kernel
	.section	.text._ZN7rocprim17ROCPRIM_400000_NS6detail17trampoline_kernelINS0_14default_configENS1_25transform_config_selectorINS0_10empty_typeELb1EEEZNS1_14transform_implILb1ES3_S6_PS5_S8_NS0_8identityIS5_EEEE10hipError_tT2_T3_mT4_P12ihipStream_tbEUlT_E_NS1_11comp_targetILNS1_3genE3ELNS1_11target_archE908ELNS1_3gpuE7ELNS1_3repE0EEENS1_30default_config_static_selectorELNS0_4arch9wavefront6targetE1EEEvT1_,"axG",@progbits,_ZN7rocprim17ROCPRIM_400000_NS6detail17trampoline_kernelINS0_14default_configENS1_25transform_config_selectorINS0_10empty_typeELb1EEEZNS1_14transform_implILb1ES3_S6_PS5_S8_NS0_8identityIS5_EEEE10hipError_tT2_T3_mT4_P12ihipStream_tbEUlT_E_NS1_11comp_targetILNS1_3genE3ELNS1_11target_archE908ELNS1_3gpuE7ELNS1_3repE0EEENS1_30default_config_static_selectorELNS0_4arch9wavefront6targetE1EEEvT1_,comdat
.Lfunc_end80:
	.size	_ZN7rocprim17ROCPRIM_400000_NS6detail17trampoline_kernelINS0_14default_configENS1_25transform_config_selectorINS0_10empty_typeELb1EEEZNS1_14transform_implILb1ES3_S6_PS5_S8_NS0_8identityIS5_EEEE10hipError_tT2_T3_mT4_P12ihipStream_tbEUlT_E_NS1_11comp_targetILNS1_3genE3ELNS1_11target_archE908ELNS1_3gpuE7ELNS1_3repE0EEENS1_30default_config_static_selectorELNS0_4arch9wavefront6targetE1EEEvT1_, .Lfunc_end80-_ZN7rocprim17ROCPRIM_400000_NS6detail17trampoline_kernelINS0_14default_configENS1_25transform_config_selectorINS0_10empty_typeELb1EEEZNS1_14transform_implILb1ES3_S6_PS5_S8_NS0_8identityIS5_EEEE10hipError_tT2_T3_mT4_P12ihipStream_tbEUlT_E_NS1_11comp_targetILNS1_3genE3ELNS1_11target_archE908ELNS1_3gpuE7ELNS1_3repE0EEENS1_30default_config_static_selectorELNS0_4arch9wavefront6targetE1EEEvT1_
                                        ; -- End function
	.set _ZN7rocprim17ROCPRIM_400000_NS6detail17trampoline_kernelINS0_14default_configENS1_25transform_config_selectorINS0_10empty_typeELb1EEEZNS1_14transform_implILb1ES3_S6_PS5_S8_NS0_8identityIS5_EEEE10hipError_tT2_T3_mT4_P12ihipStream_tbEUlT_E_NS1_11comp_targetILNS1_3genE3ELNS1_11target_archE908ELNS1_3gpuE7ELNS1_3repE0EEENS1_30default_config_static_selectorELNS0_4arch9wavefront6targetE1EEEvT1_.num_vgpr, 0
	.set _ZN7rocprim17ROCPRIM_400000_NS6detail17trampoline_kernelINS0_14default_configENS1_25transform_config_selectorINS0_10empty_typeELb1EEEZNS1_14transform_implILb1ES3_S6_PS5_S8_NS0_8identityIS5_EEEE10hipError_tT2_T3_mT4_P12ihipStream_tbEUlT_E_NS1_11comp_targetILNS1_3genE3ELNS1_11target_archE908ELNS1_3gpuE7ELNS1_3repE0EEENS1_30default_config_static_selectorELNS0_4arch9wavefront6targetE1EEEvT1_.num_agpr, 0
	.set _ZN7rocprim17ROCPRIM_400000_NS6detail17trampoline_kernelINS0_14default_configENS1_25transform_config_selectorINS0_10empty_typeELb1EEEZNS1_14transform_implILb1ES3_S6_PS5_S8_NS0_8identityIS5_EEEE10hipError_tT2_T3_mT4_P12ihipStream_tbEUlT_E_NS1_11comp_targetILNS1_3genE3ELNS1_11target_archE908ELNS1_3gpuE7ELNS1_3repE0EEENS1_30default_config_static_selectorELNS0_4arch9wavefront6targetE1EEEvT1_.numbered_sgpr, 0
	.set _ZN7rocprim17ROCPRIM_400000_NS6detail17trampoline_kernelINS0_14default_configENS1_25transform_config_selectorINS0_10empty_typeELb1EEEZNS1_14transform_implILb1ES3_S6_PS5_S8_NS0_8identityIS5_EEEE10hipError_tT2_T3_mT4_P12ihipStream_tbEUlT_E_NS1_11comp_targetILNS1_3genE3ELNS1_11target_archE908ELNS1_3gpuE7ELNS1_3repE0EEENS1_30default_config_static_selectorELNS0_4arch9wavefront6targetE1EEEvT1_.num_named_barrier, 0
	.set _ZN7rocprim17ROCPRIM_400000_NS6detail17trampoline_kernelINS0_14default_configENS1_25transform_config_selectorINS0_10empty_typeELb1EEEZNS1_14transform_implILb1ES3_S6_PS5_S8_NS0_8identityIS5_EEEE10hipError_tT2_T3_mT4_P12ihipStream_tbEUlT_E_NS1_11comp_targetILNS1_3genE3ELNS1_11target_archE908ELNS1_3gpuE7ELNS1_3repE0EEENS1_30default_config_static_selectorELNS0_4arch9wavefront6targetE1EEEvT1_.private_seg_size, 0
	.set _ZN7rocprim17ROCPRIM_400000_NS6detail17trampoline_kernelINS0_14default_configENS1_25transform_config_selectorINS0_10empty_typeELb1EEEZNS1_14transform_implILb1ES3_S6_PS5_S8_NS0_8identityIS5_EEEE10hipError_tT2_T3_mT4_P12ihipStream_tbEUlT_E_NS1_11comp_targetILNS1_3genE3ELNS1_11target_archE908ELNS1_3gpuE7ELNS1_3repE0EEENS1_30default_config_static_selectorELNS0_4arch9wavefront6targetE1EEEvT1_.uses_vcc, 0
	.set _ZN7rocprim17ROCPRIM_400000_NS6detail17trampoline_kernelINS0_14default_configENS1_25transform_config_selectorINS0_10empty_typeELb1EEEZNS1_14transform_implILb1ES3_S6_PS5_S8_NS0_8identityIS5_EEEE10hipError_tT2_T3_mT4_P12ihipStream_tbEUlT_E_NS1_11comp_targetILNS1_3genE3ELNS1_11target_archE908ELNS1_3gpuE7ELNS1_3repE0EEENS1_30default_config_static_selectorELNS0_4arch9wavefront6targetE1EEEvT1_.uses_flat_scratch, 0
	.set _ZN7rocprim17ROCPRIM_400000_NS6detail17trampoline_kernelINS0_14default_configENS1_25transform_config_selectorINS0_10empty_typeELb1EEEZNS1_14transform_implILb1ES3_S6_PS5_S8_NS0_8identityIS5_EEEE10hipError_tT2_T3_mT4_P12ihipStream_tbEUlT_E_NS1_11comp_targetILNS1_3genE3ELNS1_11target_archE908ELNS1_3gpuE7ELNS1_3repE0EEENS1_30default_config_static_selectorELNS0_4arch9wavefront6targetE1EEEvT1_.has_dyn_sized_stack, 0
	.set _ZN7rocprim17ROCPRIM_400000_NS6detail17trampoline_kernelINS0_14default_configENS1_25transform_config_selectorINS0_10empty_typeELb1EEEZNS1_14transform_implILb1ES3_S6_PS5_S8_NS0_8identityIS5_EEEE10hipError_tT2_T3_mT4_P12ihipStream_tbEUlT_E_NS1_11comp_targetILNS1_3genE3ELNS1_11target_archE908ELNS1_3gpuE7ELNS1_3repE0EEENS1_30default_config_static_selectorELNS0_4arch9wavefront6targetE1EEEvT1_.has_recursion, 0
	.set _ZN7rocprim17ROCPRIM_400000_NS6detail17trampoline_kernelINS0_14default_configENS1_25transform_config_selectorINS0_10empty_typeELb1EEEZNS1_14transform_implILb1ES3_S6_PS5_S8_NS0_8identityIS5_EEEE10hipError_tT2_T3_mT4_P12ihipStream_tbEUlT_E_NS1_11comp_targetILNS1_3genE3ELNS1_11target_archE908ELNS1_3gpuE7ELNS1_3repE0EEENS1_30default_config_static_selectorELNS0_4arch9wavefront6targetE1EEEvT1_.has_indirect_call, 0
	.section	.AMDGPU.csdata,"",@progbits
; Kernel info:
; codeLenInByte = 0
; TotalNumSgprs: 6
; NumVgprs: 0
; NumAgprs: 0
; TotalNumVgprs: 0
; ScratchSize: 0
; MemoryBound: 0
; FloatMode: 240
; IeeeMode: 1
; LDSByteSize: 0 bytes/workgroup (compile time only)
; SGPRBlocks: 0
; VGPRBlocks: 0
; NumSGPRsForWavesPerEU: 6
; NumVGPRsForWavesPerEU: 1
; AccumOffset: 4
; Occupancy: 8
; WaveLimiterHint : 0
; COMPUTE_PGM_RSRC2:SCRATCH_EN: 0
; COMPUTE_PGM_RSRC2:USER_SGPR: 2
; COMPUTE_PGM_RSRC2:TRAP_HANDLER: 0
; COMPUTE_PGM_RSRC2:TGID_X_EN: 1
; COMPUTE_PGM_RSRC2:TGID_Y_EN: 0
; COMPUTE_PGM_RSRC2:TGID_Z_EN: 0
; COMPUTE_PGM_RSRC2:TIDIG_COMP_CNT: 0
; COMPUTE_PGM_RSRC3_GFX90A:ACCUM_OFFSET: 0
; COMPUTE_PGM_RSRC3_GFX90A:TG_SPLIT: 0
	.section	.text._ZN7rocprim17ROCPRIM_400000_NS6detail17trampoline_kernelINS0_14default_configENS1_25transform_config_selectorINS0_10empty_typeELb1EEEZNS1_14transform_implILb1ES3_S6_PS5_S8_NS0_8identityIS5_EEEE10hipError_tT2_T3_mT4_P12ihipStream_tbEUlT_E_NS1_11comp_targetILNS1_3genE2ELNS1_11target_archE906ELNS1_3gpuE6ELNS1_3repE0EEENS1_30default_config_static_selectorELNS0_4arch9wavefront6targetE1EEEvT1_,"axG",@progbits,_ZN7rocprim17ROCPRIM_400000_NS6detail17trampoline_kernelINS0_14default_configENS1_25transform_config_selectorINS0_10empty_typeELb1EEEZNS1_14transform_implILb1ES3_S6_PS5_S8_NS0_8identityIS5_EEEE10hipError_tT2_T3_mT4_P12ihipStream_tbEUlT_E_NS1_11comp_targetILNS1_3genE2ELNS1_11target_archE906ELNS1_3gpuE6ELNS1_3repE0EEENS1_30default_config_static_selectorELNS0_4arch9wavefront6targetE1EEEvT1_,comdat
	.protected	_ZN7rocprim17ROCPRIM_400000_NS6detail17trampoline_kernelINS0_14default_configENS1_25transform_config_selectorINS0_10empty_typeELb1EEEZNS1_14transform_implILb1ES3_S6_PS5_S8_NS0_8identityIS5_EEEE10hipError_tT2_T3_mT4_P12ihipStream_tbEUlT_E_NS1_11comp_targetILNS1_3genE2ELNS1_11target_archE906ELNS1_3gpuE6ELNS1_3repE0EEENS1_30default_config_static_selectorELNS0_4arch9wavefront6targetE1EEEvT1_ ; -- Begin function _ZN7rocprim17ROCPRIM_400000_NS6detail17trampoline_kernelINS0_14default_configENS1_25transform_config_selectorINS0_10empty_typeELb1EEEZNS1_14transform_implILb1ES3_S6_PS5_S8_NS0_8identityIS5_EEEE10hipError_tT2_T3_mT4_P12ihipStream_tbEUlT_E_NS1_11comp_targetILNS1_3genE2ELNS1_11target_archE906ELNS1_3gpuE6ELNS1_3repE0EEENS1_30default_config_static_selectorELNS0_4arch9wavefront6targetE1EEEvT1_
	.globl	_ZN7rocprim17ROCPRIM_400000_NS6detail17trampoline_kernelINS0_14default_configENS1_25transform_config_selectorINS0_10empty_typeELb1EEEZNS1_14transform_implILb1ES3_S6_PS5_S8_NS0_8identityIS5_EEEE10hipError_tT2_T3_mT4_P12ihipStream_tbEUlT_E_NS1_11comp_targetILNS1_3genE2ELNS1_11target_archE906ELNS1_3gpuE6ELNS1_3repE0EEENS1_30default_config_static_selectorELNS0_4arch9wavefront6targetE1EEEvT1_
	.p2align	8
	.type	_ZN7rocprim17ROCPRIM_400000_NS6detail17trampoline_kernelINS0_14default_configENS1_25transform_config_selectorINS0_10empty_typeELb1EEEZNS1_14transform_implILb1ES3_S6_PS5_S8_NS0_8identityIS5_EEEE10hipError_tT2_T3_mT4_P12ihipStream_tbEUlT_E_NS1_11comp_targetILNS1_3genE2ELNS1_11target_archE906ELNS1_3gpuE6ELNS1_3repE0EEENS1_30default_config_static_selectorELNS0_4arch9wavefront6targetE1EEEvT1_,@function
_ZN7rocprim17ROCPRIM_400000_NS6detail17trampoline_kernelINS0_14default_configENS1_25transform_config_selectorINS0_10empty_typeELb1EEEZNS1_14transform_implILb1ES3_S6_PS5_S8_NS0_8identityIS5_EEEE10hipError_tT2_T3_mT4_P12ihipStream_tbEUlT_E_NS1_11comp_targetILNS1_3genE2ELNS1_11target_archE906ELNS1_3gpuE6ELNS1_3repE0EEENS1_30default_config_static_selectorELNS0_4arch9wavefront6targetE1EEEvT1_: ; @_ZN7rocprim17ROCPRIM_400000_NS6detail17trampoline_kernelINS0_14default_configENS1_25transform_config_selectorINS0_10empty_typeELb1EEEZNS1_14transform_implILb1ES3_S6_PS5_S8_NS0_8identityIS5_EEEE10hipError_tT2_T3_mT4_P12ihipStream_tbEUlT_E_NS1_11comp_targetILNS1_3genE2ELNS1_11target_archE906ELNS1_3gpuE6ELNS1_3repE0EEENS1_30default_config_static_selectorELNS0_4arch9wavefront6targetE1EEEvT1_
; %bb.0:
	.section	.rodata,"a",@progbits
	.p2align	6, 0x0
	.amdhsa_kernel _ZN7rocprim17ROCPRIM_400000_NS6detail17trampoline_kernelINS0_14default_configENS1_25transform_config_selectorINS0_10empty_typeELb1EEEZNS1_14transform_implILb1ES3_S6_PS5_S8_NS0_8identityIS5_EEEE10hipError_tT2_T3_mT4_P12ihipStream_tbEUlT_E_NS1_11comp_targetILNS1_3genE2ELNS1_11target_archE906ELNS1_3gpuE6ELNS1_3repE0EEENS1_30default_config_static_selectorELNS0_4arch9wavefront6targetE1EEEvT1_
		.amdhsa_group_segment_fixed_size 0
		.amdhsa_private_segment_fixed_size 0
		.amdhsa_kernarg_size 40
		.amdhsa_user_sgpr_count 2
		.amdhsa_user_sgpr_dispatch_ptr 0
		.amdhsa_user_sgpr_queue_ptr 0
		.amdhsa_user_sgpr_kernarg_segment_ptr 1
		.amdhsa_user_sgpr_dispatch_id 0
		.amdhsa_user_sgpr_kernarg_preload_length 0
		.amdhsa_user_sgpr_kernarg_preload_offset 0
		.amdhsa_user_sgpr_private_segment_size 0
		.amdhsa_uses_dynamic_stack 0
		.amdhsa_enable_private_segment 0
		.amdhsa_system_sgpr_workgroup_id_x 1
		.amdhsa_system_sgpr_workgroup_id_y 0
		.amdhsa_system_sgpr_workgroup_id_z 0
		.amdhsa_system_sgpr_workgroup_info 0
		.amdhsa_system_vgpr_workitem_id 0
		.amdhsa_next_free_vgpr 1
		.amdhsa_next_free_sgpr 0
		.amdhsa_accum_offset 4
		.amdhsa_reserve_vcc 0
		.amdhsa_float_round_mode_32 0
		.amdhsa_float_round_mode_16_64 0
		.amdhsa_float_denorm_mode_32 3
		.amdhsa_float_denorm_mode_16_64 3
		.amdhsa_dx10_clamp 1
		.amdhsa_ieee_mode 1
		.amdhsa_fp16_overflow 0
		.amdhsa_tg_split 0
		.amdhsa_exception_fp_ieee_invalid_op 0
		.amdhsa_exception_fp_denorm_src 0
		.amdhsa_exception_fp_ieee_div_zero 0
		.amdhsa_exception_fp_ieee_overflow 0
		.amdhsa_exception_fp_ieee_underflow 0
		.amdhsa_exception_fp_ieee_inexact 0
		.amdhsa_exception_int_div_zero 0
	.end_amdhsa_kernel
	.section	.text._ZN7rocprim17ROCPRIM_400000_NS6detail17trampoline_kernelINS0_14default_configENS1_25transform_config_selectorINS0_10empty_typeELb1EEEZNS1_14transform_implILb1ES3_S6_PS5_S8_NS0_8identityIS5_EEEE10hipError_tT2_T3_mT4_P12ihipStream_tbEUlT_E_NS1_11comp_targetILNS1_3genE2ELNS1_11target_archE906ELNS1_3gpuE6ELNS1_3repE0EEENS1_30default_config_static_selectorELNS0_4arch9wavefront6targetE1EEEvT1_,"axG",@progbits,_ZN7rocprim17ROCPRIM_400000_NS6detail17trampoline_kernelINS0_14default_configENS1_25transform_config_selectorINS0_10empty_typeELb1EEEZNS1_14transform_implILb1ES3_S6_PS5_S8_NS0_8identityIS5_EEEE10hipError_tT2_T3_mT4_P12ihipStream_tbEUlT_E_NS1_11comp_targetILNS1_3genE2ELNS1_11target_archE906ELNS1_3gpuE6ELNS1_3repE0EEENS1_30default_config_static_selectorELNS0_4arch9wavefront6targetE1EEEvT1_,comdat
.Lfunc_end81:
	.size	_ZN7rocprim17ROCPRIM_400000_NS6detail17trampoline_kernelINS0_14default_configENS1_25transform_config_selectorINS0_10empty_typeELb1EEEZNS1_14transform_implILb1ES3_S6_PS5_S8_NS0_8identityIS5_EEEE10hipError_tT2_T3_mT4_P12ihipStream_tbEUlT_E_NS1_11comp_targetILNS1_3genE2ELNS1_11target_archE906ELNS1_3gpuE6ELNS1_3repE0EEENS1_30default_config_static_selectorELNS0_4arch9wavefront6targetE1EEEvT1_, .Lfunc_end81-_ZN7rocprim17ROCPRIM_400000_NS6detail17trampoline_kernelINS0_14default_configENS1_25transform_config_selectorINS0_10empty_typeELb1EEEZNS1_14transform_implILb1ES3_S6_PS5_S8_NS0_8identityIS5_EEEE10hipError_tT2_T3_mT4_P12ihipStream_tbEUlT_E_NS1_11comp_targetILNS1_3genE2ELNS1_11target_archE906ELNS1_3gpuE6ELNS1_3repE0EEENS1_30default_config_static_selectorELNS0_4arch9wavefront6targetE1EEEvT1_
                                        ; -- End function
	.set _ZN7rocprim17ROCPRIM_400000_NS6detail17trampoline_kernelINS0_14default_configENS1_25transform_config_selectorINS0_10empty_typeELb1EEEZNS1_14transform_implILb1ES3_S6_PS5_S8_NS0_8identityIS5_EEEE10hipError_tT2_T3_mT4_P12ihipStream_tbEUlT_E_NS1_11comp_targetILNS1_3genE2ELNS1_11target_archE906ELNS1_3gpuE6ELNS1_3repE0EEENS1_30default_config_static_selectorELNS0_4arch9wavefront6targetE1EEEvT1_.num_vgpr, 0
	.set _ZN7rocprim17ROCPRIM_400000_NS6detail17trampoline_kernelINS0_14default_configENS1_25transform_config_selectorINS0_10empty_typeELb1EEEZNS1_14transform_implILb1ES3_S6_PS5_S8_NS0_8identityIS5_EEEE10hipError_tT2_T3_mT4_P12ihipStream_tbEUlT_E_NS1_11comp_targetILNS1_3genE2ELNS1_11target_archE906ELNS1_3gpuE6ELNS1_3repE0EEENS1_30default_config_static_selectorELNS0_4arch9wavefront6targetE1EEEvT1_.num_agpr, 0
	.set _ZN7rocprim17ROCPRIM_400000_NS6detail17trampoline_kernelINS0_14default_configENS1_25transform_config_selectorINS0_10empty_typeELb1EEEZNS1_14transform_implILb1ES3_S6_PS5_S8_NS0_8identityIS5_EEEE10hipError_tT2_T3_mT4_P12ihipStream_tbEUlT_E_NS1_11comp_targetILNS1_3genE2ELNS1_11target_archE906ELNS1_3gpuE6ELNS1_3repE0EEENS1_30default_config_static_selectorELNS0_4arch9wavefront6targetE1EEEvT1_.numbered_sgpr, 0
	.set _ZN7rocprim17ROCPRIM_400000_NS6detail17trampoline_kernelINS0_14default_configENS1_25transform_config_selectorINS0_10empty_typeELb1EEEZNS1_14transform_implILb1ES3_S6_PS5_S8_NS0_8identityIS5_EEEE10hipError_tT2_T3_mT4_P12ihipStream_tbEUlT_E_NS1_11comp_targetILNS1_3genE2ELNS1_11target_archE906ELNS1_3gpuE6ELNS1_3repE0EEENS1_30default_config_static_selectorELNS0_4arch9wavefront6targetE1EEEvT1_.num_named_barrier, 0
	.set _ZN7rocprim17ROCPRIM_400000_NS6detail17trampoline_kernelINS0_14default_configENS1_25transform_config_selectorINS0_10empty_typeELb1EEEZNS1_14transform_implILb1ES3_S6_PS5_S8_NS0_8identityIS5_EEEE10hipError_tT2_T3_mT4_P12ihipStream_tbEUlT_E_NS1_11comp_targetILNS1_3genE2ELNS1_11target_archE906ELNS1_3gpuE6ELNS1_3repE0EEENS1_30default_config_static_selectorELNS0_4arch9wavefront6targetE1EEEvT1_.private_seg_size, 0
	.set _ZN7rocprim17ROCPRIM_400000_NS6detail17trampoline_kernelINS0_14default_configENS1_25transform_config_selectorINS0_10empty_typeELb1EEEZNS1_14transform_implILb1ES3_S6_PS5_S8_NS0_8identityIS5_EEEE10hipError_tT2_T3_mT4_P12ihipStream_tbEUlT_E_NS1_11comp_targetILNS1_3genE2ELNS1_11target_archE906ELNS1_3gpuE6ELNS1_3repE0EEENS1_30default_config_static_selectorELNS0_4arch9wavefront6targetE1EEEvT1_.uses_vcc, 0
	.set _ZN7rocprim17ROCPRIM_400000_NS6detail17trampoline_kernelINS0_14default_configENS1_25transform_config_selectorINS0_10empty_typeELb1EEEZNS1_14transform_implILb1ES3_S6_PS5_S8_NS0_8identityIS5_EEEE10hipError_tT2_T3_mT4_P12ihipStream_tbEUlT_E_NS1_11comp_targetILNS1_3genE2ELNS1_11target_archE906ELNS1_3gpuE6ELNS1_3repE0EEENS1_30default_config_static_selectorELNS0_4arch9wavefront6targetE1EEEvT1_.uses_flat_scratch, 0
	.set _ZN7rocprim17ROCPRIM_400000_NS6detail17trampoline_kernelINS0_14default_configENS1_25transform_config_selectorINS0_10empty_typeELb1EEEZNS1_14transform_implILb1ES3_S6_PS5_S8_NS0_8identityIS5_EEEE10hipError_tT2_T3_mT4_P12ihipStream_tbEUlT_E_NS1_11comp_targetILNS1_3genE2ELNS1_11target_archE906ELNS1_3gpuE6ELNS1_3repE0EEENS1_30default_config_static_selectorELNS0_4arch9wavefront6targetE1EEEvT1_.has_dyn_sized_stack, 0
	.set _ZN7rocprim17ROCPRIM_400000_NS6detail17trampoline_kernelINS0_14default_configENS1_25transform_config_selectorINS0_10empty_typeELb1EEEZNS1_14transform_implILb1ES3_S6_PS5_S8_NS0_8identityIS5_EEEE10hipError_tT2_T3_mT4_P12ihipStream_tbEUlT_E_NS1_11comp_targetILNS1_3genE2ELNS1_11target_archE906ELNS1_3gpuE6ELNS1_3repE0EEENS1_30default_config_static_selectorELNS0_4arch9wavefront6targetE1EEEvT1_.has_recursion, 0
	.set _ZN7rocprim17ROCPRIM_400000_NS6detail17trampoline_kernelINS0_14default_configENS1_25transform_config_selectorINS0_10empty_typeELb1EEEZNS1_14transform_implILb1ES3_S6_PS5_S8_NS0_8identityIS5_EEEE10hipError_tT2_T3_mT4_P12ihipStream_tbEUlT_E_NS1_11comp_targetILNS1_3genE2ELNS1_11target_archE906ELNS1_3gpuE6ELNS1_3repE0EEENS1_30default_config_static_selectorELNS0_4arch9wavefront6targetE1EEEvT1_.has_indirect_call, 0
	.section	.AMDGPU.csdata,"",@progbits
; Kernel info:
; codeLenInByte = 0
; TotalNumSgprs: 6
; NumVgprs: 0
; NumAgprs: 0
; TotalNumVgprs: 0
; ScratchSize: 0
; MemoryBound: 0
; FloatMode: 240
; IeeeMode: 1
; LDSByteSize: 0 bytes/workgroup (compile time only)
; SGPRBlocks: 0
; VGPRBlocks: 0
; NumSGPRsForWavesPerEU: 6
; NumVGPRsForWavesPerEU: 1
; AccumOffset: 4
; Occupancy: 8
; WaveLimiterHint : 0
; COMPUTE_PGM_RSRC2:SCRATCH_EN: 0
; COMPUTE_PGM_RSRC2:USER_SGPR: 2
; COMPUTE_PGM_RSRC2:TRAP_HANDLER: 0
; COMPUTE_PGM_RSRC2:TGID_X_EN: 1
; COMPUTE_PGM_RSRC2:TGID_Y_EN: 0
; COMPUTE_PGM_RSRC2:TGID_Z_EN: 0
; COMPUTE_PGM_RSRC2:TIDIG_COMP_CNT: 0
; COMPUTE_PGM_RSRC3_GFX90A:ACCUM_OFFSET: 0
; COMPUTE_PGM_RSRC3_GFX90A:TG_SPLIT: 0
	.section	.text._ZN7rocprim17ROCPRIM_400000_NS6detail17trampoline_kernelINS0_14default_configENS1_25transform_config_selectorINS0_10empty_typeELb1EEEZNS1_14transform_implILb1ES3_S6_PS5_S8_NS0_8identityIS5_EEEE10hipError_tT2_T3_mT4_P12ihipStream_tbEUlT_E_NS1_11comp_targetILNS1_3genE9ELNS1_11target_archE1100ELNS1_3gpuE3ELNS1_3repE0EEENS1_30default_config_static_selectorELNS0_4arch9wavefront6targetE1EEEvT1_,"axG",@progbits,_ZN7rocprim17ROCPRIM_400000_NS6detail17trampoline_kernelINS0_14default_configENS1_25transform_config_selectorINS0_10empty_typeELb1EEEZNS1_14transform_implILb1ES3_S6_PS5_S8_NS0_8identityIS5_EEEE10hipError_tT2_T3_mT4_P12ihipStream_tbEUlT_E_NS1_11comp_targetILNS1_3genE9ELNS1_11target_archE1100ELNS1_3gpuE3ELNS1_3repE0EEENS1_30default_config_static_selectorELNS0_4arch9wavefront6targetE1EEEvT1_,comdat
	.protected	_ZN7rocprim17ROCPRIM_400000_NS6detail17trampoline_kernelINS0_14default_configENS1_25transform_config_selectorINS0_10empty_typeELb1EEEZNS1_14transform_implILb1ES3_S6_PS5_S8_NS0_8identityIS5_EEEE10hipError_tT2_T3_mT4_P12ihipStream_tbEUlT_E_NS1_11comp_targetILNS1_3genE9ELNS1_11target_archE1100ELNS1_3gpuE3ELNS1_3repE0EEENS1_30default_config_static_selectorELNS0_4arch9wavefront6targetE1EEEvT1_ ; -- Begin function _ZN7rocprim17ROCPRIM_400000_NS6detail17trampoline_kernelINS0_14default_configENS1_25transform_config_selectorINS0_10empty_typeELb1EEEZNS1_14transform_implILb1ES3_S6_PS5_S8_NS0_8identityIS5_EEEE10hipError_tT2_T3_mT4_P12ihipStream_tbEUlT_E_NS1_11comp_targetILNS1_3genE9ELNS1_11target_archE1100ELNS1_3gpuE3ELNS1_3repE0EEENS1_30default_config_static_selectorELNS0_4arch9wavefront6targetE1EEEvT1_
	.globl	_ZN7rocprim17ROCPRIM_400000_NS6detail17trampoline_kernelINS0_14default_configENS1_25transform_config_selectorINS0_10empty_typeELb1EEEZNS1_14transform_implILb1ES3_S6_PS5_S8_NS0_8identityIS5_EEEE10hipError_tT2_T3_mT4_P12ihipStream_tbEUlT_E_NS1_11comp_targetILNS1_3genE9ELNS1_11target_archE1100ELNS1_3gpuE3ELNS1_3repE0EEENS1_30default_config_static_selectorELNS0_4arch9wavefront6targetE1EEEvT1_
	.p2align	8
	.type	_ZN7rocprim17ROCPRIM_400000_NS6detail17trampoline_kernelINS0_14default_configENS1_25transform_config_selectorINS0_10empty_typeELb1EEEZNS1_14transform_implILb1ES3_S6_PS5_S8_NS0_8identityIS5_EEEE10hipError_tT2_T3_mT4_P12ihipStream_tbEUlT_E_NS1_11comp_targetILNS1_3genE9ELNS1_11target_archE1100ELNS1_3gpuE3ELNS1_3repE0EEENS1_30default_config_static_selectorELNS0_4arch9wavefront6targetE1EEEvT1_,@function
_ZN7rocprim17ROCPRIM_400000_NS6detail17trampoline_kernelINS0_14default_configENS1_25transform_config_selectorINS0_10empty_typeELb1EEEZNS1_14transform_implILb1ES3_S6_PS5_S8_NS0_8identityIS5_EEEE10hipError_tT2_T3_mT4_P12ihipStream_tbEUlT_E_NS1_11comp_targetILNS1_3genE9ELNS1_11target_archE1100ELNS1_3gpuE3ELNS1_3repE0EEENS1_30default_config_static_selectorELNS0_4arch9wavefront6targetE1EEEvT1_: ; @_ZN7rocprim17ROCPRIM_400000_NS6detail17trampoline_kernelINS0_14default_configENS1_25transform_config_selectorINS0_10empty_typeELb1EEEZNS1_14transform_implILb1ES3_S6_PS5_S8_NS0_8identityIS5_EEEE10hipError_tT2_T3_mT4_P12ihipStream_tbEUlT_E_NS1_11comp_targetILNS1_3genE9ELNS1_11target_archE1100ELNS1_3gpuE3ELNS1_3repE0EEENS1_30default_config_static_selectorELNS0_4arch9wavefront6targetE1EEEvT1_
; %bb.0:
	.section	.rodata,"a",@progbits
	.p2align	6, 0x0
	.amdhsa_kernel _ZN7rocprim17ROCPRIM_400000_NS6detail17trampoline_kernelINS0_14default_configENS1_25transform_config_selectorINS0_10empty_typeELb1EEEZNS1_14transform_implILb1ES3_S6_PS5_S8_NS0_8identityIS5_EEEE10hipError_tT2_T3_mT4_P12ihipStream_tbEUlT_E_NS1_11comp_targetILNS1_3genE9ELNS1_11target_archE1100ELNS1_3gpuE3ELNS1_3repE0EEENS1_30default_config_static_selectorELNS0_4arch9wavefront6targetE1EEEvT1_
		.amdhsa_group_segment_fixed_size 0
		.amdhsa_private_segment_fixed_size 0
		.amdhsa_kernarg_size 40
		.amdhsa_user_sgpr_count 2
		.amdhsa_user_sgpr_dispatch_ptr 0
		.amdhsa_user_sgpr_queue_ptr 0
		.amdhsa_user_sgpr_kernarg_segment_ptr 1
		.amdhsa_user_sgpr_dispatch_id 0
		.amdhsa_user_sgpr_kernarg_preload_length 0
		.amdhsa_user_sgpr_kernarg_preload_offset 0
		.amdhsa_user_sgpr_private_segment_size 0
		.amdhsa_uses_dynamic_stack 0
		.amdhsa_enable_private_segment 0
		.amdhsa_system_sgpr_workgroup_id_x 1
		.amdhsa_system_sgpr_workgroup_id_y 0
		.amdhsa_system_sgpr_workgroup_id_z 0
		.amdhsa_system_sgpr_workgroup_info 0
		.amdhsa_system_vgpr_workitem_id 0
		.amdhsa_next_free_vgpr 1
		.amdhsa_next_free_sgpr 0
		.amdhsa_accum_offset 4
		.amdhsa_reserve_vcc 0
		.amdhsa_float_round_mode_32 0
		.amdhsa_float_round_mode_16_64 0
		.amdhsa_float_denorm_mode_32 3
		.amdhsa_float_denorm_mode_16_64 3
		.amdhsa_dx10_clamp 1
		.amdhsa_ieee_mode 1
		.amdhsa_fp16_overflow 0
		.amdhsa_tg_split 0
		.amdhsa_exception_fp_ieee_invalid_op 0
		.amdhsa_exception_fp_denorm_src 0
		.amdhsa_exception_fp_ieee_div_zero 0
		.amdhsa_exception_fp_ieee_overflow 0
		.amdhsa_exception_fp_ieee_underflow 0
		.amdhsa_exception_fp_ieee_inexact 0
		.amdhsa_exception_int_div_zero 0
	.end_amdhsa_kernel
	.section	.text._ZN7rocprim17ROCPRIM_400000_NS6detail17trampoline_kernelINS0_14default_configENS1_25transform_config_selectorINS0_10empty_typeELb1EEEZNS1_14transform_implILb1ES3_S6_PS5_S8_NS0_8identityIS5_EEEE10hipError_tT2_T3_mT4_P12ihipStream_tbEUlT_E_NS1_11comp_targetILNS1_3genE9ELNS1_11target_archE1100ELNS1_3gpuE3ELNS1_3repE0EEENS1_30default_config_static_selectorELNS0_4arch9wavefront6targetE1EEEvT1_,"axG",@progbits,_ZN7rocprim17ROCPRIM_400000_NS6detail17trampoline_kernelINS0_14default_configENS1_25transform_config_selectorINS0_10empty_typeELb1EEEZNS1_14transform_implILb1ES3_S6_PS5_S8_NS0_8identityIS5_EEEE10hipError_tT2_T3_mT4_P12ihipStream_tbEUlT_E_NS1_11comp_targetILNS1_3genE9ELNS1_11target_archE1100ELNS1_3gpuE3ELNS1_3repE0EEENS1_30default_config_static_selectorELNS0_4arch9wavefront6targetE1EEEvT1_,comdat
.Lfunc_end82:
	.size	_ZN7rocprim17ROCPRIM_400000_NS6detail17trampoline_kernelINS0_14default_configENS1_25transform_config_selectorINS0_10empty_typeELb1EEEZNS1_14transform_implILb1ES3_S6_PS5_S8_NS0_8identityIS5_EEEE10hipError_tT2_T3_mT4_P12ihipStream_tbEUlT_E_NS1_11comp_targetILNS1_3genE9ELNS1_11target_archE1100ELNS1_3gpuE3ELNS1_3repE0EEENS1_30default_config_static_selectorELNS0_4arch9wavefront6targetE1EEEvT1_, .Lfunc_end82-_ZN7rocprim17ROCPRIM_400000_NS6detail17trampoline_kernelINS0_14default_configENS1_25transform_config_selectorINS0_10empty_typeELb1EEEZNS1_14transform_implILb1ES3_S6_PS5_S8_NS0_8identityIS5_EEEE10hipError_tT2_T3_mT4_P12ihipStream_tbEUlT_E_NS1_11comp_targetILNS1_3genE9ELNS1_11target_archE1100ELNS1_3gpuE3ELNS1_3repE0EEENS1_30default_config_static_selectorELNS0_4arch9wavefront6targetE1EEEvT1_
                                        ; -- End function
	.set _ZN7rocprim17ROCPRIM_400000_NS6detail17trampoline_kernelINS0_14default_configENS1_25transform_config_selectorINS0_10empty_typeELb1EEEZNS1_14transform_implILb1ES3_S6_PS5_S8_NS0_8identityIS5_EEEE10hipError_tT2_T3_mT4_P12ihipStream_tbEUlT_E_NS1_11comp_targetILNS1_3genE9ELNS1_11target_archE1100ELNS1_3gpuE3ELNS1_3repE0EEENS1_30default_config_static_selectorELNS0_4arch9wavefront6targetE1EEEvT1_.num_vgpr, 0
	.set _ZN7rocprim17ROCPRIM_400000_NS6detail17trampoline_kernelINS0_14default_configENS1_25transform_config_selectorINS0_10empty_typeELb1EEEZNS1_14transform_implILb1ES3_S6_PS5_S8_NS0_8identityIS5_EEEE10hipError_tT2_T3_mT4_P12ihipStream_tbEUlT_E_NS1_11comp_targetILNS1_3genE9ELNS1_11target_archE1100ELNS1_3gpuE3ELNS1_3repE0EEENS1_30default_config_static_selectorELNS0_4arch9wavefront6targetE1EEEvT1_.num_agpr, 0
	.set _ZN7rocprim17ROCPRIM_400000_NS6detail17trampoline_kernelINS0_14default_configENS1_25transform_config_selectorINS0_10empty_typeELb1EEEZNS1_14transform_implILb1ES3_S6_PS5_S8_NS0_8identityIS5_EEEE10hipError_tT2_T3_mT4_P12ihipStream_tbEUlT_E_NS1_11comp_targetILNS1_3genE9ELNS1_11target_archE1100ELNS1_3gpuE3ELNS1_3repE0EEENS1_30default_config_static_selectorELNS0_4arch9wavefront6targetE1EEEvT1_.numbered_sgpr, 0
	.set _ZN7rocprim17ROCPRIM_400000_NS6detail17trampoline_kernelINS0_14default_configENS1_25transform_config_selectorINS0_10empty_typeELb1EEEZNS1_14transform_implILb1ES3_S6_PS5_S8_NS0_8identityIS5_EEEE10hipError_tT2_T3_mT4_P12ihipStream_tbEUlT_E_NS1_11comp_targetILNS1_3genE9ELNS1_11target_archE1100ELNS1_3gpuE3ELNS1_3repE0EEENS1_30default_config_static_selectorELNS0_4arch9wavefront6targetE1EEEvT1_.num_named_barrier, 0
	.set _ZN7rocprim17ROCPRIM_400000_NS6detail17trampoline_kernelINS0_14default_configENS1_25transform_config_selectorINS0_10empty_typeELb1EEEZNS1_14transform_implILb1ES3_S6_PS5_S8_NS0_8identityIS5_EEEE10hipError_tT2_T3_mT4_P12ihipStream_tbEUlT_E_NS1_11comp_targetILNS1_3genE9ELNS1_11target_archE1100ELNS1_3gpuE3ELNS1_3repE0EEENS1_30default_config_static_selectorELNS0_4arch9wavefront6targetE1EEEvT1_.private_seg_size, 0
	.set _ZN7rocprim17ROCPRIM_400000_NS6detail17trampoline_kernelINS0_14default_configENS1_25transform_config_selectorINS0_10empty_typeELb1EEEZNS1_14transform_implILb1ES3_S6_PS5_S8_NS0_8identityIS5_EEEE10hipError_tT2_T3_mT4_P12ihipStream_tbEUlT_E_NS1_11comp_targetILNS1_3genE9ELNS1_11target_archE1100ELNS1_3gpuE3ELNS1_3repE0EEENS1_30default_config_static_selectorELNS0_4arch9wavefront6targetE1EEEvT1_.uses_vcc, 0
	.set _ZN7rocprim17ROCPRIM_400000_NS6detail17trampoline_kernelINS0_14default_configENS1_25transform_config_selectorINS0_10empty_typeELb1EEEZNS1_14transform_implILb1ES3_S6_PS5_S8_NS0_8identityIS5_EEEE10hipError_tT2_T3_mT4_P12ihipStream_tbEUlT_E_NS1_11comp_targetILNS1_3genE9ELNS1_11target_archE1100ELNS1_3gpuE3ELNS1_3repE0EEENS1_30default_config_static_selectorELNS0_4arch9wavefront6targetE1EEEvT1_.uses_flat_scratch, 0
	.set _ZN7rocprim17ROCPRIM_400000_NS6detail17trampoline_kernelINS0_14default_configENS1_25transform_config_selectorINS0_10empty_typeELb1EEEZNS1_14transform_implILb1ES3_S6_PS5_S8_NS0_8identityIS5_EEEE10hipError_tT2_T3_mT4_P12ihipStream_tbEUlT_E_NS1_11comp_targetILNS1_3genE9ELNS1_11target_archE1100ELNS1_3gpuE3ELNS1_3repE0EEENS1_30default_config_static_selectorELNS0_4arch9wavefront6targetE1EEEvT1_.has_dyn_sized_stack, 0
	.set _ZN7rocprim17ROCPRIM_400000_NS6detail17trampoline_kernelINS0_14default_configENS1_25transform_config_selectorINS0_10empty_typeELb1EEEZNS1_14transform_implILb1ES3_S6_PS5_S8_NS0_8identityIS5_EEEE10hipError_tT2_T3_mT4_P12ihipStream_tbEUlT_E_NS1_11comp_targetILNS1_3genE9ELNS1_11target_archE1100ELNS1_3gpuE3ELNS1_3repE0EEENS1_30default_config_static_selectorELNS0_4arch9wavefront6targetE1EEEvT1_.has_recursion, 0
	.set _ZN7rocprim17ROCPRIM_400000_NS6detail17trampoline_kernelINS0_14default_configENS1_25transform_config_selectorINS0_10empty_typeELb1EEEZNS1_14transform_implILb1ES3_S6_PS5_S8_NS0_8identityIS5_EEEE10hipError_tT2_T3_mT4_P12ihipStream_tbEUlT_E_NS1_11comp_targetILNS1_3genE9ELNS1_11target_archE1100ELNS1_3gpuE3ELNS1_3repE0EEENS1_30default_config_static_selectorELNS0_4arch9wavefront6targetE1EEEvT1_.has_indirect_call, 0
	.section	.AMDGPU.csdata,"",@progbits
; Kernel info:
; codeLenInByte = 0
; TotalNumSgprs: 6
; NumVgprs: 0
; NumAgprs: 0
; TotalNumVgprs: 0
; ScratchSize: 0
; MemoryBound: 0
; FloatMode: 240
; IeeeMode: 1
; LDSByteSize: 0 bytes/workgroup (compile time only)
; SGPRBlocks: 0
; VGPRBlocks: 0
; NumSGPRsForWavesPerEU: 6
; NumVGPRsForWavesPerEU: 1
; AccumOffset: 4
; Occupancy: 8
; WaveLimiterHint : 0
; COMPUTE_PGM_RSRC2:SCRATCH_EN: 0
; COMPUTE_PGM_RSRC2:USER_SGPR: 2
; COMPUTE_PGM_RSRC2:TRAP_HANDLER: 0
; COMPUTE_PGM_RSRC2:TGID_X_EN: 1
; COMPUTE_PGM_RSRC2:TGID_Y_EN: 0
; COMPUTE_PGM_RSRC2:TGID_Z_EN: 0
; COMPUTE_PGM_RSRC2:TIDIG_COMP_CNT: 0
; COMPUTE_PGM_RSRC3_GFX90A:ACCUM_OFFSET: 0
; COMPUTE_PGM_RSRC3_GFX90A:TG_SPLIT: 0
	.section	.text._ZN7rocprim17ROCPRIM_400000_NS6detail17trampoline_kernelINS0_14default_configENS1_25transform_config_selectorINS0_10empty_typeELb1EEEZNS1_14transform_implILb1ES3_S6_PS5_S8_NS0_8identityIS5_EEEE10hipError_tT2_T3_mT4_P12ihipStream_tbEUlT_E_NS1_11comp_targetILNS1_3genE8ELNS1_11target_archE1030ELNS1_3gpuE2ELNS1_3repE0EEENS1_30default_config_static_selectorELNS0_4arch9wavefront6targetE1EEEvT1_,"axG",@progbits,_ZN7rocprim17ROCPRIM_400000_NS6detail17trampoline_kernelINS0_14default_configENS1_25transform_config_selectorINS0_10empty_typeELb1EEEZNS1_14transform_implILb1ES3_S6_PS5_S8_NS0_8identityIS5_EEEE10hipError_tT2_T3_mT4_P12ihipStream_tbEUlT_E_NS1_11comp_targetILNS1_3genE8ELNS1_11target_archE1030ELNS1_3gpuE2ELNS1_3repE0EEENS1_30default_config_static_selectorELNS0_4arch9wavefront6targetE1EEEvT1_,comdat
	.protected	_ZN7rocprim17ROCPRIM_400000_NS6detail17trampoline_kernelINS0_14default_configENS1_25transform_config_selectorINS0_10empty_typeELb1EEEZNS1_14transform_implILb1ES3_S6_PS5_S8_NS0_8identityIS5_EEEE10hipError_tT2_T3_mT4_P12ihipStream_tbEUlT_E_NS1_11comp_targetILNS1_3genE8ELNS1_11target_archE1030ELNS1_3gpuE2ELNS1_3repE0EEENS1_30default_config_static_selectorELNS0_4arch9wavefront6targetE1EEEvT1_ ; -- Begin function _ZN7rocprim17ROCPRIM_400000_NS6detail17trampoline_kernelINS0_14default_configENS1_25transform_config_selectorINS0_10empty_typeELb1EEEZNS1_14transform_implILb1ES3_S6_PS5_S8_NS0_8identityIS5_EEEE10hipError_tT2_T3_mT4_P12ihipStream_tbEUlT_E_NS1_11comp_targetILNS1_3genE8ELNS1_11target_archE1030ELNS1_3gpuE2ELNS1_3repE0EEENS1_30default_config_static_selectorELNS0_4arch9wavefront6targetE1EEEvT1_
	.globl	_ZN7rocprim17ROCPRIM_400000_NS6detail17trampoline_kernelINS0_14default_configENS1_25transform_config_selectorINS0_10empty_typeELb1EEEZNS1_14transform_implILb1ES3_S6_PS5_S8_NS0_8identityIS5_EEEE10hipError_tT2_T3_mT4_P12ihipStream_tbEUlT_E_NS1_11comp_targetILNS1_3genE8ELNS1_11target_archE1030ELNS1_3gpuE2ELNS1_3repE0EEENS1_30default_config_static_selectorELNS0_4arch9wavefront6targetE1EEEvT1_
	.p2align	8
	.type	_ZN7rocprim17ROCPRIM_400000_NS6detail17trampoline_kernelINS0_14default_configENS1_25transform_config_selectorINS0_10empty_typeELb1EEEZNS1_14transform_implILb1ES3_S6_PS5_S8_NS0_8identityIS5_EEEE10hipError_tT2_T3_mT4_P12ihipStream_tbEUlT_E_NS1_11comp_targetILNS1_3genE8ELNS1_11target_archE1030ELNS1_3gpuE2ELNS1_3repE0EEENS1_30default_config_static_selectorELNS0_4arch9wavefront6targetE1EEEvT1_,@function
_ZN7rocprim17ROCPRIM_400000_NS6detail17trampoline_kernelINS0_14default_configENS1_25transform_config_selectorINS0_10empty_typeELb1EEEZNS1_14transform_implILb1ES3_S6_PS5_S8_NS0_8identityIS5_EEEE10hipError_tT2_T3_mT4_P12ihipStream_tbEUlT_E_NS1_11comp_targetILNS1_3genE8ELNS1_11target_archE1030ELNS1_3gpuE2ELNS1_3repE0EEENS1_30default_config_static_selectorELNS0_4arch9wavefront6targetE1EEEvT1_: ; @_ZN7rocprim17ROCPRIM_400000_NS6detail17trampoline_kernelINS0_14default_configENS1_25transform_config_selectorINS0_10empty_typeELb1EEEZNS1_14transform_implILb1ES3_S6_PS5_S8_NS0_8identityIS5_EEEE10hipError_tT2_T3_mT4_P12ihipStream_tbEUlT_E_NS1_11comp_targetILNS1_3genE8ELNS1_11target_archE1030ELNS1_3gpuE2ELNS1_3repE0EEENS1_30default_config_static_selectorELNS0_4arch9wavefront6targetE1EEEvT1_
; %bb.0:
	.section	.rodata,"a",@progbits
	.p2align	6, 0x0
	.amdhsa_kernel _ZN7rocprim17ROCPRIM_400000_NS6detail17trampoline_kernelINS0_14default_configENS1_25transform_config_selectorINS0_10empty_typeELb1EEEZNS1_14transform_implILb1ES3_S6_PS5_S8_NS0_8identityIS5_EEEE10hipError_tT2_T3_mT4_P12ihipStream_tbEUlT_E_NS1_11comp_targetILNS1_3genE8ELNS1_11target_archE1030ELNS1_3gpuE2ELNS1_3repE0EEENS1_30default_config_static_selectorELNS0_4arch9wavefront6targetE1EEEvT1_
		.amdhsa_group_segment_fixed_size 0
		.amdhsa_private_segment_fixed_size 0
		.amdhsa_kernarg_size 40
		.amdhsa_user_sgpr_count 2
		.amdhsa_user_sgpr_dispatch_ptr 0
		.amdhsa_user_sgpr_queue_ptr 0
		.amdhsa_user_sgpr_kernarg_segment_ptr 1
		.amdhsa_user_sgpr_dispatch_id 0
		.amdhsa_user_sgpr_kernarg_preload_length 0
		.amdhsa_user_sgpr_kernarg_preload_offset 0
		.amdhsa_user_sgpr_private_segment_size 0
		.amdhsa_uses_dynamic_stack 0
		.amdhsa_enable_private_segment 0
		.amdhsa_system_sgpr_workgroup_id_x 1
		.amdhsa_system_sgpr_workgroup_id_y 0
		.amdhsa_system_sgpr_workgroup_id_z 0
		.amdhsa_system_sgpr_workgroup_info 0
		.amdhsa_system_vgpr_workitem_id 0
		.amdhsa_next_free_vgpr 1
		.amdhsa_next_free_sgpr 0
		.amdhsa_accum_offset 4
		.amdhsa_reserve_vcc 0
		.amdhsa_float_round_mode_32 0
		.amdhsa_float_round_mode_16_64 0
		.amdhsa_float_denorm_mode_32 3
		.amdhsa_float_denorm_mode_16_64 3
		.amdhsa_dx10_clamp 1
		.amdhsa_ieee_mode 1
		.amdhsa_fp16_overflow 0
		.amdhsa_tg_split 0
		.amdhsa_exception_fp_ieee_invalid_op 0
		.amdhsa_exception_fp_denorm_src 0
		.amdhsa_exception_fp_ieee_div_zero 0
		.amdhsa_exception_fp_ieee_overflow 0
		.amdhsa_exception_fp_ieee_underflow 0
		.amdhsa_exception_fp_ieee_inexact 0
		.amdhsa_exception_int_div_zero 0
	.end_amdhsa_kernel
	.section	.text._ZN7rocprim17ROCPRIM_400000_NS6detail17trampoline_kernelINS0_14default_configENS1_25transform_config_selectorINS0_10empty_typeELb1EEEZNS1_14transform_implILb1ES3_S6_PS5_S8_NS0_8identityIS5_EEEE10hipError_tT2_T3_mT4_P12ihipStream_tbEUlT_E_NS1_11comp_targetILNS1_3genE8ELNS1_11target_archE1030ELNS1_3gpuE2ELNS1_3repE0EEENS1_30default_config_static_selectorELNS0_4arch9wavefront6targetE1EEEvT1_,"axG",@progbits,_ZN7rocprim17ROCPRIM_400000_NS6detail17trampoline_kernelINS0_14default_configENS1_25transform_config_selectorINS0_10empty_typeELb1EEEZNS1_14transform_implILb1ES3_S6_PS5_S8_NS0_8identityIS5_EEEE10hipError_tT2_T3_mT4_P12ihipStream_tbEUlT_E_NS1_11comp_targetILNS1_3genE8ELNS1_11target_archE1030ELNS1_3gpuE2ELNS1_3repE0EEENS1_30default_config_static_selectorELNS0_4arch9wavefront6targetE1EEEvT1_,comdat
.Lfunc_end83:
	.size	_ZN7rocprim17ROCPRIM_400000_NS6detail17trampoline_kernelINS0_14default_configENS1_25transform_config_selectorINS0_10empty_typeELb1EEEZNS1_14transform_implILb1ES3_S6_PS5_S8_NS0_8identityIS5_EEEE10hipError_tT2_T3_mT4_P12ihipStream_tbEUlT_E_NS1_11comp_targetILNS1_3genE8ELNS1_11target_archE1030ELNS1_3gpuE2ELNS1_3repE0EEENS1_30default_config_static_selectorELNS0_4arch9wavefront6targetE1EEEvT1_, .Lfunc_end83-_ZN7rocprim17ROCPRIM_400000_NS6detail17trampoline_kernelINS0_14default_configENS1_25transform_config_selectorINS0_10empty_typeELb1EEEZNS1_14transform_implILb1ES3_S6_PS5_S8_NS0_8identityIS5_EEEE10hipError_tT2_T3_mT4_P12ihipStream_tbEUlT_E_NS1_11comp_targetILNS1_3genE8ELNS1_11target_archE1030ELNS1_3gpuE2ELNS1_3repE0EEENS1_30default_config_static_selectorELNS0_4arch9wavefront6targetE1EEEvT1_
                                        ; -- End function
	.set _ZN7rocprim17ROCPRIM_400000_NS6detail17trampoline_kernelINS0_14default_configENS1_25transform_config_selectorINS0_10empty_typeELb1EEEZNS1_14transform_implILb1ES3_S6_PS5_S8_NS0_8identityIS5_EEEE10hipError_tT2_T3_mT4_P12ihipStream_tbEUlT_E_NS1_11comp_targetILNS1_3genE8ELNS1_11target_archE1030ELNS1_3gpuE2ELNS1_3repE0EEENS1_30default_config_static_selectorELNS0_4arch9wavefront6targetE1EEEvT1_.num_vgpr, 0
	.set _ZN7rocprim17ROCPRIM_400000_NS6detail17trampoline_kernelINS0_14default_configENS1_25transform_config_selectorINS0_10empty_typeELb1EEEZNS1_14transform_implILb1ES3_S6_PS5_S8_NS0_8identityIS5_EEEE10hipError_tT2_T3_mT4_P12ihipStream_tbEUlT_E_NS1_11comp_targetILNS1_3genE8ELNS1_11target_archE1030ELNS1_3gpuE2ELNS1_3repE0EEENS1_30default_config_static_selectorELNS0_4arch9wavefront6targetE1EEEvT1_.num_agpr, 0
	.set _ZN7rocprim17ROCPRIM_400000_NS6detail17trampoline_kernelINS0_14default_configENS1_25transform_config_selectorINS0_10empty_typeELb1EEEZNS1_14transform_implILb1ES3_S6_PS5_S8_NS0_8identityIS5_EEEE10hipError_tT2_T3_mT4_P12ihipStream_tbEUlT_E_NS1_11comp_targetILNS1_3genE8ELNS1_11target_archE1030ELNS1_3gpuE2ELNS1_3repE0EEENS1_30default_config_static_selectorELNS0_4arch9wavefront6targetE1EEEvT1_.numbered_sgpr, 0
	.set _ZN7rocprim17ROCPRIM_400000_NS6detail17trampoline_kernelINS0_14default_configENS1_25transform_config_selectorINS0_10empty_typeELb1EEEZNS1_14transform_implILb1ES3_S6_PS5_S8_NS0_8identityIS5_EEEE10hipError_tT2_T3_mT4_P12ihipStream_tbEUlT_E_NS1_11comp_targetILNS1_3genE8ELNS1_11target_archE1030ELNS1_3gpuE2ELNS1_3repE0EEENS1_30default_config_static_selectorELNS0_4arch9wavefront6targetE1EEEvT1_.num_named_barrier, 0
	.set _ZN7rocprim17ROCPRIM_400000_NS6detail17trampoline_kernelINS0_14default_configENS1_25transform_config_selectorINS0_10empty_typeELb1EEEZNS1_14transform_implILb1ES3_S6_PS5_S8_NS0_8identityIS5_EEEE10hipError_tT2_T3_mT4_P12ihipStream_tbEUlT_E_NS1_11comp_targetILNS1_3genE8ELNS1_11target_archE1030ELNS1_3gpuE2ELNS1_3repE0EEENS1_30default_config_static_selectorELNS0_4arch9wavefront6targetE1EEEvT1_.private_seg_size, 0
	.set _ZN7rocprim17ROCPRIM_400000_NS6detail17trampoline_kernelINS0_14default_configENS1_25transform_config_selectorINS0_10empty_typeELb1EEEZNS1_14transform_implILb1ES3_S6_PS5_S8_NS0_8identityIS5_EEEE10hipError_tT2_T3_mT4_P12ihipStream_tbEUlT_E_NS1_11comp_targetILNS1_3genE8ELNS1_11target_archE1030ELNS1_3gpuE2ELNS1_3repE0EEENS1_30default_config_static_selectorELNS0_4arch9wavefront6targetE1EEEvT1_.uses_vcc, 0
	.set _ZN7rocprim17ROCPRIM_400000_NS6detail17trampoline_kernelINS0_14default_configENS1_25transform_config_selectorINS0_10empty_typeELb1EEEZNS1_14transform_implILb1ES3_S6_PS5_S8_NS0_8identityIS5_EEEE10hipError_tT2_T3_mT4_P12ihipStream_tbEUlT_E_NS1_11comp_targetILNS1_3genE8ELNS1_11target_archE1030ELNS1_3gpuE2ELNS1_3repE0EEENS1_30default_config_static_selectorELNS0_4arch9wavefront6targetE1EEEvT1_.uses_flat_scratch, 0
	.set _ZN7rocprim17ROCPRIM_400000_NS6detail17trampoline_kernelINS0_14default_configENS1_25transform_config_selectorINS0_10empty_typeELb1EEEZNS1_14transform_implILb1ES3_S6_PS5_S8_NS0_8identityIS5_EEEE10hipError_tT2_T3_mT4_P12ihipStream_tbEUlT_E_NS1_11comp_targetILNS1_3genE8ELNS1_11target_archE1030ELNS1_3gpuE2ELNS1_3repE0EEENS1_30default_config_static_selectorELNS0_4arch9wavefront6targetE1EEEvT1_.has_dyn_sized_stack, 0
	.set _ZN7rocprim17ROCPRIM_400000_NS6detail17trampoline_kernelINS0_14default_configENS1_25transform_config_selectorINS0_10empty_typeELb1EEEZNS1_14transform_implILb1ES3_S6_PS5_S8_NS0_8identityIS5_EEEE10hipError_tT2_T3_mT4_P12ihipStream_tbEUlT_E_NS1_11comp_targetILNS1_3genE8ELNS1_11target_archE1030ELNS1_3gpuE2ELNS1_3repE0EEENS1_30default_config_static_selectorELNS0_4arch9wavefront6targetE1EEEvT1_.has_recursion, 0
	.set _ZN7rocprim17ROCPRIM_400000_NS6detail17trampoline_kernelINS0_14default_configENS1_25transform_config_selectorINS0_10empty_typeELb1EEEZNS1_14transform_implILb1ES3_S6_PS5_S8_NS0_8identityIS5_EEEE10hipError_tT2_T3_mT4_P12ihipStream_tbEUlT_E_NS1_11comp_targetILNS1_3genE8ELNS1_11target_archE1030ELNS1_3gpuE2ELNS1_3repE0EEENS1_30default_config_static_selectorELNS0_4arch9wavefront6targetE1EEEvT1_.has_indirect_call, 0
	.section	.AMDGPU.csdata,"",@progbits
; Kernel info:
; codeLenInByte = 0
; TotalNumSgprs: 6
; NumVgprs: 0
; NumAgprs: 0
; TotalNumVgprs: 0
; ScratchSize: 0
; MemoryBound: 0
; FloatMode: 240
; IeeeMode: 1
; LDSByteSize: 0 bytes/workgroup (compile time only)
; SGPRBlocks: 0
; VGPRBlocks: 0
; NumSGPRsForWavesPerEU: 6
; NumVGPRsForWavesPerEU: 1
; AccumOffset: 4
; Occupancy: 8
; WaveLimiterHint : 0
; COMPUTE_PGM_RSRC2:SCRATCH_EN: 0
; COMPUTE_PGM_RSRC2:USER_SGPR: 2
; COMPUTE_PGM_RSRC2:TRAP_HANDLER: 0
; COMPUTE_PGM_RSRC2:TGID_X_EN: 1
; COMPUTE_PGM_RSRC2:TGID_Y_EN: 0
; COMPUTE_PGM_RSRC2:TGID_Z_EN: 0
; COMPUTE_PGM_RSRC2:TIDIG_COMP_CNT: 0
; COMPUTE_PGM_RSRC3_GFX90A:ACCUM_OFFSET: 0
; COMPUTE_PGM_RSRC3_GFX90A:TG_SPLIT: 0
	.section	.text._ZN7rocprim17ROCPRIM_400000_NS6detail17trampoline_kernelINS0_14default_configENS1_38merge_sort_block_merge_config_selectorIiNS0_10empty_typeEEEZZNS1_27merge_sort_block_merge_implIS3_N6thrust23THRUST_200600_302600_NS6detail15normal_iteratorINS9_10device_ptrIiEEEEPS5_jNS1_19radix_merge_compareILb0ELb1EiNS0_19identity_decomposerEEEEE10hipError_tT0_T1_T2_jT3_P12ihipStream_tbPNSt15iterator_traitsISK_E10value_typeEPNSQ_ISL_E10value_typeEPSM_NS1_7vsmem_tEENKUlT_SK_SL_SM_E_clIPiSE_SF_SF_EESJ_SZ_SK_SL_SM_EUlSZ_E_NS1_11comp_targetILNS1_3genE0ELNS1_11target_archE4294967295ELNS1_3gpuE0ELNS1_3repE0EEENS1_48merge_mergepath_partition_config_static_selectorELNS0_4arch9wavefront6targetE1EEEvSL_,"axG",@progbits,_ZN7rocprim17ROCPRIM_400000_NS6detail17trampoline_kernelINS0_14default_configENS1_38merge_sort_block_merge_config_selectorIiNS0_10empty_typeEEEZZNS1_27merge_sort_block_merge_implIS3_N6thrust23THRUST_200600_302600_NS6detail15normal_iteratorINS9_10device_ptrIiEEEEPS5_jNS1_19radix_merge_compareILb0ELb1EiNS0_19identity_decomposerEEEEE10hipError_tT0_T1_T2_jT3_P12ihipStream_tbPNSt15iterator_traitsISK_E10value_typeEPNSQ_ISL_E10value_typeEPSM_NS1_7vsmem_tEENKUlT_SK_SL_SM_E_clIPiSE_SF_SF_EESJ_SZ_SK_SL_SM_EUlSZ_E_NS1_11comp_targetILNS1_3genE0ELNS1_11target_archE4294967295ELNS1_3gpuE0ELNS1_3repE0EEENS1_48merge_mergepath_partition_config_static_selectorELNS0_4arch9wavefront6targetE1EEEvSL_,comdat
	.protected	_ZN7rocprim17ROCPRIM_400000_NS6detail17trampoline_kernelINS0_14default_configENS1_38merge_sort_block_merge_config_selectorIiNS0_10empty_typeEEEZZNS1_27merge_sort_block_merge_implIS3_N6thrust23THRUST_200600_302600_NS6detail15normal_iteratorINS9_10device_ptrIiEEEEPS5_jNS1_19radix_merge_compareILb0ELb1EiNS0_19identity_decomposerEEEEE10hipError_tT0_T1_T2_jT3_P12ihipStream_tbPNSt15iterator_traitsISK_E10value_typeEPNSQ_ISL_E10value_typeEPSM_NS1_7vsmem_tEENKUlT_SK_SL_SM_E_clIPiSE_SF_SF_EESJ_SZ_SK_SL_SM_EUlSZ_E_NS1_11comp_targetILNS1_3genE0ELNS1_11target_archE4294967295ELNS1_3gpuE0ELNS1_3repE0EEENS1_48merge_mergepath_partition_config_static_selectorELNS0_4arch9wavefront6targetE1EEEvSL_ ; -- Begin function _ZN7rocprim17ROCPRIM_400000_NS6detail17trampoline_kernelINS0_14default_configENS1_38merge_sort_block_merge_config_selectorIiNS0_10empty_typeEEEZZNS1_27merge_sort_block_merge_implIS3_N6thrust23THRUST_200600_302600_NS6detail15normal_iteratorINS9_10device_ptrIiEEEEPS5_jNS1_19radix_merge_compareILb0ELb1EiNS0_19identity_decomposerEEEEE10hipError_tT0_T1_T2_jT3_P12ihipStream_tbPNSt15iterator_traitsISK_E10value_typeEPNSQ_ISL_E10value_typeEPSM_NS1_7vsmem_tEENKUlT_SK_SL_SM_E_clIPiSE_SF_SF_EESJ_SZ_SK_SL_SM_EUlSZ_E_NS1_11comp_targetILNS1_3genE0ELNS1_11target_archE4294967295ELNS1_3gpuE0ELNS1_3repE0EEENS1_48merge_mergepath_partition_config_static_selectorELNS0_4arch9wavefront6targetE1EEEvSL_
	.globl	_ZN7rocprim17ROCPRIM_400000_NS6detail17trampoline_kernelINS0_14default_configENS1_38merge_sort_block_merge_config_selectorIiNS0_10empty_typeEEEZZNS1_27merge_sort_block_merge_implIS3_N6thrust23THRUST_200600_302600_NS6detail15normal_iteratorINS9_10device_ptrIiEEEEPS5_jNS1_19radix_merge_compareILb0ELb1EiNS0_19identity_decomposerEEEEE10hipError_tT0_T1_T2_jT3_P12ihipStream_tbPNSt15iterator_traitsISK_E10value_typeEPNSQ_ISL_E10value_typeEPSM_NS1_7vsmem_tEENKUlT_SK_SL_SM_E_clIPiSE_SF_SF_EESJ_SZ_SK_SL_SM_EUlSZ_E_NS1_11comp_targetILNS1_3genE0ELNS1_11target_archE4294967295ELNS1_3gpuE0ELNS1_3repE0EEENS1_48merge_mergepath_partition_config_static_selectorELNS0_4arch9wavefront6targetE1EEEvSL_
	.p2align	8
	.type	_ZN7rocprim17ROCPRIM_400000_NS6detail17trampoline_kernelINS0_14default_configENS1_38merge_sort_block_merge_config_selectorIiNS0_10empty_typeEEEZZNS1_27merge_sort_block_merge_implIS3_N6thrust23THRUST_200600_302600_NS6detail15normal_iteratorINS9_10device_ptrIiEEEEPS5_jNS1_19radix_merge_compareILb0ELb1EiNS0_19identity_decomposerEEEEE10hipError_tT0_T1_T2_jT3_P12ihipStream_tbPNSt15iterator_traitsISK_E10value_typeEPNSQ_ISL_E10value_typeEPSM_NS1_7vsmem_tEENKUlT_SK_SL_SM_E_clIPiSE_SF_SF_EESJ_SZ_SK_SL_SM_EUlSZ_E_NS1_11comp_targetILNS1_3genE0ELNS1_11target_archE4294967295ELNS1_3gpuE0ELNS1_3repE0EEENS1_48merge_mergepath_partition_config_static_selectorELNS0_4arch9wavefront6targetE1EEEvSL_,@function
_ZN7rocprim17ROCPRIM_400000_NS6detail17trampoline_kernelINS0_14default_configENS1_38merge_sort_block_merge_config_selectorIiNS0_10empty_typeEEEZZNS1_27merge_sort_block_merge_implIS3_N6thrust23THRUST_200600_302600_NS6detail15normal_iteratorINS9_10device_ptrIiEEEEPS5_jNS1_19radix_merge_compareILb0ELb1EiNS0_19identity_decomposerEEEEE10hipError_tT0_T1_T2_jT3_P12ihipStream_tbPNSt15iterator_traitsISK_E10value_typeEPNSQ_ISL_E10value_typeEPSM_NS1_7vsmem_tEENKUlT_SK_SL_SM_E_clIPiSE_SF_SF_EESJ_SZ_SK_SL_SM_EUlSZ_E_NS1_11comp_targetILNS1_3genE0ELNS1_11target_archE4294967295ELNS1_3gpuE0ELNS1_3repE0EEENS1_48merge_mergepath_partition_config_static_selectorELNS0_4arch9wavefront6targetE1EEEvSL_: ; @_ZN7rocprim17ROCPRIM_400000_NS6detail17trampoline_kernelINS0_14default_configENS1_38merge_sort_block_merge_config_selectorIiNS0_10empty_typeEEEZZNS1_27merge_sort_block_merge_implIS3_N6thrust23THRUST_200600_302600_NS6detail15normal_iteratorINS9_10device_ptrIiEEEEPS5_jNS1_19radix_merge_compareILb0ELb1EiNS0_19identity_decomposerEEEEE10hipError_tT0_T1_T2_jT3_P12ihipStream_tbPNSt15iterator_traitsISK_E10value_typeEPNSQ_ISL_E10value_typeEPSM_NS1_7vsmem_tEENKUlT_SK_SL_SM_E_clIPiSE_SF_SF_EESJ_SZ_SK_SL_SM_EUlSZ_E_NS1_11comp_targetILNS1_3genE0ELNS1_11target_archE4294967295ELNS1_3gpuE0ELNS1_3repE0EEENS1_48merge_mergepath_partition_config_static_selectorELNS0_4arch9wavefront6targetE1EEEvSL_
; %bb.0:
	s_load_dword s3, s[0:1], 0x0
	v_lshl_or_b32 v0, s2, 7, v0
	s_waitcnt lgkmcnt(0)
	v_cmp_gt_u32_e32 vcc, s3, v0
	s_and_saveexec_b64 s[2:3], vcc
	s_cbranch_execz .LBB84_6
; %bb.1:
	s_load_dwordx2 s[4:5], s[0:1], 0x4
	s_load_dwordx2 s[2:3], s[0:1], 0x20
	s_waitcnt lgkmcnt(0)
	s_lshr_b32 s6, s4, 9
	s_and_b32 s6, s6, 0x7ffffe
	s_add_i32 s7, s6, -1
	s_sub_i32 s6, 0, s6
	v_and_b32_e32 v1, s6, v0
	v_lshlrev_b32_e32 v1, 10, v1
	v_min_u32_e32 v2, s5, v1
	v_add_u32_e32 v1, s4, v1
	v_min_u32_e32 v4, s5, v1
	v_add_u32_e32 v1, s4, v4
	v_and_b32_e32 v3, s7, v0
	v_min_u32_e32 v1, s5, v1
	v_sub_u32_e32 v5, v1, v2
	v_lshlrev_b32_e32 v3, 10, v3
	v_min_u32_e32 v10, v5, v3
	v_sub_u32_e32 v3, v4, v2
	v_sub_u32_e32 v1, v1, v4
	v_sub_u32_e64 v1, v10, v1 clamp
	v_min_u32_e32 v11, v10, v3
	v_cmp_lt_u32_e32 vcc, v1, v11
	s_and_saveexec_b64 s[4:5], vcc
	s_cbranch_execz .LBB84_5
; %bb.2:
	s_load_dwordx2 s[8:9], s[0:1], 0x10
	s_load_dword s6, s[0:1], 0x18
	v_mov_b32_e32 v5, 0
	v_mov_b32_e32 v3, v5
	s_mov_b64 s[0:1], 0
	s_waitcnt lgkmcnt(0)
	v_lshl_add_u64 v[6:7], v[2:3], 2, s[8:9]
	v_lshl_add_u64 v[8:9], v[4:5], 2, s[8:9]
.LBB84_3:                               ; =>This Inner Loop Header: Depth=1
	v_add_u32_e32 v3, v11, v1
	v_lshrrev_b32_e32 v4, 1, v3
	v_mov_b32_e32 v13, v5
	v_xad_u32 v12, v4, -1, v10
	v_lshl_add_u64 v[14:15], v[4:5], 2, v[6:7]
	v_lshl_add_u64 v[12:13], v[12:13], 2, v[8:9]
	global_load_dword v3, v[14:15], off
	global_load_dword v16, v[12:13], off
	v_add_u32_e32 v12, 1, v4
	s_waitcnt vmcnt(1)
	v_and_b32_e32 v3, s6, v3
	s_waitcnt vmcnt(0)
	v_and_b32_e32 v13, s6, v16
	v_cmp_gt_i32_e32 vcc, v3, v13
	s_nop 1
	v_cndmask_b32_e32 v11, v11, v4, vcc
	v_cndmask_b32_e32 v1, v12, v1, vcc
	v_cmp_ge_u32_e32 vcc, v1, v11
	s_or_b64 s[0:1], vcc, s[0:1]
	s_andn2_b64 exec, exec, s[0:1]
	s_cbranch_execnz .LBB84_3
; %bb.4:
	s_or_b64 exec, exec, s[0:1]
.LBB84_5:
	s_or_b64 exec, exec, s[4:5]
	v_add_u32_e32 v2, v1, v2
	v_mov_b32_e32 v1, 0
	v_lshl_add_u64 v[0:1], v[0:1], 2, s[2:3]
	global_store_dword v[0:1], v2, off
.LBB84_6:
	s_endpgm
	.section	.rodata,"a",@progbits
	.p2align	6, 0x0
	.amdhsa_kernel _ZN7rocprim17ROCPRIM_400000_NS6detail17trampoline_kernelINS0_14default_configENS1_38merge_sort_block_merge_config_selectorIiNS0_10empty_typeEEEZZNS1_27merge_sort_block_merge_implIS3_N6thrust23THRUST_200600_302600_NS6detail15normal_iteratorINS9_10device_ptrIiEEEEPS5_jNS1_19radix_merge_compareILb0ELb1EiNS0_19identity_decomposerEEEEE10hipError_tT0_T1_T2_jT3_P12ihipStream_tbPNSt15iterator_traitsISK_E10value_typeEPNSQ_ISL_E10value_typeEPSM_NS1_7vsmem_tEENKUlT_SK_SL_SM_E_clIPiSE_SF_SF_EESJ_SZ_SK_SL_SM_EUlSZ_E_NS1_11comp_targetILNS1_3genE0ELNS1_11target_archE4294967295ELNS1_3gpuE0ELNS1_3repE0EEENS1_48merge_mergepath_partition_config_static_selectorELNS0_4arch9wavefront6targetE1EEEvSL_
		.amdhsa_group_segment_fixed_size 0
		.amdhsa_private_segment_fixed_size 0
		.amdhsa_kernarg_size 40
		.amdhsa_user_sgpr_count 2
		.amdhsa_user_sgpr_dispatch_ptr 0
		.amdhsa_user_sgpr_queue_ptr 0
		.amdhsa_user_sgpr_kernarg_segment_ptr 1
		.amdhsa_user_sgpr_dispatch_id 0
		.amdhsa_user_sgpr_kernarg_preload_length 0
		.amdhsa_user_sgpr_kernarg_preload_offset 0
		.amdhsa_user_sgpr_private_segment_size 0
		.amdhsa_uses_dynamic_stack 0
		.amdhsa_enable_private_segment 0
		.amdhsa_system_sgpr_workgroup_id_x 1
		.amdhsa_system_sgpr_workgroup_id_y 0
		.amdhsa_system_sgpr_workgroup_id_z 0
		.amdhsa_system_sgpr_workgroup_info 0
		.amdhsa_system_vgpr_workitem_id 0
		.amdhsa_next_free_vgpr 17
		.amdhsa_next_free_sgpr 10
		.amdhsa_accum_offset 20
		.amdhsa_reserve_vcc 1
		.amdhsa_float_round_mode_32 0
		.amdhsa_float_round_mode_16_64 0
		.amdhsa_float_denorm_mode_32 3
		.amdhsa_float_denorm_mode_16_64 3
		.amdhsa_dx10_clamp 1
		.amdhsa_ieee_mode 1
		.amdhsa_fp16_overflow 0
		.amdhsa_tg_split 0
		.amdhsa_exception_fp_ieee_invalid_op 0
		.amdhsa_exception_fp_denorm_src 0
		.amdhsa_exception_fp_ieee_div_zero 0
		.amdhsa_exception_fp_ieee_overflow 0
		.amdhsa_exception_fp_ieee_underflow 0
		.amdhsa_exception_fp_ieee_inexact 0
		.amdhsa_exception_int_div_zero 0
	.end_amdhsa_kernel
	.section	.text._ZN7rocprim17ROCPRIM_400000_NS6detail17trampoline_kernelINS0_14default_configENS1_38merge_sort_block_merge_config_selectorIiNS0_10empty_typeEEEZZNS1_27merge_sort_block_merge_implIS3_N6thrust23THRUST_200600_302600_NS6detail15normal_iteratorINS9_10device_ptrIiEEEEPS5_jNS1_19radix_merge_compareILb0ELb1EiNS0_19identity_decomposerEEEEE10hipError_tT0_T1_T2_jT3_P12ihipStream_tbPNSt15iterator_traitsISK_E10value_typeEPNSQ_ISL_E10value_typeEPSM_NS1_7vsmem_tEENKUlT_SK_SL_SM_E_clIPiSE_SF_SF_EESJ_SZ_SK_SL_SM_EUlSZ_E_NS1_11comp_targetILNS1_3genE0ELNS1_11target_archE4294967295ELNS1_3gpuE0ELNS1_3repE0EEENS1_48merge_mergepath_partition_config_static_selectorELNS0_4arch9wavefront6targetE1EEEvSL_,"axG",@progbits,_ZN7rocprim17ROCPRIM_400000_NS6detail17trampoline_kernelINS0_14default_configENS1_38merge_sort_block_merge_config_selectorIiNS0_10empty_typeEEEZZNS1_27merge_sort_block_merge_implIS3_N6thrust23THRUST_200600_302600_NS6detail15normal_iteratorINS9_10device_ptrIiEEEEPS5_jNS1_19radix_merge_compareILb0ELb1EiNS0_19identity_decomposerEEEEE10hipError_tT0_T1_T2_jT3_P12ihipStream_tbPNSt15iterator_traitsISK_E10value_typeEPNSQ_ISL_E10value_typeEPSM_NS1_7vsmem_tEENKUlT_SK_SL_SM_E_clIPiSE_SF_SF_EESJ_SZ_SK_SL_SM_EUlSZ_E_NS1_11comp_targetILNS1_3genE0ELNS1_11target_archE4294967295ELNS1_3gpuE0ELNS1_3repE0EEENS1_48merge_mergepath_partition_config_static_selectorELNS0_4arch9wavefront6targetE1EEEvSL_,comdat
.Lfunc_end84:
	.size	_ZN7rocprim17ROCPRIM_400000_NS6detail17trampoline_kernelINS0_14default_configENS1_38merge_sort_block_merge_config_selectorIiNS0_10empty_typeEEEZZNS1_27merge_sort_block_merge_implIS3_N6thrust23THRUST_200600_302600_NS6detail15normal_iteratorINS9_10device_ptrIiEEEEPS5_jNS1_19radix_merge_compareILb0ELb1EiNS0_19identity_decomposerEEEEE10hipError_tT0_T1_T2_jT3_P12ihipStream_tbPNSt15iterator_traitsISK_E10value_typeEPNSQ_ISL_E10value_typeEPSM_NS1_7vsmem_tEENKUlT_SK_SL_SM_E_clIPiSE_SF_SF_EESJ_SZ_SK_SL_SM_EUlSZ_E_NS1_11comp_targetILNS1_3genE0ELNS1_11target_archE4294967295ELNS1_3gpuE0ELNS1_3repE0EEENS1_48merge_mergepath_partition_config_static_selectorELNS0_4arch9wavefront6targetE1EEEvSL_, .Lfunc_end84-_ZN7rocprim17ROCPRIM_400000_NS6detail17trampoline_kernelINS0_14default_configENS1_38merge_sort_block_merge_config_selectorIiNS0_10empty_typeEEEZZNS1_27merge_sort_block_merge_implIS3_N6thrust23THRUST_200600_302600_NS6detail15normal_iteratorINS9_10device_ptrIiEEEEPS5_jNS1_19radix_merge_compareILb0ELb1EiNS0_19identity_decomposerEEEEE10hipError_tT0_T1_T2_jT3_P12ihipStream_tbPNSt15iterator_traitsISK_E10value_typeEPNSQ_ISL_E10value_typeEPSM_NS1_7vsmem_tEENKUlT_SK_SL_SM_E_clIPiSE_SF_SF_EESJ_SZ_SK_SL_SM_EUlSZ_E_NS1_11comp_targetILNS1_3genE0ELNS1_11target_archE4294967295ELNS1_3gpuE0ELNS1_3repE0EEENS1_48merge_mergepath_partition_config_static_selectorELNS0_4arch9wavefront6targetE1EEEvSL_
                                        ; -- End function
	.set _ZN7rocprim17ROCPRIM_400000_NS6detail17trampoline_kernelINS0_14default_configENS1_38merge_sort_block_merge_config_selectorIiNS0_10empty_typeEEEZZNS1_27merge_sort_block_merge_implIS3_N6thrust23THRUST_200600_302600_NS6detail15normal_iteratorINS9_10device_ptrIiEEEEPS5_jNS1_19radix_merge_compareILb0ELb1EiNS0_19identity_decomposerEEEEE10hipError_tT0_T1_T2_jT3_P12ihipStream_tbPNSt15iterator_traitsISK_E10value_typeEPNSQ_ISL_E10value_typeEPSM_NS1_7vsmem_tEENKUlT_SK_SL_SM_E_clIPiSE_SF_SF_EESJ_SZ_SK_SL_SM_EUlSZ_E_NS1_11comp_targetILNS1_3genE0ELNS1_11target_archE4294967295ELNS1_3gpuE0ELNS1_3repE0EEENS1_48merge_mergepath_partition_config_static_selectorELNS0_4arch9wavefront6targetE1EEEvSL_.num_vgpr, 17
	.set _ZN7rocprim17ROCPRIM_400000_NS6detail17trampoline_kernelINS0_14default_configENS1_38merge_sort_block_merge_config_selectorIiNS0_10empty_typeEEEZZNS1_27merge_sort_block_merge_implIS3_N6thrust23THRUST_200600_302600_NS6detail15normal_iteratorINS9_10device_ptrIiEEEEPS5_jNS1_19radix_merge_compareILb0ELb1EiNS0_19identity_decomposerEEEEE10hipError_tT0_T1_T2_jT3_P12ihipStream_tbPNSt15iterator_traitsISK_E10value_typeEPNSQ_ISL_E10value_typeEPSM_NS1_7vsmem_tEENKUlT_SK_SL_SM_E_clIPiSE_SF_SF_EESJ_SZ_SK_SL_SM_EUlSZ_E_NS1_11comp_targetILNS1_3genE0ELNS1_11target_archE4294967295ELNS1_3gpuE0ELNS1_3repE0EEENS1_48merge_mergepath_partition_config_static_selectorELNS0_4arch9wavefront6targetE1EEEvSL_.num_agpr, 0
	.set _ZN7rocprim17ROCPRIM_400000_NS6detail17trampoline_kernelINS0_14default_configENS1_38merge_sort_block_merge_config_selectorIiNS0_10empty_typeEEEZZNS1_27merge_sort_block_merge_implIS3_N6thrust23THRUST_200600_302600_NS6detail15normal_iteratorINS9_10device_ptrIiEEEEPS5_jNS1_19radix_merge_compareILb0ELb1EiNS0_19identity_decomposerEEEEE10hipError_tT0_T1_T2_jT3_P12ihipStream_tbPNSt15iterator_traitsISK_E10value_typeEPNSQ_ISL_E10value_typeEPSM_NS1_7vsmem_tEENKUlT_SK_SL_SM_E_clIPiSE_SF_SF_EESJ_SZ_SK_SL_SM_EUlSZ_E_NS1_11comp_targetILNS1_3genE0ELNS1_11target_archE4294967295ELNS1_3gpuE0ELNS1_3repE0EEENS1_48merge_mergepath_partition_config_static_selectorELNS0_4arch9wavefront6targetE1EEEvSL_.numbered_sgpr, 10
	.set _ZN7rocprim17ROCPRIM_400000_NS6detail17trampoline_kernelINS0_14default_configENS1_38merge_sort_block_merge_config_selectorIiNS0_10empty_typeEEEZZNS1_27merge_sort_block_merge_implIS3_N6thrust23THRUST_200600_302600_NS6detail15normal_iteratorINS9_10device_ptrIiEEEEPS5_jNS1_19radix_merge_compareILb0ELb1EiNS0_19identity_decomposerEEEEE10hipError_tT0_T1_T2_jT3_P12ihipStream_tbPNSt15iterator_traitsISK_E10value_typeEPNSQ_ISL_E10value_typeEPSM_NS1_7vsmem_tEENKUlT_SK_SL_SM_E_clIPiSE_SF_SF_EESJ_SZ_SK_SL_SM_EUlSZ_E_NS1_11comp_targetILNS1_3genE0ELNS1_11target_archE4294967295ELNS1_3gpuE0ELNS1_3repE0EEENS1_48merge_mergepath_partition_config_static_selectorELNS0_4arch9wavefront6targetE1EEEvSL_.num_named_barrier, 0
	.set _ZN7rocprim17ROCPRIM_400000_NS6detail17trampoline_kernelINS0_14default_configENS1_38merge_sort_block_merge_config_selectorIiNS0_10empty_typeEEEZZNS1_27merge_sort_block_merge_implIS3_N6thrust23THRUST_200600_302600_NS6detail15normal_iteratorINS9_10device_ptrIiEEEEPS5_jNS1_19radix_merge_compareILb0ELb1EiNS0_19identity_decomposerEEEEE10hipError_tT0_T1_T2_jT3_P12ihipStream_tbPNSt15iterator_traitsISK_E10value_typeEPNSQ_ISL_E10value_typeEPSM_NS1_7vsmem_tEENKUlT_SK_SL_SM_E_clIPiSE_SF_SF_EESJ_SZ_SK_SL_SM_EUlSZ_E_NS1_11comp_targetILNS1_3genE0ELNS1_11target_archE4294967295ELNS1_3gpuE0ELNS1_3repE0EEENS1_48merge_mergepath_partition_config_static_selectorELNS0_4arch9wavefront6targetE1EEEvSL_.private_seg_size, 0
	.set _ZN7rocprim17ROCPRIM_400000_NS6detail17trampoline_kernelINS0_14default_configENS1_38merge_sort_block_merge_config_selectorIiNS0_10empty_typeEEEZZNS1_27merge_sort_block_merge_implIS3_N6thrust23THRUST_200600_302600_NS6detail15normal_iteratorINS9_10device_ptrIiEEEEPS5_jNS1_19radix_merge_compareILb0ELb1EiNS0_19identity_decomposerEEEEE10hipError_tT0_T1_T2_jT3_P12ihipStream_tbPNSt15iterator_traitsISK_E10value_typeEPNSQ_ISL_E10value_typeEPSM_NS1_7vsmem_tEENKUlT_SK_SL_SM_E_clIPiSE_SF_SF_EESJ_SZ_SK_SL_SM_EUlSZ_E_NS1_11comp_targetILNS1_3genE0ELNS1_11target_archE4294967295ELNS1_3gpuE0ELNS1_3repE0EEENS1_48merge_mergepath_partition_config_static_selectorELNS0_4arch9wavefront6targetE1EEEvSL_.uses_vcc, 1
	.set _ZN7rocprim17ROCPRIM_400000_NS6detail17trampoline_kernelINS0_14default_configENS1_38merge_sort_block_merge_config_selectorIiNS0_10empty_typeEEEZZNS1_27merge_sort_block_merge_implIS3_N6thrust23THRUST_200600_302600_NS6detail15normal_iteratorINS9_10device_ptrIiEEEEPS5_jNS1_19radix_merge_compareILb0ELb1EiNS0_19identity_decomposerEEEEE10hipError_tT0_T1_T2_jT3_P12ihipStream_tbPNSt15iterator_traitsISK_E10value_typeEPNSQ_ISL_E10value_typeEPSM_NS1_7vsmem_tEENKUlT_SK_SL_SM_E_clIPiSE_SF_SF_EESJ_SZ_SK_SL_SM_EUlSZ_E_NS1_11comp_targetILNS1_3genE0ELNS1_11target_archE4294967295ELNS1_3gpuE0ELNS1_3repE0EEENS1_48merge_mergepath_partition_config_static_selectorELNS0_4arch9wavefront6targetE1EEEvSL_.uses_flat_scratch, 0
	.set _ZN7rocprim17ROCPRIM_400000_NS6detail17trampoline_kernelINS0_14default_configENS1_38merge_sort_block_merge_config_selectorIiNS0_10empty_typeEEEZZNS1_27merge_sort_block_merge_implIS3_N6thrust23THRUST_200600_302600_NS6detail15normal_iteratorINS9_10device_ptrIiEEEEPS5_jNS1_19radix_merge_compareILb0ELb1EiNS0_19identity_decomposerEEEEE10hipError_tT0_T1_T2_jT3_P12ihipStream_tbPNSt15iterator_traitsISK_E10value_typeEPNSQ_ISL_E10value_typeEPSM_NS1_7vsmem_tEENKUlT_SK_SL_SM_E_clIPiSE_SF_SF_EESJ_SZ_SK_SL_SM_EUlSZ_E_NS1_11comp_targetILNS1_3genE0ELNS1_11target_archE4294967295ELNS1_3gpuE0ELNS1_3repE0EEENS1_48merge_mergepath_partition_config_static_selectorELNS0_4arch9wavefront6targetE1EEEvSL_.has_dyn_sized_stack, 0
	.set _ZN7rocprim17ROCPRIM_400000_NS6detail17trampoline_kernelINS0_14default_configENS1_38merge_sort_block_merge_config_selectorIiNS0_10empty_typeEEEZZNS1_27merge_sort_block_merge_implIS3_N6thrust23THRUST_200600_302600_NS6detail15normal_iteratorINS9_10device_ptrIiEEEEPS5_jNS1_19radix_merge_compareILb0ELb1EiNS0_19identity_decomposerEEEEE10hipError_tT0_T1_T2_jT3_P12ihipStream_tbPNSt15iterator_traitsISK_E10value_typeEPNSQ_ISL_E10value_typeEPSM_NS1_7vsmem_tEENKUlT_SK_SL_SM_E_clIPiSE_SF_SF_EESJ_SZ_SK_SL_SM_EUlSZ_E_NS1_11comp_targetILNS1_3genE0ELNS1_11target_archE4294967295ELNS1_3gpuE0ELNS1_3repE0EEENS1_48merge_mergepath_partition_config_static_selectorELNS0_4arch9wavefront6targetE1EEEvSL_.has_recursion, 0
	.set _ZN7rocprim17ROCPRIM_400000_NS6detail17trampoline_kernelINS0_14default_configENS1_38merge_sort_block_merge_config_selectorIiNS0_10empty_typeEEEZZNS1_27merge_sort_block_merge_implIS3_N6thrust23THRUST_200600_302600_NS6detail15normal_iteratorINS9_10device_ptrIiEEEEPS5_jNS1_19radix_merge_compareILb0ELb1EiNS0_19identity_decomposerEEEEE10hipError_tT0_T1_T2_jT3_P12ihipStream_tbPNSt15iterator_traitsISK_E10value_typeEPNSQ_ISL_E10value_typeEPSM_NS1_7vsmem_tEENKUlT_SK_SL_SM_E_clIPiSE_SF_SF_EESJ_SZ_SK_SL_SM_EUlSZ_E_NS1_11comp_targetILNS1_3genE0ELNS1_11target_archE4294967295ELNS1_3gpuE0ELNS1_3repE0EEENS1_48merge_mergepath_partition_config_static_selectorELNS0_4arch9wavefront6targetE1EEEvSL_.has_indirect_call, 0
	.section	.AMDGPU.csdata,"",@progbits
; Kernel info:
; codeLenInByte = 336
; TotalNumSgprs: 16
; NumVgprs: 17
; NumAgprs: 0
; TotalNumVgprs: 17
; ScratchSize: 0
; MemoryBound: 0
; FloatMode: 240
; IeeeMode: 1
; LDSByteSize: 0 bytes/workgroup (compile time only)
; SGPRBlocks: 1
; VGPRBlocks: 2
; NumSGPRsForWavesPerEU: 16
; NumVGPRsForWavesPerEU: 17
; AccumOffset: 20
; Occupancy: 8
; WaveLimiterHint : 0
; COMPUTE_PGM_RSRC2:SCRATCH_EN: 0
; COMPUTE_PGM_RSRC2:USER_SGPR: 2
; COMPUTE_PGM_RSRC2:TRAP_HANDLER: 0
; COMPUTE_PGM_RSRC2:TGID_X_EN: 1
; COMPUTE_PGM_RSRC2:TGID_Y_EN: 0
; COMPUTE_PGM_RSRC2:TGID_Z_EN: 0
; COMPUTE_PGM_RSRC2:TIDIG_COMP_CNT: 0
; COMPUTE_PGM_RSRC3_GFX90A:ACCUM_OFFSET: 4
; COMPUTE_PGM_RSRC3_GFX90A:TG_SPLIT: 0
	.section	.text._ZN7rocprim17ROCPRIM_400000_NS6detail17trampoline_kernelINS0_14default_configENS1_38merge_sort_block_merge_config_selectorIiNS0_10empty_typeEEEZZNS1_27merge_sort_block_merge_implIS3_N6thrust23THRUST_200600_302600_NS6detail15normal_iteratorINS9_10device_ptrIiEEEEPS5_jNS1_19radix_merge_compareILb0ELb1EiNS0_19identity_decomposerEEEEE10hipError_tT0_T1_T2_jT3_P12ihipStream_tbPNSt15iterator_traitsISK_E10value_typeEPNSQ_ISL_E10value_typeEPSM_NS1_7vsmem_tEENKUlT_SK_SL_SM_E_clIPiSE_SF_SF_EESJ_SZ_SK_SL_SM_EUlSZ_E_NS1_11comp_targetILNS1_3genE10ELNS1_11target_archE1201ELNS1_3gpuE5ELNS1_3repE0EEENS1_48merge_mergepath_partition_config_static_selectorELNS0_4arch9wavefront6targetE1EEEvSL_,"axG",@progbits,_ZN7rocprim17ROCPRIM_400000_NS6detail17trampoline_kernelINS0_14default_configENS1_38merge_sort_block_merge_config_selectorIiNS0_10empty_typeEEEZZNS1_27merge_sort_block_merge_implIS3_N6thrust23THRUST_200600_302600_NS6detail15normal_iteratorINS9_10device_ptrIiEEEEPS5_jNS1_19radix_merge_compareILb0ELb1EiNS0_19identity_decomposerEEEEE10hipError_tT0_T1_T2_jT3_P12ihipStream_tbPNSt15iterator_traitsISK_E10value_typeEPNSQ_ISL_E10value_typeEPSM_NS1_7vsmem_tEENKUlT_SK_SL_SM_E_clIPiSE_SF_SF_EESJ_SZ_SK_SL_SM_EUlSZ_E_NS1_11comp_targetILNS1_3genE10ELNS1_11target_archE1201ELNS1_3gpuE5ELNS1_3repE0EEENS1_48merge_mergepath_partition_config_static_selectorELNS0_4arch9wavefront6targetE1EEEvSL_,comdat
	.protected	_ZN7rocprim17ROCPRIM_400000_NS6detail17trampoline_kernelINS0_14default_configENS1_38merge_sort_block_merge_config_selectorIiNS0_10empty_typeEEEZZNS1_27merge_sort_block_merge_implIS3_N6thrust23THRUST_200600_302600_NS6detail15normal_iteratorINS9_10device_ptrIiEEEEPS5_jNS1_19radix_merge_compareILb0ELb1EiNS0_19identity_decomposerEEEEE10hipError_tT0_T1_T2_jT3_P12ihipStream_tbPNSt15iterator_traitsISK_E10value_typeEPNSQ_ISL_E10value_typeEPSM_NS1_7vsmem_tEENKUlT_SK_SL_SM_E_clIPiSE_SF_SF_EESJ_SZ_SK_SL_SM_EUlSZ_E_NS1_11comp_targetILNS1_3genE10ELNS1_11target_archE1201ELNS1_3gpuE5ELNS1_3repE0EEENS1_48merge_mergepath_partition_config_static_selectorELNS0_4arch9wavefront6targetE1EEEvSL_ ; -- Begin function _ZN7rocprim17ROCPRIM_400000_NS6detail17trampoline_kernelINS0_14default_configENS1_38merge_sort_block_merge_config_selectorIiNS0_10empty_typeEEEZZNS1_27merge_sort_block_merge_implIS3_N6thrust23THRUST_200600_302600_NS6detail15normal_iteratorINS9_10device_ptrIiEEEEPS5_jNS1_19radix_merge_compareILb0ELb1EiNS0_19identity_decomposerEEEEE10hipError_tT0_T1_T2_jT3_P12ihipStream_tbPNSt15iterator_traitsISK_E10value_typeEPNSQ_ISL_E10value_typeEPSM_NS1_7vsmem_tEENKUlT_SK_SL_SM_E_clIPiSE_SF_SF_EESJ_SZ_SK_SL_SM_EUlSZ_E_NS1_11comp_targetILNS1_3genE10ELNS1_11target_archE1201ELNS1_3gpuE5ELNS1_3repE0EEENS1_48merge_mergepath_partition_config_static_selectorELNS0_4arch9wavefront6targetE1EEEvSL_
	.globl	_ZN7rocprim17ROCPRIM_400000_NS6detail17trampoline_kernelINS0_14default_configENS1_38merge_sort_block_merge_config_selectorIiNS0_10empty_typeEEEZZNS1_27merge_sort_block_merge_implIS3_N6thrust23THRUST_200600_302600_NS6detail15normal_iteratorINS9_10device_ptrIiEEEEPS5_jNS1_19radix_merge_compareILb0ELb1EiNS0_19identity_decomposerEEEEE10hipError_tT0_T1_T2_jT3_P12ihipStream_tbPNSt15iterator_traitsISK_E10value_typeEPNSQ_ISL_E10value_typeEPSM_NS1_7vsmem_tEENKUlT_SK_SL_SM_E_clIPiSE_SF_SF_EESJ_SZ_SK_SL_SM_EUlSZ_E_NS1_11comp_targetILNS1_3genE10ELNS1_11target_archE1201ELNS1_3gpuE5ELNS1_3repE0EEENS1_48merge_mergepath_partition_config_static_selectorELNS0_4arch9wavefront6targetE1EEEvSL_
	.p2align	8
	.type	_ZN7rocprim17ROCPRIM_400000_NS6detail17trampoline_kernelINS0_14default_configENS1_38merge_sort_block_merge_config_selectorIiNS0_10empty_typeEEEZZNS1_27merge_sort_block_merge_implIS3_N6thrust23THRUST_200600_302600_NS6detail15normal_iteratorINS9_10device_ptrIiEEEEPS5_jNS1_19radix_merge_compareILb0ELb1EiNS0_19identity_decomposerEEEEE10hipError_tT0_T1_T2_jT3_P12ihipStream_tbPNSt15iterator_traitsISK_E10value_typeEPNSQ_ISL_E10value_typeEPSM_NS1_7vsmem_tEENKUlT_SK_SL_SM_E_clIPiSE_SF_SF_EESJ_SZ_SK_SL_SM_EUlSZ_E_NS1_11comp_targetILNS1_3genE10ELNS1_11target_archE1201ELNS1_3gpuE5ELNS1_3repE0EEENS1_48merge_mergepath_partition_config_static_selectorELNS0_4arch9wavefront6targetE1EEEvSL_,@function
_ZN7rocprim17ROCPRIM_400000_NS6detail17trampoline_kernelINS0_14default_configENS1_38merge_sort_block_merge_config_selectorIiNS0_10empty_typeEEEZZNS1_27merge_sort_block_merge_implIS3_N6thrust23THRUST_200600_302600_NS6detail15normal_iteratorINS9_10device_ptrIiEEEEPS5_jNS1_19radix_merge_compareILb0ELb1EiNS0_19identity_decomposerEEEEE10hipError_tT0_T1_T2_jT3_P12ihipStream_tbPNSt15iterator_traitsISK_E10value_typeEPNSQ_ISL_E10value_typeEPSM_NS1_7vsmem_tEENKUlT_SK_SL_SM_E_clIPiSE_SF_SF_EESJ_SZ_SK_SL_SM_EUlSZ_E_NS1_11comp_targetILNS1_3genE10ELNS1_11target_archE1201ELNS1_3gpuE5ELNS1_3repE0EEENS1_48merge_mergepath_partition_config_static_selectorELNS0_4arch9wavefront6targetE1EEEvSL_: ; @_ZN7rocprim17ROCPRIM_400000_NS6detail17trampoline_kernelINS0_14default_configENS1_38merge_sort_block_merge_config_selectorIiNS0_10empty_typeEEEZZNS1_27merge_sort_block_merge_implIS3_N6thrust23THRUST_200600_302600_NS6detail15normal_iteratorINS9_10device_ptrIiEEEEPS5_jNS1_19radix_merge_compareILb0ELb1EiNS0_19identity_decomposerEEEEE10hipError_tT0_T1_T2_jT3_P12ihipStream_tbPNSt15iterator_traitsISK_E10value_typeEPNSQ_ISL_E10value_typeEPSM_NS1_7vsmem_tEENKUlT_SK_SL_SM_E_clIPiSE_SF_SF_EESJ_SZ_SK_SL_SM_EUlSZ_E_NS1_11comp_targetILNS1_3genE10ELNS1_11target_archE1201ELNS1_3gpuE5ELNS1_3repE0EEENS1_48merge_mergepath_partition_config_static_selectorELNS0_4arch9wavefront6targetE1EEEvSL_
; %bb.0:
	.section	.rodata,"a",@progbits
	.p2align	6, 0x0
	.amdhsa_kernel _ZN7rocprim17ROCPRIM_400000_NS6detail17trampoline_kernelINS0_14default_configENS1_38merge_sort_block_merge_config_selectorIiNS0_10empty_typeEEEZZNS1_27merge_sort_block_merge_implIS3_N6thrust23THRUST_200600_302600_NS6detail15normal_iteratorINS9_10device_ptrIiEEEEPS5_jNS1_19radix_merge_compareILb0ELb1EiNS0_19identity_decomposerEEEEE10hipError_tT0_T1_T2_jT3_P12ihipStream_tbPNSt15iterator_traitsISK_E10value_typeEPNSQ_ISL_E10value_typeEPSM_NS1_7vsmem_tEENKUlT_SK_SL_SM_E_clIPiSE_SF_SF_EESJ_SZ_SK_SL_SM_EUlSZ_E_NS1_11comp_targetILNS1_3genE10ELNS1_11target_archE1201ELNS1_3gpuE5ELNS1_3repE0EEENS1_48merge_mergepath_partition_config_static_selectorELNS0_4arch9wavefront6targetE1EEEvSL_
		.amdhsa_group_segment_fixed_size 0
		.amdhsa_private_segment_fixed_size 0
		.amdhsa_kernarg_size 40
		.amdhsa_user_sgpr_count 2
		.amdhsa_user_sgpr_dispatch_ptr 0
		.amdhsa_user_sgpr_queue_ptr 0
		.amdhsa_user_sgpr_kernarg_segment_ptr 1
		.amdhsa_user_sgpr_dispatch_id 0
		.amdhsa_user_sgpr_kernarg_preload_length 0
		.amdhsa_user_sgpr_kernarg_preload_offset 0
		.amdhsa_user_sgpr_private_segment_size 0
		.amdhsa_uses_dynamic_stack 0
		.amdhsa_enable_private_segment 0
		.amdhsa_system_sgpr_workgroup_id_x 1
		.amdhsa_system_sgpr_workgroup_id_y 0
		.amdhsa_system_sgpr_workgroup_id_z 0
		.amdhsa_system_sgpr_workgroup_info 0
		.amdhsa_system_vgpr_workitem_id 0
		.amdhsa_next_free_vgpr 1
		.amdhsa_next_free_sgpr 0
		.amdhsa_accum_offset 4
		.amdhsa_reserve_vcc 0
		.amdhsa_float_round_mode_32 0
		.amdhsa_float_round_mode_16_64 0
		.amdhsa_float_denorm_mode_32 3
		.amdhsa_float_denorm_mode_16_64 3
		.amdhsa_dx10_clamp 1
		.amdhsa_ieee_mode 1
		.amdhsa_fp16_overflow 0
		.amdhsa_tg_split 0
		.amdhsa_exception_fp_ieee_invalid_op 0
		.amdhsa_exception_fp_denorm_src 0
		.amdhsa_exception_fp_ieee_div_zero 0
		.amdhsa_exception_fp_ieee_overflow 0
		.amdhsa_exception_fp_ieee_underflow 0
		.amdhsa_exception_fp_ieee_inexact 0
		.amdhsa_exception_int_div_zero 0
	.end_amdhsa_kernel
	.section	.text._ZN7rocprim17ROCPRIM_400000_NS6detail17trampoline_kernelINS0_14default_configENS1_38merge_sort_block_merge_config_selectorIiNS0_10empty_typeEEEZZNS1_27merge_sort_block_merge_implIS3_N6thrust23THRUST_200600_302600_NS6detail15normal_iteratorINS9_10device_ptrIiEEEEPS5_jNS1_19radix_merge_compareILb0ELb1EiNS0_19identity_decomposerEEEEE10hipError_tT0_T1_T2_jT3_P12ihipStream_tbPNSt15iterator_traitsISK_E10value_typeEPNSQ_ISL_E10value_typeEPSM_NS1_7vsmem_tEENKUlT_SK_SL_SM_E_clIPiSE_SF_SF_EESJ_SZ_SK_SL_SM_EUlSZ_E_NS1_11comp_targetILNS1_3genE10ELNS1_11target_archE1201ELNS1_3gpuE5ELNS1_3repE0EEENS1_48merge_mergepath_partition_config_static_selectorELNS0_4arch9wavefront6targetE1EEEvSL_,"axG",@progbits,_ZN7rocprim17ROCPRIM_400000_NS6detail17trampoline_kernelINS0_14default_configENS1_38merge_sort_block_merge_config_selectorIiNS0_10empty_typeEEEZZNS1_27merge_sort_block_merge_implIS3_N6thrust23THRUST_200600_302600_NS6detail15normal_iteratorINS9_10device_ptrIiEEEEPS5_jNS1_19radix_merge_compareILb0ELb1EiNS0_19identity_decomposerEEEEE10hipError_tT0_T1_T2_jT3_P12ihipStream_tbPNSt15iterator_traitsISK_E10value_typeEPNSQ_ISL_E10value_typeEPSM_NS1_7vsmem_tEENKUlT_SK_SL_SM_E_clIPiSE_SF_SF_EESJ_SZ_SK_SL_SM_EUlSZ_E_NS1_11comp_targetILNS1_3genE10ELNS1_11target_archE1201ELNS1_3gpuE5ELNS1_3repE0EEENS1_48merge_mergepath_partition_config_static_selectorELNS0_4arch9wavefront6targetE1EEEvSL_,comdat
.Lfunc_end85:
	.size	_ZN7rocprim17ROCPRIM_400000_NS6detail17trampoline_kernelINS0_14default_configENS1_38merge_sort_block_merge_config_selectorIiNS0_10empty_typeEEEZZNS1_27merge_sort_block_merge_implIS3_N6thrust23THRUST_200600_302600_NS6detail15normal_iteratorINS9_10device_ptrIiEEEEPS5_jNS1_19radix_merge_compareILb0ELb1EiNS0_19identity_decomposerEEEEE10hipError_tT0_T1_T2_jT3_P12ihipStream_tbPNSt15iterator_traitsISK_E10value_typeEPNSQ_ISL_E10value_typeEPSM_NS1_7vsmem_tEENKUlT_SK_SL_SM_E_clIPiSE_SF_SF_EESJ_SZ_SK_SL_SM_EUlSZ_E_NS1_11comp_targetILNS1_3genE10ELNS1_11target_archE1201ELNS1_3gpuE5ELNS1_3repE0EEENS1_48merge_mergepath_partition_config_static_selectorELNS0_4arch9wavefront6targetE1EEEvSL_, .Lfunc_end85-_ZN7rocprim17ROCPRIM_400000_NS6detail17trampoline_kernelINS0_14default_configENS1_38merge_sort_block_merge_config_selectorIiNS0_10empty_typeEEEZZNS1_27merge_sort_block_merge_implIS3_N6thrust23THRUST_200600_302600_NS6detail15normal_iteratorINS9_10device_ptrIiEEEEPS5_jNS1_19radix_merge_compareILb0ELb1EiNS0_19identity_decomposerEEEEE10hipError_tT0_T1_T2_jT3_P12ihipStream_tbPNSt15iterator_traitsISK_E10value_typeEPNSQ_ISL_E10value_typeEPSM_NS1_7vsmem_tEENKUlT_SK_SL_SM_E_clIPiSE_SF_SF_EESJ_SZ_SK_SL_SM_EUlSZ_E_NS1_11comp_targetILNS1_3genE10ELNS1_11target_archE1201ELNS1_3gpuE5ELNS1_3repE0EEENS1_48merge_mergepath_partition_config_static_selectorELNS0_4arch9wavefront6targetE1EEEvSL_
                                        ; -- End function
	.set _ZN7rocprim17ROCPRIM_400000_NS6detail17trampoline_kernelINS0_14default_configENS1_38merge_sort_block_merge_config_selectorIiNS0_10empty_typeEEEZZNS1_27merge_sort_block_merge_implIS3_N6thrust23THRUST_200600_302600_NS6detail15normal_iteratorINS9_10device_ptrIiEEEEPS5_jNS1_19radix_merge_compareILb0ELb1EiNS0_19identity_decomposerEEEEE10hipError_tT0_T1_T2_jT3_P12ihipStream_tbPNSt15iterator_traitsISK_E10value_typeEPNSQ_ISL_E10value_typeEPSM_NS1_7vsmem_tEENKUlT_SK_SL_SM_E_clIPiSE_SF_SF_EESJ_SZ_SK_SL_SM_EUlSZ_E_NS1_11comp_targetILNS1_3genE10ELNS1_11target_archE1201ELNS1_3gpuE5ELNS1_3repE0EEENS1_48merge_mergepath_partition_config_static_selectorELNS0_4arch9wavefront6targetE1EEEvSL_.num_vgpr, 0
	.set _ZN7rocprim17ROCPRIM_400000_NS6detail17trampoline_kernelINS0_14default_configENS1_38merge_sort_block_merge_config_selectorIiNS0_10empty_typeEEEZZNS1_27merge_sort_block_merge_implIS3_N6thrust23THRUST_200600_302600_NS6detail15normal_iteratorINS9_10device_ptrIiEEEEPS5_jNS1_19radix_merge_compareILb0ELb1EiNS0_19identity_decomposerEEEEE10hipError_tT0_T1_T2_jT3_P12ihipStream_tbPNSt15iterator_traitsISK_E10value_typeEPNSQ_ISL_E10value_typeEPSM_NS1_7vsmem_tEENKUlT_SK_SL_SM_E_clIPiSE_SF_SF_EESJ_SZ_SK_SL_SM_EUlSZ_E_NS1_11comp_targetILNS1_3genE10ELNS1_11target_archE1201ELNS1_3gpuE5ELNS1_3repE0EEENS1_48merge_mergepath_partition_config_static_selectorELNS0_4arch9wavefront6targetE1EEEvSL_.num_agpr, 0
	.set _ZN7rocprim17ROCPRIM_400000_NS6detail17trampoline_kernelINS0_14default_configENS1_38merge_sort_block_merge_config_selectorIiNS0_10empty_typeEEEZZNS1_27merge_sort_block_merge_implIS3_N6thrust23THRUST_200600_302600_NS6detail15normal_iteratorINS9_10device_ptrIiEEEEPS5_jNS1_19radix_merge_compareILb0ELb1EiNS0_19identity_decomposerEEEEE10hipError_tT0_T1_T2_jT3_P12ihipStream_tbPNSt15iterator_traitsISK_E10value_typeEPNSQ_ISL_E10value_typeEPSM_NS1_7vsmem_tEENKUlT_SK_SL_SM_E_clIPiSE_SF_SF_EESJ_SZ_SK_SL_SM_EUlSZ_E_NS1_11comp_targetILNS1_3genE10ELNS1_11target_archE1201ELNS1_3gpuE5ELNS1_3repE0EEENS1_48merge_mergepath_partition_config_static_selectorELNS0_4arch9wavefront6targetE1EEEvSL_.numbered_sgpr, 0
	.set _ZN7rocprim17ROCPRIM_400000_NS6detail17trampoline_kernelINS0_14default_configENS1_38merge_sort_block_merge_config_selectorIiNS0_10empty_typeEEEZZNS1_27merge_sort_block_merge_implIS3_N6thrust23THRUST_200600_302600_NS6detail15normal_iteratorINS9_10device_ptrIiEEEEPS5_jNS1_19radix_merge_compareILb0ELb1EiNS0_19identity_decomposerEEEEE10hipError_tT0_T1_T2_jT3_P12ihipStream_tbPNSt15iterator_traitsISK_E10value_typeEPNSQ_ISL_E10value_typeEPSM_NS1_7vsmem_tEENKUlT_SK_SL_SM_E_clIPiSE_SF_SF_EESJ_SZ_SK_SL_SM_EUlSZ_E_NS1_11comp_targetILNS1_3genE10ELNS1_11target_archE1201ELNS1_3gpuE5ELNS1_3repE0EEENS1_48merge_mergepath_partition_config_static_selectorELNS0_4arch9wavefront6targetE1EEEvSL_.num_named_barrier, 0
	.set _ZN7rocprim17ROCPRIM_400000_NS6detail17trampoline_kernelINS0_14default_configENS1_38merge_sort_block_merge_config_selectorIiNS0_10empty_typeEEEZZNS1_27merge_sort_block_merge_implIS3_N6thrust23THRUST_200600_302600_NS6detail15normal_iteratorINS9_10device_ptrIiEEEEPS5_jNS1_19radix_merge_compareILb0ELb1EiNS0_19identity_decomposerEEEEE10hipError_tT0_T1_T2_jT3_P12ihipStream_tbPNSt15iterator_traitsISK_E10value_typeEPNSQ_ISL_E10value_typeEPSM_NS1_7vsmem_tEENKUlT_SK_SL_SM_E_clIPiSE_SF_SF_EESJ_SZ_SK_SL_SM_EUlSZ_E_NS1_11comp_targetILNS1_3genE10ELNS1_11target_archE1201ELNS1_3gpuE5ELNS1_3repE0EEENS1_48merge_mergepath_partition_config_static_selectorELNS0_4arch9wavefront6targetE1EEEvSL_.private_seg_size, 0
	.set _ZN7rocprim17ROCPRIM_400000_NS6detail17trampoline_kernelINS0_14default_configENS1_38merge_sort_block_merge_config_selectorIiNS0_10empty_typeEEEZZNS1_27merge_sort_block_merge_implIS3_N6thrust23THRUST_200600_302600_NS6detail15normal_iteratorINS9_10device_ptrIiEEEEPS5_jNS1_19radix_merge_compareILb0ELb1EiNS0_19identity_decomposerEEEEE10hipError_tT0_T1_T2_jT3_P12ihipStream_tbPNSt15iterator_traitsISK_E10value_typeEPNSQ_ISL_E10value_typeEPSM_NS1_7vsmem_tEENKUlT_SK_SL_SM_E_clIPiSE_SF_SF_EESJ_SZ_SK_SL_SM_EUlSZ_E_NS1_11comp_targetILNS1_3genE10ELNS1_11target_archE1201ELNS1_3gpuE5ELNS1_3repE0EEENS1_48merge_mergepath_partition_config_static_selectorELNS0_4arch9wavefront6targetE1EEEvSL_.uses_vcc, 0
	.set _ZN7rocprim17ROCPRIM_400000_NS6detail17trampoline_kernelINS0_14default_configENS1_38merge_sort_block_merge_config_selectorIiNS0_10empty_typeEEEZZNS1_27merge_sort_block_merge_implIS3_N6thrust23THRUST_200600_302600_NS6detail15normal_iteratorINS9_10device_ptrIiEEEEPS5_jNS1_19radix_merge_compareILb0ELb1EiNS0_19identity_decomposerEEEEE10hipError_tT0_T1_T2_jT3_P12ihipStream_tbPNSt15iterator_traitsISK_E10value_typeEPNSQ_ISL_E10value_typeEPSM_NS1_7vsmem_tEENKUlT_SK_SL_SM_E_clIPiSE_SF_SF_EESJ_SZ_SK_SL_SM_EUlSZ_E_NS1_11comp_targetILNS1_3genE10ELNS1_11target_archE1201ELNS1_3gpuE5ELNS1_3repE0EEENS1_48merge_mergepath_partition_config_static_selectorELNS0_4arch9wavefront6targetE1EEEvSL_.uses_flat_scratch, 0
	.set _ZN7rocprim17ROCPRIM_400000_NS6detail17trampoline_kernelINS0_14default_configENS1_38merge_sort_block_merge_config_selectorIiNS0_10empty_typeEEEZZNS1_27merge_sort_block_merge_implIS3_N6thrust23THRUST_200600_302600_NS6detail15normal_iteratorINS9_10device_ptrIiEEEEPS5_jNS1_19radix_merge_compareILb0ELb1EiNS0_19identity_decomposerEEEEE10hipError_tT0_T1_T2_jT3_P12ihipStream_tbPNSt15iterator_traitsISK_E10value_typeEPNSQ_ISL_E10value_typeEPSM_NS1_7vsmem_tEENKUlT_SK_SL_SM_E_clIPiSE_SF_SF_EESJ_SZ_SK_SL_SM_EUlSZ_E_NS1_11comp_targetILNS1_3genE10ELNS1_11target_archE1201ELNS1_3gpuE5ELNS1_3repE0EEENS1_48merge_mergepath_partition_config_static_selectorELNS0_4arch9wavefront6targetE1EEEvSL_.has_dyn_sized_stack, 0
	.set _ZN7rocprim17ROCPRIM_400000_NS6detail17trampoline_kernelINS0_14default_configENS1_38merge_sort_block_merge_config_selectorIiNS0_10empty_typeEEEZZNS1_27merge_sort_block_merge_implIS3_N6thrust23THRUST_200600_302600_NS6detail15normal_iteratorINS9_10device_ptrIiEEEEPS5_jNS1_19radix_merge_compareILb0ELb1EiNS0_19identity_decomposerEEEEE10hipError_tT0_T1_T2_jT3_P12ihipStream_tbPNSt15iterator_traitsISK_E10value_typeEPNSQ_ISL_E10value_typeEPSM_NS1_7vsmem_tEENKUlT_SK_SL_SM_E_clIPiSE_SF_SF_EESJ_SZ_SK_SL_SM_EUlSZ_E_NS1_11comp_targetILNS1_3genE10ELNS1_11target_archE1201ELNS1_3gpuE5ELNS1_3repE0EEENS1_48merge_mergepath_partition_config_static_selectorELNS0_4arch9wavefront6targetE1EEEvSL_.has_recursion, 0
	.set _ZN7rocprim17ROCPRIM_400000_NS6detail17trampoline_kernelINS0_14default_configENS1_38merge_sort_block_merge_config_selectorIiNS0_10empty_typeEEEZZNS1_27merge_sort_block_merge_implIS3_N6thrust23THRUST_200600_302600_NS6detail15normal_iteratorINS9_10device_ptrIiEEEEPS5_jNS1_19radix_merge_compareILb0ELb1EiNS0_19identity_decomposerEEEEE10hipError_tT0_T1_T2_jT3_P12ihipStream_tbPNSt15iterator_traitsISK_E10value_typeEPNSQ_ISL_E10value_typeEPSM_NS1_7vsmem_tEENKUlT_SK_SL_SM_E_clIPiSE_SF_SF_EESJ_SZ_SK_SL_SM_EUlSZ_E_NS1_11comp_targetILNS1_3genE10ELNS1_11target_archE1201ELNS1_3gpuE5ELNS1_3repE0EEENS1_48merge_mergepath_partition_config_static_selectorELNS0_4arch9wavefront6targetE1EEEvSL_.has_indirect_call, 0
	.section	.AMDGPU.csdata,"",@progbits
; Kernel info:
; codeLenInByte = 0
; TotalNumSgprs: 6
; NumVgprs: 0
; NumAgprs: 0
; TotalNumVgprs: 0
; ScratchSize: 0
; MemoryBound: 0
; FloatMode: 240
; IeeeMode: 1
; LDSByteSize: 0 bytes/workgroup (compile time only)
; SGPRBlocks: 0
; VGPRBlocks: 0
; NumSGPRsForWavesPerEU: 6
; NumVGPRsForWavesPerEU: 1
; AccumOffset: 4
; Occupancy: 8
; WaveLimiterHint : 0
; COMPUTE_PGM_RSRC2:SCRATCH_EN: 0
; COMPUTE_PGM_RSRC2:USER_SGPR: 2
; COMPUTE_PGM_RSRC2:TRAP_HANDLER: 0
; COMPUTE_PGM_RSRC2:TGID_X_EN: 1
; COMPUTE_PGM_RSRC2:TGID_Y_EN: 0
; COMPUTE_PGM_RSRC2:TGID_Z_EN: 0
; COMPUTE_PGM_RSRC2:TIDIG_COMP_CNT: 0
; COMPUTE_PGM_RSRC3_GFX90A:ACCUM_OFFSET: 0
; COMPUTE_PGM_RSRC3_GFX90A:TG_SPLIT: 0
	.section	.text._ZN7rocprim17ROCPRIM_400000_NS6detail17trampoline_kernelINS0_14default_configENS1_38merge_sort_block_merge_config_selectorIiNS0_10empty_typeEEEZZNS1_27merge_sort_block_merge_implIS3_N6thrust23THRUST_200600_302600_NS6detail15normal_iteratorINS9_10device_ptrIiEEEEPS5_jNS1_19radix_merge_compareILb0ELb1EiNS0_19identity_decomposerEEEEE10hipError_tT0_T1_T2_jT3_P12ihipStream_tbPNSt15iterator_traitsISK_E10value_typeEPNSQ_ISL_E10value_typeEPSM_NS1_7vsmem_tEENKUlT_SK_SL_SM_E_clIPiSE_SF_SF_EESJ_SZ_SK_SL_SM_EUlSZ_E_NS1_11comp_targetILNS1_3genE5ELNS1_11target_archE942ELNS1_3gpuE9ELNS1_3repE0EEENS1_48merge_mergepath_partition_config_static_selectorELNS0_4arch9wavefront6targetE1EEEvSL_,"axG",@progbits,_ZN7rocprim17ROCPRIM_400000_NS6detail17trampoline_kernelINS0_14default_configENS1_38merge_sort_block_merge_config_selectorIiNS0_10empty_typeEEEZZNS1_27merge_sort_block_merge_implIS3_N6thrust23THRUST_200600_302600_NS6detail15normal_iteratorINS9_10device_ptrIiEEEEPS5_jNS1_19radix_merge_compareILb0ELb1EiNS0_19identity_decomposerEEEEE10hipError_tT0_T1_T2_jT3_P12ihipStream_tbPNSt15iterator_traitsISK_E10value_typeEPNSQ_ISL_E10value_typeEPSM_NS1_7vsmem_tEENKUlT_SK_SL_SM_E_clIPiSE_SF_SF_EESJ_SZ_SK_SL_SM_EUlSZ_E_NS1_11comp_targetILNS1_3genE5ELNS1_11target_archE942ELNS1_3gpuE9ELNS1_3repE0EEENS1_48merge_mergepath_partition_config_static_selectorELNS0_4arch9wavefront6targetE1EEEvSL_,comdat
	.protected	_ZN7rocprim17ROCPRIM_400000_NS6detail17trampoline_kernelINS0_14default_configENS1_38merge_sort_block_merge_config_selectorIiNS0_10empty_typeEEEZZNS1_27merge_sort_block_merge_implIS3_N6thrust23THRUST_200600_302600_NS6detail15normal_iteratorINS9_10device_ptrIiEEEEPS5_jNS1_19radix_merge_compareILb0ELb1EiNS0_19identity_decomposerEEEEE10hipError_tT0_T1_T2_jT3_P12ihipStream_tbPNSt15iterator_traitsISK_E10value_typeEPNSQ_ISL_E10value_typeEPSM_NS1_7vsmem_tEENKUlT_SK_SL_SM_E_clIPiSE_SF_SF_EESJ_SZ_SK_SL_SM_EUlSZ_E_NS1_11comp_targetILNS1_3genE5ELNS1_11target_archE942ELNS1_3gpuE9ELNS1_3repE0EEENS1_48merge_mergepath_partition_config_static_selectorELNS0_4arch9wavefront6targetE1EEEvSL_ ; -- Begin function _ZN7rocprim17ROCPRIM_400000_NS6detail17trampoline_kernelINS0_14default_configENS1_38merge_sort_block_merge_config_selectorIiNS0_10empty_typeEEEZZNS1_27merge_sort_block_merge_implIS3_N6thrust23THRUST_200600_302600_NS6detail15normal_iteratorINS9_10device_ptrIiEEEEPS5_jNS1_19radix_merge_compareILb0ELb1EiNS0_19identity_decomposerEEEEE10hipError_tT0_T1_T2_jT3_P12ihipStream_tbPNSt15iterator_traitsISK_E10value_typeEPNSQ_ISL_E10value_typeEPSM_NS1_7vsmem_tEENKUlT_SK_SL_SM_E_clIPiSE_SF_SF_EESJ_SZ_SK_SL_SM_EUlSZ_E_NS1_11comp_targetILNS1_3genE5ELNS1_11target_archE942ELNS1_3gpuE9ELNS1_3repE0EEENS1_48merge_mergepath_partition_config_static_selectorELNS0_4arch9wavefront6targetE1EEEvSL_
	.globl	_ZN7rocprim17ROCPRIM_400000_NS6detail17trampoline_kernelINS0_14default_configENS1_38merge_sort_block_merge_config_selectorIiNS0_10empty_typeEEEZZNS1_27merge_sort_block_merge_implIS3_N6thrust23THRUST_200600_302600_NS6detail15normal_iteratorINS9_10device_ptrIiEEEEPS5_jNS1_19radix_merge_compareILb0ELb1EiNS0_19identity_decomposerEEEEE10hipError_tT0_T1_T2_jT3_P12ihipStream_tbPNSt15iterator_traitsISK_E10value_typeEPNSQ_ISL_E10value_typeEPSM_NS1_7vsmem_tEENKUlT_SK_SL_SM_E_clIPiSE_SF_SF_EESJ_SZ_SK_SL_SM_EUlSZ_E_NS1_11comp_targetILNS1_3genE5ELNS1_11target_archE942ELNS1_3gpuE9ELNS1_3repE0EEENS1_48merge_mergepath_partition_config_static_selectorELNS0_4arch9wavefront6targetE1EEEvSL_
	.p2align	8
	.type	_ZN7rocprim17ROCPRIM_400000_NS6detail17trampoline_kernelINS0_14default_configENS1_38merge_sort_block_merge_config_selectorIiNS0_10empty_typeEEEZZNS1_27merge_sort_block_merge_implIS3_N6thrust23THRUST_200600_302600_NS6detail15normal_iteratorINS9_10device_ptrIiEEEEPS5_jNS1_19radix_merge_compareILb0ELb1EiNS0_19identity_decomposerEEEEE10hipError_tT0_T1_T2_jT3_P12ihipStream_tbPNSt15iterator_traitsISK_E10value_typeEPNSQ_ISL_E10value_typeEPSM_NS1_7vsmem_tEENKUlT_SK_SL_SM_E_clIPiSE_SF_SF_EESJ_SZ_SK_SL_SM_EUlSZ_E_NS1_11comp_targetILNS1_3genE5ELNS1_11target_archE942ELNS1_3gpuE9ELNS1_3repE0EEENS1_48merge_mergepath_partition_config_static_selectorELNS0_4arch9wavefront6targetE1EEEvSL_,@function
_ZN7rocprim17ROCPRIM_400000_NS6detail17trampoline_kernelINS0_14default_configENS1_38merge_sort_block_merge_config_selectorIiNS0_10empty_typeEEEZZNS1_27merge_sort_block_merge_implIS3_N6thrust23THRUST_200600_302600_NS6detail15normal_iteratorINS9_10device_ptrIiEEEEPS5_jNS1_19radix_merge_compareILb0ELb1EiNS0_19identity_decomposerEEEEE10hipError_tT0_T1_T2_jT3_P12ihipStream_tbPNSt15iterator_traitsISK_E10value_typeEPNSQ_ISL_E10value_typeEPSM_NS1_7vsmem_tEENKUlT_SK_SL_SM_E_clIPiSE_SF_SF_EESJ_SZ_SK_SL_SM_EUlSZ_E_NS1_11comp_targetILNS1_3genE5ELNS1_11target_archE942ELNS1_3gpuE9ELNS1_3repE0EEENS1_48merge_mergepath_partition_config_static_selectorELNS0_4arch9wavefront6targetE1EEEvSL_: ; @_ZN7rocprim17ROCPRIM_400000_NS6detail17trampoline_kernelINS0_14default_configENS1_38merge_sort_block_merge_config_selectorIiNS0_10empty_typeEEEZZNS1_27merge_sort_block_merge_implIS3_N6thrust23THRUST_200600_302600_NS6detail15normal_iteratorINS9_10device_ptrIiEEEEPS5_jNS1_19radix_merge_compareILb0ELb1EiNS0_19identity_decomposerEEEEE10hipError_tT0_T1_T2_jT3_P12ihipStream_tbPNSt15iterator_traitsISK_E10value_typeEPNSQ_ISL_E10value_typeEPSM_NS1_7vsmem_tEENKUlT_SK_SL_SM_E_clIPiSE_SF_SF_EESJ_SZ_SK_SL_SM_EUlSZ_E_NS1_11comp_targetILNS1_3genE5ELNS1_11target_archE942ELNS1_3gpuE9ELNS1_3repE0EEENS1_48merge_mergepath_partition_config_static_selectorELNS0_4arch9wavefront6targetE1EEEvSL_
; %bb.0:
	.section	.rodata,"a",@progbits
	.p2align	6, 0x0
	.amdhsa_kernel _ZN7rocprim17ROCPRIM_400000_NS6detail17trampoline_kernelINS0_14default_configENS1_38merge_sort_block_merge_config_selectorIiNS0_10empty_typeEEEZZNS1_27merge_sort_block_merge_implIS3_N6thrust23THRUST_200600_302600_NS6detail15normal_iteratorINS9_10device_ptrIiEEEEPS5_jNS1_19radix_merge_compareILb0ELb1EiNS0_19identity_decomposerEEEEE10hipError_tT0_T1_T2_jT3_P12ihipStream_tbPNSt15iterator_traitsISK_E10value_typeEPNSQ_ISL_E10value_typeEPSM_NS1_7vsmem_tEENKUlT_SK_SL_SM_E_clIPiSE_SF_SF_EESJ_SZ_SK_SL_SM_EUlSZ_E_NS1_11comp_targetILNS1_3genE5ELNS1_11target_archE942ELNS1_3gpuE9ELNS1_3repE0EEENS1_48merge_mergepath_partition_config_static_selectorELNS0_4arch9wavefront6targetE1EEEvSL_
		.amdhsa_group_segment_fixed_size 0
		.amdhsa_private_segment_fixed_size 0
		.amdhsa_kernarg_size 40
		.amdhsa_user_sgpr_count 2
		.amdhsa_user_sgpr_dispatch_ptr 0
		.amdhsa_user_sgpr_queue_ptr 0
		.amdhsa_user_sgpr_kernarg_segment_ptr 1
		.amdhsa_user_sgpr_dispatch_id 0
		.amdhsa_user_sgpr_kernarg_preload_length 0
		.amdhsa_user_sgpr_kernarg_preload_offset 0
		.amdhsa_user_sgpr_private_segment_size 0
		.amdhsa_uses_dynamic_stack 0
		.amdhsa_enable_private_segment 0
		.amdhsa_system_sgpr_workgroup_id_x 1
		.amdhsa_system_sgpr_workgroup_id_y 0
		.amdhsa_system_sgpr_workgroup_id_z 0
		.amdhsa_system_sgpr_workgroup_info 0
		.amdhsa_system_vgpr_workitem_id 0
		.amdhsa_next_free_vgpr 1
		.amdhsa_next_free_sgpr 0
		.amdhsa_accum_offset 4
		.amdhsa_reserve_vcc 0
		.amdhsa_float_round_mode_32 0
		.amdhsa_float_round_mode_16_64 0
		.amdhsa_float_denorm_mode_32 3
		.amdhsa_float_denorm_mode_16_64 3
		.amdhsa_dx10_clamp 1
		.amdhsa_ieee_mode 1
		.amdhsa_fp16_overflow 0
		.amdhsa_tg_split 0
		.amdhsa_exception_fp_ieee_invalid_op 0
		.amdhsa_exception_fp_denorm_src 0
		.amdhsa_exception_fp_ieee_div_zero 0
		.amdhsa_exception_fp_ieee_overflow 0
		.amdhsa_exception_fp_ieee_underflow 0
		.amdhsa_exception_fp_ieee_inexact 0
		.amdhsa_exception_int_div_zero 0
	.end_amdhsa_kernel
	.section	.text._ZN7rocprim17ROCPRIM_400000_NS6detail17trampoline_kernelINS0_14default_configENS1_38merge_sort_block_merge_config_selectorIiNS0_10empty_typeEEEZZNS1_27merge_sort_block_merge_implIS3_N6thrust23THRUST_200600_302600_NS6detail15normal_iteratorINS9_10device_ptrIiEEEEPS5_jNS1_19radix_merge_compareILb0ELb1EiNS0_19identity_decomposerEEEEE10hipError_tT0_T1_T2_jT3_P12ihipStream_tbPNSt15iterator_traitsISK_E10value_typeEPNSQ_ISL_E10value_typeEPSM_NS1_7vsmem_tEENKUlT_SK_SL_SM_E_clIPiSE_SF_SF_EESJ_SZ_SK_SL_SM_EUlSZ_E_NS1_11comp_targetILNS1_3genE5ELNS1_11target_archE942ELNS1_3gpuE9ELNS1_3repE0EEENS1_48merge_mergepath_partition_config_static_selectorELNS0_4arch9wavefront6targetE1EEEvSL_,"axG",@progbits,_ZN7rocprim17ROCPRIM_400000_NS6detail17trampoline_kernelINS0_14default_configENS1_38merge_sort_block_merge_config_selectorIiNS0_10empty_typeEEEZZNS1_27merge_sort_block_merge_implIS3_N6thrust23THRUST_200600_302600_NS6detail15normal_iteratorINS9_10device_ptrIiEEEEPS5_jNS1_19radix_merge_compareILb0ELb1EiNS0_19identity_decomposerEEEEE10hipError_tT0_T1_T2_jT3_P12ihipStream_tbPNSt15iterator_traitsISK_E10value_typeEPNSQ_ISL_E10value_typeEPSM_NS1_7vsmem_tEENKUlT_SK_SL_SM_E_clIPiSE_SF_SF_EESJ_SZ_SK_SL_SM_EUlSZ_E_NS1_11comp_targetILNS1_3genE5ELNS1_11target_archE942ELNS1_3gpuE9ELNS1_3repE0EEENS1_48merge_mergepath_partition_config_static_selectorELNS0_4arch9wavefront6targetE1EEEvSL_,comdat
.Lfunc_end86:
	.size	_ZN7rocprim17ROCPRIM_400000_NS6detail17trampoline_kernelINS0_14default_configENS1_38merge_sort_block_merge_config_selectorIiNS0_10empty_typeEEEZZNS1_27merge_sort_block_merge_implIS3_N6thrust23THRUST_200600_302600_NS6detail15normal_iteratorINS9_10device_ptrIiEEEEPS5_jNS1_19radix_merge_compareILb0ELb1EiNS0_19identity_decomposerEEEEE10hipError_tT0_T1_T2_jT3_P12ihipStream_tbPNSt15iterator_traitsISK_E10value_typeEPNSQ_ISL_E10value_typeEPSM_NS1_7vsmem_tEENKUlT_SK_SL_SM_E_clIPiSE_SF_SF_EESJ_SZ_SK_SL_SM_EUlSZ_E_NS1_11comp_targetILNS1_3genE5ELNS1_11target_archE942ELNS1_3gpuE9ELNS1_3repE0EEENS1_48merge_mergepath_partition_config_static_selectorELNS0_4arch9wavefront6targetE1EEEvSL_, .Lfunc_end86-_ZN7rocprim17ROCPRIM_400000_NS6detail17trampoline_kernelINS0_14default_configENS1_38merge_sort_block_merge_config_selectorIiNS0_10empty_typeEEEZZNS1_27merge_sort_block_merge_implIS3_N6thrust23THRUST_200600_302600_NS6detail15normal_iteratorINS9_10device_ptrIiEEEEPS5_jNS1_19radix_merge_compareILb0ELb1EiNS0_19identity_decomposerEEEEE10hipError_tT0_T1_T2_jT3_P12ihipStream_tbPNSt15iterator_traitsISK_E10value_typeEPNSQ_ISL_E10value_typeEPSM_NS1_7vsmem_tEENKUlT_SK_SL_SM_E_clIPiSE_SF_SF_EESJ_SZ_SK_SL_SM_EUlSZ_E_NS1_11comp_targetILNS1_3genE5ELNS1_11target_archE942ELNS1_3gpuE9ELNS1_3repE0EEENS1_48merge_mergepath_partition_config_static_selectorELNS0_4arch9wavefront6targetE1EEEvSL_
                                        ; -- End function
	.set _ZN7rocprim17ROCPRIM_400000_NS6detail17trampoline_kernelINS0_14default_configENS1_38merge_sort_block_merge_config_selectorIiNS0_10empty_typeEEEZZNS1_27merge_sort_block_merge_implIS3_N6thrust23THRUST_200600_302600_NS6detail15normal_iteratorINS9_10device_ptrIiEEEEPS5_jNS1_19radix_merge_compareILb0ELb1EiNS0_19identity_decomposerEEEEE10hipError_tT0_T1_T2_jT3_P12ihipStream_tbPNSt15iterator_traitsISK_E10value_typeEPNSQ_ISL_E10value_typeEPSM_NS1_7vsmem_tEENKUlT_SK_SL_SM_E_clIPiSE_SF_SF_EESJ_SZ_SK_SL_SM_EUlSZ_E_NS1_11comp_targetILNS1_3genE5ELNS1_11target_archE942ELNS1_3gpuE9ELNS1_3repE0EEENS1_48merge_mergepath_partition_config_static_selectorELNS0_4arch9wavefront6targetE1EEEvSL_.num_vgpr, 0
	.set _ZN7rocprim17ROCPRIM_400000_NS6detail17trampoline_kernelINS0_14default_configENS1_38merge_sort_block_merge_config_selectorIiNS0_10empty_typeEEEZZNS1_27merge_sort_block_merge_implIS3_N6thrust23THRUST_200600_302600_NS6detail15normal_iteratorINS9_10device_ptrIiEEEEPS5_jNS1_19radix_merge_compareILb0ELb1EiNS0_19identity_decomposerEEEEE10hipError_tT0_T1_T2_jT3_P12ihipStream_tbPNSt15iterator_traitsISK_E10value_typeEPNSQ_ISL_E10value_typeEPSM_NS1_7vsmem_tEENKUlT_SK_SL_SM_E_clIPiSE_SF_SF_EESJ_SZ_SK_SL_SM_EUlSZ_E_NS1_11comp_targetILNS1_3genE5ELNS1_11target_archE942ELNS1_3gpuE9ELNS1_3repE0EEENS1_48merge_mergepath_partition_config_static_selectorELNS0_4arch9wavefront6targetE1EEEvSL_.num_agpr, 0
	.set _ZN7rocprim17ROCPRIM_400000_NS6detail17trampoline_kernelINS0_14default_configENS1_38merge_sort_block_merge_config_selectorIiNS0_10empty_typeEEEZZNS1_27merge_sort_block_merge_implIS3_N6thrust23THRUST_200600_302600_NS6detail15normal_iteratorINS9_10device_ptrIiEEEEPS5_jNS1_19radix_merge_compareILb0ELb1EiNS0_19identity_decomposerEEEEE10hipError_tT0_T1_T2_jT3_P12ihipStream_tbPNSt15iterator_traitsISK_E10value_typeEPNSQ_ISL_E10value_typeEPSM_NS1_7vsmem_tEENKUlT_SK_SL_SM_E_clIPiSE_SF_SF_EESJ_SZ_SK_SL_SM_EUlSZ_E_NS1_11comp_targetILNS1_3genE5ELNS1_11target_archE942ELNS1_3gpuE9ELNS1_3repE0EEENS1_48merge_mergepath_partition_config_static_selectorELNS0_4arch9wavefront6targetE1EEEvSL_.numbered_sgpr, 0
	.set _ZN7rocprim17ROCPRIM_400000_NS6detail17trampoline_kernelINS0_14default_configENS1_38merge_sort_block_merge_config_selectorIiNS0_10empty_typeEEEZZNS1_27merge_sort_block_merge_implIS3_N6thrust23THRUST_200600_302600_NS6detail15normal_iteratorINS9_10device_ptrIiEEEEPS5_jNS1_19radix_merge_compareILb0ELb1EiNS0_19identity_decomposerEEEEE10hipError_tT0_T1_T2_jT3_P12ihipStream_tbPNSt15iterator_traitsISK_E10value_typeEPNSQ_ISL_E10value_typeEPSM_NS1_7vsmem_tEENKUlT_SK_SL_SM_E_clIPiSE_SF_SF_EESJ_SZ_SK_SL_SM_EUlSZ_E_NS1_11comp_targetILNS1_3genE5ELNS1_11target_archE942ELNS1_3gpuE9ELNS1_3repE0EEENS1_48merge_mergepath_partition_config_static_selectorELNS0_4arch9wavefront6targetE1EEEvSL_.num_named_barrier, 0
	.set _ZN7rocprim17ROCPRIM_400000_NS6detail17trampoline_kernelINS0_14default_configENS1_38merge_sort_block_merge_config_selectorIiNS0_10empty_typeEEEZZNS1_27merge_sort_block_merge_implIS3_N6thrust23THRUST_200600_302600_NS6detail15normal_iteratorINS9_10device_ptrIiEEEEPS5_jNS1_19radix_merge_compareILb0ELb1EiNS0_19identity_decomposerEEEEE10hipError_tT0_T1_T2_jT3_P12ihipStream_tbPNSt15iterator_traitsISK_E10value_typeEPNSQ_ISL_E10value_typeEPSM_NS1_7vsmem_tEENKUlT_SK_SL_SM_E_clIPiSE_SF_SF_EESJ_SZ_SK_SL_SM_EUlSZ_E_NS1_11comp_targetILNS1_3genE5ELNS1_11target_archE942ELNS1_3gpuE9ELNS1_3repE0EEENS1_48merge_mergepath_partition_config_static_selectorELNS0_4arch9wavefront6targetE1EEEvSL_.private_seg_size, 0
	.set _ZN7rocprim17ROCPRIM_400000_NS6detail17trampoline_kernelINS0_14default_configENS1_38merge_sort_block_merge_config_selectorIiNS0_10empty_typeEEEZZNS1_27merge_sort_block_merge_implIS3_N6thrust23THRUST_200600_302600_NS6detail15normal_iteratorINS9_10device_ptrIiEEEEPS5_jNS1_19radix_merge_compareILb0ELb1EiNS0_19identity_decomposerEEEEE10hipError_tT0_T1_T2_jT3_P12ihipStream_tbPNSt15iterator_traitsISK_E10value_typeEPNSQ_ISL_E10value_typeEPSM_NS1_7vsmem_tEENKUlT_SK_SL_SM_E_clIPiSE_SF_SF_EESJ_SZ_SK_SL_SM_EUlSZ_E_NS1_11comp_targetILNS1_3genE5ELNS1_11target_archE942ELNS1_3gpuE9ELNS1_3repE0EEENS1_48merge_mergepath_partition_config_static_selectorELNS0_4arch9wavefront6targetE1EEEvSL_.uses_vcc, 0
	.set _ZN7rocprim17ROCPRIM_400000_NS6detail17trampoline_kernelINS0_14default_configENS1_38merge_sort_block_merge_config_selectorIiNS0_10empty_typeEEEZZNS1_27merge_sort_block_merge_implIS3_N6thrust23THRUST_200600_302600_NS6detail15normal_iteratorINS9_10device_ptrIiEEEEPS5_jNS1_19radix_merge_compareILb0ELb1EiNS0_19identity_decomposerEEEEE10hipError_tT0_T1_T2_jT3_P12ihipStream_tbPNSt15iterator_traitsISK_E10value_typeEPNSQ_ISL_E10value_typeEPSM_NS1_7vsmem_tEENKUlT_SK_SL_SM_E_clIPiSE_SF_SF_EESJ_SZ_SK_SL_SM_EUlSZ_E_NS1_11comp_targetILNS1_3genE5ELNS1_11target_archE942ELNS1_3gpuE9ELNS1_3repE0EEENS1_48merge_mergepath_partition_config_static_selectorELNS0_4arch9wavefront6targetE1EEEvSL_.uses_flat_scratch, 0
	.set _ZN7rocprim17ROCPRIM_400000_NS6detail17trampoline_kernelINS0_14default_configENS1_38merge_sort_block_merge_config_selectorIiNS0_10empty_typeEEEZZNS1_27merge_sort_block_merge_implIS3_N6thrust23THRUST_200600_302600_NS6detail15normal_iteratorINS9_10device_ptrIiEEEEPS5_jNS1_19radix_merge_compareILb0ELb1EiNS0_19identity_decomposerEEEEE10hipError_tT0_T1_T2_jT3_P12ihipStream_tbPNSt15iterator_traitsISK_E10value_typeEPNSQ_ISL_E10value_typeEPSM_NS1_7vsmem_tEENKUlT_SK_SL_SM_E_clIPiSE_SF_SF_EESJ_SZ_SK_SL_SM_EUlSZ_E_NS1_11comp_targetILNS1_3genE5ELNS1_11target_archE942ELNS1_3gpuE9ELNS1_3repE0EEENS1_48merge_mergepath_partition_config_static_selectorELNS0_4arch9wavefront6targetE1EEEvSL_.has_dyn_sized_stack, 0
	.set _ZN7rocprim17ROCPRIM_400000_NS6detail17trampoline_kernelINS0_14default_configENS1_38merge_sort_block_merge_config_selectorIiNS0_10empty_typeEEEZZNS1_27merge_sort_block_merge_implIS3_N6thrust23THRUST_200600_302600_NS6detail15normal_iteratorINS9_10device_ptrIiEEEEPS5_jNS1_19radix_merge_compareILb0ELb1EiNS0_19identity_decomposerEEEEE10hipError_tT0_T1_T2_jT3_P12ihipStream_tbPNSt15iterator_traitsISK_E10value_typeEPNSQ_ISL_E10value_typeEPSM_NS1_7vsmem_tEENKUlT_SK_SL_SM_E_clIPiSE_SF_SF_EESJ_SZ_SK_SL_SM_EUlSZ_E_NS1_11comp_targetILNS1_3genE5ELNS1_11target_archE942ELNS1_3gpuE9ELNS1_3repE0EEENS1_48merge_mergepath_partition_config_static_selectorELNS0_4arch9wavefront6targetE1EEEvSL_.has_recursion, 0
	.set _ZN7rocprim17ROCPRIM_400000_NS6detail17trampoline_kernelINS0_14default_configENS1_38merge_sort_block_merge_config_selectorIiNS0_10empty_typeEEEZZNS1_27merge_sort_block_merge_implIS3_N6thrust23THRUST_200600_302600_NS6detail15normal_iteratorINS9_10device_ptrIiEEEEPS5_jNS1_19radix_merge_compareILb0ELb1EiNS0_19identity_decomposerEEEEE10hipError_tT0_T1_T2_jT3_P12ihipStream_tbPNSt15iterator_traitsISK_E10value_typeEPNSQ_ISL_E10value_typeEPSM_NS1_7vsmem_tEENKUlT_SK_SL_SM_E_clIPiSE_SF_SF_EESJ_SZ_SK_SL_SM_EUlSZ_E_NS1_11comp_targetILNS1_3genE5ELNS1_11target_archE942ELNS1_3gpuE9ELNS1_3repE0EEENS1_48merge_mergepath_partition_config_static_selectorELNS0_4arch9wavefront6targetE1EEEvSL_.has_indirect_call, 0
	.section	.AMDGPU.csdata,"",@progbits
; Kernel info:
; codeLenInByte = 0
; TotalNumSgprs: 6
; NumVgprs: 0
; NumAgprs: 0
; TotalNumVgprs: 0
; ScratchSize: 0
; MemoryBound: 0
; FloatMode: 240
; IeeeMode: 1
; LDSByteSize: 0 bytes/workgroup (compile time only)
; SGPRBlocks: 0
; VGPRBlocks: 0
; NumSGPRsForWavesPerEU: 6
; NumVGPRsForWavesPerEU: 1
; AccumOffset: 4
; Occupancy: 8
; WaveLimiterHint : 0
; COMPUTE_PGM_RSRC2:SCRATCH_EN: 0
; COMPUTE_PGM_RSRC2:USER_SGPR: 2
; COMPUTE_PGM_RSRC2:TRAP_HANDLER: 0
; COMPUTE_PGM_RSRC2:TGID_X_EN: 1
; COMPUTE_PGM_RSRC2:TGID_Y_EN: 0
; COMPUTE_PGM_RSRC2:TGID_Z_EN: 0
; COMPUTE_PGM_RSRC2:TIDIG_COMP_CNT: 0
; COMPUTE_PGM_RSRC3_GFX90A:ACCUM_OFFSET: 0
; COMPUTE_PGM_RSRC3_GFX90A:TG_SPLIT: 0
	.section	.text._ZN7rocprim17ROCPRIM_400000_NS6detail17trampoline_kernelINS0_14default_configENS1_38merge_sort_block_merge_config_selectorIiNS0_10empty_typeEEEZZNS1_27merge_sort_block_merge_implIS3_N6thrust23THRUST_200600_302600_NS6detail15normal_iteratorINS9_10device_ptrIiEEEEPS5_jNS1_19radix_merge_compareILb0ELb1EiNS0_19identity_decomposerEEEEE10hipError_tT0_T1_T2_jT3_P12ihipStream_tbPNSt15iterator_traitsISK_E10value_typeEPNSQ_ISL_E10value_typeEPSM_NS1_7vsmem_tEENKUlT_SK_SL_SM_E_clIPiSE_SF_SF_EESJ_SZ_SK_SL_SM_EUlSZ_E_NS1_11comp_targetILNS1_3genE4ELNS1_11target_archE910ELNS1_3gpuE8ELNS1_3repE0EEENS1_48merge_mergepath_partition_config_static_selectorELNS0_4arch9wavefront6targetE1EEEvSL_,"axG",@progbits,_ZN7rocprim17ROCPRIM_400000_NS6detail17trampoline_kernelINS0_14default_configENS1_38merge_sort_block_merge_config_selectorIiNS0_10empty_typeEEEZZNS1_27merge_sort_block_merge_implIS3_N6thrust23THRUST_200600_302600_NS6detail15normal_iteratorINS9_10device_ptrIiEEEEPS5_jNS1_19radix_merge_compareILb0ELb1EiNS0_19identity_decomposerEEEEE10hipError_tT0_T1_T2_jT3_P12ihipStream_tbPNSt15iterator_traitsISK_E10value_typeEPNSQ_ISL_E10value_typeEPSM_NS1_7vsmem_tEENKUlT_SK_SL_SM_E_clIPiSE_SF_SF_EESJ_SZ_SK_SL_SM_EUlSZ_E_NS1_11comp_targetILNS1_3genE4ELNS1_11target_archE910ELNS1_3gpuE8ELNS1_3repE0EEENS1_48merge_mergepath_partition_config_static_selectorELNS0_4arch9wavefront6targetE1EEEvSL_,comdat
	.protected	_ZN7rocprim17ROCPRIM_400000_NS6detail17trampoline_kernelINS0_14default_configENS1_38merge_sort_block_merge_config_selectorIiNS0_10empty_typeEEEZZNS1_27merge_sort_block_merge_implIS3_N6thrust23THRUST_200600_302600_NS6detail15normal_iteratorINS9_10device_ptrIiEEEEPS5_jNS1_19radix_merge_compareILb0ELb1EiNS0_19identity_decomposerEEEEE10hipError_tT0_T1_T2_jT3_P12ihipStream_tbPNSt15iterator_traitsISK_E10value_typeEPNSQ_ISL_E10value_typeEPSM_NS1_7vsmem_tEENKUlT_SK_SL_SM_E_clIPiSE_SF_SF_EESJ_SZ_SK_SL_SM_EUlSZ_E_NS1_11comp_targetILNS1_3genE4ELNS1_11target_archE910ELNS1_3gpuE8ELNS1_3repE0EEENS1_48merge_mergepath_partition_config_static_selectorELNS0_4arch9wavefront6targetE1EEEvSL_ ; -- Begin function _ZN7rocprim17ROCPRIM_400000_NS6detail17trampoline_kernelINS0_14default_configENS1_38merge_sort_block_merge_config_selectorIiNS0_10empty_typeEEEZZNS1_27merge_sort_block_merge_implIS3_N6thrust23THRUST_200600_302600_NS6detail15normal_iteratorINS9_10device_ptrIiEEEEPS5_jNS1_19radix_merge_compareILb0ELb1EiNS0_19identity_decomposerEEEEE10hipError_tT0_T1_T2_jT3_P12ihipStream_tbPNSt15iterator_traitsISK_E10value_typeEPNSQ_ISL_E10value_typeEPSM_NS1_7vsmem_tEENKUlT_SK_SL_SM_E_clIPiSE_SF_SF_EESJ_SZ_SK_SL_SM_EUlSZ_E_NS1_11comp_targetILNS1_3genE4ELNS1_11target_archE910ELNS1_3gpuE8ELNS1_3repE0EEENS1_48merge_mergepath_partition_config_static_selectorELNS0_4arch9wavefront6targetE1EEEvSL_
	.globl	_ZN7rocprim17ROCPRIM_400000_NS6detail17trampoline_kernelINS0_14default_configENS1_38merge_sort_block_merge_config_selectorIiNS0_10empty_typeEEEZZNS1_27merge_sort_block_merge_implIS3_N6thrust23THRUST_200600_302600_NS6detail15normal_iteratorINS9_10device_ptrIiEEEEPS5_jNS1_19radix_merge_compareILb0ELb1EiNS0_19identity_decomposerEEEEE10hipError_tT0_T1_T2_jT3_P12ihipStream_tbPNSt15iterator_traitsISK_E10value_typeEPNSQ_ISL_E10value_typeEPSM_NS1_7vsmem_tEENKUlT_SK_SL_SM_E_clIPiSE_SF_SF_EESJ_SZ_SK_SL_SM_EUlSZ_E_NS1_11comp_targetILNS1_3genE4ELNS1_11target_archE910ELNS1_3gpuE8ELNS1_3repE0EEENS1_48merge_mergepath_partition_config_static_selectorELNS0_4arch9wavefront6targetE1EEEvSL_
	.p2align	8
	.type	_ZN7rocprim17ROCPRIM_400000_NS6detail17trampoline_kernelINS0_14default_configENS1_38merge_sort_block_merge_config_selectorIiNS0_10empty_typeEEEZZNS1_27merge_sort_block_merge_implIS3_N6thrust23THRUST_200600_302600_NS6detail15normal_iteratorINS9_10device_ptrIiEEEEPS5_jNS1_19radix_merge_compareILb0ELb1EiNS0_19identity_decomposerEEEEE10hipError_tT0_T1_T2_jT3_P12ihipStream_tbPNSt15iterator_traitsISK_E10value_typeEPNSQ_ISL_E10value_typeEPSM_NS1_7vsmem_tEENKUlT_SK_SL_SM_E_clIPiSE_SF_SF_EESJ_SZ_SK_SL_SM_EUlSZ_E_NS1_11comp_targetILNS1_3genE4ELNS1_11target_archE910ELNS1_3gpuE8ELNS1_3repE0EEENS1_48merge_mergepath_partition_config_static_selectorELNS0_4arch9wavefront6targetE1EEEvSL_,@function
_ZN7rocprim17ROCPRIM_400000_NS6detail17trampoline_kernelINS0_14default_configENS1_38merge_sort_block_merge_config_selectorIiNS0_10empty_typeEEEZZNS1_27merge_sort_block_merge_implIS3_N6thrust23THRUST_200600_302600_NS6detail15normal_iteratorINS9_10device_ptrIiEEEEPS5_jNS1_19radix_merge_compareILb0ELb1EiNS0_19identity_decomposerEEEEE10hipError_tT0_T1_T2_jT3_P12ihipStream_tbPNSt15iterator_traitsISK_E10value_typeEPNSQ_ISL_E10value_typeEPSM_NS1_7vsmem_tEENKUlT_SK_SL_SM_E_clIPiSE_SF_SF_EESJ_SZ_SK_SL_SM_EUlSZ_E_NS1_11comp_targetILNS1_3genE4ELNS1_11target_archE910ELNS1_3gpuE8ELNS1_3repE0EEENS1_48merge_mergepath_partition_config_static_selectorELNS0_4arch9wavefront6targetE1EEEvSL_: ; @_ZN7rocprim17ROCPRIM_400000_NS6detail17trampoline_kernelINS0_14default_configENS1_38merge_sort_block_merge_config_selectorIiNS0_10empty_typeEEEZZNS1_27merge_sort_block_merge_implIS3_N6thrust23THRUST_200600_302600_NS6detail15normal_iteratorINS9_10device_ptrIiEEEEPS5_jNS1_19radix_merge_compareILb0ELb1EiNS0_19identity_decomposerEEEEE10hipError_tT0_T1_T2_jT3_P12ihipStream_tbPNSt15iterator_traitsISK_E10value_typeEPNSQ_ISL_E10value_typeEPSM_NS1_7vsmem_tEENKUlT_SK_SL_SM_E_clIPiSE_SF_SF_EESJ_SZ_SK_SL_SM_EUlSZ_E_NS1_11comp_targetILNS1_3genE4ELNS1_11target_archE910ELNS1_3gpuE8ELNS1_3repE0EEENS1_48merge_mergepath_partition_config_static_selectorELNS0_4arch9wavefront6targetE1EEEvSL_
; %bb.0:
	.section	.rodata,"a",@progbits
	.p2align	6, 0x0
	.amdhsa_kernel _ZN7rocprim17ROCPRIM_400000_NS6detail17trampoline_kernelINS0_14default_configENS1_38merge_sort_block_merge_config_selectorIiNS0_10empty_typeEEEZZNS1_27merge_sort_block_merge_implIS3_N6thrust23THRUST_200600_302600_NS6detail15normal_iteratorINS9_10device_ptrIiEEEEPS5_jNS1_19radix_merge_compareILb0ELb1EiNS0_19identity_decomposerEEEEE10hipError_tT0_T1_T2_jT3_P12ihipStream_tbPNSt15iterator_traitsISK_E10value_typeEPNSQ_ISL_E10value_typeEPSM_NS1_7vsmem_tEENKUlT_SK_SL_SM_E_clIPiSE_SF_SF_EESJ_SZ_SK_SL_SM_EUlSZ_E_NS1_11comp_targetILNS1_3genE4ELNS1_11target_archE910ELNS1_3gpuE8ELNS1_3repE0EEENS1_48merge_mergepath_partition_config_static_selectorELNS0_4arch9wavefront6targetE1EEEvSL_
		.amdhsa_group_segment_fixed_size 0
		.amdhsa_private_segment_fixed_size 0
		.amdhsa_kernarg_size 40
		.amdhsa_user_sgpr_count 2
		.amdhsa_user_sgpr_dispatch_ptr 0
		.amdhsa_user_sgpr_queue_ptr 0
		.amdhsa_user_sgpr_kernarg_segment_ptr 1
		.amdhsa_user_sgpr_dispatch_id 0
		.amdhsa_user_sgpr_kernarg_preload_length 0
		.amdhsa_user_sgpr_kernarg_preload_offset 0
		.amdhsa_user_sgpr_private_segment_size 0
		.amdhsa_uses_dynamic_stack 0
		.amdhsa_enable_private_segment 0
		.amdhsa_system_sgpr_workgroup_id_x 1
		.amdhsa_system_sgpr_workgroup_id_y 0
		.amdhsa_system_sgpr_workgroup_id_z 0
		.amdhsa_system_sgpr_workgroup_info 0
		.amdhsa_system_vgpr_workitem_id 0
		.amdhsa_next_free_vgpr 1
		.amdhsa_next_free_sgpr 0
		.amdhsa_accum_offset 4
		.amdhsa_reserve_vcc 0
		.amdhsa_float_round_mode_32 0
		.amdhsa_float_round_mode_16_64 0
		.amdhsa_float_denorm_mode_32 3
		.amdhsa_float_denorm_mode_16_64 3
		.amdhsa_dx10_clamp 1
		.amdhsa_ieee_mode 1
		.amdhsa_fp16_overflow 0
		.amdhsa_tg_split 0
		.amdhsa_exception_fp_ieee_invalid_op 0
		.amdhsa_exception_fp_denorm_src 0
		.amdhsa_exception_fp_ieee_div_zero 0
		.amdhsa_exception_fp_ieee_overflow 0
		.amdhsa_exception_fp_ieee_underflow 0
		.amdhsa_exception_fp_ieee_inexact 0
		.amdhsa_exception_int_div_zero 0
	.end_amdhsa_kernel
	.section	.text._ZN7rocprim17ROCPRIM_400000_NS6detail17trampoline_kernelINS0_14default_configENS1_38merge_sort_block_merge_config_selectorIiNS0_10empty_typeEEEZZNS1_27merge_sort_block_merge_implIS3_N6thrust23THRUST_200600_302600_NS6detail15normal_iteratorINS9_10device_ptrIiEEEEPS5_jNS1_19radix_merge_compareILb0ELb1EiNS0_19identity_decomposerEEEEE10hipError_tT0_T1_T2_jT3_P12ihipStream_tbPNSt15iterator_traitsISK_E10value_typeEPNSQ_ISL_E10value_typeEPSM_NS1_7vsmem_tEENKUlT_SK_SL_SM_E_clIPiSE_SF_SF_EESJ_SZ_SK_SL_SM_EUlSZ_E_NS1_11comp_targetILNS1_3genE4ELNS1_11target_archE910ELNS1_3gpuE8ELNS1_3repE0EEENS1_48merge_mergepath_partition_config_static_selectorELNS0_4arch9wavefront6targetE1EEEvSL_,"axG",@progbits,_ZN7rocprim17ROCPRIM_400000_NS6detail17trampoline_kernelINS0_14default_configENS1_38merge_sort_block_merge_config_selectorIiNS0_10empty_typeEEEZZNS1_27merge_sort_block_merge_implIS3_N6thrust23THRUST_200600_302600_NS6detail15normal_iteratorINS9_10device_ptrIiEEEEPS5_jNS1_19radix_merge_compareILb0ELb1EiNS0_19identity_decomposerEEEEE10hipError_tT0_T1_T2_jT3_P12ihipStream_tbPNSt15iterator_traitsISK_E10value_typeEPNSQ_ISL_E10value_typeEPSM_NS1_7vsmem_tEENKUlT_SK_SL_SM_E_clIPiSE_SF_SF_EESJ_SZ_SK_SL_SM_EUlSZ_E_NS1_11comp_targetILNS1_3genE4ELNS1_11target_archE910ELNS1_3gpuE8ELNS1_3repE0EEENS1_48merge_mergepath_partition_config_static_selectorELNS0_4arch9wavefront6targetE1EEEvSL_,comdat
.Lfunc_end87:
	.size	_ZN7rocprim17ROCPRIM_400000_NS6detail17trampoline_kernelINS0_14default_configENS1_38merge_sort_block_merge_config_selectorIiNS0_10empty_typeEEEZZNS1_27merge_sort_block_merge_implIS3_N6thrust23THRUST_200600_302600_NS6detail15normal_iteratorINS9_10device_ptrIiEEEEPS5_jNS1_19radix_merge_compareILb0ELb1EiNS0_19identity_decomposerEEEEE10hipError_tT0_T1_T2_jT3_P12ihipStream_tbPNSt15iterator_traitsISK_E10value_typeEPNSQ_ISL_E10value_typeEPSM_NS1_7vsmem_tEENKUlT_SK_SL_SM_E_clIPiSE_SF_SF_EESJ_SZ_SK_SL_SM_EUlSZ_E_NS1_11comp_targetILNS1_3genE4ELNS1_11target_archE910ELNS1_3gpuE8ELNS1_3repE0EEENS1_48merge_mergepath_partition_config_static_selectorELNS0_4arch9wavefront6targetE1EEEvSL_, .Lfunc_end87-_ZN7rocprim17ROCPRIM_400000_NS6detail17trampoline_kernelINS0_14default_configENS1_38merge_sort_block_merge_config_selectorIiNS0_10empty_typeEEEZZNS1_27merge_sort_block_merge_implIS3_N6thrust23THRUST_200600_302600_NS6detail15normal_iteratorINS9_10device_ptrIiEEEEPS5_jNS1_19radix_merge_compareILb0ELb1EiNS0_19identity_decomposerEEEEE10hipError_tT0_T1_T2_jT3_P12ihipStream_tbPNSt15iterator_traitsISK_E10value_typeEPNSQ_ISL_E10value_typeEPSM_NS1_7vsmem_tEENKUlT_SK_SL_SM_E_clIPiSE_SF_SF_EESJ_SZ_SK_SL_SM_EUlSZ_E_NS1_11comp_targetILNS1_3genE4ELNS1_11target_archE910ELNS1_3gpuE8ELNS1_3repE0EEENS1_48merge_mergepath_partition_config_static_selectorELNS0_4arch9wavefront6targetE1EEEvSL_
                                        ; -- End function
	.set _ZN7rocprim17ROCPRIM_400000_NS6detail17trampoline_kernelINS0_14default_configENS1_38merge_sort_block_merge_config_selectorIiNS0_10empty_typeEEEZZNS1_27merge_sort_block_merge_implIS3_N6thrust23THRUST_200600_302600_NS6detail15normal_iteratorINS9_10device_ptrIiEEEEPS5_jNS1_19radix_merge_compareILb0ELb1EiNS0_19identity_decomposerEEEEE10hipError_tT0_T1_T2_jT3_P12ihipStream_tbPNSt15iterator_traitsISK_E10value_typeEPNSQ_ISL_E10value_typeEPSM_NS1_7vsmem_tEENKUlT_SK_SL_SM_E_clIPiSE_SF_SF_EESJ_SZ_SK_SL_SM_EUlSZ_E_NS1_11comp_targetILNS1_3genE4ELNS1_11target_archE910ELNS1_3gpuE8ELNS1_3repE0EEENS1_48merge_mergepath_partition_config_static_selectorELNS0_4arch9wavefront6targetE1EEEvSL_.num_vgpr, 0
	.set _ZN7rocprim17ROCPRIM_400000_NS6detail17trampoline_kernelINS0_14default_configENS1_38merge_sort_block_merge_config_selectorIiNS0_10empty_typeEEEZZNS1_27merge_sort_block_merge_implIS3_N6thrust23THRUST_200600_302600_NS6detail15normal_iteratorINS9_10device_ptrIiEEEEPS5_jNS1_19radix_merge_compareILb0ELb1EiNS0_19identity_decomposerEEEEE10hipError_tT0_T1_T2_jT3_P12ihipStream_tbPNSt15iterator_traitsISK_E10value_typeEPNSQ_ISL_E10value_typeEPSM_NS1_7vsmem_tEENKUlT_SK_SL_SM_E_clIPiSE_SF_SF_EESJ_SZ_SK_SL_SM_EUlSZ_E_NS1_11comp_targetILNS1_3genE4ELNS1_11target_archE910ELNS1_3gpuE8ELNS1_3repE0EEENS1_48merge_mergepath_partition_config_static_selectorELNS0_4arch9wavefront6targetE1EEEvSL_.num_agpr, 0
	.set _ZN7rocprim17ROCPRIM_400000_NS6detail17trampoline_kernelINS0_14default_configENS1_38merge_sort_block_merge_config_selectorIiNS0_10empty_typeEEEZZNS1_27merge_sort_block_merge_implIS3_N6thrust23THRUST_200600_302600_NS6detail15normal_iteratorINS9_10device_ptrIiEEEEPS5_jNS1_19radix_merge_compareILb0ELb1EiNS0_19identity_decomposerEEEEE10hipError_tT0_T1_T2_jT3_P12ihipStream_tbPNSt15iterator_traitsISK_E10value_typeEPNSQ_ISL_E10value_typeEPSM_NS1_7vsmem_tEENKUlT_SK_SL_SM_E_clIPiSE_SF_SF_EESJ_SZ_SK_SL_SM_EUlSZ_E_NS1_11comp_targetILNS1_3genE4ELNS1_11target_archE910ELNS1_3gpuE8ELNS1_3repE0EEENS1_48merge_mergepath_partition_config_static_selectorELNS0_4arch9wavefront6targetE1EEEvSL_.numbered_sgpr, 0
	.set _ZN7rocprim17ROCPRIM_400000_NS6detail17trampoline_kernelINS0_14default_configENS1_38merge_sort_block_merge_config_selectorIiNS0_10empty_typeEEEZZNS1_27merge_sort_block_merge_implIS3_N6thrust23THRUST_200600_302600_NS6detail15normal_iteratorINS9_10device_ptrIiEEEEPS5_jNS1_19radix_merge_compareILb0ELb1EiNS0_19identity_decomposerEEEEE10hipError_tT0_T1_T2_jT3_P12ihipStream_tbPNSt15iterator_traitsISK_E10value_typeEPNSQ_ISL_E10value_typeEPSM_NS1_7vsmem_tEENKUlT_SK_SL_SM_E_clIPiSE_SF_SF_EESJ_SZ_SK_SL_SM_EUlSZ_E_NS1_11comp_targetILNS1_3genE4ELNS1_11target_archE910ELNS1_3gpuE8ELNS1_3repE0EEENS1_48merge_mergepath_partition_config_static_selectorELNS0_4arch9wavefront6targetE1EEEvSL_.num_named_barrier, 0
	.set _ZN7rocprim17ROCPRIM_400000_NS6detail17trampoline_kernelINS0_14default_configENS1_38merge_sort_block_merge_config_selectorIiNS0_10empty_typeEEEZZNS1_27merge_sort_block_merge_implIS3_N6thrust23THRUST_200600_302600_NS6detail15normal_iteratorINS9_10device_ptrIiEEEEPS5_jNS1_19radix_merge_compareILb0ELb1EiNS0_19identity_decomposerEEEEE10hipError_tT0_T1_T2_jT3_P12ihipStream_tbPNSt15iterator_traitsISK_E10value_typeEPNSQ_ISL_E10value_typeEPSM_NS1_7vsmem_tEENKUlT_SK_SL_SM_E_clIPiSE_SF_SF_EESJ_SZ_SK_SL_SM_EUlSZ_E_NS1_11comp_targetILNS1_3genE4ELNS1_11target_archE910ELNS1_3gpuE8ELNS1_3repE0EEENS1_48merge_mergepath_partition_config_static_selectorELNS0_4arch9wavefront6targetE1EEEvSL_.private_seg_size, 0
	.set _ZN7rocprim17ROCPRIM_400000_NS6detail17trampoline_kernelINS0_14default_configENS1_38merge_sort_block_merge_config_selectorIiNS0_10empty_typeEEEZZNS1_27merge_sort_block_merge_implIS3_N6thrust23THRUST_200600_302600_NS6detail15normal_iteratorINS9_10device_ptrIiEEEEPS5_jNS1_19radix_merge_compareILb0ELb1EiNS0_19identity_decomposerEEEEE10hipError_tT0_T1_T2_jT3_P12ihipStream_tbPNSt15iterator_traitsISK_E10value_typeEPNSQ_ISL_E10value_typeEPSM_NS1_7vsmem_tEENKUlT_SK_SL_SM_E_clIPiSE_SF_SF_EESJ_SZ_SK_SL_SM_EUlSZ_E_NS1_11comp_targetILNS1_3genE4ELNS1_11target_archE910ELNS1_3gpuE8ELNS1_3repE0EEENS1_48merge_mergepath_partition_config_static_selectorELNS0_4arch9wavefront6targetE1EEEvSL_.uses_vcc, 0
	.set _ZN7rocprim17ROCPRIM_400000_NS6detail17trampoline_kernelINS0_14default_configENS1_38merge_sort_block_merge_config_selectorIiNS0_10empty_typeEEEZZNS1_27merge_sort_block_merge_implIS3_N6thrust23THRUST_200600_302600_NS6detail15normal_iteratorINS9_10device_ptrIiEEEEPS5_jNS1_19radix_merge_compareILb0ELb1EiNS0_19identity_decomposerEEEEE10hipError_tT0_T1_T2_jT3_P12ihipStream_tbPNSt15iterator_traitsISK_E10value_typeEPNSQ_ISL_E10value_typeEPSM_NS1_7vsmem_tEENKUlT_SK_SL_SM_E_clIPiSE_SF_SF_EESJ_SZ_SK_SL_SM_EUlSZ_E_NS1_11comp_targetILNS1_3genE4ELNS1_11target_archE910ELNS1_3gpuE8ELNS1_3repE0EEENS1_48merge_mergepath_partition_config_static_selectorELNS0_4arch9wavefront6targetE1EEEvSL_.uses_flat_scratch, 0
	.set _ZN7rocprim17ROCPRIM_400000_NS6detail17trampoline_kernelINS0_14default_configENS1_38merge_sort_block_merge_config_selectorIiNS0_10empty_typeEEEZZNS1_27merge_sort_block_merge_implIS3_N6thrust23THRUST_200600_302600_NS6detail15normal_iteratorINS9_10device_ptrIiEEEEPS5_jNS1_19radix_merge_compareILb0ELb1EiNS0_19identity_decomposerEEEEE10hipError_tT0_T1_T2_jT3_P12ihipStream_tbPNSt15iterator_traitsISK_E10value_typeEPNSQ_ISL_E10value_typeEPSM_NS1_7vsmem_tEENKUlT_SK_SL_SM_E_clIPiSE_SF_SF_EESJ_SZ_SK_SL_SM_EUlSZ_E_NS1_11comp_targetILNS1_3genE4ELNS1_11target_archE910ELNS1_3gpuE8ELNS1_3repE0EEENS1_48merge_mergepath_partition_config_static_selectorELNS0_4arch9wavefront6targetE1EEEvSL_.has_dyn_sized_stack, 0
	.set _ZN7rocprim17ROCPRIM_400000_NS6detail17trampoline_kernelINS0_14default_configENS1_38merge_sort_block_merge_config_selectorIiNS0_10empty_typeEEEZZNS1_27merge_sort_block_merge_implIS3_N6thrust23THRUST_200600_302600_NS6detail15normal_iteratorINS9_10device_ptrIiEEEEPS5_jNS1_19radix_merge_compareILb0ELb1EiNS0_19identity_decomposerEEEEE10hipError_tT0_T1_T2_jT3_P12ihipStream_tbPNSt15iterator_traitsISK_E10value_typeEPNSQ_ISL_E10value_typeEPSM_NS1_7vsmem_tEENKUlT_SK_SL_SM_E_clIPiSE_SF_SF_EESJ_SZ_SK_SL_SM_EUlSZ_E_NS1_11comp_targetILNS1_3genE4ELNS1_11target_archE910ELNS1_3gpuE8ELNS1_3repE0EEENS1_48merge_mergepath_partition_config_static_selectorELNS0_4arch9wavefront6targetE1EEEvSL_.has_recursion, 0
	.set _ZN7rocprim17ROCPRIM_400000_NS6detail17trampoline_kernelINS0_14default_configENS1_38merge_sort_block_merge_config_selectorIiNS0_10empty_typeEEEZZNS1_27merge_sort_block_merge_implIS3_N6thrust23THRUST_200600_302600_NS6detail15normal_iteratorINS9_10device_ptrIiEEEEPS5_jNS1_19radix_merge_compareILb0ELb1EiNS0_19identity_decomposerEEEEE10hipError_tT0_T1_T2_jT3_P12ihipStream_tbPNSt15iterator_traitsISK_E10value_typeEPNSQ_ISL_E10value_typeEPSM_NS1_7vsmem_tEENKUlT_SK_SL_SM_E_clIPiSE_SF_SF_EESJ_SZ_SK_SL_SM_EUlSZ_E_NS1_11comp_targetILNS1_3genE4ELNS1_11target_archE910ELNS1_3gpuE8ELNS1_3repE0EEENS1_48merge_mergepath_partition_config_static_selectorELNS0_4arch9wavefront6targetE1EEEvSL_.has_indirect_call, 0
	.section	.AMDGPU.csdata,"",@progbits
; Kernel info:
; codeLenInByte = 0
; TotalNumSgprs: 6
; NumVgprs: 0
; NumAgprs: 0
; TotalNumVgprs: 0
; ScratchSize: 0
; MemoryBound: 0
; FloatMode: 240
; IeeeMode: 1
; LDSByteSize: 0 bytes/workgroup (compile time only)
; SGPRBlocks: 0
; VGPRBlocks: 0
; NumSGPRsForWavesPerEU: 6
; NumVGPRsForWavesPerEU: 1
; AccumOffset: 4
; Occupancy: 8
; WaveLimiterHint : 0
; COMPUTE_PGM_RSRC2:SCRATCH_EN: 0
; COMPUTE_PGM_RSRC2:USER_SGPR: 2
; COMPUTE_PGM_RSRC2:TRAP_HANDLER: 0
; COMPUTE_PGM_RSRC2:TGID_X_EN: 1
; COMPUTE_PGM_RSRC2:TGID_Y_EN: 0
; COMPUTE_PGM_RSRC2:TGID_Z_EN: 0
; COMPUTE_PGM_RSRC2:TIDIG_COMP_CNT: 0
; COMPUTE_PGM_RSRC3_GFX90A:ACCUM_OFFSET: 0
; COMPUTE_PGM_RSRC3_GFX90A:TG_SPLIT: 0
	.section	.text._ZN7rocprim17ROCPRIM_400000_NS6detail17trampoline_kernelINS0_14default_configENS1_38merge_sort_block_merge_config_selectorIiNS0_10empty_typeEEEZZNS1_27merge_sort_block_merge_implIS3_N6thrust23THRUST_200600_302600_NS6detail15normal_iteratorINS9_10device_ptrIiEEEEPS5_jNS1_19radix_merge_compareILb0ELb1EiNS0_19identity_decomposerEEEEE10hipError_tT0_T1_T2_jT3_P12ihipStream_tbPNSt15iterator_traitsISK_E10value_typeEPNSQ_ISL_E10value_typeEPSM_NS1_7vsmem_tEENKUlT_SK_SL_SM_E_clIPiSE_SF_SF_EESJ_SZ_SK_SL_SM_EUlSZ_E_NS1_11comp_targetILNS1_3genE3ELNS1_11target_archE908ELNS1_3gpuE7ELNS1_3repE0EEENS1_48merge_mergepath_partition_config_static_selectorELNS0_4arch9wavefront6targetE1EEEvSL_,"axG",@progbits,_ZN7rocprim17ROCPRIM_400000_NS6detail17trampoline_kernelINS0_14default_configENS1_38merge_sort_block_merge_config_selectorIiNS0_10empty_typeEEEZZNS1_27merge_sort_block_merge_implIS3_N6thrust23THRUST_200600_302600_NS6detail15normal_iteratorINS9_10device_ptrIiEEEEPS5_jNS1_19radix_merge_compareILb0ELb1EiNS0_19identity_decomposerEEEEE10hipError_tT0_T1_T2_jT3_P12ihipStream_tbPNSt15iterator_traitsISK_E10value_typeEPNSQ_ISL_E10value_typeEPSM_NS1_7vsmem_tEENKUlT_SK_SL_SM_E_clIPiSE_SF_SF_EESJ_SZ_SK_SL_SM_EUlSZ_E_NS1_11comp_targetILNS1_3genE3ELNS1_11target_archE908ELNS1_3gpuE7ELNS1_3repE0EEENS1_48merge_mergepath_partition_config_static_selectorELNS0_4arch9wavefront6targetE1EEEvSL_,comdat
	.protected	_ZN7rocprim17ROCPRIM_400000_NS6detail17trampoline_kernelINS0_14default_configENS1_38merge_sort_block_merge_config_selectorIiNS0_10empty_typeEEEZZNS1_27merge_sort_block_merge_implIS3_N6thrust23THRUST_200600_302600_NS6detail15normal_iteratorINS9_10device_ptrIiEEEEPS5_jNS1_19radix_merge_compareILb0ELb1EiNS0_19identity_decomposerEEEEE10hipError_tT0_T1_T2_jT3_P12ihipStream_tbPNSt15iterator_traitsISK_E10value_typeEPNSQ_ISL_E10value_typeEPSM_NS1_7vsmem_tEENKUlT_SK_SL_SM_E_clIPiSE_SF_SF_EESJ_SZ_SK_SL_SM_EUlSZ_E_NS1_11comp_targetILNS1_3genE3ELNS1_11target_archE908ELNS1_3gpuE7ELNS1_3repE0EEENS1_48merge_mergepath_partition_config_static_selectorELNS0_4arch9wavefront6targetE1EEEvSL_ ; -- Begin function _ZN7rocprim17ROCPRIM_400000_NS6detail17trampoline_kernelINS0_14default_configENS1_38merge_sort_block_merge_config_selectorIiNS0_10empty_typeEEEZZNS1_27merge_sort_block_merge_implIS3_N6thrust23THRUST_200600_302600_NS6detail15normal_iteratorINS9_10device_ptrIiEEEEPS5_jNS1_19radix_merge_compareILb0ELb1EiNS0_19identity_decomposerEEEEE10hipError_tT0_T1_T2_jT3_P12ihipStream_tbPNSt15iterator_traitsISK_E10value_typeEPNSQ_ISL_E10value_typeEPSM_NS1_7vsmem_tEENKUlT_SK_SL_SM_E_clIPiSE_SF_SF_EESJ_SZ_SK_SL_SM_EUlSZ_E_NS1_11comp_targetILNS1_3genE3ELNS1_11target_archE908ELNS1_3gpuE7ELNS1_3repE0EEENS1_48merge_mergepath_partition_config_static_selectorELNS0_4arch9wavefront6targetE1EEEvSL_
	.globl	_ZN7rocprim17ROCPRIM_400000_NS6detail17trampoline_kernelINS0_14default_configENS1_38merge_sort_block_merge_config_selectorIiNS0_10empty_typeEEEZZNS1_27merge_sort_block_merge_implIS3_N6thrust23THRUST_200600_302600_NS6detail15normal_iteratorINS9_10device_ptrIiEEEEPS5_jNS1_19radix_merge_compareILb0ELb1EiNS0_19identity_decomposerEEEEE10hipError_tT0_T1_T2_jT3_P12ihipStream_tbPNSt15iterator_traitsISK_E10value_typeEPNSQ_ISL_E10value_typeEPSM_NS1_7vsmem_tEENKUlT_SK_SL_SM_E_clIPiSE_SF_SF_EESJ_SZ_SK_SL_SM_EUlSZ_E_NS1_11comp_targetILNS1_3genE3ELNS1_11target_archE908ELNS1_3gpuE7ELNS1_3repE0EEENS1_48merge_mergepath_partition_config_static_selectorELNS0_4arch9wavefront6targetE1EEEvSL_
	.p2align	8
	.type	_ZN7rocprim17ROCPRIM_400000_NS6detail17trampoline_kernelINS0_14default_configENS1_38merge_sort_block_merge_config_selectorIiNS0_10empty_typeEEEZZNS1_27merge_sort_block_merge_implIS3_N6thrust23THRUST_200600_302600_NS6detail15normal_iteratorINS9_10device_ptrIiEEEEPS5_jNS1_19radix_merge_compareILb0ELb1EiNS0_19identity_decomposerEEEEE10hipError_tT0_T1_T2_jT3_P12ihipStream_tbPNSt15iterator_traitsISK_E10value_typeEPNSQ_ISL_E10value_typeEPSM_NS1_7vsmem_tEENKUlT_SK_SL_SM_E_clIPiSE_SF_SF_EESJ_SZ_SK_SL_SM_EUlSZ_E_NS1_11comp_targetILNS1_3genE3ELNS1_11target_archE908ELNS1_3gpuE7ELNS1_3repE0EEENS1_48merge_mergepath_partition_config_static_selectorELNS0_4arch9wavefront6targetE1EEEvSL_,@function
_ZN7rocprim17ROCPRIM_400000_NS6detail17trampoline_kernelINS0_14default_configENS1_38merge_sort_block_merge_config_selectorIiNS0_10empty_typeEEEZZNS1_27merge_sort_block_merge_implIS3_N6thrust23THRUST_200600_302600_NS6detail15normal_iteratorINS9_10device_ptrIiEEEEPS5_jNS1_19radix_merge_compareILb0ELb1EiNS0_19identity_decomposerEEEEE10hipError_tT0_T1_T2_jT3_P12ihipStream_tbPNSt15iterator_traitsISK_E10value_typeEPNSQ_ISL_E10value_typeEPSM_NS1_7vsmem_tEENKUlT_SK_SL_SM_E_clIPiSE_SF_SF_EESJ_SZ_SK_SL_SM_EUlSZ_E_NS1_11comp_targetILNS1_3genE3ELNS1_11target_archE908ELNS1_3gpuE7ELNS1_3repE0EEENS1_48merge_mergepath_partition_config_static_selectorELNS0_4arch9wavefront6targetE1EEEvSL_: ; @_ZN7rocprim17ROCPRIM_400000_NS6detail17trampoline_kernelINS0_14default_configENS1_38merge_sort_block_merge_config_selectorIiNS0_10empty_typeEEEZZNS1_27merge_sort_block_merge_implIS3_N6thrust23THRUST_200600_302600_NS6detail15normal_iteratorINS9_10device_ptrIiEEEEPS5_jNS1_19radix_merge_compareILb0ELb1EiNS0_19identity_decomposerEEEEE10hipError_tT0_T1_T2_jT3_P12ihipStream_tbPNSt15iterator_traitsISK_E10value_typeEPNSQ_ISL_E10value_typeEPSM_NS1_7vsmem_tEENKUlT_SK_SL_SM_E_clIPiSE_SF_SF_EESJ_SZ_SK_SL_SM_EUlSZ_E_NS1_11comp_targetILNS1_3genE3ELNS1_11target_archE908ELNS1_3gpuE7ELNS1_3repE0EEENS1_48merge_mergepath_partition_config_static_selectorELNS0_4arch9wavefront6targetE1EEEvSL_
; %bb.0:
	.section	.rodata,"a",@progbits
	.p2align	6, 0x0
	.amdhsa_kernel _ZN7rocprim17ROCPRIM_400000_NS6detail17trampoline_kernelINS0_14default_configENS1_38merge_sort_block_merge_config_selectorIiNS0_10empty_typeEEEZZNS1_27merge_sort_block_merge_implIS3_N6thrust23THRUST_200600_302600_NS6detail15normal_iteratorINS9_10device_ptrIiEEEEPS5_jNS1_19radix_merge_compareILb0ELb1EiNS0_19identity_decomposerEEEEE10hipError_tT0_T1_T2_jT3_P12ihipStream_tbPNSt15iterator_traitsISK_E10value_typeEPNSQ_ISL_E10value_typeEPSM_NS1_7vsmem_tEENKUlT_SK_SL_SM_E_clIPiSE_SF_SF_EESJ_SZ_SK_SL_SM_EUlSZ_E_NS1_11comp_targetILNS1_3genE3ELNS1_11target_archE908ELNS1_3gpuE7ELNS1_3repE0EEENS1_48merge_mergepath_partition_config_static_selectorELNS0_4arch9wavefront6targetE1EEEvSL_
		.amdhsa_group_segment_fixed_size 0
		.amdhsa_private_segment_fixed_size 0
		.amdhsa_kernarg_size 40
		.amdhsa_user_sgpr_count 2
		.amdhsa_user_sgpr_dispatch_ptr 0
		.amdhsa_user_sgpr_queue_ptr 0
		.amdhsa_user_sgpr_kernarg_segment_ptr 1
		.amdhsa_user_sgpr_dispatch_id 0
		.amdhsa_user_sgpr_kernarg_preload_length 0
		.amdhsa_user_sgpr_kernarg_preload_offset 0
		.amdhsa_user_sgpr_private_segment_size 0
		.amdhsa_uses_dynamic_stack 0
		.amdhsa_enable_private_segment 0
		.amdhsa_system_sgpr_workgroup_id_x 1
		.amdhsa_system_sgpr_workgroup_id_y 0
		.amdhsa_system_sgpr_workgroup_id_z 0
		.amdhsa_system_sgpr_workgroup_info 0
		.amdhsa_system_vgpr_workitem_id 0
		.amdhsa_next_free_vgpr 1
		.amdhsa_next_free_sgpr 0
		.amdhsa_accum_offset 4
		.amdhsa_reserve_vcc 0
		.amdhsa_float_round_mode_32 0
		.amdhsa_float_round_mode_16_64 0
		.amdhsa_float_denorm_mode_32 3
		.amdhsa_float_denorm_mode_16_64 3
		.amdhsa_dx10_clamp 1
		.amdhsa_ieee_mode 1
		.amdhsa_fp16_overflow 0
		.amdhsa_tg_split 0
		.amdhsa_exception_fp_ieee_invalid_op 0
		.amdhsa_exception_fp_denorm_src 0
		.amdhsa_exception_fp_ieee_div_zero 0
		.amdhsa_exception_fp_ieee_overflow 0
		.amdhsa_exception_fp_ieee_underflow 0
		.amdhsa_exception_fp_ieee_inexact 0
		.amdhsa_exception_int_div_zero 0
	.end_amdhsa_kernel
	.section	.text._ZN7rocprim17ROCPRIM_400000_NS6detail17trampoline_kernelINS0_14default_configENS1_38merge_sort_block_merge_config_selectorIiNS0_10empty_typeEEEZZNS1_27merge_sort_block_merge_implIS3_N6thrust23THRUST_200600_302600_NS6detail15normal_iteratorINS9_10device_ptrIiEEEEPS5_jNS1_19radix_merge_compareILb0ELb1EiNS0_19identity_decomposerEEEEE10hipError_tT0_T1_T2_jT3_P12ihipStream_tbPNSt15iterator_traitsISK_E10value_typeEPNSQ_ISL_E10value_typeEPSM_NS1_7vsmem_tEENKUlT_SK_SL_SM_E_clIPiSE_SF_SF_EESJ_SZ_SK_SL_SM_EUlSZ_E_NS1_11comp_targetILNS1_3genE3ELNS1_11target_archE908ELNS1_3gpuE7ELNS1_3repE0EEENS1_48merge_mergepath_partition_config_static_selectorELNS0_4arch9wavefront6targetE1EEEvSL_,"axG",@progbits,_ZN7rocprim17ROCPRIM_400000_NS6detail17trampoline_kernelINS0_14default_configENS1_38merge_sort_block_merge_config_selectorIiNS0_10empty_typeEEEZZNS1_27merge_sort_block_merge_implIS3_N6thrust23THRUST_200600_302600_NS6detail15normal_iteratorINS9_10device_ptrIiEEEEPS5_jNS1_19radix_merge_compareILb0ELb1EiNS0_19identity_decomposerEEEEE10hipError_tT0_T1_T2_jT3_P12ihipStream_tbPNSt15iterator_traitsISK_E10value_typeEPNSQ_ISL_E10value_typeEPSM_NS1_7vsmem_tEENKUlT_SK_SL_SM_E_clIPiSE_SF_SF_EESJ_SZ_SK_SL_SM_EUlSZ_E_NS1_11comp_targetILNS1_3genE3ELNS1_11target_archE908ELNS1_3gpuE7ELNS1_3repE0EEENS1_48merge_mergepath_partition_config_static_selectorELNS0_4arch9wavefront6targetE1EEEvSL_,comdat
.Lfunc_end88:
	.size	_ZN7rocprim17ROCPRIM_400000_NS6detail17trampoline_kernelINS0_14default_configENS1_38merge_sort_block_merge_config_selectorIiNS0_10empty_typeEEEZZNS1_27merge_sort_block_merge_implIS3_N6thrust23THRUST_200600_302600_NS6detail15normal_iteratorINS9_10device_ptrIiEEEEPS5_jNS1_19radix_merge_compareILb0ELb1EiNS0_19identity_decomposerEEEEE10hipError_tT0_T1_T2_jT3_P12ihipStream_tbPNSt15iterator_traitsISK_E10value_typeEPNSQ_ISL_E10value_typeEPSM_NS1_7vsmem_tEENKUlT_SK_SL_SM_E_clIPiSE_SF_SF_EESJ_SZ_SK_SL_SM_EUlSZ_E_NS1_11comp_targetILNS1_3genE3ELNS1_11target_archE908ELNS1_3gpuE7ELNS1_3repE0EEENS1_48merge_mergepath_partition_config_static_selectorELNS0_4arch9wavefront6targetE1EEEvSL_, .Lfunc_end88-_ZN7rocprim17ROCPRIM_400000_NS6detail17trampoline_kernelINS0_14default_configENS1_38merge_sort_block_merge_config_selectorIiNS0_10empty_typeEEEZZNS1_27merge_sort_block_merge_implIS3_N6thrust23THRUST_200600_302600_NS6detail15normal_iteratorINS9_10device_ptrIiEEEEPS5_jNS1_19radix_merge_compareILb0ELb1EiNS0_19identity_decomposerEEEEE10hipError_tT0_T1_T2_jT3_P12ihipStream_tbPNSt15iterator_traitsISK_E10value_typeEPNSQ_ISL_E10value_typeEPSM_NS1_7vsmem_tEENKUlT_SK_SL_SM_E_clIPiSE_SF_SF_EESJ_SZ_SK_SL_SM_EUlSZ_E_NS1_11comp_targetILNS1_3genE3ELNS1_11target_archE908ELNS1_3gpuE7ELNS1_3repE0EEENS1_48merge_mergepath_partition_config_static_selectorELNS0_4arch9wavefront6targetE1EEEvSL_
                                        ; -- End function
	.set _ZN7rocprim17ROCPRIM_400000_NS6detail17trampoline_kernelINS0_14default_configENS1_38merge_sort_block_merge_config_selectorIiNS0_10empty_typeEEEZZNS1_27merge_sort_block_merge_implIS3_N6thrust23THRUST_200600_302600_NS6detail15normal_iteratorINS9_10device_ptrIiEEEEPS5_jNS1_19radix_merge_compareILb0ELb1EiNS0_19identity_decomposerEEEEE10hipError_tT0_T1_T2_jT3_P12ihipStream_tbPNSt15iterator_traitsISK_E10value_typeEPNSQ_ISL_E10value_typeEPSM_NS1_7vsmem_tEENKUlT_SK_SL_SM_E_clIPiSE_SF_SF_EESJ_SZ_SK_SL_SM_EUlSZ_E_NS1_11comp_targetILNS1_3genE3ELNS1_11target_archE908ELNS1_3gpuE7ELNS1_3repE0EEENS1_48merge_mergepath_partition_config_static_selectorELNS0_4arch9wavefront6targetE1EEEvSL_.num_vgpr, 0
	.set _ZN7rocprim17ROCPRIM_400000_NS6detail17trampoline_kernelINS0_14default_configENS1_38merge_sort_block_merge_config_selectorIiNS0_10empty_typeEEEZZNS1_27merge_sort_block_merge_implIS3_N6thrust23THRUST_200600_302600_NS6detail15normal_iteratorINS9_10device_ptrIiEEEEPS5_jNS1_19radix_merge_compareILb0ELb1EiNS0_19identity_decomposerEEEEE10hipError_tT0_T1_T2_jT3_P12ihipStream_tbPNSt15iterator_traitsISK_E10value_typeEPNSQ_ISL_E10value_typeEPSM_NS1_7vsmem_tEENKUlT_SK_SL_SM_E_clIPiSE_SF_SF_EESJ_SZ_SK_SL_SM_EUlSZ_E_NS1_11comp_targetILNS1_3genE3ELNS1_11target_archE908ELNS1_3gpuE7ELNS1_3repE0EEENS1_48merge_mergepath_partition_config_static_selectorELNS0_4arch9wavefront6targetE1EEEvSL_.num_agpr, 0
	.set _ZN7rocprim17ROCPRIM_400000_NS6detail17trampoline_kernelINS0_14default_configENS1_38merge_sort_block_merge_config_selectorIiNS0_10empty_typeEEEZZNS1_27merge_sort_block_merge_implIS3_N6thrust23THRUST_200600_302600_NS6detail15normal_iteratorINS9_10device_ptrIiEEEEPS5_jNS1_19radix_merge_compareILb0ELb1EiNS0_19identity_decomposerEEEEE10hipError_tT0_T1_T2_jT3_P12ihipStream_tbPNSt15iterator_traitsISK_E10value_typeEPNSQ_ISL_E10value_typeEPSM_NS1_7vsmem_tEENKUlT_SK_SL_SM_E_clIPiSE_SF_SF_EESJ_SZ_SK_SL_SM_EUlSZ_E_NS1_11comp_targetILNS1_3genE3ELNS1_11target_archE908ELNS1_3gpuE7ELNS1_3repE0EEENS1_48merge_mergepath_partition_config_static_selectorELNS0_4arch9wavefront6targetE1EEEvSL_.numbered_sgpr, 0
	.set _ZN7rocprim17ROCPRIM_400000_NS6detail17trampoline_kernelINS0_14default_configENS1_38merge_sort_block_merge_config_selectorIiNS0_10empty_typeEEEZZNS1_27merge_sort_block_merge_implIS3_N6thrust23THRUST_200600_302600_NS6detail15normal_iteratorINS9_10device_ptrIiEEEEPS5_jNS1_19radix_merge_compareILb0ELb1EiNS0_19identity_decomposerEEEEE10hipError_tT0_T1_T2_jT3_P12ihipStream_tbPNSt15iterator_traitsISK_E10value_typeEPNSQ_ISL_E10value_typeEPSM_NS1_7vsmem_tEENKUlT_SK_SL_SM_E_clIPiSE_SF_SF_EESJ_SZ_SK_SL_SM_EUlSZ_E_NS1_11comp_targetILNS1_3genE3ELNS1_11target_archE908ELNS1_3gpuE7ELNS1_3repE0EEENS1_48merge_mergepath_partition_config_static_selectorELNS0_4arch9wavefront6targetE1EEEvSL_.num_named_barrier, 0
	.set _ZN7rocprim17ROCPRIM_400000_NS6detail17trampoline_kernelINS0_14default_configENS1_38merge_sort_block_merge_config_selectorIiNS0_10empty_typeEEEZZNS1_27merge_sort_block_merge_implIS3_N6thrust23THRUST_200600_302600_NS6detail15normal_iteratorINS9_10device_ptrIiEEEEPS5_jNS1_19radix_merge_compareILb0ELb1EiNS0_19identity_decomposerEEEEE10hipError_tT0_T1_T2_jT3_P12ihipStream_tbPNSt15iterator_traitsISK_E10value_typeEPNSQ_ISL_E10value_typeEPSM_NS1_7vsmem_tEENKUlT_SK_SL_SM_E_clIPiSE_SF_SF_EESJ_SZ_SK_SL_SM_EUlSZ_E_NS1_11comp_targetILNS1_3genE3ELNS1_11target_archE908ELNS1_3gpuE7ELNS1_3repE0EEENS1_48merge_mergepath_partition_config_static_selectorELNS0_4arch9wavefront6targetE1EEEvSL_.private_seg_size, 0
	.set _ZN7rocprim17ROCPRIM_400000_NS6detail17trampoline_kernelINS0_14default_configENS1_38merge_sort_block_merge_config_selectorIiNS0_10empty_typeEEEZZNS1_27merge_sort_block_merge_implIS3_N6thrust23THRUST_200600_302600_NS6detail15normal_iteratorINS9_10device_ptrIiEEEEPS5_jNS1_19radix_merge_compareILb0ELb1EiNS0_19identity_decomposerEEEEE10hipError_tT0_T1_T2_jT3_P12ihipStream_tbPNSt15iterator_traitsISK_E10value_typeEPNSQ_ISL_E10value_typeEPSM_NS1_7vsmem_tEENKUlT_SK_SL_SM_E_clIPiSE_SF_SF_EESJ_SZ_SK_SL_SM_EUlSZ_E_NS1_11comp_targetILNS1_3genE3ELNS1_11target_archE908ELNS1_3gpuE7ELNS1_3repE0EEENS1_48merge_mergepath_partition_config_static_selectorELNS0_4arch9wavefront6targetE1EEEvSL_.uses_vcc, 0
	.set _ZN7rocprim17ROCPRIM_400000_NS6detail17trampoline_kernelINS0_14default_configENS1_38merge_sort_block_merge_config_selectorIiNS0_10empty_typeEEEZZNS1_27merge_sort_block_merge_implIS3_N6thrust23THRUST_200600_302600_NS6detail15normal_iteratorINS9_10device_ptrIiEEEEPS5_jNS1_19radix_merge_compareILb0ELb1EiNS0_19identity_decomposerEEEEE10hipError_tT0_T1_T2_jT3_P12ihipStream_tbPNSt15iterator_traitsISK_E10value_typeEPNSQ_ISL_E10value_typeEPSM_NS1_7vsmem_tEENKUlT_SK_SL_SM_E_clIPiSE_SF_SF_EESJ_SZ_SK_SL_SM_EUlSZ_E_NS1_11comp_targetILNS1_3genE3ELNS1_11target_archE908ELNS1_3gpuE7ELNS1_3repE0EEENS1_48merge_mergepath_partition_config_static_selectorELNS0_4arch9wavefront6targetE1EEEvSL_.uses_flat_scratch, 0
	.set _ZN7rocprim17ROCPRIM_400000_NS6detail17trampoline_kernelINS0_14default_configENS1_38merge_sort_block_merge_config_selectorIiNS0_10empty_typeEEEZZNS1_27merge_sort_block_merge_implIS3_N6thrust23THRUST_200600_302600_NS6detail15normal_iteratorINS9_10device_ptrIiEEEEPS5_jNS1_19radix_merge_compareILb0ELb1EiNS0_19identity_decomposerEEEEE10hipError_tT0_T1_T2_jT3_P12ihipStream_tbPNSt15iterator_traitsISK_E10value_typeEPNSQ_ISL_E10value_typeEPSM_NS1_7vsmem_tEENKUlT_SK_SL_SM_E_clIPiSE_SF_SF_EESJ_SZ_SK_SL_SM_EUlSZ_E_NS1_11comp_targetILNS1_3genE3ELNS1_11target_archE908ELNS1_3gpuE7ELNS1_3repE0EEENS1_48merge_mergepath_partition_config_static_selectorELNS0_4arch9wavefront6targetE1EEEvSL_.has_dyn_sized_stack, 0
	.set _ZN7rocprim17ROCPRIM_400000_NS6detail17trampoline_kernelINS0_14default_configENS1_38merge_sort_block_merge_config_selectorIiNS0_10empty_typeEEEZZNS1_27merge_sort_block_merge_implIS3_N6thrust23THRUST_200600_302600_NS6detail15normal_iteratorINS9_10device_ptrIiEEEEPS5_jNS1_19radix_merge_compareILb0ELb1EiNS0_19identity_decomposerEEEEE10hipError_tT0_T1_T2_jT3_P12ihipStream_tbPNSt15iterator_traitsISK_E10value_typeEPNSQ_ISL_E10value_typeEPSM_NS1_7vsmem_tEENKUlT_SK_SL_SM_E_clIPiSE_SF_SF_EESJ_SZ_SK_SL_SM_EUlSZ_E_NS1_11comp_targetILNS1_3genE3ELNS1_11target_archE908ELNS1_3gpuE7ELNS1_3repE0EEENS1_48merge_mergepath_partition_config_static_selectorELNS0_4arch9wavefront6targetE1EEEvSL_.has_recursion, 0
	.set _ZN7rocprim17ROCPRIM_400000_NS6detail17trampoline_kernelINS0_14default_configENS1_38merge_sort_block_merge_config_selectorIiNS0_10empty_typeEEEZZNS1_27merge_sort_block_merge_implIS3_N6thrust23THRUST_200600_302600_NS6detail15normal_iteratorINS9_10device_ptrIiEEEEPS5_jNS1_19radix_merge_compareILb0ELb1EiNS0_19identity_decomposerEEEEE10hipError_tT0_T1_T2_jT3_P12ihipStream_tbPNSt15iterator_traitsISK_E10value_typeEPNSQ_ISL_E10value_typeEPSM_NS1_7vsmem_tEENKUlT_SK_SL_SM_E_clIPiSE_SF_SF_EESJ_SZ_SK_SL_SM_EUlSZ_E_NS1_11comp_targetILNS1_3genE3ELNS1_11target_archE908ELNS1_3gpuE7ELNS1_3repE0EEENS1_48merge_mergepath_partition_config_static_selectorELNS0_4arch9wavefront6targetE1EEEvSL_.has_indirect_call, 0
	.section	.AMDGPU.csdata,"",@progbits
; Kernel info:
; codeLenInByte = 0
; TotalNumSgprs: 6
; NumVgprs: 0
; NumAgprs: 0
; TotalNumVgprs: 0
; ScratchSize: 0
; MemoryBound: 0
; FloatMode: 240
; IeeeMode: 1
; LDSByteSize: 0 bytes/workgroup (compile time only)
; SGPRBlocks: 0
; VGPRBlocks: 0
; NumSGPRsForWavesPerEU: 6
; NumVGPRsForWavesPerEU: 1
; AccumOffset: 4
; Occupancy: 8
; WaveLimiterHint : 0
; COMPUTE_PGM_RSRC2:SCRATCH_EN: 0
; COMPUTE_PGM_RSRC2:USER_SGPR: 2
; COMPUTE_PGM_RSRC2:TRAP_HANDLER: 0
; COMPUTE_PGM_RSRC2:TGID_X_EN: 1
; COMPUTE_PGM_RSRC2:TGID_Y_EN: 0
; COMPUTE_PGM_RSRC2:TGID_Z_EN: 0
; COMPUTE_PGM_RSRC2:TIDIG_COMP_CNT: 0
; COMPUTE_PGM_RSRC3_GFX90A:ACCUM_OFFSET: 0
; COMPUTE_PGM_RSRC3_GFX90A:TG_SPLIT: 0
	.section	.text._ZN7rocprim17ROCPRIM_400000_NS6detail17trampoline_kernelINS0_14default_configENS1_38merge_sort_block_merge_config_selectorIiNS0_10empty_typeEEEZZNS1_27merge_sort_block_merge_implIS3_N6thrust23THRUST_200600_302600_NS6detail15normal_iteratorINS9_10device_ptrIiEEEEPS5_jNS1_19radix_merge_compareILb0ELb1EiNS0_19identity_decomposerEEEEE10hipError_tT0_T1_T2_jT3_P12ihipStream_tbPNSt15iterator_traitsISK_E10value_typeEPNSQ_ISL_E10value_typeEPSM_NS1_7vsmem_tEENKUlT_SK_SL_SM_E_clIPiSE_SF_SF_EESJ_SZ_SK_SL_SM_EUlSZ_E_NS1_11comp_targetILNS1_3genE2ELNS1_11target_archE906ELNS1_3gpuE6ELNS1_3repE0EEENS1_48merge_mergepath_partition_config_static_selectorELNS0_4arch9wavefront6targetE1EEEvSL_,"axG",@progbits,_ZN7rocprim17ROCPRIM_400000_NS6detail17trampoline_kernelINS0_14default_configENS1_38merge_sort_block_merge_config_selectorIiNS0_10empty_typeEEEZZNS1_27merge_sort_block_merge_implIS3_N6thrust23THRUST_200600_302600_NS6detail15normal_iteratorINS9_10device_ptrIiEEEEPS5_jNS1_19radix_merge_compareILb0ELb1EiNS0_19identity_decomposerEEEEE10hipError_tT0_T1_T2_jT3_P12ihipStream_tbPNSt15iterator_traitsISK_E10value_typeEPNSQ_ISL_E10value_typeEPSM_NS1_7vsmem_tEENKUlT_SK_SL_SM_E_clIPiSE_SF_SF_EESJ_SZ_SK_SL_SM_EUlSZ_E_NS1_11comp_targetILNS1_3genE2ELNS1_11target_archE906ELNS1_3gpuE6ELNS1_3repE0EEENS1_48merge_mergepath_partition_config_static_selectorELNS0_4arch9wavefront6targetE1EEEvSL_,comdat
	.protected	_ZN7rocprim17ROCPRIM_400000_NS6detail17trampoline_kernelINS0_14default_configENS1_38merge_sort_block_merge_config_selectorIiNS0_10empty_typeEEEZZNS1_27merge_sort_block_merge_implIS3_N6thrust23THRUST_200600_302600_NS6detail15normal_iteratorINS9_10device_ptrIiEEEEPS5_jNS1_19radix_merge_compareILb0ELb1EiNS0_19identity_decomposerEEEEE10hipError_tT0_T1_T2_jT3_P12ihipStream_tbPNSt15iterator_traitsISK_E10value_typeEPNSQ_ISL_E10value_typeEPSM_NS1_7vsmem_tEENKUlT_SK_SL_SM_E_clIPiSE_SF_SF_EESJ_SZ_SK_SL_SM_EUlSZ_E_NS1_11comp_targetILNS1_3genE2ELNS1_11target_archE906ELNS1_3gpuE6ELNS1_3repE0EEENS1_48merge_mergepath_partition_config_static_selectorELNS0_4arch9wavefront6targetE1EEEvSL_ ; -- Begin function _ZN7rocprim17ROCPRIM_400000_NS6detail17trampoline_kernelINS0_14default_configENS1_38merge_sort_block_merge_config_selectorIiNS0_10empty_typeEEEZZNS1_27merge_sort_block_merge_implIS3_N6thrust23THRUST_200600_302600_NS6detail15normal_iteratorINS9_10device_ptrIiEEEEPS5_jNS1_19radix_merge_compareILb0ELb1EiNS0_19identity_decomposerEEEEE10hipError_tT0_T1_T2_jT3_P12ihipStream_tbPNSt15iterator_traitsISK_E10value_typeEPNSQ_ISL_E10value_typeEPSM_NS1_7vsmem_tEENKUlT_SK_SL_SM_E_clIPiSE_SF_SF_EESJ_SZ_SK_SL_SM_EUlSZ_E_NS1_11comp_targetILNS1_3genE2ELNS1_11target_archE906ELNS1_3gpuE6ELNS1_3repE0EEENS1_48merge_mergepath_partition_config_static_selectorELNS0_4arch9wavefront6targetE1EEEvSL_
	.globl	_ZN7rocprim17ROCPRIM_400000_NS6detail17trampoline_kernelINS0_14default_configENS1_38merge_sort_block_merge_config_selectorIiNS0_10empty_typeEEEZZNS1_27merge_sort_block_merge_implIS3_N6thrust23THRUST_200600_302600_NS6detail15normal_iteratorINS9_10device_ptrIiEEEEPS5_jNS1_19radix_merge_compareILb0ELb1EiNS0_19identity_decomposerEEEEE10hipError_tT0_T1_T2_jT3_P12ihipStream_tbPNSt15iterator_traitsISK_E10value_typeEPNSQ_ISL_E10value_typeEPSM_NS1_7vsmem_tEENKUlT_SK_SL_SM_E_clIPiSE_SF_SF_EESJ_SZ_SK_SL_SM_EUlSZ_E_NS1_11comp_targetILNS1_3genE2ELNS1_11target_archE906ELNS1_3gpuE6ELNS1_3repE0EEENS1_48merge_mergepath_partition_config_static_selectorELNS0_4arch9wavefront6targetE1EEEvSL_
	.p2align	8
	.type	_ZN7rocprim17ROCPRIM_400000_NS6detail17trampoline_kernelINS0_14default_configENS1_38merge_sort_block_merge_config_selectorIiNS0_10empty_typeEEEZZNS1_27merge_sort_block_merge_implIS3_N6thrust23THRUST_200600_302600_NS6detail15normal_iteratorINS9_10device_ptrIiEEEEPS5_jNS1_19radix_merge_compareILb0ELb1EiNS0_19identity_decomposerEEEEE10hipError_tT0_T1_T2_jT3_P12ihipStream_tbPNSt15iterator_traitsISK_E10value_typeEPNSQ_ISL_E10value_typeEPSM_NS1_7vsmem_tEENKUlT_SK_SL_SM_E_clIPiSE_SF_SF_EESJ_SZ_SK_SL_SM_EUlSZ_E_NS1_11comp_targetILNS1_3genE2ELNS1_11target_archE906ELNS1_3gpuE6ELNS1_3repE0EEENS1_48merge_mergepath_partition_config_static_selectorELNS0_4arch9wavefront6targetE1EEEvSL_,@function
_ZN7rocprim17ROCPRIM_400000_NS6detail17trampoline_kernelINS0_14default_configENS1_38merge_sort_block_merge_config_selectorIiNS0_10empty_typeEEEZZNS1_27merge_sort_block_merge_implIS3_N6thrust23THRUST_200600_302600_NS6detail15normal_iteratorINS9_10device_ptrIiEEEEPS5_jNS1_19radix_merge_compareILb0ELb1EiNS0_19identity_decomposerEEEEE10hipError_tT0_T1_T2_jT3_P12ihipStream_tbPNSt15iterator_traitsISK_E10value_typeEPNSQ_ISL_E10value_typeEPSM_NS1_7vsmem_tEENKUlT_SK_SL_SM_E_clIPiSE_SF_SF_EESJ_SZ_SK_SL_SM_EUlSZ_E_NS1_11comp_targetILNS1_3genE2ELNS1_11target_archE906ELNS1_3gpuE6ELNS1_3repE0EEENS1_48merge_mergepath_partition_config_static_selectorELNS0_4arch9wavefront6targetE1EEEvSL_: ; @_ZN7rocprim17ROCPRIM_400000_NS6detail17trampoline_kernelINS0_14default_configENS1_38merge_sort_block_merge_config_selectorIiNS0_10empty_typeEEEZZNS1_27merge_sort_block_merge_implIS3_N6thrust23THRUST_200600_302600_NS6detail15normal_iteratorINS9_10device_ptrIiEEEEPS5_jNS1_19radix_merge_compareILb0ELb1EiNS0_19identity_decomposerEEEEE10hipError_tT0_T1_T2_jT3_P12ihipStream_tbPNSt15iterator_traitsISK_E10value_typeEPNSQ_ISL_E10value_typeEPSM_NS1_7vsmem_tEENKUlT_SK_SL_SM_E_clIPiSE_SF_SF_EESJ_SZ_SK_SL_SM_EUlSZ_E_NS1_11comp_targetILNS1_3genE2ELNS1_11target_archE906ELNS1_3gpuE6ELNS1_3repE0EEENS1_48merge_mergepath_partition_config_static_selectorELNS0_4arch9wavefront6targetE1EEEvSL_
; %bb.0:
	.section	.rodata,"a",@progbits
	.p2align	6, 0x0
	.amdhsa_kernel _ZN7rocprim17ROCPRIM_400000_NS6detail17trampoline_kernelINS0_14default_configENS1_38merge_sort_block_merge_config_selectorIiNS0_10empty_typeEEEZZNS1_27merge_sort_block_merge_implIS3_N6thrust23THRUST_200600_302600_NS6detail15normal_iteratorINS9_10device_ptrIiEEEEPS5_jNS1_19radix_merge_compareILb0ELb1EiNS0_19identity_decomposerEEEEE10hipError_tT0_T1_T2_jT3_P12ihipStream_tbPNSt15iterator_traitsISK_E10value_typeEPNSQ_ISL_E10value_typeEPSM_NS1_7vsmem_tEENKUlT_SK_SL_SM_E_clIPiSE_SF_SF_EESJ_SZ_SK_SL_SM_EUlSZ_E_NS1_11comp_targetILNS1_3genE2ELNS1_11target_archE906ELNS1_3gpuE6ELNS1_3repE0EEENS1_48merge_mergepath_partition_config_static_selectorELNS0_4arch9wavefront6targetE1EEEvSL_
		.amdhsa_group_segment_fixed_size 0
		.amdhsa_private_segment_fixed_size 0
		.amdhsa_kernarg_size 40
		.amdhsa_user_sgpr_count 2
		.amdhsa_user_sgpr_dispatch_ptr 0
		.amdhsa_user_sgpr_queue_ptr 0
		.amdhsa_user_sgpr_kernarg_segment_ptr 1
		.amdhsa_user_sgpr_dispatch_id 0
		.amdhsa_user_sgpr_kernarg_preload_length 0
		.amdhsa_user_sgpr_kernarg_preload_offset 0
		.amdhsa_user_sgpr_private_segment_size 0
		.amdhsa_uses_dynamic_stack 0
		.amdhsa_enable_private_segment 0
		.amdhsa_system_sgpr_workgroup_id_x 1
		.amdhsa_system_sgpr_workgroup_id_y 0
		.amdhsa_system_sgpr_workgroup_id_z 0
		.amdhsa_system_sgpr_workgroup_info 0
		.amdhsa_system_vgpr_workitem_id 0
		.amdhsa_next_free_vgpr 1
		.amdhsa_next_free_sgpr 0
		.amdhsa_accum_offset 4
		.amdhsa_reserve_vcc 0
		.amdhsa_float_round_mode_32 0
		.amdhsa_float_round_mode_16_64 0
		.amdhsa_float_denorm_mode_32 3
		.amdhsa_float_denorm_mode_16_64 3
		.amdhsa_dx10_clamp 1
		.amdhsa_ieee_mode 1
		.amdhsa_fp16_overflow 0
		.amdhsa_tg_split 0
		.amdhsa_exception_fp_ieee_invalid_op 0
		.amdhsa_exception_fp_denorm_src 0
		.amdhsa_exception_fp_ieee_div_zero 0
		.amdhsa_exception_fp_ieee_overflow 0
		.amdhsa_exception_fp_ieee_underflow 0
		.amdhsa_exception_fp_ieee_inexact 0
		.amdhsa_exception_int_div_zero 0
	.end_amdhsa_kernel
	.section	.text._ZN7rocprim17ROCPRIM_400000_NS6detail17trampoline_kernelINS0_14default_configENS1_38merge_sort_block_merge_config_selectorIiNS0_10empty_typeEEEZZNS1_27merge_sort_block_merge_implIS3_N6thrust23THRUST_200600_302600_NS6detail15normal_iteratorINS9_10device_ptrIiEEEEPS5_jNS1_19radix_merge_compareILb0ELb1EiNS0_19identity_decomposerEEEEE10hipError_tT0_T1_T2_jT3_P12ihipStream_tbPNSt15iterator_traitsISK_E10value_typeEPNSQ_ISL_E10value_typeEPSM_NS1_7vsmem_tEENKUlT_SK_SL_SM_E_clIPiSE_SF_SF_EESJ_SZ_SK_SL_SM_EUlSZ_E_NS1_11comp_targetILNS1_3genE2ELNS1_11target_archE906ELNS1_3gpuE6ELNS1_3repE0EEENS1_48merge_mergepath_partition_config_static_selectorELNS0_4arch9wavefront6targetE1EEEvSL_,"axG",@progbits,_ZN7rocprim17ROCPRIM_400000_NS6detail17trampoline_kernelINS0_14default_configENS1_38merge_sort_block_merge_config_selectorIiNS0_10empty_typeEEEZZNS1_27merge_sort_block_merge_implIS3_N6thrust23THRUST_200600_302600_NS6detail15normal_iteratorINS9_10device_ptrIiEEEEPS5_jNS1_19radix_merge_compareILb0ELb1EiNS0_19identity_decomposerEEEEE10hipError_tT0_T1_T2_jT3_P12ihipStream_tbPNSt15iterator_traitsISK_E10value_typeEPNSQ_ISL_E10value_typeEPSM_NS1_7vsmem_tEENKUlT_SK_SL_SM_E_clIPiSE_SF_SF_EESJ_SZ_SK_SL_SM_EUlSZ_E_NS1_11comp_targetILNS1_3genE2ELNS1_11target_archE906ELNS1_3gpuE6ELNS1_3repE0EEENS1_48merge_mergepath_partition_config_static_selectorELNS0_4arch9wavefront6targetE1EEEvSL_,comdat
.Lfunc_end89:
	.size	_ZN7rocprim17ROCPRIM_400000_NS6detail17trampoline_kernelINS0_14default_configENS1_38merge_sort_block_merge_config_selectorIiNS0_10empty_typeEEEZZNS1_27merge_sort_block_merge_implIS3_N6thrust23THRUST_200600_302600_NS6detail15normal_iteratorINS9_10device_ptrIiEEEEPS5_jNS1_19radix_merge_compareILb0ELb1EiNS0_19identity_decomposerEEEEE10hipError_tT0_T1_T2_jT3_P12ihipStream_tbPNSt15iterator_traitsISK_E10value_typeEPNSQ_ISL_E10value_typeEPSM_NS1_7vsmem_tEENKUlT_SK_SL_SM_E_clIPiSE_SF_SF_EESJ_SZ_SK_SL_SM_EUlSZ_E_NS1_11comp_targetILNS1_3genE2ELNS1_11target_archE906ELNS1_3gpuE6ELNS1_3repE0EEENS1_48merge_mergepath_partition_config_static_selectorELNS0_4arch9wavefront6targetE1EEEvSL_, .Lfunc_end89-_ZN7rocprim17ROCPRIM_400000_NS6detail17trampoline_kernelINS0_14default_configENS1_38merge_sort_block_merge_config_selectorIiNS0_10empty_typeEEEZZNS1_27merge_sort_block_merge_implIS3_N6thrust23THRUST_200600_302600_NS6detail15normal_iteratorINS9_10device_ptrIiEEEEPS5_jNS1_19radix_merge_compareILb0ELb1EiNS0_19identity_decomposerEEEEE10hipError_tT0_T1_T2_jT3_P12ihipStream_tbPNSt15iterator_traitsISK_E10value_typeEPNSQ_ISL_E10value_typeEPSM_NS1_7vsmem_tEENKUlT_SK_SL_SM_E_clIPiSE_SF_SF_EESJ_SZ_SK_SL_SM_EUlSZ_E_NS1_11comp_targetILNS1_3genE2ELNS1_11target_archE906ELNS1_3gpuE6ELNS1_3repE0EEENS1_48merge_mergepath_partition_config_static_selectorELNS0_4arch9wavefront6targetE1EEEvSL_
                                        ; -- End function
	.set _ZN7rocprim17ROCPRIM_400000_NS6detail17trampoline_kernelINS0_14default_configENS1_38merge_sort_block_merge_config_selectorIiNS0_10empty_typeEEEZZNS1_27merge_sort_block_merge_implIS3_N6thrust23THRUST_200600_302600_NS6detail15normal_iteratorINS9_10device_ptrIiEEEEPS5_jNS1_19radix_merge_compareILb0ELb1EiNS0_19identity_decomposerEEEEE10hipError_tT0_T1_T2_jT3_P12ihipStream_tbPNSt15iterator_traitsISK_E10value_typeEPNSQ_ISL_E10value_typeEPSM_NS1_7vsmem_tEENKUlT_SK_SL_SM_E_clIPiSE_SF_SF_EESJ_SZ_SK_SL_SM_EUlSZ_E_NS1_11comp_targetILNS1_3genE2ELNS1_11target_archE906ELNS1_3gpuE6ELNS1_3repE0EEENS1_48merge_mergepath_partition_config_static_selectorELNS0_4arch9wavefront6targetE1EEEvSL_.num_vgpr, 0
	.set _ZN7rocprim17ROCPRIM_400000_NS6detail17trampoline_kernelINS0_14default_configENS1_38merge_sort_block_merge_config_selectorIiNS0_10empty_typeEEEZZNS1_27merge_sort_block_merge_implIS3_N6thrust23THRUST_200600_302600_NS6detail15normal_iteratorINS9_10device_ptrIiEEEEPS5_jNS1_19radix_merge_compareILb0ELb1EiNS0_19identity_decomposerEEEEE10hipError_tT0_T1_T2_jT3_P12ihipStream_tbPNSt15iterator_traitsISK_E10value_typeEPNSQ_ISL_E10value_typeEPSM_NS1_7vsmem_tEENKUlT_SK_SL_SM_E_clIPiSE_SF_SF_EESJ_SZ_SK_SL_SM_EUlSZ_E_NS1_11comp_targetILNS1_3genE2ELNS1_11target_archE906ELNS1_3gpuE6ELNS1_3repE0EEENS1_48merge_mergepath_partition_config_static_selectorELNS0_4arch9wavefront6targetE1EEEvSL_.num_agpr, 0
	.set _ZN7rocprim17ROCPRIM_400000_NS6detail17trampoline_kernelINS0_14default_configENS1_38merge_sort_block_merge_config_selectorIiNS0_10empty_typeEEEZZNS1_27merge_sort_block_merge_implIS3_N6thrust23THRUST_200600_302600_NS6detail15normal_iteratorINS9_10device_ptrIiEEEEPS5_jNS1_19radix_merge_compareILb0ELb1EiNS0_19identity_decomposerEEEEE10hipError_tT0_T1_T2_jT3_P12ihipStream_tbPNSt15iterator_traitsISK_E10value_typeEPNSQ_ISL_E10value_typeEPSM_NS1_7vsmem_tEENKUlT_SK_SL_SM_E_clIPiSE_SF_SF_EESJ_SZ_SK_SL_SM_EUlSZ_E_NS1_11comp_targetILNS1_3genE2ELNS1_11target_archE906ELNS1_3gpuE6ELNS1_3repE0EEENS1_48merge_mergepath_partition_config_static_selectorELNS0_4arch9wavefront6targetE1EEEvSL_.numbered_sgpr, 0
	.set _ZN7rocprim17ROCPRIM_400000_NS6detail17trampoline_kernelINS0_14default_configENS1_38merge_sort_block_merge_config_selectorIiNS0_10empty_typeEEEZZNS1_27merge_sort_block_merge_implIS3_N6thrust23THRUST_200600_302600_NS6detail15normal_iteratorINS9_10device_ptrIiEEEEPS5_jNS1_19radix_merge_compareILb0ELb1EiNS0_19identity_decomposerEEEEE10hipError_tT0_T1_T2_jT3_P12ihipStream_tbPNSt15iterator_traitsISK_E10value_typeEPNSQ_ISL_E10value_typeEPSM_NS1_7vsmem_tEENKUlT_SK_SL_SM_E_clIPiSE_SF_SF_EESJ_SZ_SK_SL_SM_EUlSZ_E_NS1_11comp_targetILNS1_3genE2ELNS1_11target_archE906ELNS1_3gpuE6ELNS1_3repE0EEENS1_48merge_mergepath_partition_config_static_selectorELNS0_4arch9wavefront6targetE1EEEvSL_.num_named_barrier, 0
	.set _ZN7rocprim17ROCPRIM_400000_NS6detail17trampoline_kernelINS0_14default_configENS1_38merge_sort_block_merge_config_selectorIiNS0_10empty_typeEEEZZNS1_27merge_sort_block_merge_implIS3_N6thrust23THRUST_200600_302600_NS6detail15normal_iteratorINS9_10device_ptrIiEEEEPS5_jNS1_19radix_merge_compareILb0ELb1EiNS0_19identity_decomposerEEEEE10hipError_tT0_T1_T2_jT3_P12ihipStream_tbPNSt15iterator_traitsISK_E10value_typeEPNSQ_ISL_E10value_typeEPSM_NS1_7vsmem_tEENKUlT_SK_SL_SM_E_clIPiSE_SF_SF_EESJ_SZ_SK_SL_SM_EUlSZ_E_NS1_11comp_targetILNS1_3genE2ELNS1_11target_archE906ELNS1_3gpuE6ELNS1_3repE0EEENS1_48merge_mergepath_partition_config_static_selectorELNS0_4arch9wavefront6targetE1EEEvSL_.private_seg_size, 0
	.set _ZN7rocprim17ROCPRIM_400000_NS6detail17trampoline_kernelINS0_14default_configENS1_38merge_sort_block_merge_config_selectorIiNS0_10empty_typeEEEZZNS1_27merge_sort_block_merge_implIS3_N6thrust23THRUST_200600_302600_NS6detail15normal_iteratorINS9_10device_ptrIiEEEEPS5_jNS1_19radix_merge_compareILb0ELb1EiNS0_19identity_decomposerEEEEE10hipError_tT0_T1_T2_jT3_P12ihipStream_tbPNSt15iterator_traitsISK_E10value_typeEPNSQ_ISL_E10value_typeEPSM_NS1_7vsmem_tEENKUlT_SK_SL_SM_E_clIPiSE_SF_SF_EESJ_SZ_SK_SL_SM_EUlSZ_E_NS1_11comp_targetILNS1_3genE2ELNS1_11target_archE906ELNS1_3gpuE6ELNS1_3repE0EEENS1_48merge_mergepath_partition_config_static_selectorELNS0_4arch9wavefront6targetE1EEEvSL_.uses_vcc, 0
	.set _ZN7rocprim17ROCPRIM_400000_NS6detail17trampoline_kernelINS0_14default_configENS1_38merge_sort_block_merge_config_selectorIiNS0_10empty_typeEEEZZNS1_27merge_sort_block_merge_implIS3_N6thrust23THRUST_200600_302600_NS6detail15normal_iteratorINS9_10device_ptrIiEEEEPS5_jNS1_19radix_merge_compareILb0ELb1EiNS0_19identity_decomposerEEEEE10hipError_tT0_T1_T2_jT3_P12ihipStream_tbPNSt15iterator_traitsISK_E10value_typeEPNSQ_ISL_E10value_typeEPSM_NS1_7vsmem_tEENKUlT_SK_SL_SM_E_clIPiSE_SF_SF_EESJ_SZ_SK_SL_SM_EUlSZ_E_NS1_11comp_targetILNS1_3genE2ELNS1_11target_archE906ELNS1_3gpuE6ELNS1_3repE0EEENS1_48merge_mergepath_partition_config_static_selectorELNS0_4arch9wavefront6targetE1EEEvSL_.uses_flat_scratch, 0
	.set _ZN7rocprim17ROCPRIM_400000_NS6detail17trampoline_kernelINS0_14default_configENS1_38merge_sort_block_merge_config_selectorIiNS0_10empty_typeEEEZZNS1_27merge_sort_block_merge_implIS3_N6thrust23THRUST_200600_302600_NS6detail15normal_iteratorINS9_10device_ptrIiEEEEPS5_jNS1_19radix_merge_compareILb0ELb1EiNS0_19identity_decomposerEEEEE10hipError_tT0_T1_T2_jT3_P12ihipStream_tbPNSt15iterator_traitsISK_E10value_typeEPNSQ_ISL_E10value_typeEPSM_NS1_7vsmem_tEENKUlT_SK_SL_SM_E_clIPiSE_SF_SF_EESJ_SZ_SK_SL_SM_EUlSZ_E_NS1_11comp_targetILNS1_3genE2ELNS1_11target_archE906ELNS1_3gpuE6ELNS1_3repE0EEENS1_48merge_mergepath_partition_config_static_selectorELNS0_4arch9wavefront6targetE1EEEvSL_.has_dyn_sized_stack, 0
	.set _ZN7rocprim17ROCPRIM_400000_NS6detail17trampoline_kernelINS0_14default_configENS1_38merge_sort_block_merge_config_selectorIiNS0_10empty_typeEEEZZNS1_27merge_sort_block_merge_implIS3_N6thrust23THRUST_200600_302600_NS6detail15normal_iteratorINS9_10device_ptrIiEEEEPS5_jNS1_19radix_merge_compareILb0ELb1EiNS0_19identity_decomposerEEEEE10hipError_tT0_T1_T2_jT3_P12ihipStream_tbPNSt15iterator_traitsISK_E10value_typeEPNSQ_ISL_E10value_typeEPSM_NS1_7vsmem_tEENKUlT_SK_SL_SM_E_clIPiSE_SF_SF_EESJ_SZ_SK_SL_SM_EUlSZ_E_NS1_11comp_targetILNS1_3genE2ELNS1_11target_archE906ELNS1_3gpuE6ELNS1_3repE0EEENS1_48merge_mergepath_partition_config_static_selectorELNS0_4arch9wavefront6targetE1EEEvSL_.has_recursion, 0
	.set _ZN7rocprim17ROCPRIM_400000_NS6detail17trampoline_kernelINS0_14default_configENS1_38merge_sort_block_merge_config_selectorIiNS0_10empty_typeEEEZZNS1_27merge_sort_block_merge_implIS3_N6thrust23THRUST_200600_302600_NS6detail15normal_iteratorINS9_10device_ptrIiEEEEPS5_jNS1_19radix_merge_compareILb0ELb1EiNS0_19identity_decomposerEEEEE10hipError_tT0_T1_T2_jT3_P12ihipStream_tbPNSt15iterator_traitsISK_E10value_typeEPNSQ_ISL_E10value_typeEPSM_NS1_7vsmem_tEENKUlT_SK_SL_SM_E_clIPiSE_SF_SF_EESJ_SZ_SK_SL_SM_EUlSZ_E_NS1_11comp_targetILNS1_3genE2ELNS1_11target_archE906ELNS1_3gpuE6ELNS1_3repE0EEENS1_48merge_mergepath_partition_config_static_selectorELNS0_4arch9wavefront6targetE1EEEvSL_.has_indirect_call, 0
	.section	.AMDGPU.csdata,"",@progbits
; Kernel info:
; codeLenInByte = 0
; TotalNumSgprs: 6
; NumVgprs: 0
; NumAgprs: 0
; TotalNumVgprs: 0
; ScratchSize: 0
; MemoryBound: 0
; FloatMode: 240
; IeeeMode: 1
; LDSByteSize: 0 bytes/workgroup (compile time only)
; SGPRBlocks: 0
; VGPRBlocks: 0
; NumSGPRsForWavesPerEU: 6
; NumVGPRsForWavesPerEU: 1
; AccumOffset: 4
; Occupancy: 8
; WaveLimiterHint : 0
; COMPUTE_PGM_RSRC2:SCRATCH_EN: 0
; COMPUTE_PGM_RSRC2:USER_SGPR: 2
; COMPUTE_PGM_RSRC2:TRAP_HANDLER: 0
; COMPUTE_PGM_RSRC2:TGID_X_EN: 1
; COMPUTE_PGM_RSRC2:TGID_Y_EN: 0
; COMPUTE_PGM_RSRC2:TGID_Z_EN: 0
; COMPUTE_PGM_RSRC2:TIDIG_COMP_CNT: 0
; COMPUTE_PGM_RSRC3_GFX90A:ACCUM_OFFSET: 0
; COMPUTE_PGM_RSRC3_GFX90A:TG_SPLIT: 0
	.section	.text._ZN7rocprim17ROCPRIM_400000_NS6detail17trampoline_kernelINS0_14default_configENS1_38merge_sort_block_merge_config_selectorIiNS0_10empty_typeEEEZZNS1_27merge_sort_block_merge_implIS3_N6thrust23THRUST_200600_302600_NS6detail15normal_iteratorINS9_10device_ptrIiEEEEPS5_jNS1_19radix_merge_compareILb0ELb1EiNS0_19identity_decomposerEEEEE10hipError_tT0_T1_T2_jT3_P12ihipStream_tbPNSt15iterator_traitsISK_E10value_typeEPNSQ_ISL_E10value_typeEPSM_NS1_7vsmem_tEENKUlT_SK_SL_SM_E_clIPiSE_SF_SF_EESJ_SZ_SK_SL_SM_EUlSZ_E_NS1_11comp_targetILNS1_3genE9ELNS1_11target_archE1100ELNS1_3gpuE3ELNS1_3repE0EEENS1_48merge_mergepath_partition_config_static_selectorELNS0_4arch9wavefront6targetE1EEEvSL_,"axG",@progbits,_ZN7rocprim17ROCPRIM_400000_NS6detail17trampoline_kernelINS0_14default_configENS1_38merge_sort_block_merge_config_selectorIiNS0_10empty_typeEEEZZNS1_27merge_sort_block_merge_implIS3_N6thrust23THRUST_200600_302600_NS6detail15normal_iteratorINS9_10device_ptrIiEEEEPS5_jNS1_19radix_merge_compareILb0ELb1EiNS0_19identity_decomposerEEEEE10hipError_tT0_T1_T2_jT3_P12ihipStream_tbPNSt15iterator_traitsISK_E10value_typeEPNSQ_ISL_E10value_typeEPSM_NS1_7vsmem_tEENKUlT_SK_SL_SM_E_clIPiSE_SF_SF_EESJ_SZ_SK_SL_SM_EUlSZ_E_NS1_11comp_targetILNS1_3genE9ELNS1_11target_archE1100ELNS1_3gpuE3ELNS1_3repE0EEENS1_48merge_mergepath_partition_config_static_selectorELNS0_4arch9wavefront6targetE1EEEvSL_,comdat
	.protected	_ZN7rocprim17ROCPRIM_400000_NS6detail17trampoline_kernelINS0_14default_configENS1_38merge_sort_block_merge_config_selectorIiNS0_10empty_typeEEEZZNS1_27merge_sort_block_merge_implIS3_N6thrust23THRUST_200600_302600_NS6detail15normal_iteratorINS9_10device_ptrIiEEEEPS5_jNS1_19radix_merge_compareILb0ELb1EiNS0_19identity_decomposerEEEEE10hipError_tT0_T1_T2_jT3_P12ihipStream_tbPNSt15iterator_traitsISK_E10value_typeEPNSQ_ISL_E10value_typeEPSM_NS1_7vsmem_tEENKUlT_SK_SL_SM_E_clIPiSE_SF_SF_EESJ_SZ_SK_SL_SM_EUlSZ_E_NS1_11comp_targetILNS1_3genE9ELNS1_11target_archE1100ELNS1_3gpuE3ELNS1_3repE0EEENS1_48merge_mergepath_partition_config_static_selectorELNS0_4arch9wavefront6targetE1EEEvSL_ ; -- Begin function _ZN7rocprim17ROCPRIM_400000_NS6detail17trampoline_kernelINS0_14default_configENS1_38merge_sort_block_merge_config_selectorIiNS0_10empty_typeEEEZZNS1_27merge_sort_block_merge_implIS3_N6thrust23THRUST_200600_302600_NS6detail15normal_iteratorINS9_10device_ptrIiEEEEPS5_jNS1_19radix_merge_compareILb0ELb1EiNS0_19identity_decomposerEEEEE10hipError_tT0_T1_T2_jT3_P12ihipStream_tbPNSt15iterator_traitsISK_E10value_typeEPNSQ_ISL_E10value_typeEPSM_NS1_7vsmem_tEENKUlT_SK_SL_SM_E_clIPiSE_SF_SF_EESJ_SZ_SK_SL_SM_EUlSZ_E_NS1_11comp_targetILNS1_3genE9ELNS1_11target_archE1100ELNS1_3gpuE3ELNS1_3repE0EEENS1_48merge_mergepath_partition_config_static_selectorELNS0_4arch9wavefront6targetE1EEEvSL_
	.globl	_ZN7rocprim17ROCPRIM_400000_NS6detail17trampoline_kernelINS0_14default_configENS1_38merge_sort_block_merge_config_selectorIiNS0_10empty_typeEEEZZNS1_27merge_sort_block_merge_implIS3_N6thrust23THRUST_200600_302600_NS6detail15normal_iteratorINS9_10device_ptrIiEEEEPS5_jNS1_19radix_merge_compareILb0ELb1EiNS0_19identity_decomposerEEEEE10hipError_tT0_T1_T2_jT3_P12ihipStream_tbPNSt15iterator_traitsISK_E10value_typeEPNSQ_ISL_E10value_typeEPSM_NS1_7vsmem_tEENKUlT_SK_SL_SM_E_clIPiSE_SF_SF_EESJ_SZ_SK_SL_SM_EUlSZ_E_NS1_11comp_targetILNS1_3genE9ELNS1_11target_archE1100ELNS1_3gpuE3ELNS1_3repE0EEENS1_48merge_mergepath_partition_config_static_selectorELNS0_4arch9wavefront6targetE1EEEvSL_
	.p2align	8
	.type	_ZN7rocprim17ROCPRIM_400000_NS6detail17trampoline_kernelINS0_14default_configENS1_38merge_sort_block_merge_config_selectorIiNS0_10empty_typeEEEZZNS1_27merge_sort_block_merge_implIS3_N6thrust23THRUST_200600_302600_NS6detail15normal_iteratorINS9_10device_ptrIiEEEEPS5_jNS1_19radix_merge_compareILb0ELb1EiNS0_19identity_decomposerEEEEE10hipError_tT0_T1_T2_jT3_P12ihipStream_tbPNSt15iterator_traitsISK_E10value_typeEPNSQ_ISL_E10value_typeEPSM_NS1_7vsmem_tEENKUlT_SK_SL_SM_E_clIPiSE_SF_SF_EESJ_SZ_SK_SL_SM_EUlSZ_E_NS1_11comp_targetILNS1_3genE9ELNS1_11target_archE1100ELNS1_3gpuE3ELNS1_3repE0EEENS1_48merge_mergepath_partition_config_static_selectorELNS0_4arch9wavefront6targetE1EEEvSL_,@function
_ZN7rocprim17ROCPRIM_400000_NS6detail17trampoline_kernelINS0_14default_configENS1_38merge_sort_block_merge_config_selectorIiNS0_10empty_typeEEEZZNS1_27merge_sort_block_merge_implIS3_N6thrust23THRUST_200600_302600_NS6detail15normal_iteratorINS9_10device_ptrIiEEEEPS5_jNS1_19radix_merge_compareILb0ELb1EiNS0_19identity_decomposerEEEEE10hipError_tT0_T1_T2_jT3_P12ihipStream_tbPNSt15iterator_traitsISK_E10value_typeEPNSQ_ISL_E10value_typeEPSM_NS1_7vsmem_tEENKUlT_SK_SL_SM_E_clIPiSE_SF_SF_EESJ_SZ_SK_SL_SM_EUlSZ_E_NS1_11comp_targetILNS1_3genE9ELNS1_11target_archE1100ELNS1_3gpuE3ELNS1_3repE0EEENS1_48merge_mergepath_partition_config_static_selectorELNS0_4arch9wavefront6targetE1EEEvSL_: ; @_ZN7rocprim17ROCPRIM_400000_NS6detail17trampoline_kernelINS0_14default_configENS1_38merge_sort_block_merge_config_selectorIiNS0_10empty_typeEEEZZNS1_27merge_sort_block_merge_implIS3_N6thrust23THRUST_200600_302600_NS6detail15normal_iteratorINS9_10device_ptrIiEEEEPS5_jNS1_19radix_merge_compareILb0ELb1EiNS0_19identity_decomposerEEEEE10hipError_tT0_T1_T2_jT3_P12ihipStream_tbPNSt15iterator_traitsISK_E10value_typeEPNSQ_ISL_E10value_typeEPSM_NS1_7vsmem_tEENKUlT_SK_SL_SM_E_clIPiSE_SF_SF_EESJ_SZ_SK_SL_SM_EUlSZ_E_NS1_11comp_targetILNS1_3genE9ELNS1_11target_archE1100ELNS1_3gpuE3ELNS1_3repE0EEENS1_48merge_mergepath_partition_config_static_selectorELNS0_4arch9wavefront6targetE1EEEvSL_
; %bb.0:
	.section	.rodata,"a",@progbits
	.p2align	6, 0x0
	.amdhsa_kernel _ZN7rocprim17ROCPRIM_400000_NS6detail17trampoline_kernelINS0_14default_configENS1_38merge_sort_block_merge_config_selectorIiNS0_10empty_typeEEEZZNS1_27merge_sort_block_merge_implIS3_N6thrust23THRUST_200600_302600_NS6detail15normal_iteratorINS9_10device_ptrIiEEEEPS5_jNS1_19radix_merge_compareILb0ELb1EiNS0_19identity_decomposerEEEEE10hipError_tT0_T1_T2_jT3_P12ihipStream_tbPNSt15iterator_traitsISK_E10value_typeEPNSQ_ISL_E10value_typeEPSM_NS1_7vsmem_tEENKUlT_SK_SL_SM_E_clIPiSE_SF_SF_EESJ_SZ_SK_SL_SM_EUlSZ_E_NS1_11comp_targetILNS1_3genE9ELNS1_11target_archE1100ELNS1_3gpuE3ELNS1_3repE0EEENS1_48merge_mergepath_partition_config_static_selectorELNS0_4arch9wavefront6targetE1EEEvSL_
		.amdhsa_group_segment_fixed_size 0
		.amdhsa_private_segment_fixed_size 0
		.amdhsa_kernarg_size 40
		.amdhsa_user_sgpr_count 2
		.amdhsa_user_sgpr_dispatch_ptr 0
		.amdhsa_user_sgpr_queue_ptr 0
		.amdhsa_user_sgpr_kernarg_segment_ptr 1
		.amdhsa_user_sgpr_dispatch_id 0
		.amdhsa_user_sgpr_kernarg_preload_length 0
		.amdhsa_user_sgpr_kernarg_preload_offset 0
		.amdhsa_user_sgpr_private_segment_size 0
		.amdhsa_uses_dynamic_stack 0
		.amdhsa_enable_private_segment 0
		.amdhsa_system_sgpr_workgroup_id_x 1
		.amdhsa_system_sgpr_workgroup_id_y 0
		.amdhsa_system_sgpr_workgroup_id_z 0
		.amdhsa_system_sgpr_workgroup_info 0
		.amdhsa_system_vgpr_workitem_id 0
		.amdhsa_next_free_vgpr 1
		.amdhsa_next_free_sgpr 0
		.amdhsa_accum_offset 4
		.amdhsa_reserve_vcc 0
		.amdhsa_float_round_mode_32 0
		.amdhsa_float_round_mode_16_64 0
		.amdhsa_float_denorm_mode_32 3
		.amdhsa_float_denorm_mode_16_64 3
		.amdhsa_dx10_clamp 1
		.amdhsa_ieee_mode 1
		.amdhsa_fp16_overflow 0
		.amdhsa_tg_split 0
		.amdhsa_exception_fp_ieee_invalid_op 0
		.amdhsa_exception_fp_denorm_src 0
		.amdhsa_exception_fp_ieee_div_zero 0
		.amdhsa_exception_fp_ieee_overflow 0
		.amdhsa_exception_fp_ieee_underflow 0
		.amdhsa_exception_fp_ieee_inexact 0
		.amdhsa_exception_int_div_zero 0
	.end_amdhsa_kernel
	.section	.text._ZN7rocprim17ROCPRIM_400000_NS6detail17trampoline_kernelINS0_14default_configENS1_38merge_sort_block_merge_config_selectorIiNS0_10empty_typeEEEZZNS1_27merge_sort_block_merge_implIS3_N6thrust23THRUST_200600_302600_NS6detail15normal_iteratorINS9_10device_ptrIiEEEEPS5_jNS1_19radix_merge_compareILb0ELb1EiNS0_19identity_decomposerEEEEE10hipError_tT0_T1_T2_jT3_P12ihipStream_tbPNSt15iterator_traitsISK_E10value_typeEPNSQ_ISL_E10value_typeEPSM_NS1_7vsmem_tEENKUlT_SK_SL_SM_E_clIPiSE_SF_SF_EESJ_SZ_SK_SL_SM_EUlSZ_E_NS1_11comp_targetILNS1_3genE9ELNS1_11target_archE1100ELNS1_3gpuE3ELNS1_3repE0EEENS1_48merge_mergepath_partition_config_static_selectorELNS0_4arch9wavefront6targetE1EEEvSL_,"axG",@progbits,_ZN7rocprim17ROCPRIM_400000_NS6detail17trampoline_kernelINS0_14default_configENS1_38merge_sort_block_merge_config_selectorIiNS0_10empty_typeEEEZZNS1_27merge_sort_block_merge_implIS3_N6thrust23THRUST_200600_302600_NS6detail15normal_iteratorINS9_10device_ptrIiEEEEPS5_jNS1_19radix_merge_compareILb0ELb1EiNS0_19identity_decomposerEEEEE10hipError_tT0_T1_T2_jT3_P12ihipStream_tbPNSt15iterator_traitsISK_E10value_typeEPNSQ_ISL_E10value_typeEPSM_NS1_7vsmem_tEENKUlT_SK_SL_SM_E_clIPiSE_SF_SF_EESJ_SZ_SK_SL_SM_EUlSZ_E_NS1_11comp_targetILNS1_3genE9ELNS1_11target_archE1100ELNS1_3gpuE3ELNS1_3repE0EEENS1_48merge_mergepath_partition_config_static_selectorELNS0_4arch9wavefront6targetE1EEEvSL_,comdat
.Lfunc_end90:
	.size	_ZN7rocprim17ROCPRIM_400000_NS6detail17trampoline_kernelINS0_14default_configENS1_38merge_sort_block_merge_config_selectorIiNS0_10empty_typeEEEZZNS1_27merge_sort_block_merge_implIS3_N6thrust23THRUST_200600_302600_NS6detail15normal_iteratorINS9_10device_ptrIiEEEEPS5_jNS1_19radix_merge_compareILb0ELb1EiNS0_19identity_decomposerEEEEE10hipError_tT0_T1_T2_jT3_P12ihipStream_tbPNSt15iterator_traitsISK_E10value_typeEPNSQ_ISL_E10value_typeEPSM_NS1_7vsmem_tEENKUlT_SK_SL_SM_E_clIPiSE_SF_SF_EESJ_SZ_SK_SL_SM_EUlSZ_E_NS1_11comp_targetILNS1_3genE9ELNS1_11target_archE1100ELNS1_3gpuE3ELNS1_3repE0EEENS1_48merge_mergepath_partition_config_static_selectorELNS0_4arch9wavefront6targetE1EEEvSL_, .Lfunc_end90-_ZN7rocprim17ROCPRIM_400000_NS6detail17trampoline_kernelINS0_14default_configENS1_38merge_sort_block_merge_config_selectorIiNS0_10empty_typeEEEZZNS1_27merge_sort_block_merge_implIS3_N6thrust23THRUST_200600_302600_NS6detail15normal_iteratorINS9_10device_ptrIiEEEEPS5_jNS1_19radix_merge_compareILb0ELb1EiNS0_19identity_decomposerEEEEE10hipError_tT0_T1_T2_jT3_P12ihipStream_tbPNSt15iterator_traitsISK_E10value_typeEPNSQ_ISL_E10value_typeEPSM_NS1_7vsmem_tEENKUlT_SK_SL_SM_E_clIPiSE_SF_SF_EESJ_SZ_SK_SL_SM_EUlSZ_E_NS1_11comp_targetILNS1_3genE9ELNS1_11target_archE1100ELNS1_3gpuE3ELNS1_3repE0EEENS1_48merge_mergepath_partition_config_static_selectorELNS0_4arch9wavefront6targetE1EEEvSL_
                                        ; -- End function
	.set _ZN7rocprim17ROCPRIM_400000_NS6detail17trampoline_kernelINS0_14default_configENS1_38merge_sort_block_merge_config_selectorIiNS0_10empty_typeEEEZZNS1_27merge_sort_block_merge_implIS3_N6thrust23THRUST_200600_302600_NS6detail15normal_iteratorINS9_10device_ptrIiEEEEPS5_jNS1_19radix_merge_compareILb0ELb1EiNS0_19identity_decomposerEEEEE10hipError_tT0_T1_T2_jT3_P12ihipStream_tbPNSt15iterator_traitsISK_E10value_typeEPNSQ_ISL_E10value_typeEPSM_NS1_7vsmem_tEENKUlT_SK_SL_SM_E_clIPiSE_SF_SF_EESJ_SZ_SK_SL_SM_EUlSZ_E_NS1_11comp_targetILNS1_3genE9ELNS1_11target_archE1100ELNS1_3gpuE3ELNS1_3repE0EEENS1_48merge_mergepath_partition_config_static_selectorELNS0_4arch9wavefront6targetE1EEEvSL_.num_vgpr, 0
	.set _ZN7rocprim17ROCPRIM_400000_NS6detail17trampoline_kernelINS0_14default_configENS1_38merge_sort_block_merge_config_selectorIiNS0_10empty_typeEEEZZNS1_27merge_sort_block_merge_implIS3_N6thrust23THRUST_200600_302600_NS6detail15normal_iteratorINS9_10device_ptrIiEEEEPS5_jNS1_19radix_merge_compareILb0ELb1EiNS0_19identity_decomposerEEEEE10hipError_tT0_T1_T2_jT3_P12ihipStream_tbPNSt15iterator_traitsISK_E10value_typeEPNSQ_ISL_E10value_typeEPSM_NS1_7vsmem_tEENKUlT_SK_SL_SM_E_clIPiSE_SF_SF_EESJ_SZ_SK_SL_SM_EUlSZ_E_NS1_11comp_targetILNS1_3genE9ELNS1_11target_archE1100ELNS1_3gpuE3ELNS1_3repE0EEENS1_48merge_mergepath_partition_config_static_selectorELNS0_4arch9wavefront6targetE1EEEvSL_.num_agpr, 0
	.set _ZN7rocprim17ROCPRIM_400000_NS6detail17trampoline_kernelINS0_14default_configENS1_38merge_sort_block_merge_config_selectorIiNS0_10empty_typeEEEZZNS1_27merge_sort_block_merge_implIS3_N6thrust23THRUST_200600_302600_NS6detail15normal_iteratorINS9_10device_ptrIiEEEEPS5_jNS1_19radix_merge_compareILb0ELb1EiNS0_19identity_decomposerEEEEE10hipError_tT0_T1_T2_jT3_P12ihipStream_tbPNSt15iterator_traitsISK_E10value_typeEPNSQ_ISL_E10value_typeEPSM_NS1_7vsmem_tEENKUlT_SK_SL_SM_E_clIPiSE_SF_SF_EESJ_SZ_SK_SL_SM_EUlSZ_E_NS1_11comp_targetILNS1_3genE9ELNS1_11target_archE1100ELNS1_3gpuE3ELNS1_3repE0EEENS1_48merge_mergepath_partition_config_static_selectorELNS0_4arch9wavefront6targetE1EEEvSL_.numbered_sgpr, 0
	.set _ZN7rocprim17ROCPRIM_400000_NS6detail17trampoline_kernelINS0_14default_configENS1_38merge_sort_block_merge_config_selectorIiNS0_10empty_typeEEEZZNS1_27merge_sort_block_merge_implIS3_N6thrust23THRUST_200600_302600_NS6detail15normal_iteratorINS9_10device_ptrIiEEEEPS5_jNS1_19radix_merge_compareILb0ELb1EiNS0_19identity_decomposerEEEEE10hipError_tT0_T1_T2_jT3_P12ihipStream_tbPNSt15iterator_traitsISK_E10value_typeEPNSQ_ISL_E10value_typeEPSM_NS1_7vsmem_tEENKUlT_SK_SL_SM_E_clIPiSE_SF_SF_EESJ_SZ_SK_SL_SM_EUlSZ_E_NS1_11comp_targetILNS1_3genE9ELNS1_11target_archE1100ELNS1_3gpuE3ELNS1_3repE0EEENS1_48merge_mergepath_partition_config_static_selectorELNS0_4arch9wavefront6targetE1EEEvSL_.num_named_barrier, 0
	.set _ZN7rocprim17ROCPRIM_400000_NS6detail17trampoline_kernelINS0_14default_configENS1_38merge_sort_block_merge_config_selectorIiNS0_10empty_typeEEEZZNS1_27merge_sort_block_merge_implIS3_N6thrust23THRUST_200600_302600_NS6detail15normal_iteratorINS9_10device_ptrIiEEEEPS5_jNS1_19radix_merge_compareILb0ELb1EiNS0_19identity_decomposerEEEEE10hipError_tT0_T1_T2_jT3_P12ihipStream_tbPNSt15iterator_traitsISK_E10value_typeEPNSQ_ISL_E10value_typeEPSM_NS1_7vsmem_tEENKUlT_SK_SL_SM_E_clIPiSE_SF_SF_EESJ_SZ_SK_SL_SM_EUlSZ_E_NS1_11comp_targetILNS1_3genE9ELNS1_11target_archE1100ELNS1_3gpuE3ELNS1_3repE0EEENS1_48merge_mergepath_partition_config_static_selectorELNS0_4arch9wavefront6targetE1EEEvSL_.private_seg_size, 0
	.set _ZN7rocprim17ROCPRIM_400000_NS6detail17trampoline_kernelINS0_14default_configENS1_38merge_sort_block_merge_config_selectorIiNS0_10empty_typeEEEZZNS1_27merge_sort_block_merge_implIS3_N6thrust23THRUST_200600_302600_NS6detail15normal_iteratorINS9_10device_ptrIiEEEEPS5_jNS1_19radix_merge_compareILb0ELb1EiNS0_19identity_decomposerEEEEE10hipError_tT0_T1_T2_jT3_P12ihipStream_tbPNSt15iterator_traitsISK_E10value_typeEPNSQ_ISL_E10value_typeEPSM_NS1_7vsmem_tEENKUlT_SK_SL_SM_E_clIPiSE_SF_SF_EESJ_SZ_SK_SL_SM_EUlSZ_E_NS1_11comp_targetILNS1_3genE9ELNS1_11target_archE1100ELNS1_3gpuE3ELNS1_3repE0EEENS1_48merge_mergepath_partition_config_static_selectorELNS0_4arch9wavefront6targetE1EEEvSL_.uses_vcc, 0
	.set _ZN7rocprim17ROCPRIM_400000_NS6detail17trampoline_kernelINS0_14default_configENS1_38merge_sort_block_merge_config_selectorIiNS0_10empty_typeEEEZZNS1_27merge_sort_block_merge_implIS3_N6thrust23THRUST_200600_302600_NS6detail15normal_iteratorINS9_10device_ptrIiEEEEPS5_jNS1_19radix_merge_compareILb0ELb1EiNS0_19identity_decomposerEEEEE10hipError_tT0_T1_T2_jT3_P12ihipStream_tbPNSt15iterator_traitsISK_E10value_typeEPNSQ_ISL_E10value_typeEPSM_NS1_7vsmem_tEENKUlT_SK_SL_SM_E_clIPiSE_SF_SF_EESJ_SZ_SK_SL_SM_EUlSZ_E_NS1_11comp_targetILNS1_3genE9ELNS1_11target_archE1100ELNS1_3gpuE3ELNS1_3repE0EEENS1_48merge_mergepath_partition_config_static_selectorELNS0_4arch9wavefront6targetE1EEEvSL_.uses_flat_scratch, 0
	.set _ZN7rocprim17ROCPRIM_400000_NS6detail17trampoline_kernelINS0_14default_configENS1_38merge_sort_block_merge_config_selectorIiNS0_10empty_typeEEEZZNS1_27merge_sort_block_merge_implIS3_N6thrust23THRUST_200600_302600_NS6detail15normal_iteratorINS9_10device_ptrIiEEEEPS5_jNS1_19radix_merge_compareILb0ELb1EiNS0_19identity_decomposerEEEEE10hipError_tT0_T1_T2_jT3_P12ihipStream_tbPNSt15iterator_traitsISK_E10value_typeEPNSQ_ISL_E10value_typeEPSM_NS1_7vsmem_tEENKUlT_SK_SL_SM_E_clIPiSE_SF_SF_EESJ_SZ_SK_SL_SM_EUlSZ_E_NS1_11comp_targetILNS1_3genE9ELNS1_11target_archE1100ELNS1_3gpuE3ELNS1_3repE0EEENS1_48merge_mergepath_partition_config_static_selectorELNS0_4arch9wavefront6targetE1EEEvSL_.has_dyn_sized_stack, 0
	.set _ZN7rocprim17ROCPRIM_400000_NS6detail17trampoline_kernelINS0_14default_configENS1_38merge_sort_block_merge_config_selectorIiNS0_10empty_typeEEEZZNS1_27merge_sort_block_merge_implIS3_N6thrust23THRUST_200600_302600_NS6detail15normal_iteratorINS9_10device_ptrIiEEEEPS5_jNS1_19radix_merge_compareILb0ELb1EiNS0_19identity_decomposerEEEEE10hipError_tT0_T1_T2_jT3_P12ihipStream_tbPNSt15iterator_traitsISK_E10value_typeEPNSQ_ISL_E10value_typeEPSM_NS1_7vsmem_tEENKUlT_SK_SL_SM_E_clIPiSE_SF_SF_EESJ_SZ_SK_SL_SM_EUlSZ_E_NS1_11comp_targetILNS1_3genE9ELNS1_11target_archE1100ELNS1_3gpuE3ELNS1_3repE0EEENS1_48merge_mergepath_partition_config_static_selectorELNS0_4arch9wavefront6targetE1EEEvSL_.has_recursion, 0
	.set _ZN7rocprim17ROCPRIM_400000_NS6detail17trampoline_kernelINS0_14default_configENS1_38merge_sort_block_merge_config_selectorIiNS0_10empty_typeEEEZZNS1_27merge_sort_block_merge_implIS3_N6thrust23THRUST_200600_302600_NS6detail15normal_iteratorINS9_10device_ptrIiEEEEPS5_jNS1_19radix_merge_compareILb0ELb1EiNS0_19identity_decomposerEEEEE10hipError_tT0_T1_T2_jT3_P12ihipStream_tbPNSt15iterator_traitsISK_E10value_typeEPNSQ_ISL_E10value_typeEPSM_NS1_7vsmem_tEENKUlT_SK_SL_SM_E_clIPiSE_SF_SF_EESJ_SZ_SK_SL_SM_EUlSZ_E_NS1_11comp_targetILNS1_3genE9ELNS1_11target_archE1100ELNS1_3gpuE3ELNS1_3repE0EEENS1_48merge_mergepath_partition_config_static_selectorELNS0_4arch9wavefront6targetE1EEEvSL_.has_indirect_call, 0
	.section	.AMDGPU.csdata,"",@progbits
; Kernel info:
; codeLenInByte = 0
; TotalNumSgprs: 6
; NumVgprs: 0
; NumAgprs: 0
; TotalNumVgprs: 0
; ScratchSize: 0
; MemoryBound: 0
; FloatMode: 240
; IeeeMode: 1
; LDSByteSize: 0 bytes/workgroup (compile time only)
; SGPRBlocks: 0
; VGPRBlocks: 0
; NumSGPRsForWavesPerEU: 6
; NumVGPRsForWavesPerEU: 1
; AccumOffset: 4
; Occupancy: 8
; WaveLimiterHint : 0
; COMPUTE_PGM_RSRC2:SCRATCH_EN: 0
; COMPUTE_PGM_RSRC2:USER_SGPR: 2
; COMPUTE_PGM_RSRC2:TRAP_HANDLER: 0
; COMPUTE_PGM_RSRC2:TGID_X_EN: 1
; COMPUTE_PGM_RSRC2:TGID_Y_EN: 0
; COMPUTE_PGM_RSRC2:TGID_Z_EN: 0
; COMPUTE_PGM_RSRC2:TIDIG_COMP_CNT: 0
; COMPUTE_PGM_RSRC3_GFX90A:ACCUM_OFFSET: 0
; COMPUTE_PGM_RSRC3_GFX90A:TG_SPLIT: 0
	.section	.text._ZN7rocprim17ROCPRIM_400000_NS6detail17trampoline_kernelINS0_14default_configENS1_38merge_sort_block_merge_config_selectorIiNS0_10empty_typeEEEZZNS1_27merge_sort_block_merge_implIS3_N6thrust23THRUST_200600_302600_NS6detail15normal_iteratorINS9_10device_ptrIiEEEEPS5_jNS1_19radix_merge_compareILb0ELb1EiNS0_19identity_decomposerEEEEE10hipError_tT0_T1_T2_jT3_P12ihipStream_tbPNSt15iterator_traitsISK_E10value_typeEPNSQ_ISL_E10value_typeEPSM_NS1_7vsmem_tEENKUlT_SK_SL_SM_E_clIPiSE_SF_SF_EESJ_SZ_SK_SL_SM_EUlSZ_E_NS1_11comp_targetILNS1_3genE8ELNS1_11target_archE1030ELNS1_3gpuE2ELNS1_3repE0EEENS1_48merge_mergepath_partition_config_static_selectorELNS0_4arch9wavefront6targetE1EEEvSL_,"axG",@progbits,_ZN7rocprim17ROCPRIM_400000_NS6detail17trampoline_kernelINS0_14default_configENS1_38merge_sort_block_merge_config_selectorIiNS0_10empty_typeEEEZZNS1_27merge_sort_block_merge_implIS3_N6thrust23THRUST_200600_302600_NS6detail15normal_iteratorINS9_10device_ptrIiEEEEPS5_jNS1_19radix_merge_compareILb0ELb1EiNS0_19identity_decomposerEEEEE10hipError_tT0_T1_T2_jT3_P12ihipStream_tbPNSt15iterator_traitsISK_E10value_typeEPNSQ_ISL_E10value_typeEPSM_NS1_7vsmem_tEENKUlT_SK_SL_SM_E_clIPiSE_SF_SF_EESJ_SZ_SK_SL_SM_EUlSZ_E_NS1_11comp_targetILNS1_3genE8ELNS1_11target_archE1030ELNS1_3gpuE2ELNS1_3repE0EEENS1_48merge_mergepath_partition_config_static_selectorELNS0_4arch9wavefront6targetE1EEEvSL_,comdat
	.protected	_ZN7rocprim17ROCPRIM_400000_NS6detail17trampoline_kernelINS0_14default_configENS1_38merge_sort_block_merge_config_selectorIiNS0_10empty_typeEEEZZNS1_27merge_sort_block_merge_implIS3_N6thrust23THRUST_200600_302600_NS6detail15normal_iteratorINS9_10device_ptrIiEEEEPS5_jNS1_19radix_merge_compareILb0ELb1EiNS0_19identity_decomposerEEEEE10hipError_tT0_T1_T2_jT3_P12ihipStream_tbPNSt15iterator_traitsISK_E10value_typeEPNSQ_ISL_E10value_typeEPSM_NS1_7vsmem_tEENKUlT_SK_SL_SM_E_clIPiSE_SF_SF_EESJ_SZ_SK_SL_SM_EUlSZ_E_NS1_11comp_targetILNS1_3genE8ELNS1_11target_archE1030ELNS1_3gpuE2ELNS1_3repE0EEENS1_48merge_mergepath_partition_config_static_selectorELNS0_4arch9wavefront6targetE1EEEvSL_ ; -- Begin function _ZN7rocprim17ROCPRIM_400000_NS6detail17trampoline_kernelINS0_14default_configENS1_38merge_sort_block_merge_config_selectorIiNS0_10empty_typeEEEZZNS1_27merge_sort_block_merge_implIS3_N6thrust23THRUST_200600_302600_NS6detail15normal_iteratorINS9_10device_ptrIiEEEEPS5_jNS1_19radix_merge_compareILb0ELb1EiNS0_19identity_decomposerEEEEE10hipError_tT0_T1_T2_jT3_P12ihipStream_tbPNSt15iterator_traitsISK_E10value_typeEPNSQ_ISL_E10value_typeEPSM_NS1_7vsmem_tEENKUlT_SK_SL_SM_E_clIPiSE_SF_SF_EESJ_SZ_SK_SL_SM_EUlSZ_E_NS1_11comp_targetILNS1_3genE8ELNS1_11target_archE1030ELNS1_3gpuE2ELNS1_3repE0EEENS1_48merge_mergepath_partition_config_static_selectorELNS0_4arch9wavefront6targetE1EEEvSL_
	.globl	_ZN7rocprim17ROCPRIM_400000_NS6detail17trampoline_kernelINS0_14default_configENS1_38merge_sort_block_merge_config_selectorIiNS0_10empty_typeEEEZZNS1_27merge_sort_block_merge_implIS3_N6thrust23THRUST_200600_302600_NS6detail15normal_iteratorINS9_10device_ptrIiEEEEPS5_jNS1_19radix_merge_compareILb0ELb1EiNS0_19identity_decomposerEEEEE10hipError_tT0_T1_T2_jT3_P12ihipStream_tbPNSt15iterator_traitsISK_E10value_typeEPNSQ_ISL_E10value_typeEPSM_NS1_7vsmem_tEENKUlT_SK_SL_SM_E_clIPiSE_SF_SF_EESJ_SZ_SK_SL_SM_EUlSZ_E_NS1_11comp_targetILNS1_3genE8ELNS1_11target_archE1030ELNS1_3gpuE2ELNS1_3repE0EEENS1_48merge_mergepath_partition_config_static_selectorELNS0_4arch9wavefront6targetE1EEEvSL_
	.p2align	8
	.type	_ZN7rocprim17ROCPRIM_400000_NS6detail17trampoline_kernelINS0_14default_configENS1_38merge_sort_block_merge_config_selectorIiNS0_10empty_typeEEEZZNS1_27merge_sort_block_merge_implIS3_N6thrust23THRUST_200600_302600_NS6detail15normal_iteratorINS9_10device_ptrIiEEEEPS5_jNS1_19radix_merge_compareILb0ELb1EiNS0_19identity_decomposerEEEEE10hipError_tT0_T1_T2_jT3_P12ihipStream_tbPNSt15iterator_traitsISK_E10value_typeEPNSQ_ISL_E10value_typeEPSM_NS1_7vsmem_tEENKUlT_SK_SL_SM_E_clIPiSE_SF_SF_EESJ_SZ_SK_SL_SM_EUlSZ_E_NS1_11comp_targetILNS1_3genE8ELNS1_11target_archE1030ELNS1_3gpuE2ELNS1_3repE0EEENS1_48merge_mergepath_partition_config_static_selectorELNS0_4arch9wavefront6targetE1EEEvSL_,@function
_ZN7rocprim17ROCPRIM_400000_NS6detail17trampoline_kernelINS0_14default_configENS1_38merge_sort_block_merge_config_selectorIiNS0_10empty_typeEEEZZNS1_27merge_sort_block_merge_implIS3_N6thrust23THRUST_200600_302600_NS6detail15normal_iteratorINS9_10device_ptrIiEEEEPS5_jNS1_19radix_merge_compareILb0ELb1EiNS0_19identity_decomposerEEEEE10hipError_tT0_T1_T2_jT3_P12ihipStream_tbPNSt15iterator_traitsISK_E10value_typeEPNSQ_ISL_E10value_typeEPSM_NS1_7vsmem_tEENKUlT_SK_SL_SM_E_clIPiSE_SF_SF_EESJ_SZ_SK_SL_SM_EUlSZ_E_NS1_11comp_targetILNS1_3genE8ELNS1_11target_archE1030ELNS1_3gpuE2ELNS1_3repE0EEENS1_48merge_mergepath_partition_config_static_selectorELNS0_4arch9wavefront6targetE1EEEvSL_: ; @_ZN7rocprim17ROCPRIM_400000_NS6detail17trampoline_kernelINS0_14default_configENS1_38merge_sort_block_merge_config_selectorIiNS0_10empty_typeEEEZZNS1_27merge_sort_block_merge_implIS3_N6thrust23THRUST_200600_302600_NS6detail15normal_iteratorINS9_10device_ptrIiEEEEPS5_jNS1_19radix_merge_compareILb0ELb1EiNS0_19identity_decomposerEEEEE10hipError_tT0_T1_T2_jT3_P12ihipStream_tbPNSt15iterator_traitsISK_E10value_typeEPNSQ_ISL_E10value_typeEPSM_NS1_7vsmem_tEENKUlT_SK_SL_SM_E_clIPiSE_SF_SF_EESJ_SZ_SK_SL_SM_EUlSZ_E_NS1_11comp_targetILNS1_3genE8ELNS1_11target_archE1030ELNS1_3gpuE2ELNS1_3repE0EEENS1_48merge_mergepath_partition_config_static_selectorELNS0_4arch9wavefront6targetE1EEEvSL_
; %bb.0:
	.section	.rodata,"a",@progbits
	.p2align	6, 0x0
	.amdhsa_kernel _ZN7rocprim17ROCPRIM_400000_NS6detail17trampoline_kernelINS0_14default_configENS1_38merge_sort_block_merge_config_selectorIiNS0_10empty_typeEEEZZNS1_27merge_sort_block_merge_implIS3_N6thrust23THRUST_200600_302600_NS6detail15normal_iteratorINS9_10device_ptrIiEEEEPS5_jNS1_19radix_merge_compareILb0ELb1EiNS0_19identity_decomposerEEEEE10hipError_tT0_T1_T2_jT3_P12ihipStream_tbPNSt15iterator_traitsISK_E10value_typeEPNSQ_ISL_E10value_typeEPSM_NS1_7vsmem_tEENKUlT_SK_SL_SM_E_clIPiSE_SF_SF_EESJ_SZ_SK_SL_SM_EUlSZ_E_NS1_11comp_targetILNS1_3genE8ELNS1_11target_archE1030ELNS1_3gpuE2ELNS1_3repE0EEENS1_48merge_mergepath_partition_config_static_selectorELNS0_4arch9wavefront6targetE1EEEvSL_
		.amdhsa_group_segment_fixed_size 0
		.amdhsa_private_segment_fixed_size 0
		.amdhsa_kernarg_size 40
		.amdhsa_user_sgpr_count 2
		.amdhsa_user_sgpr_dispatch_ptr 0
		.amdhsa_user_sgpr_queue_ptr 0
		.amdhsa_user_sgpr_kernarg_segment_ptr 1
		.amdhsa_user_sgpr_dispatch_id 0
		.amdhsa_user_sgpr_kernarg_preload_length 0
		.amdhsa_user_sgpr_kernarg_preload_offset 0
		.amdhsa_user_sgpr_private_segment_size 0
		.amdhsa_uses_dynamic_stack 0
		.amdhsa_enable_private_segment 0
		.amdhsa_system_sgpr_workgroup_id_x 1
		.amdhsa_system_sgpr_workgroup_id_y 0
		.amdhsa_system_sgpr_workgroup_id_z 0
		.amdhsa_system_sgpr_workgroup_info 0
		.amdhsa_system_vgpr_workitem_id 0
		.amdhsa_next_free_vgpr 1
		.amdhsa_next_free_sgpr 0
		.amdhsa_accum_offset 4
		.amdhsa_reserve_vcc 0
		.amdhsa_float_round_mode_32 0
		.amdhsa_float_round_mode_16_64 0
		.amdhsa_float_denorm_mode_32 3
		.amdhsa_float_denorm_mode_16_64 3
		.amdhsa_dx10_clamp 1
		.amdhsa_ieee_mode 1
		.amdhsa_fp16_overflow 0
		.amdhsa_tg_split 0
		.amdhsa_exception_fp_ieee_invalid_op 0
		.amdhsa_exception_fp_denorm_src 0
		.amdhsa_exception_fp_ieee_div_zero 0
		.amdhsa_exception_fp_ieee_overflow 0
		.amdhsa_exception_fp_ieee_underflow 0
		.amdhsa_exception_fp_ieee_inexact 0
		.amdhsa_exception_int_div_zero 0
	.end_amdhsa_kernel
	.section	.text._ZN7rocprim17ROCPRIM_400000_NS6detail17trampoline_kernelINS0_14default_configENS1_38merge_sort_block_merge_config_selectorIiNS0_10empty_typeEEEZZNS1_27merge_sort_block_merge_implIS3_N6thrust23THRUST_200600_302600_NS6detail15normal_iteratorINS9_10device_ptrIiEEEEPS5_jNS1_19radix_merge_compareILb0ELb1EiNS0_19identity_decomposerEEEEE10hipError_tT0_T1_T2_jT3_P12ihipStream_tbPNSt15iterator_traitsISK_E10value_typeEPNSQ_ISL_E10value_typeEPSM_NS1_7vsmem_tEENKUlT_SK_SL_SM_E_clIPiSE_SF_SF_EESJ_SZ_SK_SL_SM_EUlSZ_E_NS1_11comp_targetILNS1_3genE8ELNS1_11target_archE1030ELNS1_3gpuE2ELNS1_3repE0EEENS1_48merge_mergepath_partition_config_static_selectorELNS0_4arch9wavefront6targetE1EEEvSL_,"axG",@progbits,_ZN7rocprim17ROCPRIM_400000_NS6detail17trampoline_kernelINS0_14default_configENS1_38merge_sort_block_merge_config_selectorIiNS0_10empty_typeEEEZZNS1_27merge_sort_block_merge_implIS3_N6thrust23THRUST_200600_302600_NS6detail15normal_iteratorINS9_10device_ptrIiEEEEPS5_jNS1_19radix_merge_compareILb0ELb1EiNS0_19identity_decomposerEEEEE10hipError_tT0_T1_T2_jT3_P12ihipStream_tbPNSt15iterator_traitsISK_E10value_typeEPNSQ_ISL_E10value_typeEPSM_NS1_7vsmem_tEENKUlT_SK_SL_SM_E_clIPiSE_SF_SF_EESJ_SZ_SK_SL_SM_EUlSZ_E_NS1_11comp_targetILNS1_3genE8ELNS1_11target_archE1030ELNS1_3gpuE2ELNS1_3repE0EEENS1_48merge_mergepath_partition_config_static_selectorELNS0_4arch9wavefront6targetE1EEEvSL_,comdat
.Lfunc_end91:
	.size	_ZN7rocprim17ROCPRIM_400000_NS6detail17trampoline_kernelINS0_14default_configENS1_38merge_sort_block_merge_config_selectorIiNS0_10empty_typeEEEZZNS1_27merge_sort_block_merge_implIS3_N6thrust23THRUST_200600_302600_NS6detail15normal_iteratorINS9_10device_ptrIiEEEEPS5_jNS1_19radix_merge_compareILb0ELb1EiNS0_19identity_decomposerEEEEE10hipError_tT0_T1_T2_jT3_P12ihipStream_tbPNSt15iterator_traitsISK_E10value_typeEPNSQ_ISL_E10value_typeEPSM_NS1_7vsmem_tEENKUlT_SK_SL_SM_E_clIPiSE_SF_SF_EESJ_SZ_SK_SL_SM_EUlSZ_E_NS1_11comp_targetILNS1_3genE8ELNS1_11target_archE1030ELNS1_3gpuE2ELNS1_3repE0EEENS1_48merge_mergepath_partition_config_static_selectorELNS0_4arch9wavefront6targetE1EEEvSL_, .Lfunc_end91-_ZN7rocprim17ROCPRIM_400000_NS6detail17trampoline_kernelINS0_14default_configENS1_38merge_sort_block_merge_config_selectorIiNS0_10empty_typeEEEZZNS1_27merge_sort_block_merge_implIS3_N6thrust23THRUST_200600_302600_NS6detail15normal_iteratorINS9_10device_ptrIiEEEEPS5_jNS1_19radix_merge_compareILb0ELb1EiNS0_19identity_decomposerEEEEE10hipError_tT0_T1_T2_jT3_P12ihipStream_tbPNSt15iterator_traitsISK_E10value_typeEPNSQ_ISL_E10value_typeEPSM_NS1_7vsmem_tEENKUlT_SK_SL_SM_E_clIPiSE_SF_SF_EESJ_SZ_SK_SL_SM_EUlSZ_E_NS1_11comp_targetILNS1_3genE8ELNS1_11target_archE1030ELNS1_3gpuE2ELNS1_3repE0EEENS1_48merge_mergepath_partition_config_static_selectorELNS0_4arch9wavefront6targetE1EEEvSL_
                                        ; -- End function
	.set _ZN7rocprim17ROCPRIM_400000_NS6detail17trampoline_kernelINS0_14default_configENS1_38merge_sort_block_merge_config_selectorIiNS0_10empty_typeEEEZZNS1_27merge_sort_block_merge_implIS3_N6thrust23THRUST_200600_302600_NS6detail15normal_iteratorINS9_10device_ptrIiEEEEPS5_jNS1_19radix_merge_compareILb0ELb1EiNS0_19identity_decomposerEEEEE10hipError_tT0_T1_T2_jT3_P12ihipStream_tbPNSt15iterator_traitsISK_E10value_typeEPNSQ_ISL_E10value_typeEPSM_NS1_7vsmem_tEENKUlT_SK_SL_SM_E_clIPiSE_SF_SF_EESJ_SZ_SK_SL_SM_EUlSZ_E_NS1_11comp_targetILNS1_3genE8ELNS1_11target_archE1030ELNS1_3gpuE2ELNS1_3repE0EEENS1_48merge_mergepath_partition_config_static_selectorELNS0_4arch9wavefront6targetE1EEEvSL_.num_vgpr, 0
	.set _ZN7rocprim17ROCPRIM_400000_NS6detail17trampoline_kernelINS0_14default_configENS1_38merge_sort_block_merge_config_selectorIiNS0_10empty_typeEEEZZNS1_27merge_sort_block_merge_implIS3_N6thrust23THRUST_200600_302600_NS6detail15normal_iteratorINS9_10device_ptrIiEEEEPS5_jNS1_19radix_merge_compareILb0ELb1EiNS0_19identity_decomposerEEEEE10hipError_tT0_T1_T2_jT3_P12ihipStream_tbPNSt15iterator_traitsISK_E10value_typeEPNSQ_ISL_E10value_typeEPSM_NS1_7vsmem_tEENKUlT_SK_SL_SM_E_clIPiSE_SF_SF_EESJ_SZ_SK_SL_SM_EUlSZ_E_NS1_11comp_targetILNS1_3genE8ELNS1_11target_archE1030ELNS1_3gpuE2ELNS1_3repE0EEENS1_48merge_mergepath_partition_config_static_selectorELNS0_4arch9wavefront6targetE1EEEvSL_.num_agpr, 0
	.set _ZN7rocprim17ROCPRIM_400000_NS6detail17trampoline_kernelINS0_14default_configENS1_38merge_sort_block_merge_config_selectorIiNS0_10empty_typeEEEZZNS1_27merge_sort_block_merge_implIS3_N6thrust23THRUST_200600_302600_NS6detail15normal_iteratorINS9_10device_ptrIiEEEEPS5_jNS1_19radix_merge_compareILb0ELb1EiNS0_19identity_decomposerEEEEE10hipError_tT0_T1_T2_jT3_P12ihipStream_tbPNSt15iterator_traitsISK_E10value_typeEPNSQ_ISL_E10value_typeEPSM_NS1_7vsmem_tEENKUlT_SK_SL_SM_E_clIPiSE_SF_SF_EESJ_SZ_SK_SL_SM_EUlSZ_E_NS1_11comp_targetILNS1_3genE8ELNS1_11target_archE1030ELNS1_3gpuE2ELNS1_3repE0EEENS1_48merge_mergepath_partition_config_static_selectorELNS0_4arch9wavefront6targetE1EEEvSL_.numbered_sgpr, 0
	.set _ZN7rocprim17ROCPRIM_400000_NS6detail17trampoline_kernelINS0_14default_configENS1_38merge_sort_block_merge_config_selectorIiNS0_10empty_typeEEEZZNS1_27merge_sort_block_merge_implIS3_N6thrust23THRUST_200600_302600_NS6detail15normal_iteratorINS9_10device_ptrIiEEEEPS5_jNS1_19radix_merge_compareILb0ELb1EiNS0_19identity_decomposerEEEEE10hipError_tT0_T1_T2_jT3_P12ihipStream_tbPNSt15iterator_traitsISK_E10value_typeEPNSQ_ISL_E10value_typeEPSM_NS1_7vsmem_tEENKUlT_SK_SL_SM_E_clIPiSE_SF_SF_EESJ_SZ_SK_SL_SM_EUlSZ_E_NS1_11comp_targetILNS1_3genE8ELNS1_11target_archE1030ELNS1_3gpuE2ELNS1_3repE0EEENS1_48merge_mergepath_partition_config_static_selectorELNS0_4arch9wavefront6targetE1EEEvSL_.num_named_barrier, 0
	.set _ZN7rocprim17ROCPRIM_400000_NS6detail17trampoline_kernelINS0_14default_configENS1_38merge_sort_block_merge_config_selectorIiNS0_10empty_typeEEEZZNS1_27merge_sort_block_merge_implIS3_N6thrust23THRUST_200600_302600_NS6detail15normal_iteratorINS9_10device_ptrIiEEEEPS5_jNS1_19radix_merge_compareILb0ELb1EiNS0_19identity_decomposerEEEEE10hipError_tT0_T1_T2_jT3_P12ihipStream_tbPNSt15iterator_traitsISK_E10value_typeEPNSQ_ISL_E10value_typeEPSM_NS1_7vsmem_tEENKUlT_SK_SL_SM_E_clIPiSE_SF_SF_EESJ_SZ_SK_SL_SM_EUlSZ_E_NS1_11comp_targetILNS1_3genE8ELNS1_11target_archE1030ELNS1_3gpuE2ELNS1_3repE0EEENS1_48merge_mergepath_partition_config_static_selectorELNS0_4arch9wavefront6targetE1EEEvSL_.private_seg_size, 0
	.set _ZN7rocprim17ROCPRIM_400000_NS6detail17trampoline_kernelINS0_14default_configENS1_38merge_sort_block_merge_config_selectorIiNS0_10empty_typeEEEZZNS1_27merge_sort_block_merge_implIS3_N6thrust23THRUST_200600_302600_NS6detail15normal_iteratorINS9_10device_ptrIiEEEEPS5_jNS1_19radix_merge_compareILb0ELb1EiNS0_19identity_decomposerEEEEE10hipError_tT0_T1_T2_jT3_P12ihipStream_tbPNSt15iterator_traitsISK_E10value_typeEPNSQ_ISL_E10value_typeEPSM_NS1_7vsmem_tEENKUlT_SK_SL_SM_E_clIPiSE_SF_SF_EESJ_SZ_SK_SL_SM_EUlSZ_E_NS1_11comp_targetILNS1_3genE8ELNS1_11target_archE1030ELNS1_3gpuE2ELNS1_3repE0EEENS1_48merge_mergepath_partition_config_static_selectorELNS0_4arch9wavefront6targetE1EEEvSL_.uses_vcc, 0
	.set _ZN7rocprim17ROCPRIM_400000_NS6detail17trampoline_kernelINS0_14default_configENS1_38merge_sort_block_merge_config_selectorIiNS0_10empty_typeEEEZZNS1_27merge_sort_block_merge_implIS3_N6thrust23THRUST_200600_302600_NS6detail15normal_iteratorINS9_10device_ptrIiEEEEPS5_jNS1_19radix_merge_compareILb0ELb1EiNS0_19identity_decomposerEEEEE10hipError_tT0_T1_T2_jT3_P12ihipStream_tbPNSt15iterator_traitsISK_E10value_typeEPNSQ_ISL_E10value_typeEPSM_NS1_7vsmem_tEENKUlT_SK_SL_SM_E_clIPiSE_SF_SF_EESJ_SZ_SK_SL_SM_EUlSZ_E_NS1_11comp_targetILNS1_3genE8ELNS1_11target_archE1030ELNS1_3gpuE2ELNS1_3repE0EEENS1_48merge_mergepath_partition_config_static_selectorELNS0_4arch9wavefront6targetE1EEEvSL_.uses_flat_scratch, 0
	.set _ZN7rocprim17ROCPRIM_400000_NS6detail17trampoline_kernelINS0_14default_configENS1_38merge_sort_block_merge_config_selectorIiNS0_10empty_typeEEEZZNS1_27merge_sort_block_merge_implIS3_N6thrust23THRUST_200600_302600_NS6detail15normal_iteratorINS9_10device_ptrIiEEEEPS5_jNS1_19radix_merge_compareILb0ELb1EiNS0_19identity_decomposerEEEEE10hipError_tT0_T1_T2_jT3_P12ihipStream_tbPNSt15iterator_traitsISK_E10value_typeEPNSQ_ISL_E10value_typeEPSM_NS1_7vsmem_tEENKUlT_SK_SL_SM_E_clIPiSE_SF_SF_EESJ_SZ_SK_SL_SM_EUlSZ_E_NS1_11comp_targetILNS1_3genE8ELNS1_11target_archE1030ELNS1_3gpuE2ELNS1_3repE0EEENS1_48merge_mergepath_partition_config_static_selectorELNS0_4arch9wavefront6targetE1EEEvSL_.has_dyn_sized_stack, 0
	.set _ZN7rocprim17ROCPRIM_400000_NS6detail17trampoline_kernelINS0_14default_configENS1_38merge_sort_block_merge_config_selectorIiNS0_10empty_typeEEEZZNS1_27merge_sort_block_merge_implIS3_N6thrust23THRUST_200600_302600_NS6detail15normal_iteratorINS9_10device_ptrIiEEEEPS5_jNS1_19radix_merge_compareILb0ELb1EiNS0_19identity_decomposerEEEEE10hipError_tT0_T1_T2_jT3_P12ihipStream_tbPNSt15iterator_traitsISK_E10value_typeEPNSQ_ISL_E10value_typeEPSM_NS1_7vsmem_tEENKUlT_SK_SL_SM_E_clIPiSE_SF_SF_EESJ_SZ_SK_SL_SM_EUlSZ_E_NS1_11comp_targetILNS1_3genE8ELNS1_11target_archE1030ELNS1_3gpuE2ELNS1_3repE0EEENS1_48merge_mergepath_partition_config_static_selectorELNS0_4arch9wavefront6targetE1EEEvSL_.has_recursion, 0
	.set _ZN7rocprim17ROCPRIM_400000_NS6detail17trampoline_kernelINS0_14default_configENS1_38merge_sort_block_merge_config_selectorIiNS0_10empty_typeEEEZZNS1_27merge_sort_block_merge_implIS3_N6thrust23THRUST_200600_302600_NS6detail15normal_iteratorINS9_10device_ptrIiEEEEPS5_jNS1_19radix_merge_compareILb0ELb1EiNS0_19identity_decomposerEEEEE10hipError_tT0_T1_T2_jT3_P12ihipStream_tbPNSt15iterator_traitsISK_E10value_typeEPNSQ_ISL_E10value_typeEPSM_NS1_7vsmem_tEENKUlT_SK_SL_SM_E_clIPiSE_SF_SF_EESJ_SZ_SK_SL_SM_EUlSZ_E_NS1_11comp_targetILNS1_3genE8ELNS1_11target_archE1030ELNS1_3gpuE2ELNS1_3repE0EEENS1_48merge_mergepath_partition_config_static_selectorELNS0_4arch9wavefront6targetE1EEEvSL_.has_indirect_call, 0
	.section	.AMDGPU.csdata,"",@progbits
; Kernel info:
; codeLenInByte = 0
; TotalNumSgprs: 6
; NumVgprs: 0
; NumAgprs: 0
; TotalNumVgprs: 0
; ScratchSize: 0
; MemoryBound: 0
; FloatMode: 240
; IeeeMode: 1
; LDSByteSize: 0 bytes/workgroup (compile time only)
; SGPRBlocks: 0
; VGPRBlocks: 0
; NumSGPRsForWavesPerEU: 6
; NumVGPRsForWavesPerEU: 1
; AccumOffset: 4
; Occupancy: 8
; WaveLimiterHint : 0
; COMPUTE_PGM_RSRC2:SCRATCH_EN: 0
; COMPUTE_PGM_RSRC2:USER_SGPR: 2
; COMPUTE_PGM_RSRC2:TRAP_HANDLER: 0
; COMPUTE_PGM_RSRC2:TGID_X_EN: 1
; COMPUTE_PGM_RSRC2:TGID_Y_EN: 0
; COMPUTE_PGM_RSRC2:TGID_Z_EN: 0
; COMPUTE_PGM_RSRC2:TIDIG_COMP_CNT: 0
; COMPUTE_PGM_RSRC3_GFX90A:ACCUM_OFFSET: 0
; COMPUTE_PGM_RSRC3_GFX90A:TG_SPLIT: 0
	.section	.text._ZN7rocprim17ROCPRIM_400000_NS6detail17trampoline_kernelINS0_14default_configENS1_38merge_sort_block_merge_config_selectorIiNS0_10empty_typeEEEZZNS1_27merge_sort_block_merge_implIS3_N6thrust23THRUST_200600_302600_NS6detail15normal_iteratorINS9_10device_ptrIiEEEEPS5_jNS1_19radix_merge_compareILb0ELb1EiNS0_19identity_decomposerEEEEE10hipError_tT0_T1_T2_jT3_P12ihipStream_tbPNSt15iterator_traitsISK_E10value_typeEPNSQ_ISL_E10value_typeEPSM_NS1_7vsmem_tEENKUlT_SK_SL_SM_E_clIPiSE_SF_SF_EESJ_SZ_SK_SL_SM_EUlSZ_E0_NS1_11comp_targetILNS1_3genE0ELNS1_11target_archE4294967295ELNS1_3gpuE0ELNS1_3repE0EEENS1_38merge_mergepath_config_static_selectorELNS0_4arch9wavefront6targetE1EEEvSL_,"axG",@progbits,_ZN7rocprim17ROCPRIM_400000_NS6detail17trampoline_kernelINS0_14default_configENS1_38merge_sort_block_merge_config_selectorIiNS0_10empty_typeEEEZZNS1_27merge_sort_block_merge_implIS3_N6thrust23THRUST_200600_302600_NS6detail15normal_iteratorINS9_10device_ptrIiEEEEPS5_jNS1_19radix_merge_compareILb0ELb1EiNS0_19identity_decomposerEEEEE10hipError_tT0_T1_T2_jT3_P12ihipStream_tbPNSt15iterator_traitsISK_E10value_typeEPNSQ_ISL_E10value_typeEPSM_NS1_7vsmem_tEENKUlT_SK_SL_SM_E_clIPiSE_SF_SF_EESJ_SZ_SK_SL_SM_EUlSZ_E0_NS1_11comp_targetILNS1_3genE0ELNS1_11target_archE4294967295ELNS1_3gpuE0ELNS1_3repE0EEENS1_38merge_mergepath_config_static_selectorELNS0_4arch9wavefront6targetE1EEEvSL_,comdat
	.protected	_ZN7rocprim17ROCPRIM_400000_NS6detail17trampoline_kernelINS0_14default_configENS1_38merge_sort_block_merge_config_selectorIiNS0_10empty_typeEEEZZNS1_27merge_sort_block_merge_implIS3_N6thrust23THRUST_200600_302600_NS6detail15normal_iteratorINS9_10device_ptrIiEEEEPS5_jNS1_19radix_merge_compareILb0ELb1EiNS0_19identity_decomposerEEEEE10hipError_tT0_T1_T2_jT3_P12ihipStream_tbPNSt15iterator_traitsISK_E10value_typeEPNSQ_ISL_E10value_typeEPSM_NS1_7vsmem_tEENKUlT_SK_SL_SM_E_clIPiSE_SF_SF_EESJ_SZ_SK_SL_SM_EUlSZ_E0_NS1_11comp_targetILNS1_3genE0ELNS1_11target_archE4294967295ELNS1_3gpuE0ELNS1_3repE0EEENS1_38merge_mergepath_config_static_selectorELNS0_4arch9wavefront6targetE1EEEvSL_ ; -- Begin function _ZN7rocprim17ROCPRIM_400000_NS6detail17trampoline_kernelINS0_14default_configENS1_38merge_sort_block_merge_config_selectorIiNS0_10empty_typeEEEZZNS1_27merge_sort_block_merge_implIS3_N6thrust23THRUST_200600_302600_NS6detail15normal_iteratorINS9_10device_ptrIiEEEEPS5_jNS1_19radix_merge_compareILb0ELb1EiNS0_19identity_decomposerEEEEE10hipError_tT0_T1_T2_jT3_P12ihipStream_tbPNSt15iterator_traitsISK_E10value_typeEPNSQ_ISL_E10value_typeEPSM_NS1_7vsmem_tEENKUlT_SK_SL_SM_E_clIPiSE_SF_SF_EESJ_SZ_SK_SL_SM_EUlSZ_E0_NS1_11comp_targetILNS1_3genE0ELNS1_11target_archE4294967295ELNS1_3gpuE0ELNS1_3repE0EEENS1_38merge_mergepath_config_static_selectorELNS0_4arch9wavefront6targetE1EEEvSL_
	.globl	_ZN7rocprim17ROCPRIM_400000_NS6detail17trampoline_kernelINS0_14default_configENS1_38merge_sort_block_merge_config_selectorIiNS0_10empty_typeEEEZZNS1_27merge_sort_block_merge_implIS3_N6thrust23THRUST_200600_302600_NS6detail15normal_iteratorINS9_10device_ptrIiEEEEPS5_jNS1_19radix_merge_compareILb0ELb1EiNS0_19identity_decomposerEEEEE10hipError_tT0_T1_T2_jT3_P12ihipStream_tbPNSt15iterator_traitsISK_E10value_typeEPNSQ_ISL_E10value_typeEPSM_NS1_7vsmem_tEENKUlT_SK_SL_SM_E_clIPiSE_SF_SF_EESJ_SZ_SK_SL_SM_EUlSZ_E0_NS1_11comp_targetILNS1_3genE0ELNS1_11target_archE4294967295ELNS1_3gpuE0ELNS1_3repE0EEENS1_38merge_mergepath_config_static_selectorELNS0_4arch9wavefront6targetE1EEEvSL_
	.p2align	8
	.type	_ZN7rocprim17ROCPRIM_400000_NS6detail17trampoline_kernelINS0_14default_configENS1_38merge_sort_block_merge_config_selectorIiNS0_10empty_typeEEEZZNS1_27merge_sort_block_merge_implIS3_N6thrust23THRUST_200600_302600_NS6detail15normal_iteratorINS9_10device_ptrIiEEEEPS5_jNS1_19radix_merge_compareILb0ELb1EiNS0_19identity_decomposerEEEEE10hipError_tT0_T1_T2_jT3_P12ihipStream_tbPNSt15iterator_traitsISK_E10value_typeEPNSQ_ISL_E10value_typeEPSM_NS1_7vsmem_tEENKUlT_SK_SL_SM_E_clIPiSE_SF_SF_EESJ_SZ_SK_SL_SM_EUlSZ_E0_NS1_11comp_targetILNS1_3genE0ELNS1_11target_archE4294967295ELNS1_3gpuE0ELNS1_3repE0EEENS1_38merge_mergepath_config_static_selectorELNS0_4arch9wavefront6targetE1EEEvSL_,@function
_ZN7rocprim17ROCPRIM_400000_NS6detail17trampoline_kernelINS0_14default_configENS1_38merge_sort_block_merge_config_selectorIiNS0_10empty_typeEEEZZNS1_27merge_sort_block_merge_implIS3_N6thrust23THRUST_200600_302600_NS6detail15normal_iteratorINS9_10device_ptrIiEEEEPS5_jNS1_19radix_merge_compareILb0ELb1EiNS0_19identity_decomposerEEEEE10hipError_tT0_T1_T2_jT3_P12ihipStream_tbPNSt15iterator_traitsISK_E10value_typeEPNSQ_ISL_E10value_typeEPSM_NS1_7vsmem_tEENKUlT_SK_SL_SM_E_clIPiSE_SF_SF_EESJ_SZ_SK_SL_SM_EUlSZ_E0_NS1_11comp_targetILNS1_3genE0ELNS1_11target_archE4294967295ELNS1_3gpuE0ELNS1_3repE0EEENS1_38merge_mergepath_config_static_selectorELNS0_4arch9wavefront6targetE1EEEvSL_: ; @_ZN7rocprim17ROCPRIM_400000_NS6detail17trampoline_kernelINS0_14default_configENS1_38merge_sort_block_merge_config_selectorIiNS0_10empty_typeEEEZZNS1_27merge_sort_block_merge_implIS3_N6thrust23THRUST_200600_302600_NS6detail15normal_iteratorINS9_10device_ptrIiEEEEPS5_jNS1_19radix_merge_compareILb0ELb1EiNS0_19identity_decomposerEEEEE10hipError_tT0_T1_T2_jT3_P12ihipStream_tbPNSt15iterator_traitsISK_E10value_typeEPNSQ_ISL_E10value_typeEPSM_NS1_7vsmem_tEENKUlT_SK_SL_SM_E_clIPiSE_SF_SF_EESJ_SZ_SK_SL_SM_EUlSZ_E0_NS1_11comp_targetILNS1_3genE0ELNS1_11target_archE4294967295ELNS1_3gpuE0ELNS1_3repE0EEENS1_38merge_mergepath_config_static_selectorELNS0_4arch9wavefront6targetE1EEEvSL_
; %bb.0:
	s_load_dwordx2 s[12:13], s[0:1], 0x40
	s_load_dwordx2 s[16:17], s[0:1], 0x30
	s_add_u32 s8, s0, 64
	s_addc_u32 s9, s1, 0
	s_waitcnt lgkmcnt(0)
	s_mul_i32 s4, s13, s4
	s_add_i32 s3, s4, s3
	s_mul_i32 s3, s3, s12
	s_add_i32 s10, s3, s2
	s_cmp_ge_u32 s10, s16
	s_cbranch_scc1 .LBB92_43
; %bb.1:
	s_load_dwordx2 s[14:15], s[0:1], 0x28
	s_load_dwordx2 s[4:5], s[0:1], 0x38
	;; [unrolled: 1-line block ×3, first 2 shown]
	s_mov_b32 s11, 0
	s_mov_b32 s23, s11
	s_waitcnt lgkmcnt(0)
	s_lshr_b32 s24, s14, 10
	s_cmp_lg_u32 s10, s24
	s_cselect_b64 s[18:19], -1, 0
	s_lshl_b64 s[20:21], s[10:11], 2
	s_add_u32 s4, s4, s20
	s_addc_u32 s5, s5, s21
	s_lshr_b32 s3, s15, 9
	s_and_b32 s3, s3, 0x7ffffe
	s_load_dwordx2 s[20:21], s[4:5], 0x0
	s_sub_i32 s3, 0, s3
	s_and_b32 s4, s10, s3
	s_lshl_b32 s5, s4, 10
	s_lshl_b32 s16, s10, 10
	;; [unrolled: 1-line block ×3, first 2 shown]
	s_sub_i32 s13, s16, s5
	s_add_i32 s4, s4, s15
	s_add_i32 s13, s4, s13
	s_waitcnt lgkmcnt(0)
	s_sub_i32 s22, s13, s20
	s_sub_i32 s13, s13, s21
	;; [unrolled: 1-line block ×3, first 2 shown]
	s_min_u32 s22, s14, s22
	s_addk_i32 s13, 0x400
	s_or_b32 s3, s10, s3
	s_min_u32 s5, s14, s4
	s_add_i32 s4, s4, s15
	s_cmp_eq_u32 s3, -1
	s_cselect_b32 s3, s4, s13
	s_cselect_b32 s4, s5, s21
	s_min_u32 s3, s3, s14
	s_mov_b32 s21, s11
	s_sub_i32 s15, s4, s20
	s_sub_i32 s13, s3, s22
	s_lshl_b64 s[4:5], s[20:21], 2
	s_add_u32 s4, s6, s4
	s_addc_u32 s5, s7, s5
	s_lshl_b64 s[20:21], s[22:23], 2
	s_add_u32 s6, s6, s20
	s_addc_u32 s7, s7, s21
	s_cmp_lt_u32 s2, s12
	v_mov_b32_e32 v11, 0
	s_cselect_b32 s2, 12, 18
	global_load_dword v1, v11, s[8:9] offset:14
	s_add_u32 s2, s8, s2
	s_addc_u32 s3, s9, 0
	global_load_ushort v2, v11, s[2:3]
	s_cmp_eq_u32 s10, s24
	v_lshlrev_b32_e32 v10, 2, v0
	s_waitcnt vmcnt(1)
	v_lshrrev_b32_e32 v3, 16, v1
	v_and_b32_e32 v1, 0xffff, v1
	v_mul_lo_u32 v1, v1, v3
	s_waitcnt vmcnt(0)
	v_mul_lo_u32 v1, v1, v2
	v_add_u32_e32 v14, v1, v0
	v_add_u32_e32 v12, v14, v1
	s_cbranch_scc1 .LBB92_3
; %bb.2:
	v_subrev_co_u32_e32 v4, vcc, s15, v0
	v_mov_b32_e32 v5, v11
	v_lshl_add_u64 v[2:3], s[4:5], 0, v[10:11]
	v_lshl_add_u64 v[4:5], v[4:5], 2, s[6:7]
	v_cndmask_b32_e32 v3, v5, v3, vcc
	v_cndmask_b32_e32 v2, v4, v2, vcc
	v_mov_b32_e32 v15, v11
	v_subrev_co_u32_e32 v6, vcc, s15, v14
	v_mov_b32_e32 v7, v11
	v_lshl_add_u64 v[4:5], v[14:15], 2, s[4:5]
	v_lshl_add_u64 v[6:7], v[6:7], 2, s[6:7]
	v_cndmask_b32_e32 v5, v7, v5, vcc
	v_cndmask_b32_e32 v4, v6, v4, vcc
	v_mov_b32_e32 v13, v11
	v_subrev_co_u32_e32 v6, vcc, s15, v12
	v_mov_b32_e32 v7, v11
	global_load_dword v2, v[2:3], off
	v_lshl_add_u64 v[6:7], v[6:7], 2, s[6:7]
	global_load_dword v3, v[4:5], off
	v_lshl_add_u64 v[4:5], v[12:13], 2, s[4:5]
	v_cndmask_b32_e32 v4, v6, v4, vcc
	v_add_u32_e32 v6, v12, v1
	v_cndmask_b32_e32 v5, v7, v5, vcc
	v_mov_b32_e32 v7, v11
	v_subrev_co_u32_e32 v16, vcc, s15, v6
	v_mov_b32_e32 v17, v11
	v_lshl_add_u64 v[8:9], v[6:7], 2, s[4:5]
	v_lshl_add_u64 v[16:17], v[16:17], 2, s[6:7]
	v_cndmask_b32_e32 v9, v17, v9, vcc
	v_cndmask_b32_e32 v8, v16, v8, vcc
	global_load_dword v4, v[4:5], off
	v_mov_b32_e32 v17, v11
	global_load_dword v5, v[8:9], off
	v_add_u32_e32 v8, v6, v1
	v_mov_b32_e32 v9, v11
	v_subrev_co_u32_e32 v16, vcc, s15, v8
	v_lshl_add_u64 v[6:7], v[8:9], 2, s[4:5]
	v_lshl_add_u64 v[16:17], v[16:17], 2, s[6:7]
	v_add_u32_e32 v8, v8, v1
	v_cndmask_b32_e32 v7, v17, v7, vcc
	v_cndmask_b32_e32 v6, v16, v6, vcc
	v_subrev_co_u32_e32 v18, vcc, s15, v8
	v_mov_b32_e32 v19, v11
	v_lshl_add_u64 v[16:17], v[8:9], 2, s[4:5]
	v_lshl_add_u64 v[18:19], v[18:19], 2, s[6:7]
	v_cndmask_b32_e32 v17, v19, v17, vcc
	v_cndmask_b32_e32 v16, v18, v16, vcc
	global_load_dword v6, v[6:7], off
	v_mov_b32_e32 v19, v11
	global_load_dword v7, v[16:17], off
	v_add_u32_e32 v16, v8, v1
	v_mov_b32_e32 v17, v11
	v_subrev_co_u32_e32 v18, vcc, s15, v16
	v_lshl_add_u64 v[8:9], v[16:17], 2, s[4:5]
	v_lshl_add_u64 v[18:19], v[18:19], 2, s[6:7]
	v_add_u32_e32 v16, v16, v1
	v_cndmask_b32_e32 v9, v19, v9, vcc
	v_cndmask_b32_e32 v8, v18, v8, vcc
	v_lshl_add_u64 v[18:19], v[16:17], 2, s[4:5]
	v_subrev_co_u32_e32 v16, vcc, s15, v16
	v_lshl_add_u64 v[16:17], v[16:17], 2, s[6:7]
	s_nop 0
	v_cndmask_b32_e32 v17, v17, v19, vcc
	v_cndmask_b32_e32 v16, v16, v18, vcc
	global_load_dword v8, v[8:9], off
	s_add_i32 s24, s13, s15
	global_load_dword v9, v[16:17], off
	s_load_dwordx2 s[20:21], s[0:1], 0x10
	s_cbranch_execz .LBB92_4
	s_branch .LBB92_19
.LBB92_3:
                                        ; implicit-def: $vgpr2_vgpr3_vgpr4_vgpr5_vgpr6_vgpr7_vgpr8_vgpr9
                                        ; implicit-def: $sgpr24
	s_load_dwordx2 s[20:21], s[0:1], 0x10
.LBB92_4:
	s_add_i32 s24, s13, s15
	s_waitcnt vmcnt(7)
	v_mov_b32_e32 v2, 0
	v_cmp_gt_u32_e32 vcc, s24, v0
	s_waitcnt vmcnt(6)
	v_mov_b32_e32 v3, v2
	s_waitcnt vmcnt(5)
	v_mov_b32_e32 v4, v2
	;; [unrolled: 2-line block ×7, first 2 shown]
	s_and_saveexec_b64 s[0:1], vcc
	s_cbranch_execnz .LBB92_44
; %bb.5:
	s_or_b64 exec, exec, s[0:1]
	v_cmp_gt_u32_e32 vcc, s24, v14
	s_and_saveexec_b64 s[0:1], vcc
	s_cbranch_execnz .LBB92_45
.LBB92_6:
	s_or_b64 exec, exec, s[0:1]
	v_cmp_gt_u32_e32 vcc, s24, v12
	s_and_saveexec_b64 s[0:1], vcc
	s_cbranch_execz .LBB92_8
.LBB92_7:
	v_mov_b32_e32 v13, 0
	v_subrev_co_u32_e32 v16, vcc, s15, v12
	v_mov_b32_e32 v17, v13
	v_lshl_add_u64 v[14:15], v[12:13], 2, s[4:5]
	v_lshl_add_u64 v[16:17], v[16:17], 2, s[6:7]
	v_cndmask_b32_e32 v15, v17, v15, vcc
	v_cndmask_b32_e32 v14, v16, v14, vcc
	global_load_dword v4, v[14:15], off
.LBB92_8:
	s_or_b64 exec, exec, s[0:1]
	v_add_u32_e32 v12, v12, v1
	v_cmp_gt_u32_e32 vcc, s24, v12
	s_and_saveexec_b64 s[0:1], vcc
	s_cbranch_execz .LBB92_10
; %bb.9:
	v_mov_b32_e32 v13, 0
	v_subrev_co_u32_e32 v16, vcc, s15, v12
	v_mov_b32_e32 v17, v13
	v_lshl_add_u64 v[14:15], v[12:13], 2, s[4:5]
	v_lshl_add_u64 v[16:17], v[16:17], 2, s[6:7]
	v_cndmask_b32_e32 v15, v17, v15, vcc
	v_cndmask_b32_e32 v14, v16, v14, vcc
	global_load_dword v5, v[14:15], off
.LBB92_10:
	s_or_b64 exec, exec, s[0:1]
	v_add_u32_e32 v12, v12, v1
	v_cmp_gt_u32_e32 vcc, s24, v12
	s_and_saveexec_b64 s[0:1], vcc
	s_cbranch_execz .LBB92_12
; %bb.11:
	v_mov_b32_e32 v13, 0
	v_subrev_co_u32_e32 v16, vcc, s15, v12
	v_mov_b32_e32 v17, v13
	v_lshl_add_u64 v[14:15], v[12:13], 2, s[4:5]
	v_lshl_add_u64 v[16:17], v[16:17], 2, s[6:7]
	v_cndmask_b32_e32 v15, v17, v15, vcc
	v_cndmask_b32_e32 v14, v16, v14, vcc
	global_load_dword v6, v[14:15], off
.LBB92_12:
	;; [unrolled: 15-line block ×4, first 2 shown]
	s_or_b64 exec, exec, s[0:1]
	v_add_u32_e32 v12, v12, v1
	v_cmp_gt_u32_e32 vcc, s24, v12
	s_and_saveexec_b64 s[0:1], vcc
	s_cbranch_execz .LBB92_18
; %bb.17:
	v_mov_b32_e32 v13, 0
	v_lshl_add_u64 v[14:15], v[12:13], 2, s[4:5]
	v_subrev_co_u32_e32 v12, vcc, s15, v12
	v_lshl_add_u64 v[12:13], v[12:13], 2, s[6:7]
	s_nop 0
	v_cndmask_b32_e32 v13, v13, v15, vcc
	v_cndmask_b32_e32 v12, v12, v14, vcc
	global_load_dword v9, v[12:13], off
.LBB92_18:
	s_or_b64 exec, exec, s[0:1]
.LBB92_19:
	v_lshlrev_b32_e32 v1, 3, v0
	v_min_u32_e32 v12, s24, v1
	v_sub_u32_e64 v11, v12, s13 clamp
	v_min_u32_e32 v13, s15, v12
	v_cmp_lt_u32_e32 vcc, v11, v13
	s_waitcnt vmcnt(0)
	ds_write2st64_b32 v10, v2, v3 offset1:2
	ds_write2st64_b32 v10, v4, v5 offset0:4 offset1:6
	ds_write2st64_b32 v10, v6, v7 offset0:8 offset1:10
	;; [unrolled: 1-line block ×3, first 2 shown]
	s_waitcnt lgkmcnt(0)
	s_barrier
	s_and_saveexec_b64 s[0:1], vcc
	s_cbranch_execz .LBB92_23
; %bb.20:
	v_lshlrev_b32_e32 v14, 2, v12
	v_lshl_add_u32 v14, s15, 2, v14
	s_mov_b64 s[2:3], 0
.LBB92_21:                              ; =>This Inner Loop Header: Depth=1
	v_add_u32_e32 v15, v13, v11
	v_lshrrev_b32_e32 v15, 1, v15
	v_not_b32_e32 v16, v15
	v_lshlrev_b32_e32 v17, 2, v15
	v_lshl_add_u32 v16, v16, 2, v14
	ds_read_b32 v17, v17
	ds_read_b32 v16, v16
	v_add_u32_e32 v18, 1, v15
	s_waitcnt lgkmcnt(1)
	v_and_b32_e32 v17, s17, v17
	s_waitcnt lgkmcnt(0)
	v_and_b32_e32 v16, s17, v16
	v_cmp_gt_i32_e32 vcc, v17, v16
	s_nop 1
	v_cndmask_b32_e32 v13, v13, v15, vcc
	v_cndmask_b32_e32 v11, v18, v11, vcc
	v_cmp_ge_u32_e32 vcc, v11, v13
	s_or_b64 s[2:3], vcc, s[2:3]
	s_andn2_b64 exec, exec, s[2:3]
	s_cbranch_execnz .LBB92_21
; %bb.22:
	s_or_b64 exec, exec, s[2:3]
.LBB92_23:
	s_or_b64 exec, exec, s[0:1]
	v_sub_u32_e32 v12, v12, v11
	v_add_u32_e32 v12, s15, v12
	v_cmp_ge_u32_e32 vcc, s15, v11
	v_cmp_ge_u32_e64 s[0:1], s24, v12
	s_or_b64 s[0:1], vcc, s[0:1]
	s_and_saveexec_b64 s[22:23], s[0:1]
	s_cbranch_execz .LBB92_29
; %bb.24:
	v_cmp_gt_u32_e32 vcc, s15, v11
                                        ; implicit-def: $vgpr2
	s_and_saveexec_b64 s[0:1], vcc
; %bb.25:
	v_lshlrev_b32_e32 v2, 2, v11
	ds_read_b32 v2, v2
; %bb.26:
	s_or_b64 exec, exec, s[0:1]
	v_cmp_le_u32_e64 s[0:1], s24, v12
	v_cmp_gt_u32_e64 s[2:3], s24, v12
                                        ; implicit-def: $vgpr3
	s_and_saveexec_b64 s[4:5], s[2:3]
; %bb.27:
	v_lshlrev_b32_e32 v3, 2, v12
	ds_read_b32 v3, v3
; %bb.28:
	s_or_b64 exec, exec, s[4:5]
	s_waitcnt lgkmcnt(0)
	v_and_b32_e32 v4, s17, v3
	v_and_b32_e32 v5, s17, v2
	v_cmp_le_i32_e64 s[2:3], v5, v4
	s_and_b64 s[2:3], vcc, s[2:3]
	s_or_b64 vcc, s[0:1], s[2:3]
	v_mov_b32_e32 v5, s24
	v_mov_b32_e32 v6, s15
	v_cndmask_b32_e32 v4, v12, v11, vcc
	v_cndmask_b32_e32 v7, v5, v6, vcc
	v_add_u32_e32 v4, 1, v4
	v_add_u32_e32 v7, -1, v7
	v_min_u32_e32 v7, v4, v7
	v_lshlrev_b32_e32 v7, 2, v7
	ds_read_b32 v7, v7
	v_cndmask_b32_e32 v9, v4, v12, vcc
	v_cndmask_b32_e32 v4, v11, v4, vcc
	v_cmp_gt_u32_e64 s[2:3], s15, v4
	v_cmp_le_u32_e64 s[0:1], s24, v9
	s_waitcnt lgkmcnt(0)
	v_cndmask_b32_e32 v8, v7, v3, vcc
	v_cndmask_b32_e32 v7, v2, v7, vcc
	v_and_b32_e32 v11, s17, v8
	v_and_b32_e32 v12, s17, v7
	v_cmp_le_i32_e64 s[4:5], v12, v11
	s_and_b64 s[2:3], s[2:3], s[4:5]
	s_or_b64 s[0:1], s[0:1], s[2:3]
	v_cndmask_b32_e64 v11, v9, v4, s[0:1]
	v_cndmask_b32_e64 v12, v5, v6, s[0:1]
	v_add_u32_e32 v11, 1, v11
	v_add_u32_e32 v12, -1, v12
	v_min_u32_e32 v12, v11, v12
	v_lshlrev_b32_e32 v12, 2, v12
	ds_read_b32 v12, v12
	v_cndmask_b32_e64 v9, v11, v9, s[0:1]
	v_cndmask_b32_e64 v4, v4, v11, s[0:1]
	v_cmp_gt_u32_e64 s[4:5], s15, v4
	v_cmp_le_u32_e64 s[2:3], s24, v9
	s_waitcnt lgkmcnt(0)
	v_cndmask_b32_e64 v13, v12, v8, s[0:1]
	v_cndmask_b32_e64 v12, v7, v12, s[0:1]
	v_and_b32_e32 v11, s17, v13
	v_and_b32_e32 v14, s17, v12
	v_cmp_le_i32_e64 s[6:7], v14, v11
	s_and_b64 s[4:5], s[4:5], s[6:7]
	s_or_b64 s[2:3], s[2:3], s[4:5]
	v_cndmask_b32_e64 v11, v9, v4, s[2:3]
	v_cndmask_b32_e64 v14, v5, v6, s[2:3]
	v_add_u32_e32 v11, 1, v11
	v_add_u32_e32 v14, -1, v14
	v_min_u32_e32 v14, v11, v14
	v_lshlrev_b32_e32 v14, 2, v14
	ds_read_b32 v14, v14
	v_cndmask_b32_e64 v9, v11, v9, s[2:3]
	v_cndmask_b32_e64 v4, v4, v11, s[2:3]
	v_cmp_gt_u32_e64 s[6:7], s15, v4
	v_cmp_le_u32_e64 s[4:5], s24, v9
	s_waitcnt lgkmcnt(0)
	v_cndmask_b32_e64 v15, v14, v13, s[2:3]
	v_cndmask_b32_e64 v14, v12, v14, s[2:3]
	v_and_b32_e32 v11, s17, v15
	v_and_b32_e32 v16, s17, v14
	v_cmp_le_i32_e64 s[8:9], v16, v11
	s_and_b64 s[6:7], s[6:7], s[8:9]
	s_or_b64 s[4:5], s[4:5], s[6:7]
	v_cndmask_b32_e64 v11, v9, v4, s[4:5]
	v_cndmask_b32_e64 v16, v5, v6, s[4:5]
	v_add_u32_e32 v11, 1, v11
	v_add_u32_e32 v16, -1, v16
	v_min_u32_e32 v16, v11, v16
	v_lshlrev_b32_e32 v16, 2, v16
	ds_read_b32 v16, v16
	v_cndmask_b32_e64 v9, v11, v9, s[4:5]
	v_cndmask_b32_e64 v4, v4, v11, s[4:5]
	v_cmp_gt_u32_e64 s[8:9], s15, v4
	v_cmp_le_u32_e64 s[6:7], s24, v9
	s_waitcnt lgkmcnt(0)
	v_cndmask_b32_e64 v17, v16, v15, s[4:5]
	v_cndmask_b32_e64 v16, v14, v16, s[4:5]
	v_and_b32_e32 v11, s17, v17
	v_and_b32_e32 v18, s17, v16
	v_cmp_le_i32_e64 s[10:11], v18, v11
	s_and_b64 s[8:9], s[8:9], s[10:11]
	s_or_b64 s[6:7], s[6:7], s[8:9]
	v_cndmask_b32_e64 v11, v9, v4, s[6:7]
	v_cndmask_b32_e64 v18, v5, v6, s[6:7]
	v_add_u32_e32 v11, 1, v11
	v_add_u32_e32 v18, -1, v18
	v_min_u32_e32 v18, v11, v18
	v_lshlrev_b32_e32 v18, 2, v18
	ds_read_b32 v18, v18
	v_cndmask_b32_e64 v9, v11, v9, s[6:7]
	v_cndmask_b32_e64 v11, v4, v11, s[6:7]
	v_cmp_gt_u32_e64 s[10:11], s15, v11
	v_cmp_le_u32_e64 s[8:9], s24, v9
	s_waitcnt lgkmcnt(0)
	v_cndmask_b32_e64 v19, v18, v17, s[6:7]
	v_cndmask_b32_e64 v18, v16, v18, s[6:7]
	v_and_b32_e32 v4, s17, v19
	v_and_b32_e32 v20, s17, v18
	v_cmp_le_i32_e64 s[12:13], v20, v4
	s_and_b64 s[10:11], s[10:11], s[12:13]
	s_or_b64 s[8:9], s[8:9], s[10:11]
	v_cndmask_b32_e64 v4, v9, v11, s[8:9]
	v_cndmask_b32_e64 v20, v5, v6, s[8:9]
	v_add_u32_e32 v21, 1, v4
	v_add_u32_e32 v4, -1, v20
	v_min_u32_e32 v4, v21, v4
	v_lshlrev_b32_e32 v4, 2, v4
	ds_read_b32 v20, v4
	v_cndmask_b32_e64 v4, v13, v12, s[2:3]
	v_cndmask_b32_e32 v2, v3, v2, vcc
	v_cndmask_b32_e64 v3, v8, v7, s[0:1]
	v_cndmask_b32_e64 v11, v11, v21, s[8:9]
	s_waitcnt lgkmcnt(0)
	v_cndmask_b32_e64 v12, v20, v19, s[8:9]
	v_cndmask_b32_e64 v13, v18, v20, s[8:9]
	v_and_b32_e32 v7, s17, v12
	v_and_b32_e32 v8, s17, v13
	v_cndmask_b32_e64 v9, v21, v9, s[8:9]
	v_cmp_gt_u32_e64 s[0:1], s15, v11
	v_cmp_le_i32_e64 s[2:3], v8, v7
	v_cmp_le_u32_e32 vcc, s24, v9
	s_and_b64 s[0:1], s[0:1], s[2:3]
	s_or_b64 vcc, vcc, s[0:1]
	v_cndmask_b32_e32 v7, v9, v11, vcc
	v_cndmask_b32_e32 v5, v5, v6, vcc
	v_add_u32_e32 v20, 1, v7
	v_add_u32_e32 v5, -1, v5
	v_min_u32_e32 v5, v20, v5
	v_lshlrev_b32_e32 v5, 2, v5
	ds_read_b32 v21, v5
	v_cndmask_b32_e32 v8, v12, v13, vcc
	v_cndmask_b32_e32 v9, v20, v9, vcc
	;; [unrolled: 1-line block ×3, first 2 shown]
	v_cmp_gt_u32_e64 s[0:1], s15, v11
	s_waitcnt lgkmcnt(0)
	v_cndmask_b32_e32 v12, v21, v12, vcc
	v_cndmask_b32_e32 v13, v13, v21, vcc
	v_cmp_le_u32_e32 vcc, s24, v9
	v_and_b32_e32 v9, s17, v12
	v_and_b32_e32 v11, s17, v13
	v_cmp_le_i32_e64 s[2:3], v11, v9
	s_and_b64 s[0:1], s[0:1], s[2:3]
	s_or_b64 vcc, vcc, s[0:1]
	v_cndmask_b32_e64 v5, v15, v14, s[4:5]
	v_cndmask_b32_e64 v6, v17, v16, s[6:7]
	;; [unrolled: 1-line block ×3, first 2 shown]
	v_cndmask_b32_e32 v9, v12, v13, vcc
.LBB92_29:
	s_or_b64 exec, exec, s[22:23]
	v_and_b32_e32 v11, 0x7c, v0
	v_lshl_add_u32 v1, v1, 2, v11
	s_barrier
	s_barrier
	ds_write2_b32 v1, v2, v3 offset1:1
	ds_write2_b32 v1, v4, v5 offset0:2 offset1:3
	ds_write2_b32 v1, v6, v7 offset0:4 offset1:5
	;; [unrolled: 1-line block ×3, first 2 shown]
	v_lshrrev_b32_e32 v1, 3, v0
	v_and_b32_e32 v1, 12, v1
	v_or_b32_e32 v9, 0x80, v0
	v_add_u32_e32 v12, v1, v10
	v_lshrrev_b32_e32 v1, 3, v9
	v_and_b32_e32 v1, 28, v1
	v_or_b32_e32 v8, 0x100, v0
	v_add_u32_e32 v13, v1, v10
	;; [unrolled: 4-line block ×6, first 2 shown]
	v_lshrrev_b32_e32 v1, 3, v4
	s_mov_b32 s17, 0
	v_and_b32_e32 v1, 0x6c, v1
	s_lshl_b64 s[0:1], s[16:17], 2
	v_add_u32_e32 v18, v1, v10
	v_or_b32_e32 v1, 0x380, v0
	s_add_u32 s0, s20, s0
	v_lshrrev_b32_e32 v2, 3, v1
	s_addc_u32 s1, s21, s1
	v_and_b32_e32 v2, 0x7c, v2
	v_mov_b32_e32 v11, 0
	v_add_u32_e32 v19, v2, v10
	v_lshl_add_u64 v[2:3], s[0:1], 0, v[10:11]
	s_and_b64 vcc, exec, s[18:19]
	s_waitcnt lgkmcnt(0)
	s_cbranch_vccz .LBB92_31
; %bb.30:
	s_barrier
	ds_read_b32 v10, v12
	ds_read_b32 v11, v13 offset:512
	ds_read_b32 v20, v14 offset:1024
	;; [unrolled: 1-line block ×7, first 2 shown]
	s_waitcnt lgkmcnt(7)
	global_store_dword v[2:3], v10, off
	s_waitcnt lgkmcnt(6)
	global_store_dword v[2:3], v11, off offset:512
	s_waitcnt lgkmcnt(5)
	global_store_dword v[2:3], v20, off offset:1024
	;; [unrolled: 2-line block ×6, first 2 shown]
	s_mov_b64 s[0:1], -1
	s_cbranch_execz .LBB92_32
	s_branch .LBB92_41
.LBB92_31:
	s_mov_b64 s[0:1], 0
                                        ; implicit-def: $vgpr22
.LBB92_32:
	s_barrier
	s_waitcnt lgkmcnt(0)
	ds_read_b32 v21, v13 offset:512
	ds_read_b32 v20, v14 offset:1024
	;; [unrolled: 1-line block ×7, first 2 shown]
	s_sub_i32 s2, s14, s16
	v_cmp_gt_u32_e32 vcc, s2, v0
	s_and_saveexec_b64 s[0:1], vcc
	s_cbranch_execnz .LBB92_46
; %bb.33:
	s_or_b64 exec, exec, s[0:1]
	v_cmp_gt_u32_e32 vcc, s2, v9
	s_and_saveexec_b64 s[0:1], vcc
	s_cbranch_execnz .LBB92_47
.LBB92_34:
	s_or_b64 exec, exec, s[0:1]
	v_cmp_gt_u32_e32 vcc, s2, v8
	s_and_saveexec_b64 s[0:1], vcc
	s_cbranch_execnz .LBB92_48
.LBB92_35:
	s_or_b64 exec, exec, s[0:1]
	v_cmp_gt_u32_e32 vcc, s2, v7
	s_and_saveexec_b64 s[0:1], vcc
	s_cbranch_execnz .LBB92_49
.LBB92_36:
	s_or_b64 exec, exec, s[0:1]
	v_cmp_gt_u32_e32 vcc, s2, v6
	s_and_saveexec_b64 s[0:1], vcc
	s_cbranch_execnz .LBB92_50
.LBB92_37:
	s_or_b64 exec, exec, s[0:1]
	v_cmp_gt_u32_e32 vcc, s2, v5
	s_and_saveexec_b64 s[0:1], vcc
	s_cbranch_execnz .LBB92_51
.LBB92_38:
	s_or_b64 exec, exec, s[0:1]
	v_cmp_gt_u32_e32 vcc, s2, v4
	s_and_saveexec_b64 s[0:1], vcc
	s_cbranch_execz .LBB92_40
.LBB92_39:
	s_waitcnt lgkmcnt(1)
	global_store_dword v[2:3], v10, off offset:3072
.LBB92_40:
	s_or_b64 exec, exec, s[0:1]
	v_cmp_gt_u32_e64 s[0:1], s2, v1
.LBB92_41:
	s_and_saveexec_b64 s[2:3], s[0:1]
	s_cbranch_execz .LBB92_43
; %bb.42:
	s_waitcnt lgkmcnt(0)
	global_store_dword v[2:3], v22, off offset:3584
.LBB92_43:
	s_endpgm
.LBB92_44:
	v_mov_b32_e32 v11, v2
	v_subrev_co_u32_e32 v6, vcc, s15, v0
	v_mov_b32_e32 v7, v2
	v_lshl_add_u64 v[4:5], s[4:5], 0, v[10:11]
	v_lshl_add_u64 v[6:7], v[6:7], 2, s[6:7]
	v_cndmask_b32_e32 v5, v7, v5, vcc
	v_cndmask_b32_e32 v4, v6, v4, vcc
	global_load_dword v16, v[4:5], off
	v_mov_b32_e32 v17, v2
	v_mov_b32_e32 v18, v2
	;; [unrolled: 1-line block ×7, first 2 shown]
	s_waitcnt vmcnt(0)
	v_mov_b64_e32 v[2:3], v[16:17]
	v_mov_b64_e32 v[4:5], v[18:19]
	;; [unrolled: 1-line block ×4, first 2 shown]
	s_or_b64 exec, exec, s[0:1]
	v_cmp_gt_u32_e32 vcc, s24, v14
	s_and_saveexec_b64 s[0:1], vcc
	s_cbranch_execz .LBB92_6
.LBB92_45:
	v_mov_b32_e32 v15, 0
	v_lshl_add_u64 v[16:17], v[14:15], 2, s[4:5]
	v_subrev_co_u32_e32 v14, vcc, s15, v14
	v_lshl_add_u64 v[14:15], v[14:15], 2, s[6:7]
	s_nop 0
	v_cndmask_b32_e32 v15, v15, v17, vcc
	v_cndmask_b32_e32 v14, v14, v16, vcc
	global_load_dword v3, v[14:15], off
	s_or_b64 exec, exec, s[0:1]
	v_cmp_gt_u32_e32 vcc, s24, v12
	s_and_saveexec_b64 s[0:1], vcc
	s_cbranch_execnz .LBB92_7
	s_branch .LBB92_8
.LBB92_46:
	ds_read_b32 v0, v12
	s_waitcnt lgkmcnt(0)
	global_store_dword v[2:3], v0, off
	s_or_b64 exec, exec, s[0:1]
	v_cmp_gt_u32_e32 vcc, s2, v9
	s_and_saveexec_b64 s[0:1], vcc
	s_cbranch_execz .LBB92_34
.LBB92_47:
	s_waitcnt lgkmcnt(6)
	global_store_dword v[2:3], v21, off offset:512
	s_or_b64 exec, exec, s[0:1]
	v_cmp_gt_u32_e32 vcc, s2, v8
	s_and_saveexec_b64 s[0:1], vcc
	s_cbranch_execz .LBB92_35
.LBB92_48:
	s_waitcnt lgkmcnt(5)
	global_store_dword v[2:3], v20, off offset:1024
	s_or_b64 exec, exec, s[0:1]
	v_cmp_gt_u32_e32 vcc, s2, v7
	s_and_saveexec_b64 s[0:1], vcc
	s_cbranch_execz .LBB92_36
.LBB92_49:
	s_waitcnt lgkmcnt(4)
	global_store_dword v[2:3], v14, off offset:1536
	s_or_b64 exec, exec, s[0:1]
	v_cmp_gt_u32_e32 vcc, s2, v6
	s_and_saveexec_b64 s[0:1], vcc
	s_cbranch_execz .LBB92_37
.LBB92_50:
	s_waitcnt lgkmcnt(3)
	global_store_dword v[2:3], v13, off offset:2048
	s_or_b64 exec, exec, s[0:1]
	v_cmp_gt_u32_e32 vcc, s2, v5
	s_and_saveexec_b64 s[0:1], vcc
	s_cbranch_execz .LBB92_38
.LBB92_51:
	s_waitcnt lgkmcnt(2)
	global_store_dword v[2:3], v11, off offset:2560
	s_or_b64 exec, exec, s[0:1]
	v_cmp_gt_u32_e32 vcc, s2, v4
	s_and_saveexec_b64 s[0:1], vcc
	s_cbranch_execnz .LBB92_39
	s_branch .LBB92_40
	.section	.rodata,"a",@progbits
	.p2align	6, 0x0
	.amdhsa_kernel _ZN7rocprim17ROCPRIM_400000_NS6detail17trampoline_kernelINS0_14default_configENS1_38merge_sort_block_merge_config_selectorIiNS0_10empty_typeEEEZZNS1_27merge_sort_block_merge_implIS3_N6thrust23THRUST_200600_302600_NS6detail15normal_iteratorINS9_10device_ptrIiEEEEPS5_jNS1_19radix_merge_compareILb0ELb1EiNS0_19identity_decomposerEEEEE10hipError_tT0_T1_T2_jT3_P12ihipStream_tbPNSt15iterator_traitsISK_E10value_typeEPNSQ_ISL_E10value_typeEPSM_NS1_7vsmem_tEENKUlT_SK_SL_SM_E_clIPiSE_SF_SF_EESJ_SZ_SK_SL_SM_EUlSZ_E0_NS1_11comp_targetILNS1_3genE0ELNS1_11target_archE4294967295ELNS1_3gpuE0ELNS1_3repE0EEENS1_38merge_mergepath_config_static_selectorELNS0_4arch9wavefront6targetE1EEEvSL_
		.amdhsa_group_segment_fixed_size 4224
		.amdhsa_private_segment_fixed_size 0
		.amdhsa_kernarg_size 320
		.amdhsa_user_sgpr_count 2
		.amdhsa_user_sgpr_dispatch_ptr 0
		.amdhsa_user_sgpr_queue_ptr 0
		.amdhsa_user_sgpr_kernarg_segment_ptr 1
		.amdhsa_user_sgpr_dispatch_id 0
		.amdhsa_user_sgpr_kernarg_preload_length 0
		.amdhsa_user_sgpr_kernarg_preload_offset 0
		.amdhsa_user_sgpr_private_segment_size 0
		.amdhsa_uses_dynamic_stack 0
		.amdhsa_enable_private_segment 0
		.amdhsa_system_sgpr_workgroup_id_x 1
		.amdhsa_system_sgpr_workgroup_id_y 1
		.amdhsa_system_sgpr_workgroup_id_z 1
		.amdhsa_system_sgpr_workgroup_info 0
		.amdhsa_system_vgpr_workitem_id 0
		.amdhsa_next_free_vgpr 26
		.amdhsa_next_free_sgpr 25
		.amdhsa_accum_offset 28
		.amdhsa_reserve_vcc 1
		.amdhsa_float_round_mode_32 0
		.amdhsa_float_round_mode_16_64 0
		.amdhsa_float_denorm_mode_32 3
		.amdhsa_float_denorm_mode_16_64 3
		.amdhsa_dx10_clamp 1
		.amdhsa_ieee_mode 1
		.amdhsa_fp16_overflow 0
		.amdhsa_tg_split 0
		.amdhsa_exception_fp_ieee_invalid_op 0
		.amdhsa_exception_fp_denorm_src 0
		.amdhsa_exception_fp_ieee_div_zero 0
		.amdhsa_exception_fp_ieee_overflow 0
		.amdhsa_exception_fp_ieee_underflow 0
		.amdhsa_exception_fp_ieee_inexact 0
		.amdhsa_exception_int_div_zero 0
	.end_amdhsa_kernel
	.section	.text._ZN7rocprim17ROCPRIM_400000_NS6detail17trampoline_kernelINS0_14default_configENS1_38merge_sort_block_merge_config_selectorIiNS0_10empty_typeEEEZZNS1_27merge_sort_block_merge_implIS3_N6thrust23THRUST_200600_302600_NS6detail15normal_iteratorINS9_10device_ptrIiEEEEPS5_jNS1_19radix_merge_compareILb0ELb1EiNS0_19identity_decomposerEEEEE10hipError_tT0_T1_T2_jT3_P12ihipStream_tbPNSt15iterator_traitsISK_E10value_typeEPNSQ_ISL_E10value_typeEPSM_NS1_7vsmem_tEENKUlT_SK_SL_SM_E_clIPiSE_SF_SF_EESJ_SZ_SK_SL_SM_EUlSZ_E0_NS1_11comp_targetILNS1_3genE0ELNS1_11target_archE4294967295ELNS1_3gpuE0ELNS1_3repE0EEENS1_38merge_mergepath_config_static_selectorELNS0_4arch9wavefront6targetE1EEEvSL_,"axG",@progbits,_ZN7rocprim17ROCPRIM_400000_NS6detail17trampoline_kernelINS0_14default_configENS1_38merge_sort_block_merge_config_selectorIiNS0_10empty_typeEEEZZNS1_27merge_sort_block_merge_implIS3_N6thrust23THRUST_200600_302600_NS6detail15normal_iteratorINS9_10device_ptrIiEEEEPS5_jNS1_19radix_merge_compareILb0ELb1EiNS0_19identity_decomposerEEEEE10hipError_tT0_T1_T2_jT3_P12ihipStream_tbPNSt15iterator_traitsISK_E10value_typeEPNSQ_ISL_E10value_typeEPSM_NS1_7vsmem_tEENKUlT_SK_SL_SM_E_clIPiSE_SF_SF_EESJ_SZ_SK_SL_SM_EUlSZ_E0_NS1_11comp_targetILNS1_3genE0ELNS1_11target_archE4294967295ELNS1_3gpuE0ELNS1_3repE0EEENS1_38merge_mergepath_config_static_selectorELNS0_4arch9wavefront6targetE1EEEvSL_,comdat
.Lfunc_end92:
	.size	_ZN7rocprim17ROCPRIM_400000_NS6detail17trampoline_kernelINS0_14default_configENS1_38merge_sort_block_merge_config_selectorIiNS0_10empty_typeEEEZZNS1_27merge_sort_block_merge_implIS3_N6thrust23THRUST_200600_302600_NS6detail15normal_iteratorINS9_10device_ptrIiEEEEPS5_jNS1_19radix_merge_compareILb0ELb1EiNS0_19identity_decomposerEEEEE10hipError_tT0_T1_T2_jT3_P12ihipStream_tbPNSt15iterator_traitsISK_E10value_typeEPNSQ_ISL_E10value_typeEPSM_NS1_7vsmem_tEENKUlT_SK_SL_SM_E_clIPiSE_SF_SF_EESJ_SZ_SK_SL_SM_EUlSZ_E0_NS1_11comp_targetILNS1_3genE0ELNS1_11target_archE4294967295ELNS1_3gpuE0ELNS1_3repE0EEENS1_38merge_mergepath_config_static_selectorELNS0_4arch9wavefront6targetE1EEEvSL_, .Lfunc_end92-_ZN7rocprim17ROCPRIM_400000_NS6detail17trampoline_kernelINS0_14default_configENS1_38merge_sort_block_merge_config_selectorIiNS0_10empty_typeEEEZZNS1_27merge_sort_block_merge_implIS3_N6thrust23THRUST_200600_302600_NS6detail15normal_iteratorINS9_10device_ptrIiEEEEPS5_jNS1_19radix_merge_compareILb0ELb1EiNS0_19identity_decomposerEEEEE10hipError_tT0_T1_T2_jT3_P12ihipStream_tbPNSt15iterator_traitsISK_E10value_typeEPNSQ_ISL_E10value_typeEPSM_NS1_7vsmem_tEENKUlT_SK_SL_SM_E_clIPiSE_SF_SF_EESJ_SZ_SK_SL_SM_EUlSZ_E0_NS1_11comp_targetILNS1_3genE0ELNS1_11target_archE4294967295ELNS1_3gpuE0ELNS1_3repE0EEENS1_38merge_mergepath_config_static_selectorELNS0_4arch9wavefront6targetE1EEEvSL_
                                        ; -- End function
	.set _ZN7rocprim17ROCPRIM_400000_NS6detail17trampoline_kernelINS0_14default_configENS1_38merge_sort_block_merge_config_selectorIiNS0_10empty_typeEEEZZNS1_27merge_sort_block_merge_implIS3_N6thrust23THRUST_200600_302600_NS6detail15normal_iteratorINS9_10device_ptrIiEEEEPS5_jNS1_19radix_merge_compareILb0ELb1EiNS0_19identity_decomposerEEEEE10hipError_tT0_T1_T2_jT3_P12ihipStream_tbPNSt15iterator_traitsISK_E10value_typeEPNSQ_ISL_E10value_typeEPSM_NS1_7vsmem_tEENKUlT_SK_SL_SM_E_clIPiSE_SF_SF_EESJ_SZ_SK_SL_SM_EUlSZ_E0_NS1_11comp_targetILNS1_3genE0ELNS1_11target_archE4294967295ELNS1_3gpuE0ELNS1_3repE0EEENS1_38merge_mergepath_config_static_selectorELNS0_4arch9wavefront6targetE1EEEvSL_.num_vgpr, 26
	.set _ZN7rocprim17ROCPRIM_400000_NS6detail17trampoline_kernelINS0_14default_configENS1_38merge_sort_block_merge_config_selectorIiNS0_10empty_typeEEEZZNS1_27merge_sort_block_merge_implIS3_N6thrust23THRUST_200600_302600_NS6detail15normal_iteratorINS9_10device_ptrIiEEEEPS5_jNS1_19radix_merge_compareILb0ELb1EiNS0_19identity_decomposerEEEEE10hipError_tT0_T1_T2_jT3_P12ihipStream_tbPNSt15iterator_traitsISK_E10value_typeEPNSQ_ISL_E10value_typeEPSM_NS1_7vsmem_tEENKUlT_SK_SL_SM_E_clIPiSE_SF_SF_EESJ_SZ_SK_SL_SM_EUlSZ_E0_NS1_11comp_targetILNS1_3genE0ELNS1_11target_archE4294967295ELNS1_3gpuE0ELNS1_3repE0EEENS1_38merge_mergepath_config_static_selectorELNS0_4arch9wavefront6targetE1EEEvSL_.num_agpr, 0
	.set _ZN7rocprim17ROCPRIM_400000_NS6detail17trampoline_kernelINS0_14default_configENS1_38merge_sort_block_merge_config_selectorIiNS0_10empty_typeEEEZZNS1_27merge_sort_block_merge_implIS3_N6thrust23THRUST_200600_302600_NS6detail15normal_iteratorINS9_10device_ptrIiEEEEPS5_jNS1_19radix_merge_compareILb0ELb1EiNS0_19identity_decomposerEEEEE10hipError_tT0_T1_T2_jT3_P12ihipStream_tbPNSt15iterator_traitsISK_E10value_typeEPNSQ_ISL_E10value_typeEPSM_NS1_7vsmem_tEENKUlT_SK_SL_SM_E_clIPiSE_SF_SF_EESJ_SZ_SK_SL_SM_EUlSZ_E0_NS1_11comp_targetILNS1_3genE0ELNS1_11target_archE4294967295ELNS1_3gpuE0ELNS1_3repE0EEENS1_38merge_mergepath_config_static_selectorELNS0_4arch9wavefront6targetE1EEEvSL_.numbered_sgpr, 25
	.set _ZN7rocprim17ROCPRIM_400000_NS6detail17trampoline_kernelINS0_14default_configENS1_38merge_sort_block_merge_config_selectorIiNS0_10empty_typeEEEZZNS1_27merge_sort_block_merge_implIS3_N6thrust23THRUST_200600_302600_NS6detail15normal_iteratorINS9_10device_ptrIiEEEEPS5_jNS1_19radix_merge_compareILb0ELb1EiNS0_19identity_decomposerEEEEE10hipError_tT0_T1_T2_jT3_P12ihipStream_tbPNSt15iterator_traitsISK_E10value_typeEPNSQ_ISL_E10value_typeEPSM_NS1_7vsmem_tEENKUlT_SK_SL_SM_E_clIPiSE_SF_SF_EESJ_SZ_SK_SL_SM_EUlSZ_E0_NS1_11comp_targetILNS1_3genE0ELNS1_11target_archE4294967295ELNS1_3gpuE0ELNS1_3repE0EEENS1_38merge_mergepath_config_static_selectorELNS0_4arch9wavefront6targetE1EEEvSL_.num_named_barrier, 0
	.set _ZN7rocprim17ROCPRIM_400000_NS6detail17trampoline_kernelINS0_14default_configENS1_38merge_sort_block_merge_config_selectorIiNS0_10empty_typeEEEZZNS1_27merge_sort_block_merge_implIS3_N6thrust23THRUST_200600_302600_NS6detail15normal_iteratorINS9_10device_ptrIiEEEEPS5_jNS1_19radix_merge_compareILb0ELb1EiNS0_19identity_decomposerEEEEE10hipError_tT0_T1_T2_jT3_P12ihipStream_tbPNSt15iterator_traitsISK_E10value_typeEPNSQ_ISL_E10value_typeEPSM_NS1_7vsmem_tEENKUlT_SK_SL_SM_E_clIPiSE_SF_SF_EESJ_SZ_SK_SL_SM_EUlSZ_E0_NS1_11comp_targetILNS1_3genE0ELNS1_11target_archE4294967295ELNS1_3gpuE0ELNS1_3repE0EEENS1_38merge_mergepath_config_static_selectorELNS0_4arch9wavefront6targetE1EEEvSL_.private_seg_size, 0
	.set _ZN7rocprim17ROCPRIM_400000_NS6detail17trampoline_kernelINS0_14default_configENS1_38merge_sort_block_merge_config_selectorIiNS0_10empty_typeEEEZZNS1_27merge_sort_block_merge_implIS3_N6thrust23THRUST_200600_302600_NS6detail15normal_iteratorINS9_10device_ptrIiEEEEPS5_jNS1_19radix_merge_compareILb0ELb1EiNS0_19identity_decomposerEEEEE10hipError_tT0_T1_T2_jT3_P12ihipStream_tbPNSt15iterator_traitsISK_E10value_typeEPNSQ_ISL_E10value_typeEPSM_NS1_7vsmem_tEENKUlT_SK_SL_SM_E_clIPiSE_SF_SF_EESJ_SZ_SK_SL_SM_EUlSZ_E0_NS1_11comp_targetILNS1_3genE0ELNS1_11target_archE4294967295ELNS1_3gpuE0ELNS1_3repE0EEENS1_38merge_mergepath_config_static_selectorELNS0_4arch9wavefront6targetE1EEEvSL_.uses_vcc, 1
	.set _ZN7rocprim17ROCPRIM_400000_NS6detail17trampoline_kernelINS0_14default_configENS1_38merge_sort_block_merge_config_selectorIiNS0_10empty_typeEEEZZNS1_27merge_sort_block_merge_implIS3_N6thrust23THRUST_200600_302600_NS6detail15normal_iteratorINS9_10device_ptrIiEEEEPS5_jNS1_19radix_merge_compareILb0ELb1EiNS0_19identity_decomposerEEEEE10hipError_tT0_T1_T2_jT3_P12ihipStream_tbPNSt15iterator_traitsISK_E10value_typeEPNSQ_ISL_E10value_typeEPSM_NS1_7vsmem_tEENKUlT_SK_SL_SM_E_clIPiSE_SF_SF_EESJ_SZ_SK_SL_SM_EUlSZ_E0_NS1_11comp_targetILNS1_3genE0ELNS1_11target_archE4294967295ELNS1_3gpuE0ELNS1_3repE0EEENS1_38merge_mergepath_config_static_selectorELNS0_4arch9wavefront6targetE1EEEvSL_.uses_flat_scratch, 0
	.set _ZN7rocprim17ROCPRIM_400000_NS6detail17trampoline_kernelINS0_14default_configENS1_38merge_sort_block_merge_config_selectorIiNS0_10empty_typeEEEZZNS1_27merge_sort_block_merge_implIS3_N6thrust23THRUST_200600_302600_NS6detail15normal_iteratorINS9_10device_ptrIiEEEEPS5_jNS1_19radix_merge_compareILb0ELb1EiNS0_19identity_decomposerEEEEE10hipError_tT0_T1_T2_jT3_P12ihipStream_tbPNSt15iterator_traitsISK_E10value_typeEPNSQ_ISL_E10value_typeEPSM_NS1_7vsmem_tEENKUlT_SK_SL_SM_E_clIPiSE_SF_SF_EESJ_SZ_SK_SL_SM_EUlSZ_E0_NS1_11comp_targetILNS1_3genE0ELNS1_11target_archE4294967295ELNS1_3gpuE0ELNS1_3repE0EEENS1_38merge_mergepath_config_static_selectorELNS0_4arch9wavefront6targetE1EEEvSL_.has_dyn_sized_stack, 0
	.set _ZN7rocprim17ROCPRIM_400000_NS6detail17trampoline_kernelINS0_14default_configENS1_38merge_sort_block_merge_config_selectorIiNS0_10empty_typeEEEZZNS1_27merge_sort_block_merge_implIS3_N6thrust23THRUST_200600_302600_NS6detail15normal_iteratorINS9_10device_ptrIiEEEEPS5_jNS1_19radix_merge_compareILb0ELb1EiNS0_19identity_decomposerEEEEE10hipError_tT0_T1_T2_jT3_P12ihipStream_tbPNSt15iterator_traitsISK_E10value_typeEPNSQ_ISL_E10value_typeEPSM_NS1_7vsmem_tEENKUlT_SK_SL_SM_E_clIPiSE_SF_SF_EESJ_SZ_SK_SL_SM_EUlSZ_E0_NS1_11comp_targetILNS1_3genE0ELNS1_11target_archE4294967295ELNS1_3gpuE0ELNS1_3repE0EEENS1_38merge_mergepath_config_static_selectorELNS0_4arch9wavefront6targetE1EEEvSL_.has_recursion, 0
	.set _ZN7rocprim17ROCPRIM_400000_NS6detail17trampoline_kernelINS0_14default_configENS1_38merge_sort_block_merge_config_selectorIiNS0_10empty_typeEEEZZNS1_27merge_sort_block_merge_implIS3_N6thrust23THRUST_200600_302600_NS6detail15normal_iteratorINS9_10device_ptrIiEEEEPS5_jNS1_19radix_merge_compareILb0ELb1EiNS0_19identity_decomposerEEEEE10hipError_tT0_T1_T2_jT3_P12ihipStream_tbPNSt15iterator_traitsISK_E10value_typeEPNSQ_ISL_E10value_typeEPSM_NS1_7vsmem_tEENKUlT_SK_SL_SM_E_clIPiSE_SF_SF_EESJ_SZ_SK_SL_SM_EUlSZ_E0_NS1_11comp_targetILNS1_3genE0ELNS1_11target_archE4294967295ELNS1_3gpuE0ELNS1_3repE0EEENS1_38merge_mergepath_config_static_selectorELNS0_4arch9wavefront6targetE1EEEvSL_.has_indirect_call, 0
	.section	.AMDGPU.csdata,"",@progbits
; Kernel info:
; codeLenInByte = 3352
; TotalNumSgprs: 31
; NumVgprs: 26
; NumAgprs: 0
; TotalNumVgprs: 26
; ScratchSize: 0
; MemoryBound: 0
; FloatMode: 240
; IeeeMode: 1
; LDSByteSize: 4224 bytes/workgroup (compile time only)
; SGPRBlocks: 3
; VGPRBlocks: 3
; NumSGPRsForWavesPerEU: 31
; NumVGPRsForWavesPerEU: 26
; AccumOffset: 28
; Occupancy: 8
; WaveLimiterHint : 1
; COMPUTE_PGM_RSRC2:SCRATCH_EN: 0
; COMPUTE_PGM_RSRC2:USER_SGPR: 2
; COMPUTE_PGM_RSRC2:TRAP_HANDLER: 0
; COMPUTE_PGM_RSRC2:TGID_X_EN: 1
; COMPUTE_PGM_RSRC2:TGID_Y_EN: 1
; COMPUTE_PGM_RSRC2:TGID_Z_EN: 1
; COMPUTE_PGM_RSRC2:TIDIG_COMP_CNT: 0
; COMPUTE_PGM_RSRC3_GFX90A:ACCUM_OFFSET: 6
; COMPUTE_PGM_RSRC3_GFX90A:TG_SPLIT: 0
	.section	.text._ZN7rocprim17ROCPRIM_400000_NS6detail17trampoline_kernelINS0_14default_configENS1_38merge_sort_block_merge_config_selectorIiNS0_10empty_typeEEEZZNS1_27merge_sort_block_merge_implIS3_N6thrust23THRUST_200600_302600_NS6detail15normal_iteratorINS9_10device_ptrIiEEEEPS5_jNS1_19radix_merge_compareILb0ELb1EiNS0_19identity_decomposerEEEEE10hipError_tT0_T1_T2_jT3_P12ihipStream_tbPNSt15iterator_traitsISK_E10value_typeEPNSQ_ISL_E10value_typeEPSM_NS1_7vsmem_tEENKUlT_SK_SL_SM_E_clIPiSE_SF_SF_EESJ_SZ_SK_SL_SM_EUlSZ_E0_NS1_11comp_targetILNS1_3genE10ELNS1_11target_archE1201ELNS1_3gpuE5ELNS1_3repE0EEENS1_38merge_mergepath_config_static_selectorELNS0_4arch9wavefront6targetE1EEEvSL_,"axG",@progbits,_ZN7rocprim17ROCPRIM_400000_NS6detail17trampoline_kernelINS0_14default_configENS1_38merge_sort_block_merge_config_selectorIiNS0_10empty_typeEEEZZNS1_27merge_sort_block_merge_implIS3_N6thrust23THRUST_200600_302600_NS6detail15normal_iteratorINS9_10device_ptrIiEEEEPS5_jNS1_19radix_merge_compareILb0ELb1EiNS0_19identity_decomposerEEEEE10hipError_tT0_T1_T2_jT3_P12ihipStream_tbPNSt15iterator_traitsISK_E10value_typeEPNSQ_ISL_E10value_typeEPSM_NS1_7vsmem_tEENKUlT_SK_SL_SM_E_clIPiSE_SF_SF_EESJ_SZ_SK_SL_SM_EUlSZ_E0_NS1_11comp_targetILNS1_3genE10ELNS1_11target_archE1201ELNS1_3gpuE5ELNS1_3repE0EEENS1_38merge_mergepath_config_static_selectorELNS0_4arch9wavefront6targetE1EEEvSL_,comdat
	.protected	_ZN7rocprim17ROCPRIM_400000_NS6detail17trampoline_kernelINS0_14default_configENS1_38merge_sort_block_merge_config_selectorIiNS0_10empty_typeEEEZZNS1_27merge_sort_block_merge_implIS3_N6thrust23THRUST_200600_302600_NS6detail15normal_iteratorINS9_10device_ptrIiEEEEPS5_jNS1_19radix_merge_compareILb0ELb1EiNS0_19identity_decomposerEEEEE10hipError_tT0_T1_T2_jT3_P12ihipStream_tbPNSt15iterator_traitsISK_E10value_typeEPNSQ_ISL_E10value_typeEPSM_NS1_7vsmem_tEENKUlT_SK_SL_SM_E_clIPiSE_SF_SF_EESJ_SZ_SK_SL_SM_EUlSZ_E0_NS1_11comp_targetILNS1_3genE10ELNS1_11target_archE1201ELNS1_3gpuE5ELNS1_3repE0EEENS1_38merge_mergepath_config_static_selectorELNS0_4arch9wavefront6targetE1EEEvSL_ ; -- Begin function _ZN7rocprim17ROCPRIM_400000_NS6detail17trampoline_kernelINS0_14default_configENS1_38merge_sort_block_merge_config_selectorIiNS0_10empty_typeEEEZZNS1_27merge_sort_block_merge_implIS3_N6thrust23THRUST_200600_302600_NS6detail15normal_iteratorINS9_10device_ptrIiEEEEPS5_jNS1_19radix_merge_compareILb0ELb1EiNS0_19identity_decomposerEEEEE10hipError_tT0_T1_T2_jT3_P12ihipStream_tbPNSt15iterator_traitsISK_E10value_typeEPNSQ_ISL_E10value_typeEPSM_NS1_7vsmem_tEENKUlT_SK_SL_SM_E_clIPiSE_SF_SF_EESJ_SZ_SK_SL_SM_EUlSZ_E0_NS1_11comp_targetILNS1_3genE10ELNS1_11target_archE1201ELNS1_3gpuE5ELNS1_3repE0EEENS1_38merge_mergepath_config_static_selectorELNS0_4arch9wavefront6targetE1EEEvSL_
	.globl	_ZN7rocprim17ROCPRIM_400000_NS6detail17trampoline_kernelINS0_14default_configENS1_38merge_sort_block_merge_config_selectorIiNS0_10empty_typeEEEZZNS1_27merge_sort_block_merge_implIS3_N6thrust23THRUST_200600_302600_NS6detail15normal_iteratorINS9_10device_ptrIiEEEEPS5_jNS1_19radix_merge_compareILb0ELb1EiNS0_19identity_decomposerEEEEE10hipError_tT0_T1_T2_jT3_P12ihipStream_tbPNSt15iterator_traitsISK_E10value_typeEPNSQ_ISL_E10value_typeEPSM_NS1_7vsmem_tEENKUlT_SK_SL_SM_E_clIPiSE_SF_SF_EESJ_SZ_SK_SL_SM_EUlSZ_E0_NS1_11comp_targetILNS1_3genE10ELNS1_11target_archE1201ELNS1_3gpuE5ELNS1_3repE0EEENS1_38merge_mergepath_config_static_selectorELNS0_4arch9wavefront6targetE1EEEvSL_
	.p2align	8
	.type	_ZN7rocprim17ROCPRIM_400000_NS6detail17trampoline_kernelINS0_14default_configENS1_38merge_sort_block_merge_config_selectorIiNS0_10empty_typeEEEZZNS1_27merge_sort_block_merge_implIS3_N6thrust23THRUST_200600_302600_NS6detail15normal_iteratorINS9_10device_ptrIiEEEEPS5_jNS1_19radix_merge_compareILb0ELb1EiNS0_19identity_decomposerEEEEE10hipError_tT0_T1_T2_jT3_P12ihipStream_tbPNSt15iterator_traitsISK_E10value_typeEPNSQ_ISL_E10value_typeEPSM_NS1_7vsmem_tEENKUlT_SK_SL_SM_E_clIPiSE_SF_SF_EESJ_SZ_SK_SL_SM_EUlSZ_E0_NS1_11comp_targetILNS1_3genE10ELNS1_11target_archE1201ELNS1_3gpuE5ELNS1_3repE0EEENS1_38merge_mergepath_config_static_selectorELNS0_4arch9wavefront6targetE1EEEvSL_,@function
_ZN7rocprim17ROCPRIM_400000_NS6detail17trampoline_kernelINS0_14default_configENS1_38merge_sort_block_merge_config_selectorIiNS0_10empty_typeEEEZZNS1_27merge_sort_block_merge_implIS3_N6thrust23THRUST_200600_302600_NS6detail15normal_iteratorINS9_10device_ptrIiEEEEPS5_jNS1_19radix_merge_compareILb0ELb1EiNS0_19identity_decomposerEEEEE10hipError_tT0_T1_T2_jT3_P12ihipStream_tbPNSt15iterator_traitsISK_E10value_typeEPNSQ_ISL_E10value_typeEPSM_NS1_7vsmem_tEENKUlT_SK_SL_SM_E_clIPiSE_SF_SF_EESJ_SZ_SK_SL_SM_EUlSZ_E0_NS1_11comp_targetILNS1_3genE10ELNS1_11target_archE1201ELNS1_3gpuE5ELNS1_3repE0EEENS1_38merge_mergepath_config_static_selectorELNS0_4arch9wavefront6targetE1EEEvSL_: ; @_ZN7rocprim17ROCPRIM_400000_NS6detail17trampoline_kernelINS0_14default_configENS1_38merge_sort_block_merge_config_selectorIiNS0_10empty_typeEEEZZNS1_27merge_sort_block_merge_implIS3_N6thrust23THRUST_200600_302600_NS6detail15normal_iteratorINS9_10device_ptrIiEEEEPS5_jNS1_19radix_merge_compareILb0ELb1EiNS0_19identity_decomposerEEEEE10hipError_tT0_T1_T2_jT3_P12ihipStream_tbPNSt15iterator_traitsISK_E10value_typeEPNSQ_ISL_E10value_typeEPSM_NS1_7vsmem_tEENKUlT_SK_SL_SM_E_clIPiSE_SF_SF_EESJ_SZ_SK_SL_SM_EUlSZ_E0_NS1_11comp_targetILNS1_3genE10ELNS1_11target_archE1201ELNS1_3gpuE5ELNS1_3repE0EEENS1_38merge_mergepath_config_static_selectorELNS0_4arch9wavefront6targetE1EEEvSL_
; %bb.0:
	.section	.rodata,"a",@progbits
	.p2align	6, 0x0
	.amdhsa_kernel _ZN7rocprim17ROCPRIM_400000_NS6detail17trampoline_kernelINS0_14default_configENS1_38merge_sort_block_merge_config_selectorIiNS0_10empty_typeEEEZZNS1_27merge_sort_block_merge_implIS3_N6thrust23THRUST_200600_302600_NS6detail15normal_iteratorINS9_10device_ptrIiEEEEPS5_jNS1_19radix_merge_compareILb0ELb1EiNS0_19identity_decomposerEEEEE10hipError_tT0_T1_T2_jT3_P12ihipStream_tbPNSt15iterator_traitsISK_E10value_typeEPNSQ_ISL_E10value_typeEPSM_NS1_7vsmem_tEENKUlT_SK_SL_SM_E_clIPiSE_SF_SF_EESJ_SZ_SK_SL_SM_EUlSZ_E0_NS1_11comp_targetILNS1_3genE10ELNS1_11target_archE1201ELNS1_3gpuE5ELNS1_3repE0EEENS1_38merge_mergepath_config_static_selectorELNS0_4arch9wavefront6targetE1EEEvSL_
		.amdhsa_group_segment_fixed_size 0
		.amdhsa_private_segment_fixed_size 0
		.amdhsa_kernarg_size 64
		.amdhsa_user_sgpr_count 2
		.amdhsa_user_sgpr_dispatch_ptr 0
		.amdhsa_user_sgpr_queue_ptr 0
		.amdhsa_user_sgpr_kernarg_segment_ptr 1
		.amdhsa_user_sgpr_dispatch_id 0
		.amdhsa_user_sgpr_kernarg_preload_length 0
		.amdhsa_user_sgpr_kernarg_preload_offset 0
		.amdhsa_user_sgpr_private_segment_size 0
		.amdhsa_uses_dynamic_stack 0
		.amdhsa_enable_private_segment 0
		.amdhsa_system_sgpr_workgroup_id_x 1
		.amdhsa_system_sgpr_workgroup_id_y 0
		.amdhsa_system_sgpr_workgroup_id_z 0
		.amdhsa_system_sgpr_workgroup_info 0
		.amdhsa_system_vgpr_workitem_id 0
		.amdhsa_next_free_vgpr 1
		.amdhsa_next_free_sgpr 0
		.amdhsa_accum_offset 4
		.amdhsa_reserve_vcc 0
		.amdhsa_float_round_mode_32 0
		.amdhsa_float_round_mode_16_64 0
		.amdhsa_float_denorm_mode_32 3
		.amdhsa_float_denorm_mode_16_64 3
		.amdhsa_dx10_clamp 1
		.amdhsa_ieee_mode 1
		.amdhsa_fp16_overflow 0
		.amdhsa_tg_split 0
		.amdhsa_exception_fp_ieee_invalid_op 0
		.amdhsa_exception_fp_denorm_src 0
		.amdhsa_exception_fp_ieee_div_zero 0
		.amdhsa_exception_fp_ieee_overflow 0
		.amdhsa_exception_fp_ieee_underflow 0
		.amdhsa_exception_fp_ieee_inexact 0
		.amdhsa_exception_int_div_zero 0
	.end_amdhsa_kernel
	.section	.text._ZN7rocprim17ROCPRIM_400000_NS6detail17trampoline_kernelINS0_14default_configENS1_38merge_sort_block_merge_config_selectorIiNS0_10empty_typeEEEZZNS1_27merge_sort_block_merge_implIS3_N6thrust23THRUST_200600_302600_NS6detail15normal_iteratorINS9_10device_ptrIiEEEEPS5_jNS1_19radix_merge_compareILb0ELb1EiNS0_19identity_decomposerEEEEE10hipError_tT0_T1_T2_jT3_P12ihipStream_tbPNSt15iterator_traitsISK_E10value_typeEPNSQ_ISL_E10value_typeEPSM_NS1_7vsmem_tEENKUlT_SK_SL_SM_E_clIPiSE_SF_SF_EESJ_SZ_SK_SL_SM_EUlSZ_E0_NS1_11comp_targetILNS1_3genE10ELNS1_11target_archE1201ELNS1_3gpuE5ELNS1_3repE0EEENS1_38merge_mergepath_config_static_selectorELNS0_4arch9wavefront6targetE1EEEvSL_,"axG",@progbits,_ZN7rocprim17ROCPRIM_400000_NS6detail17trampoline_kernelINS0_14default_configENS1_38merge_sort_block_merge_config_selectorIiNS0_10empty_typeEEEZZNS1_27merge_sort_block_merge_implIS3_N6thrust23THRUST_200600_302600_NS6detail15normal_iteratorINS9_10device_ptrIiEEEEPS5_jNS1_19radix_merge_compareILb0ELb1EiNS0_19identity_decomposerEEEEE10hipError_tT0_T1_T2_jT3_P12ihipStream_tbPNSt15iterator_traitsISK_E10value_typeEPNSQ_ISL_E10value_typeEPSM_NS1_7vsmem_tEENKUlT_SK_SL_SM_E_clIPiSE_SF_SF_EESJ_SZ_SK_SL_SM_EUlSZ_E0_NS1_11comp_targetILNS1_3genE10ELNS1_11target_archE1201ELNS1_3gpuE5ELNS1_3repE0EEENS1_38merge_mergepath_config_static_selectorELNS0_4arch9wavefront6targetE1EEEvSL_,comdat
.Lfunc_end93:
	.size	_ZN7rocprim17ROCPRIM_400000_NS6detail17trampoline_kernelINS0_14default_configENS1_38merge_sort_block_merge_config_selectorIiNS0_10empty_typeEEEZZNS1_27merge_sort_block_merge_implIS3_N6thrust23THRUST_200600_302600_NS6detail15normal_iteratorINS9_10device_ptrIiEEEEPS5_jNS1_19radix_merge_compareILb0ELb1EiNS0_19identity_decomposerEEEEE10hipError_tT0_T1_T2_jT3_P12ihipStream_tbPNSt15iterator_traitsISK_E10value_typeEPNSQ_ISL_E10value_typeEPSM_NS1_7vsmem_tEENKUlT_SK_SL_SM_E_clIPiSE_SF_SF_EESJ_SZ_SK_SL_SM_EUlSZ_E0_NS1_11comp_targetILNS1_3genE10ELNS1_11target_archE1201ELNS1_3gpuE5ELNS1_3repE0EEENS1_38merge_mergepath_config_static_selectorELNS0_4arch9wavefront6targetE1EEEvSL_, .Lfunc_end93-_ZN7rocprim17ROCPRIM_400000_NS6detail17trampoline_kernelINS0_14default_configENS1_38merge_sort_block_merge_config_selectorIiNS0_10empty_typeEEEZZNS1_27merge_sort_block_merge_implIS3_N6thrust23THRUST_200600_302600_NS6detail15normal_iteratorINS9_10device_ptrIiEEEEPS5_jNS1_19radix_merge_compareILb0ELb1EiNS0_19identity_decomposerEEEEE10hipError_tT0_T1_T2_jT3_P12ihipStream_tbPNSt15iterator_traitsISK_E10value_typeEPNSQ_ISL_E10value_typeEPSM_NS1_7vsmem_tEENKUlT_SK_SL_SM_E_clIPiSE_SF_SF_EESJ_SZ_SK_SL_SM_EUlSZ_E0_NS1_11comp_targetILNS1_3genE10ELNS1_11target_archE1201ELNS1_3gpuE5ELNS1_3repE0EEENS1_38merge_mergepath_config_static_selectorELNS0_4arch9wavefront6targetE1EEEvSL_
                                        ; -- End function
	.set _ZN7rocprim17ROCPRIM_400000_NS6detail17trampoline_kernelINS0_14default_configENS1_38merge_sort_block_merge_config_selectorIiNS0_10empty_typeEEEZZNS1_27merge_sort_block_merge_implIS3_N6thrust23THRUST_200600_302600_NS6detail15normal_iteratorINS9_10device_ptrIiEEEEPS5_jNS1_19radix_merge_compareILb0ELb1EiNS0_19identity_decomposerEEEEE10hipError_tT0_T1_T2_jT3_P12ihipStream_tbPNSt15iterator_traitsISK_E10value_typeEPNSQ_ISL_E10value_typeEPSM_NS1_7vsmem_tEENKUlT_SK_SL_SM_E_clIPiSE_SF_SF_EESJ_SZ_SK_SL_SM_EUlSZ_E0_NS1_11comp_targetILNS1_3genE10ELNS1_11target_archE1201ELNS1_3gpuE5ELNS1_3repE0EEENS1_38merge_mergepath_config_static_selectorELNS0_4arch9wavefront6targetE1EEEvSL_.num_vgpr, 0
	.set _ZN7rocprim17ROCPRIM_400000_NS6detail17trampoline_kernelINS0_14default_configENS1_38merge_sort_block_merge_config_selectorIiNS0_10empty_typeEEEZZNS1_27merge_sort_block_merge_implIS3_N6thrust23THRUST_200600_302600_NS6detail15normal_iteratorINS9_10device_ptrIiEEEEPS5_jNS1_19radix_merge_compareILb0ELb1EiNS0_19identity_decomposerEEEEE10hipError_tT0_T1_T2_jT3_P12ihipStream_tbPNSt15iterator_traitsISK_E10value_typeEPNSQ_ISL_E10value_typeEPSM_NS1_7vsmem_tEENKUlT_SK_SL_SM_E_clIPiSE_SF_SF_EESJ_SZ_SK_SL_SM_EUlSZ_E0_NS1_11comp_targetILNS1_3genE10ELNS1_11target_archE1201ELNS1_3gpuE5ELNS1_3repE0EEENS1_38merge_mergepath_config_static_selectorELNS0_4arch9wavefront6targetE1EEEvSL_.num_agpr, 0
	.set _ZN7rocprim17ROCPRIM_400000_NS6detail17trampoline_kernelINS0_14default_configENS1_38merge_sort_block_merge_config_selectorIiNS0_10empty_typeEEEZZNS1_27merge_sort_block_merge_implIS3_N6thrust23THRUST_200600_302600_NS6detail15normal_iteratorINS9_10device_ptrIiEEEEPS5_jNS1_19radix_merge_compareILb0ELb1EiNS0_19identity_decomposerEEEEE10hipError_tT0_T1_T2_jT3_P12ihipStream_tbPNSt15iterator_traitsISK_E10value_typeEPNSQ_ISL_E10value_typeEPSM_NS1_7vsmem_tEENKUlT_SK_SL_SM_E_clIPiSE_SF_SF_EESJ_SZ_SK_SL_SM_EUlSZ_E0_NS1_11comp_targetILNS1_3genE10ELNS1_11target_archE1201ELNS1_3gpuE5ELNS1_3repE0EEENS1_38merge_mergepath_config_static_selectorELNS0_4arch9wavefront6targetE1EEEvSL_.numbered_sgpr, 0
	.set _ZN7rocprim17ROCPRIM_400000_NS6detail17trampoline_kernelINS0_14default_configENS1_38merge_sort_block_merge_config_selectorIiNS0_10empty_typeEEEZZNS1_27merge_sort_block_merge_implIS3_N6thrust23THRUST_200600_302600_NS6detail15normal_iteratorINS9_10device_ptrIiEEEEPS5_jNS1_19radix_merge_compareILb0ELb1EiNS0_19identity_decomposerEEEEE10hipError_tT0_T1_T2_jT3_P12ihipStream_tbPNSt15iterator_traitsISK_E10value_typeEPNSQ_ISL_E10value_typeEPSM_NS1_7vsmem_tEENKUlT_SK_SL_SM_E_clIPiSE_SF_SF_EESJ_SZ_SK_SL_SM_EUlSZ_E0_NS1_11comp_targetILNS1_3genE10ELNS1_11target_archE1201ELNS1_3gpuE5ELNS1_3repE0EEENS1_38merge_mergepath_config_static_selectorELNS0_4arch9wavefront6targetE1EEEvSL_.num_named_barrier, 0
	.set _ZN7rocprim17ROCPRIM_400000_NS6detail17trampoline_kernelINS0_14default_configENS1_38merge_sort_block_merge_config_selectorIiNS0_10empty_typeEEEZZNS1_27merge_sort_block_merge_implIS3_N6thrust23THRUST_200600_302600_NS6detail15normal_iteratorINS9_10device_ptrIiEEEEPS5_jNS1_19radix_merge_compareILb0ELb1EiNS0_19identity_decomposerEEEEE10hipError_tT0_T1_T2_jT3_P12ihipStream_tbPNSt15iterator_traitsISK_E10value_typeEPNSQ_ISL_E10value_typeEPSM_NS1_7vsmem_tEENKUlT_SK_SL_SM_E_clIPiSE_SF_SF_EESJ_SZ_SK_SL_SM_EUlSZ_E0_NS1_11comp_targetILNS1_3genE10ELNS1_11target_archE1201ELNS1_3gpuE5ELNS1_3repE0EEENS1_38merge_mergepath_config_static_selectorELNS0_4arch9wavefront6targetE1EEEvSL_.private_seg_size, 0
	.set _ZN7rocprim17ROCPRIM_400000_NS6detail17trampoline_kernelINS0_14default_configENS1_38merge_sort_block_merge_config_selectorIiNS0_10empty_typeEEEZZNS1_27merge_sort_block_merge_implIS3_N6thrust23THRUST_200600_302600_NS6detail15normal_iteratorINS9_10device_ptrIiEEEEPS5_jNS1_19radix_merge_compareILb0ELb1EiNS0_19identity_decomposerEEEEE10hipError_tT0_T1_T2_jT3_P12ihipStream_tbPNSt15iterator_traitsISK_E10value_typeEPNSQ_ISL_E10value_typeEPSM_NS1_7vsmem_tEENKUlT_SK_SL_SM_E_clIPiSE_SF_SF_EESJ_SZ_SK_SL_SM_EUlSZ_E0_NS1_11comp_targetILNS1_3genE10ELNS1_11target_archE1201ELNS1_3gpuE5ELNS1_3repE0EEENS1_38merge_mergepath_config_static_selectorELNS0_4arch9wavefront6targetE1EEEvSL_.uses_vcc, 0
	.set _ZN7rocprim17ROCPRIM_400000_NS6detail17trampoline_kernelINS0_14default_configENS1_38merge_sort_block_merge_config_selectorIiNS0_10empty_typeEEEZZNS1_27merge_sort_block_merge_implIS3_N6thrust23THRUST_200600_302600_NS6detail15normal_iteratorINS9_10device_ptrIiEEEEPS5_jNS1_19radix_merge_compareILb0ELb1EiNS0_19identity_decomposerEEEEE10hipError_tT0_T1_T2_jT3_P12ihipStream_tbPNSt15iterator_traitsISK_E10value_typeEPNSQ_ISL_E10value_typeEPSM_NS1_7vsmem_tEENKUlT_SK_SL_SM_E_clIPiSE_SF_SF_EESJ_SZ_SK_SL_SM_EUlSZ_E0_NS1_11comp_targetILNS1_3genE10ELNS1_11target_archE1201ELNS1_3gpuE5ELNS1_3repE0EEENS1_38merge_mergepath_config_static_selectorELNS0_4arch9wavefront6targetE1EEEvSL_.uses_flat_scratch, 0
	.set _ZN7rocprim17ROCPRIM_400000_NS6detail17trampoline_kernelINS0_14default_configENS1_38merge_sort_block_merge_config_selectorIiNS0_10empty_typeEEEZZNS1_27merge_sort_block_merge_implIS3_N6thrust23THRUST_200600_302600_NS6detail15normal_iteratorINS9_10device_ptrIiEEEEPS5_jNS1_19radix_merge_compareILb0ELb1EiNS0_19identity_decomposerEEEEE10hipError_tT0_T1_T2_jT3_P12ihipStream_tbPNSt15iterator_traitsISK_E10value_typeEPNSQ_ISL_E10value_typeEPSM_NS1_7vsmem_tEENKUlT_SK_SL_SM_E_clIPiSE_SF_SF_EESJ_SZ_SK_SL_SM_EUlSZ_E0_NS1_11comp_targetILNS1_3genE10ELNS1_11target_archE1201ELNS1_3gpuE5ELNS1_3repE0EEENS1_38merge_mergepath_config_static_selectorELNS0_4arch9wavefront6targetE1EEEvSL_.has_dyn_sized_stack, 0
	.set _ZN7rocprim17ROCPRIM_400000_NS6detail17trampoline_kernelINS0_14default_configENS1_38merge_sort_block_merge_config_selectorIiNS0_10empty_typeEEEZZNS1_27merge_sort_block_merge_implIS3_N6thrust23THRUST_200600_302600_NS6detail15normal_iteratorINS9_10device_ptrIiEEEEPS5_jNS1_19radix_merge_compareILb0ELb1EiNS0_19identity_decomposerEEEEE10hipError_tT0_T1_T2_jT3_P12ihipStream_tbPNSt15iterator_traitsISK_E10value_typeEPNSQ_ISL_E10value_typeEPSM_NS1_7vsmem_tEENKUlT_SK_SL_SM_E_clIPiSE_SF_SF_EESJ_SZ_SK_SL_SM_EUlSZ_E0_NS1_11comp_targetILNS1_3genE10ELNS1_11target_archE1201ELNS1_3gpuE5ELNS1_3repE0EEENS1_38merge_mergepath_config_static_selectorELNS0_4arch9wavefront6targetE1EEEvSL_.has_recursion, 0
	.set _ZN7rocprim17ROCPRIM_400000_NS6detail17trampoline_kernelINS0_14default_configENS1_38merge_sort_block_merge_config_selectorIiNS0_10empty_typeEEEZZNS1_27merge_sort_block_merge_implIS3_N6thrust23THRUST_200600_302600_NS6detail15normal_iteratorINS9_10device_ptrIiEEEEPS5_jNS1_19radix_merge_compareILb0ELb1EiNS0_19identity_decomposerEEEEE10hipError_tT0_T1_T2_jT3_P12ihipStream_tbPNSt15iterator_traitsISK_E10value_typeEPNSQ_ISL_E10value_typeEPSM_NS1_7vsmem_tEENKUlT_SK_SL_SM_E_clIPiSE_SF_SF_EESJ_SZ_SK_SL_SM_EUlSZ_E0_NS1_11comp_targetILNS1_3genE10ELNS1_11target_archE1201ELNS1_3gpuE5ELNS1_3repE0EEENS1_38merge_mergepath_config_static_selectorELNS0_4arch9wavefront6targetE1EEEvSL_.has_indirect_call, 0
	.section	.AMDGPU.csdata,"",@progbits
; Kernel info:
; codeLenInByte = 0
; TotalNumSgprs: 6
; NumVgprs: 0
; NumAgprs: 0
; TotalNumVgprs: 0
; ScratchSize: 0
; MemoryBound: 0
; FloatMode: 240
; IeeeMode: 1
; LDSByteSize: 0 bytes/workgroup (compile time only)
; SGPRBlocks: 0
; VGPRBlocks: 0
; NumSGPRsForWavesPerEU: 6
; NumVGPRsForWavesPerEU: 1
; AccumOffset: 4
; Occupancy: 8
; WaveLimiterHint : 0
; COMPUTE_PGM_RSRC2:SCRATCH_EN: 0
; COMPUTE_PGM_RSRC2:USER_SGPR: 2
; COMPUTE_PGM_RSRC2:TRAP_HANDLER: 0
; COMPUTE_PGM_RSRC2:TGID_X_EN: 1
; COMPUTE_PGM_RSRC2:TGID_Y_EN: 0
; COMPUTE_PGM_RSRC2:TGID_Z_EN: 0
; COMPUTE_PGM_RSRC2:TIDIG_COMP_CNT: 0
; COMPUTE_PGM_RSRC3_GFX90A:ACCUM_OFFSET: 0
; COMPUTE_PGM_RSRC3_GFX90A:TG_SPLIT: 0
	.section	.text._ZN7rocprim17ROCPRIM_400000_NS6detail17trampoline_kernelINS0_14default_configENS1_38merge_sort_block_merge_config_selectorIiNS0_10empty_typeEEEZZNS1_27merge_sort_block_merge_implIS3_N6thrust23THRUST_200600_302600_NS6detail15normal_iteratorINS9_10device_ptrIiEEEEPS5_jNS1_19radix_merge_compareILb0ELb1EiNS0_19identity_decomposerEEEEE10hipError_tT0_T1_T2_jT3_P12ihipStream_tbPNSt15iterator_traitsISK_E10value_typeEPNSQ_ISL_E10value_typeEPSM_NS1_7vsmem_tEENKUlT_SK_SL_SM_E_clIPiSE_SF_SF_EESJ_SZ_SK_SL_SM_EUlSZ_E0_NS1_11comp_targetILNS1_3genE5ELNS1_11target_archE942ELNS1_3gpuE9ELNS1_3repE0EEENS1_38merge_mergepath_config_static_selectorELNS0_4arch9wavefront6targetE1EEEvSL_,"axG",@progbits,_ZN7rocprim17ROCPRIM_400000_NS6detail17trampoline_kernelINS0_14default_configENS1_38merge_sort_block_merge_config_selectorIiNS0_10empty_typeEEEZZNS1_27merge_sort_block_merge_implIS3_N6thrust23THRUST_200600_302600_NS6detail15normal_iteratorINS9_10device_ptrIiEEEEPS5_jNS1_19radix_merge_compareILb0ELb1EiNS0_19identity_decomposerEEEEE10hipError_tT0_T1_T2_jT3_P12ihipStream_tbPNSt15iterator_traitsISK_E10value_typeEPNSQ_ISL_E10value_typeEPSM_NS1_7vsmem_tEENKUlT_SK_SL_SM_E_clIPiSE_SF_SF_EESJ_SZ_SK_SL_SM_EUlSZ_E0_NS1_11comp_targetILNS1_3genE5ELNS1_11target_archE942ELNS1_3gpuE9ELNS1_3repE0EEENS1_38merge_mergepath_config_static_selectorELNS0_4arch9wavefront6targetE1EEEvSL_,comdat
	.protected	_ZN7rocprim17ROCPRIM_400000_NS6detail17trampoline_kernelINS0_14default_configENS1_38merge_sort_block_merge_config_selectorIiNS0_10empty_typeEEEZZNS1_27merge_sort_block_merge_implIS3_N6thrust23THRUST_200600_302600_NS6detail15normal_iteratorINS9_10device_ptrIiEEEEPS5_jNS1_19radix_merge_compareILb0ELb1EiNS0_19identity_decomposerEEEEE10hipError_tT0_T1_T2_jT3_P12ihipStream_tbPNSt15iterator_traitsISK_E10value_typeEPNSQ_ISL_E10value_typeEPSM_NS1_7vsmem_tEENKUlT_SK_SL_SM_E_clIPiSE_SF_SF_EESJ_SZ_SK_SL_SM_EUlSZ_E0_NS1_11comp_targetILNS1_3genE5ELNS1_11target_archE942ELNS1_3gpuE9ELNS1_3repE0EEENS1_38merge_mergepath_config_static_selectorELNS0_4arch9wavefront6targetE1EEEvSL_ ; -- Begin function _ZN7rocprim17ROCPRIM_400000_NS6detail17trampoline_kernelINS0_14default_configENS1_38merge_sort_block_merge_config_selectorIiNS0_10empty_typeEEEZZNS1_27merge_sort_block_merge_implIS3_N6thrust23THRUST_200600_302600_NS6detail15normal_iteratorINS9_10device_ptrIiEEEEPS5_jNS1_19radix_merge_compareILb0ELb1EiNS0_19identity_decomposerEEEEE10hipError_tT0_T1_T2_jT3_P12ihipStream_tbPNSt15iterator_traitsISK_E10value_typeEPNSQ_ISL_E10value_typeEPSM_NS1_7vsmem_tEENKUlT_SK_SL_SM_E_clIPiSE_SF_SF_EESJ_SZ_SK_SL_SM_EUlSZ_E0_NS1_11comp_targetILNS1_3genE5ELNS1_11target_archE942ELNS1_3gpuE9ELNS1_3repE0EEENS1_38merge_mergepath_config_static_selectorELNS0_4arch9wavefront6targetE1EEEvSL_
	.globl	_ZN7rocprim17ROCPRIM_400000_NS6detail17trampoline_kernelINS0_14default_configENS1_38merge_sort_block_merge_config_selectorIiNS0_10empty_typeEEEZZNS1_27merge_sort_block_merge_implIS3_N6thrust23THRUST_200600_302600_NS6detail15normal_iteratorINS9_10device_ptrIiEEEEPS5_jNS1_19radix_merge_compareILb0ELb1EiNS0_19identity_decomposerEEEEE10hipError_tT0_T1_T2_jT3_P12ihipStream_tbPNSt15iterator_traitsISK_E10value_typeEPNSQ_ISL_E10value_typeEPSM_NS1_7vsmem_tEENKUlT_SK_SL_SM_E_clIPiSE_SF_SF_EESJ_SZ_SK_SL_SM_EUlSZ_E0_NS1_11comp_targetILNS1_3genE5ELNS1_11target_archE942ELNS1_3gpuE9ELNS1_3repE0EEENS1_38merge_mergepath_config_static_selectorELNS0_4arch9wavefront6targetE1EEEvSL_
	.p2align	8
	.type	_ZN7rocprim17ROCPRIM_400000_NS6detail17trampoline_kernelINS0_14default_configENS1_38merge_sort_block_merge_config_selectorIiNS0_10empty_typeEEEZZNS1_27merge_sort_block_merge_implIS3_N6thrust23THRUST_200600_302600_NS6detail15normal_iteratorINS9_10device_ptrIiEEEEPS5_jNS1_19radix_merge_compareILb0ELb1EiNS0_19identity_decomposerEEEEE10hipError_tT0_T1_T2_jT3_P12ihipStream_tbPNSt15iterator_traitsISK_E10value_typeEPNSQ_ISL_E10value_typeEPSM_NS1_7vsmem_tEENKUlT_SK_SL_SM_E_clIPiSE_SF_SF_EESJ_SZ_SK_SL_SM_EUlSZ_E0_NS1_11comp_targetILNS1_3genE5ELNS1_11target_archE942ELNS1_3gpuE9ELNS1_3repE0EEENS1_38merge_mergepath_config_static_selectorELNS0_4arch9wavefront6targetE1EEEvSL_,@function
_ZN7rocprim17ROCPRIM_400000_NS6detail17trampoline_kernelINS0_14default_configENS1_38merge_sort_block_merge_config_selectorIiNS0_10empty_typeEEEZZNS1_27merge_sort_block_merge_implIS3_N6thrust23THRUST_200600_302600_NS6detail15normal_iteratorINS9_10device_ptrIiEEEEPS5_jNS1_19radix_merge_compareILb0ELb1EiNS0_19identity_decomposerEEEEE10hipError_tT0_T1_T2_jT3_P12ihipStream_tbPNSt15iterator_traitsISK_E10value_typeEPNSQ_ISL_E10value_typeEPSM_NS1_7vsmem_tEENKUlT_SK_SL_SM_E_clIPiSE_SF_SF_EESJ_SZ_SK_SL_SM_EUlSZ_E0_NS1_11comp_targetILNS1_3genE5ELNS1_11target_archE942ELNS1_3gpuE9ELNS1_3repE0EEENS1_38merge_mergepath_config_static_selectorELNS0_4arch9wavefront6targetE1EEEvSL_: ; @_ZN7rocprim17ROCPRIM_400000_NS6detail17trampoline_kernelINS0_14default_configENS1_38merge_sort_block_merge_config_selectorIiNS0_10empty_typeEEEZZNS1_27merge_sort_block_merge_implIS3_N6thrust23THRUST_200600_302600_NS6detail15normal_iteratorINS9_10device_ptrIiEEEEPS5_jNS1_19radix_merge_compareILb0ELb1EiNS0_19identity_decomposerEEEEE10hipError_tT0_T1_T2_jT3_P12ihipStream_tbPNSt15iterator_traitsISK_E10value_typeEPNSQ_ISL_E10value_typeEPSM_NS1_7vsmem_tEENKUlT_SK_SL_SM_E_clIPiSE_SF_SF_EESJ_SZ_SK_SL_SM_EUlSZ_E0_NS1_11comp_targetILNS1_3genE5ELNS1_11target_archE942ELNS1_3gpuE9ELNS1_3repE0EEENS1_38merge_mergepath_config_static_selectorELNS0_4arch9wavefront6targetE1EEEvSL_
; %bb.0:
	.section	.rodata,"a",@progbits
	.p2align	6, 0x0
	.amdhsa_kernel _ZN7rocprim17ROCPRIM_400000_NS6detail17trampoline_kernelINS0_14default_configENS1_38merge_sort_block_merge_config_selectorIiNS0_10empty_typeEEEZZNS1_27merge_sort_block_merge_implIS3_N6thrust23THRUST_200600_302600_NS6detail15normal_iteratorINS9_10device_ptrIiEEEEPS5_jNS1_19radix_merge_compareILb0ELb1EiNS0_19identity_decomposerEEEEE10hipError_tT0_T1_T2_jT3_P12ihipStream_tbPNSt15iterator_traitsISK_E10value_typeEPNSQ_ISL_E10value_typeEPSM_NS1_7vsmem_tEENKUlT_SK_SL_SM_E_clIPiSE_SF_SF_EESJ_SZ_SK_SL_SM_EUlSZ_E0_NS1_11comp_targetILNS1_3genE5ELNS1_11target_archE942ELNS1_3gpuE9ELNS1_3repE0EEENS1_38merge_mergepath_config_static_selectorELNS0_4arch9wavefront6targetE1EEEvSL_
		.amdhsa_group_segment_fixed_size 0
		.amdhsa_private_segment_fixed_size 0
		.amdhsa_kernarg_size 64
		.amdhsa_user_sgpr_count 2
		.amdhsa_user_sgpr_dispatch_ptr 0
		.amdhsa_user_sgpr_queue_ptr 0
		.amdhsa_user_sgpr_kernarg_segment_ptr 1
		.amdhsa_user_sgpr_dispatch_id 0
		.amdhsa_user_sgpr_kernarg_preload_length 0
		.amdhsa_user_sgpr_kernarg_preload_offset 0
		.amdhsa_user_sgpr_private_segment_size 0
		.amdhsa_uses_dynamic_stack 0
		.amdhsa_enable_private_segment 0
		.amdhsa_system_sgpr_workgroup_id_x 1
		.amdhsa_system_sgpr_workgroup_id_y 0
		.amdhsa_system_sgpr_workgroup_id_z 0
		.amdhsa_system_sgpr_workgroup_info 0
		.amdhsa_system_vgpr_workitem_id 0
		.amdhsa_next_free_vgpr 1
		.amdhsa_next_free_sgpr 0
		.amdhsa_accum_offset 4
		.amdhsa_reserve_vcc 0
		.amdhsa_float_round_mode_32 0
		.amdhsa_float_round_mode_16_64 0
		.amdhsa_float_denorm_mode_32 3
		.amdhsa_float_denorm_mode_16_64 3
		.amdhsa_dx10_clamp 1
		.amdhsa_ieee_mode 1
		.amdhsa_fp16_overflow 0
		.amdhsa_tg_split 0
		.amdhsa_exception_fp_ieee_invalid_op 0
		.amdhsa_exception_fp_denorm_src 0
		.amdhsa_exception_fp_ieee_div_zero 0
		.amdhsa_exception_fp_ieee_overflow 0
		.amdhsa_exception_fp_ieee_underflow 0
		.amdhsa_exception_fp_ieee_inexact 0
		.amdhsa_exception_int_div_zero 0
	.end_amdhsa_kernel
	.section	.text._ZN7rocprim17ROCPRIM_400000_NS6detail17trampoline_kernelINS0_14default_configENS1_38merge_sort_block_merge_config_selectorIiNS0_10empty_typeEEEZZNS1_27merge_sort_block_merge_implIS3_N6thrust23THRUST_200600_302600_NS6detail15normal_iteratorINS9_10device_ptrIiEEEEPS5_jNS1_19radix_merge_compareILb0ELb1EiNS0_19identity_decomposerEEEEE10hipError_tT0_T1_T2_jT3_P12ihipStream_tbPNSt15iterator_traitsISK_E10value_typeEPNSQ_ISL_E10value_typeEPSM_NS1_7vsmem_tEENKUlT_SK_SL_SM_E_clIPiSE_SF_SF_EESJ_SZ_SK_SL_SM_EUlSZ_E0_NS1_11comp_targetILNS1_3genE5ELNS1_11target_archE942ELNS1_3gpuE9ELNS1_3repE0EEENS1_38merge_mergepath_config_static_selectorELNS0_4arch9wavefront6targetE1EEEvSL_,"axG",@progbits,_ZN7rocprim17ROCPRIM_400000_NS6detail17trampoline_kernelINS0_14default_configENS1_38merge_sort_block_merge_config_selectorIiNS0_10empty_typeEEEZZNS1_27merge_sort_block_merge_implIS3_N6thrust23THRUST_200600_302600_NS6detail15normal_iteratorINS9_10device_ptrIiEEEEPS5_jNS1_19radix_merge_compareILb0ELb1EiNS0_19identity_decomposerEEEEE10hipError_tT0_T1_T2_jT3_P12ihipStream_tbPNSt15iterator_traitsISK_E10value_typeEPNSQ_ISL_E10value_typeEPSM_NS1_7vsmem_tEENKUlT_SK_SL_SM_E_clIPiSE_SF_SF_EESJ_SZ_SK_SL_SM_EUlSZ_E0_NS1_11comp_targetILNS1_3genE5ELNS1_11target_archE942ELNS1_3gpuE9ELNS1_3repE0EEENS1_38merge_mergepath_config_static_selectorELNS0_4arch9wavefront6targetE1EEEvSL_,comdat
.Lfunc_end94:
	.size	_ZN7rocprim17ROCPRIM_400000_NS6detail17trampoline_kernelINS0_14default_configENS1_38merge_sort_block_merge_config_selectorIiNS0_10empty_typeEEEZZNS1_27merge_sort_block_merge_implIS3_N6thrust23THRUST_200600_302600_NS6detail15normal_iteratorINS9_10device_ptrIiEEEEPS5_jNS1_19radix_merge_compareILb0ELb1EiNS0_19identity_decomposerEEEEE10hipError_tT0_T1_T2_jT3_P12ihipStream_tbPNSt15iterator_traitsISK_E10value_typeEPNSQ_ISL_E10value_typeEPSM_NS1_7vsmem_tEENKUlT_SK_SL_SM_E_clIPiSE_SF_SF_EESJ_SZ_SK_SL_SM_EUlSZ_E0_NS1_11comp_targetILNS1_3genE5ELNS1_11target_archE942ELNS1_3gpuE9ELNS1_3repE0EEENS1_38merge_mergepath_config_static_selectorELNS0_4arch9wavefront6targetE1EEEvSL_, .Lfunc_end94-_ZN7rocprim17ROCPRIM_400000_NS6detail17trampoline_kernelINS0_14default_configENS1_38merge_sort_block_merge_config_selectorIiNS0_10empty_typeEEEZZNS1_27merge_sort_block_merge_implIS3_N6thrust23THRUST_200600_302600_NS6detail15normal_iteratorINS9_10device_ptrIiEEEEPS5_jNS1_19radix_merge_compareILb0ELb1EiNS0_19identity_decomposerEEEEE10hipError_tT0_T1_T2_jT3_P12ihipStream_tbPNSt15iterator_traitsISK_E10value_typeEPNSQ_ISL_E10value_typeEPSM_NS1_7vsmem_tEENKUlT_SK_SL_SM_E_clIPiSE_SF_SF_EESJ_SZ_SK_SL_SM_EUlSZ_E0_NS1_11comp_targetILNS1_3genE5ELNS1_11target_archE942ELNS1_3gpuE9ELNS1_3repE0EEENS1_38merge_mergepath_config_static_selectorELNS0_4arch9wavefront6targetE1EEEvSL_
                                        ; -- End function
	.set _ZN7rocprim17ROCPRIM_400000_NS6detail17trampoline_kernelINS0_14default_configENS1_38merge_sort_block_merge_config_selectorIiNS0_10empty_typeEEEZZNS1_27merge_sort_block_merge_implIS3_N6thrust23THRUST_200600_302600_NS6detail15normal_iteratorINS9_10device_ptrIiEEEEPS5_jNS1_19radix_merge_compareILb0ELb1EiNS0_19identity_decomposerEEEEE10hipError_tT0_T1_T2_jT3_P12ihipStream_tbPNSt15iterator_traitsISK_E10value_typeEPNSQ_ISL_E10value_typeEPSM_NS1_7vsmem_tEENKUlT_SK_SL_SM_E_clIPiSE_SF_SF_EESJ_SZ_SK_SL_SM_EUlSZ_E0_NS1_11comp_targetILNS1_3genE5ELNS1_11target_archE942ELNS1_3gpuE9ELNS1_3repE0EEENS1_38merge_mergepath_config_static_selectorELNS0_4arch9wavefront6targetE1EEEvSL_.num_vgpr, 0
	.set _ZN7rocprim17ROCPRIM_400000_NS6detail17trampoline_kernelINS0_14default_configENS1_38merge_sort_block_merge_config_selectorIiNS0_10empty_typeEEEZZNS1_27merge_sort_block_merge_implIS3_N6thrust23THRUST_200600_302600_NS6detail15normal_iteratorINS9_10device_ptrIiEEEEPS5_jNS1_19radix_merge_compareILb0ELb1EiNS0_19identity_decomposerEEEEE10hipError_tT0_T1_T2_jT3_P12ihipStream_tbPNSt15iterator_traitsISK_E10value_typeEPNSQ_ISL_E10value_typeEPSM_NS1_7vsmem_tEENKUlT_SK_SL_SM_E_clIPiSE_SF_SF_EESJ_SZ_SK_SL_SM_EUlSZ_E0_NS1_11comp_targetILNS1_3genE5ELNS1_11target_archE942ELNS1_3gpuE9ELNS1_3repE0EEENS1_38merge_mergepath_config_static_selectorELNS0_4arch9wavefront6targetE1EEEvSL_.num_agpr, 0
	.set _ZN7rocprim17ROCPRIM_400000_NS6detail17trampoline_kernelINS0_14default_configENS1_38merge_sort_block_merge_config_selectorIiNS0_10empty_typeEEEZZNS1_27merge_sort_block_merge_implIS3_N6thrust23THRUST_200600_302600_NS6detail15normal_iteratorINS9_10device_ptrIiEEEEPS5_jNS1_19radix_merge_compareILb0ELb1EiNS0_19identity_decomposerEEEEE10hipError_tT0_T1_T2_jT3_P12ihipStream_tbPNSt15iterator_traitsISK_E10value_typeEPNSQ_ISL_E10value_typeEPSM_NS1_7vsmem_tEENKUlT_SK_SL_SM_E_clIPiSE_SF_SF_EESJ_SZ_SK_SL_SM_EUlSZ_E0_NS1_11comp_targetILNS1_3genE5ELNS1_11target_archE942ELNS1_3gpuE9ELNS1_3repE0EEENS1_38merge_mergepath_config_static_selectorELNS0_4arch9wavefront6targetE1EEEvSL_.numbered_sgpr, 0
	.set _ZN7rocprim17ROCPRIM_400000_NS6detail17trampoline_kernelINS0_14default_configENS1_38merge_sort_block_merge_config_selectorIiNS0_10empty_typeEEEZZNS1_27merge_sort_block_merge_implIS3_N6thrust23THRUST_200600_302600_NS6detail15normal_iteratorINS9_10device_ptrIiEEEEPS5_jNS1_19radix_merge_compareILb0ELb1EiNS0_19identity_decomposerEEEEE10hipError_tT0_T1_T2_jT3_P12ihipStream_tbPNSt15iterator_traitsISK_E10value_typeEPNSQ_ISL_E10value_typeEPSM_NS1_7vsmem_tEENKUlT_SK_SL_SM_E_clIPiSE_SF_SF_EESJ_SZ_SK_SL_SM_EUlSZ_E0_NS1_11comp_targetILNS1_3genE5ELNS1_11target_archE942ELNS1_3gpuE9ELNS1_3repE0EEENS1_38merge_mergepath_config_static_selectorELNS0_4arch9wavefront6targetE1EEEvSL_.num_named_barrier, 0
	.set _ZN7rocprim17ROCPRIM_400000_NS6detail17trampoline_kernelINS0_14default_configENS1_38merge_sort_block_merge_config_selectorIiNS0_10empty_typeEEEZZNS1_27merge_sort_block_merge_implIS3_N6thrust23THRUST_200600_302600_NS6detail15normal_iteratorINS9_10device_ptrIiEEEEPS5_jNS1_19radix_merge_compareILb0ELb1EiNS0_19identity_decomposerEEEEE10hipError_tT0_T1_T2_jT3_P12ihipStream_tbPNSt15iterator_traitsISK_E10value_typeEPNSQ_ISL_E10value_typeEPSM_NS1_7vsmem_tEENKUlT_SK_SL_SM_E_clIPiSE_SF_SF_EESJ_SZ_SK_SL_SM_EUlSZ_E0_NS1_11comp_targetILNS1_3genE5ELNS1_11target_archE942ELNS1_3gpuE9ELNS1_3repE0EEENS1_38merge_mergepath_config_static_selectorELNS0_4arch9wavefront6targetE1EEEvSL_.private_seg_size, 0
	.set _ZN7rocprim17ROCPRIM_400000_NS6detail17trampoline_kernelINS0_14default_configENS1_38merge_sort_block_merge_config_selectorIiNS0_10empty_typeEEEZZNS1_27merge_sort_block_merge_implIS3_N6thrust23THRUST_200600_302600_NS6detail15normal_iteratorINS9_10device_ptrIiEEEEPS5_jNS1_19radix_merge_compareILb0ELb1EiNS0_19identity_decomposerEEEEE10hipError_tT0_T1_T2_jT3_P12ihipStream_tbPNSt15iterator_traitsISK_E10value_typeEPNSQ_ISL_E10value_typeEPSM_NS1_7vsmem_tEENKUlT_SK_SL_SM_E_clIPiSE_SF_SF_EESJ_SZ_SK_SL_SM_EUlSZ_E0_NS1_11comp_targetILNS1_3genE5ELNS1_11target_archE942ELNS1_3gpuE9ELNS1_3repE0EEENS1_38merge_mergepath_config_static_selectorELNS0_4arch9wavefront6targetE1EEEvSL_.uses_vcc, 0
	.set _ZN7rocprim17ROCPRIM_400000_NS6detail17trampoline_kernelINS0_14default_configENS1_38merge_sort_block_merge_config_selectorIiNS0_10empty_typeEEEZZNS1_27merge_sort_block_merge_implIS3_N6thrust23THRUST_200600_302600_NS6detail15normal_iteratorINS9_10device_ptrIiEEEEPS5_jNS1_19radix_merge_compareILb0ELb1EiNS0_19identity_decomposerEEEEE10hipError_tT0_T1_T2_jT3_P12ihipStream_tbPNSt15iterator_traitsISK_E10value_typeEPNSQ_ISL_E10value_typeEPSM_NS1_7vsmem_tEENKUlT_SK_SL_SM_E_clIPiSE_SF_SF_EESJ_SZ_SK_SL_SM_EUlSZ_E0_NS1_11comp_targetILNS1_3genE5ELNS1_11target_archE942ELNS1_3gpuE9ELNS1_3repE0EEENS1_38merge_mergepath_config_static_selectorELNS0_4arch9wavefront6targetE1EEEvSL_.uses_flat_scratch, 0
	.set _ZN7rocprim17ROCPRIM_400000_NS6detail17trampoline_kernelINS0_14default_configENS1_38merge_sort_block_merge_config_selectorIiNS0_10empty_typeEEEZZNS1_27merge_sort_block_merge_implIS3_N6thrust23THRUST_200600_302600_NS6detail15normal_iteratorINS9_10device_ptrIiEEEEPS5_jNS1_19radix_merge_compareILb0ELb1EiNS0_19identity_decomposerEEEEE10hipError_tT0_T1_T2_jT3_P12ihipStream_tbPNSt15iterator_traitsISK_E10value_typeEPNSQ_ISL_E10value_typeEPSM_NS1_7vsmem_tEENKUlT_SK_SL_SM_E_clIPiSE_SF_SF_EESJ_SZ_SK_SL_SM_EUlSZ_E0_NS1_11comp_targetILNS1_3genE5ELNS1_11target_archE942ELNS1_3gpuE9ELNS1_3repE0EEENS1_38merge_mergepath_config_static_selectorELNS0_4arch9wavefront6targetE1EEEvSL_.has_dyn_sized_stack, 0
	.set _ZN7rocprim17ROCPRIM_400000_NS6detail17trampoline_kernelINS0_14default_configENS1_38merge_sort_block_merge_config_selectorIiNS0_10empty_typeEEEZZNS1_27merge_sort_block_merge_implIS3_N6thrust23THRUST_200600_302600_NS6detail15normal_iteratorINS9_10device_ptrIiEEEEPS5_jNS1_19radix_merge_compareILb0ELb1EiNS0_19identity_decomposerEEEEE10hipError_tT0_T1_T2_jT3_P12ihipStream_tbPNSt15iterator_traitsISK_E10value_typeEPNSQ_ISL_E10value_typeEPSM_NS1_7vsmem_tEENKUlT_SK_SL_SM_E_clIPiSE_SF_SF_EESJ_SZ_SK_SL_SM_EUlSZ_E0_NS1_11comp_targetILNS1_3genE5ELNS1_11target_archE942ELNS1_3gpuE9ELNS1_3repE0EEENS1_38merge_mergepath_config_static_selectorELNS0_4arch9wavefront6targetE1EEEvSL_.has_recursion, 0
	.set _ZN7rocprim17ROCPRIM_400000_NS6detail17trampoline_kernelINS0_14default_configENS1_38merge_sort_block_merge_config_selectorIiNS0_10empty_typeEEEZZNS1_27merge_sort_block_merge_implIS3_N6thrust23THRUST_200600_302600_NS6detail15normal_iteratorINS9_10device_ptrIiEEEEPS5_jNS1_19radix_merge_compareILb0ELb1EiNS0_19identity_decomposerEEEEE10hipError_tT0_T1_T2_jT3_P12ihipStream_tbPNSt15iterator_traitsISK_E10value_typeEPNSQ_ISL_E10value_typeEPSM_NS1_7vsmem_tEENKUlT_SK_SL_SM_E_clIPiSE_SF_SF_EESJ_SZ_SK_SL_SM_EUlSZ_E0_NS1_11comp_targetILNS1_3genE5ELNS1_11target_archE942ELNS1_3gpuE9ELNS1_3repE0EEENS1_38merge_mergepath_config_static_selectorELNS0_4arch9wavefront6targetE1EEEvSL_.has_indirect_call, 0
	.section	.AMDGPU.csdata,"",@progbits
; Kernel info:
; codeLenInByte = 0
; TotalNumSgprs: 6
; NumVgprs: 0
; NumAgprs: 0
; TotalNumVgprs: 0
; ScratchSize: 0
; MemoryBound: 0
; FloatMode: 240
; IeeeMode: 1
; LDSByteSize: 0 bytes/workgroup (compile time only)
; SGPRBlocks: 0
; VGPRBlocks: 0
; NumSGPRsForWavesPerEU: 6
; NumVGPRsForWavesPerEU: 1
; AccumOffset: 4
; Occupancy: 8
; WaveLimiterHint : 0
; COMPUTE_PGM_RSRC2:SCRATCH_EN: 0
; COMPUTE_PGM_RSRC2:USER_SGPR: 2
; COMPUTE_PGM_RSRC2:TRAP_HANDLER: 0
; COMPUTE_PGM_RSRC2:TGID_X_EN: 1
; COMPUTE_PGM_RSRC2:TGID_Y_EN: 0
; COMPUTE_PGM_RSRC2:TGID_Z_EN: 0
; COMPUTE_PGM_RSRC2:TIDIG_COMP_CNT: 0
; COMPUTE_PGM_RSRC3_GFX90A:ACCUM_OFFSET: 0
; COMPUTE_PGM_RSRC3_GFX90A:TG_SPLIT: 0
	.section	.text._ZN7rocprim17ROCPRIM_400000_NS6detail17trampoline_kernelINS0_14default_configENS1_38merge_sort_block_merge_config_selectorIiNS0_10empty_typeEEEZZNS1_27merge_sort_block_merge_implIS3_N6thrust23THRUST_200600_302600_NS6detail15normal_iteratorINS9_10device_ptrIiEEEEPS5_jNS1_19radix_merge_compareILb0ELb1EiNS0_19identity_decomposerEEEEE10hipError_tT0_T1_T2_jT3_P12ihipStream_tbPNSt15iterator_traitsISK_E10value_typeEPNSQ_ISL_E10value_typeEPSM_NS1_7vsmem_tEENKUlT_SK_SL_SM_E_clIPiSE_SF_SF_EESJ_SZ_SK_SL_SM_EUlSZ_E0_NS1_11comp_targetILNS1_3genE4ELNS1_11target_archE910ELNS1_3gpuE8ELNS1_3repE0EEENS1_38merge_mergepath_config_static_selectorELNS0_4arch9wavefront6targetE1EEEvSL_,"axG",@progbits,_ZN7rocprim17ROCPRIM_400000_NS6detail17trampoline_kernelINS0_14default_configENS1_38merge_sort_block_merge_config_selectorIiNS0_10empty_typeEEEZZNS1_27merge_sort_block_merge_implIS3_N6thrust23THRUST_200600_302600_NS6detail15normal_iteratorINS9_10device_ptrIiEEEEPS5_jNS1_19radix_merge_compareILb0ELb1EiNS0_19identity_decomposerEEEEE10hipError_tT0_T1_T2_jT3_P12ihipStream_tbPNSt15iterator_traitsISK_E10value_typeEPNSQ_ISL_E10value_typeEPSM_NS1_7vsmem_tEENKUlT_SK_SL_SM_E_clIPiSE_SF_SF_EESJ_SZ_SK_SL_SM_EUlSZ_E0_NS1_11comp_targetILNS1_3genE4ELNS1_11target_archE910ELNS1_3gpuE8ELNS1_3repE0EEENS1_38merge_mergepath_config_static_selectorELNS0_4arch9wavefront6targetE1EEEvSL_,comdat
	.protected	_ZN7rocprim17ROCPRIM_400000_NS6detail17trampoline_kernelINS0_14default_configENS1_38merge_sort_block_merge_config_selectorIiNS0_10empty_typeEEEZZNS1_27merge_sort_block_merge_implIS3_N6thrust23THRUST_200600_302600_NS6detail15normal_iteratorINS9_10device_ptrIiEEEEPS5_jNS1_19radix_merge_compareILb0ELb1EiNS0_19identity_decomposerEEEEE10hipError_tT0_T1_T2_jT3_P12ihipStream_tbPNSt15iterator_traitsISK_E10value_typeEPNSQ_ISL_E10value_typeEPSM_NS1_7vsmem_tEENKUlT_SK_SL_SM_E_clIPiSE_SF_SF_EESJ_SZ_SK_SL_SM_EUlSZ_E0_NS1_11comp_targetILNS1_3genE4ELNS1_11target_archE910ELNS1_3gpuE8ELNS1_3repE0EEENS1_38merge_mergepath_config_static_selectorELNS0_4arch9wavefront6targetE1EEEvSL_ ; -- Begin function _ZN7rocprim17ROCPRIM_400000_NS6detail17trampoline_kernelINS0_14default_configENS1_38merge_sort_block_merge_config_selectorIiNS0_10empty_typeEEEZZNS1_27merge_sort_block_merge_implIS3_N6thrust23THRUST_200600_302600_NS6detail15normal_iteratorINS9_10device_ptrIiEEEEPS5_jNS1_19radix_merge_compareILb0ELb1EiNS0_19identity_decomposerEEEEE10hipError_tT0_T1_T2_jT3_P12ihipStream_tbPNSt15iterator_traitsISK_E10value_typeEPNSQ_ISL_E10value_typeEPSM_NS1_7vsmem_tEENKUlT_SK_SL_SM_E_clIPiSE_SF_SF_EESJ_SZ_SK_SL_SM_EUlSZ_E0_NS1_11comp_targetILNS1_3genE4ELNS1_11target_archE910ELNS1_3gpuE8ELNS1_3repE0EEENS1_38merge_mergepath_config_static_selectorELNS0_4arch9wavefront6targetE1EEEvSL_
	.globl	_ZN7rocprim17ROCPRIM_400000_NS6detail17trampoline_kernelINS0_14default_configENS1_38merge_sort_block_merge_config_selectorIiNS0_10empty_typeEEEZZNS1_27merge_sort_block_merge_implIS3_N6thrust23THRUST_200600_302600_NS6detail15normal_iteratorINS9_10device_ptrIiEEEEPS5_jNS1_19radix_merge_compareILb0ELb1EiNS0_19identity_decomposerEEEEE10hipError_tT0_T1_T2_jT3_P12ihipStream_tbPNSt15iterator_traitsISK_E10value_typeEPNSQ_ISL_E10value_typeEPSM_NS1_7vsmem_tEENKUlT_SK_SL_SM_E_clIPiSE_SF_SF_EESJ_SZ_SK_SL_SM_EUlSZ_E0_NS1_11comp_targetILNS1_3genE4ELNS1_11target_archE910ELNS1_3gpuE8ELNS1_3repE0EEENS1_38merge_mergepath_config_static_selectorELNS0_4arch9wavefront6targetE1EEEvSL_
	.p2align	8
	.type	_ZN7rocprim17ROCPRIM_400000_NS6detail17trampoline_kernelINS0_14default_configENS1_38merge_sort_block_merge_config_selectorIiNS0_10empty_typeEEEZZNS1_27merge_sort_block_merge_implIS3_N6thrust23THRUST_200600_302600_NS6detail15normal_iteratorINS9_10device_ptrIiEEEEPS5_jNS1_19radix_merge_compareILb0ELb1EiNS0_19identity_decomposerEEEEE10hipError_tT0_T1_T2_jT3_P12ihipStream_tbPNSt15iterator_traitsISK_E10value_typeEPNSQ_ISL_E10value_typeEPSM_NS1_7vsmem_tEENKUlT_SK_SL_SM_E_clIPiSE_SF_SF_EESJ_SZ_SK_SL_SM_EUlSZ_E0_NS1_11comp_targetILNS1_3genE4ELNS1_11target_archE910ELNS1_3gpuE8ELNS1_3repE0EEENS1_38merge_mergepath_config_static_selectorELNS0_4arch9wavefront6targetE1EEEvSL_,@function
_ZN7rocprim17ROCPRIM_400000_NS6detail17trampoline_kernelINS0_14default_configENS1_38merge_sort_block_merge_config_selectorIiNS0_10empty_typeEEEZZNS1_27merge_sort_block_merge_implIS3_N6thrust23THRUST_200600_302600_NS6detail15normal_iteratorINS9_10device_ptrIiEEEEPS5_jNS1_19radix_merge_compareILb0ELb1EiNS0_19identity_decomposerEEEEE10hipError_tT0_T1_T2_jT3_P12ihipStream_tbPNSt15iterator_traitsISK_E10value_typeEPNSQ_ISL_E10value_typeEPSM_NS1_7vsmem_tEENKUlT_SK_SL_SM_E_clIPiSE_SF_SF_EESJ_SZ_SK_SL_SM_EUlSZ_E0_NS1_11comp_targetILNS1_3genE4ELNS1_11target_archE910ELNS1_3gpuE8ELNS1_3repE0EEENS1_38merge_mergepath_config_static_selectorELNS0_4arch9wavefront6targetE1EEEvSL_: ; @_ZN7rocprim17ROCPRIM_400000_NS6detail17trampoline_kernelINS0_14default_configENS1_38merge_sort_block_merge_config_selectorIiNS0_10empty_typeEEEZZNS1_27merge_sort_block_merge_implIS3_N6thrust23THRUST_200600_302600_NS6detail15normal_iteratorINS9_10device_ptrIiEEEEPS5_jNS1_19radix_merge_compareILb0ELb1EiNS0_19identity_decomposerEEEEE10hipError_tT0_T1_T2_jT3_P12ihipStream_tbPNSt15iterator_traitsISK_E10value_typeEPNSQ_ISL_E10value_typeEPSM_NS1_7vsmem_tEENKUlT_SK_SL_SM_E_clIPiSE_SF_SF_EESJ_SZ_SK_SL_SM_EUlSZ_E0_NS1_11comp_targetILNS1_3genE4ELNS1_11target_archE910ELNS1_3gpuE8ELNS1_3repE0EEENS1_38merge_mergepath_config_static_selectorELNS0_4arch9wavefront6targetE1EEEvSL_
; %bb.0:
	.section	.rodata,"a",@progbits
	.p2align	6, 0x0
	.amdhsa_kernel _ZN7rocprim17ROCPRIM_400000_NS6detail17trampoline_kernelINS0_14default_configENS1_38merge_sort_block_merge_config_selectorIiNS0_10empty_typeEEEZZNS1_27merge_sort_block_merge_implIS3_N6thrust23THRUST_200600_302600_NS6detail15normal_iteratorINS9_10device_ptrIiEEEEPS5_jNS1_19radix_merge_compareILb0ELb1EiNS0_19identity_decomposerEEEEE10hipError_tT0_T1_T2_jT3_P12ihipStream_tbPNSt15iterator_traitsISK_E10value_typeEPNSQ_ISL_E10value_typeEPSM_NS1_7vsmem_tEENKUlT_SK_SL_SM_E_clIPiSE_SF_SF_EESJ_SZ_SK_SL_SM_EUlSZ_E0_NS1_11comp_targetILNS1_3genE4ELNS1_11target_archE910ELNS1_3gpuE8ELNS1_3repE0EEENS1_38merge_mergepath_config_static_selectorELNS0_4arch9wavefront6targetE1EEEvSL_
		.amdhsa_group_segment_fixed_size 0
		.amdhsa_private_segment_fixed_size 0
		.amdhsa_kernarg_size 64
		.amdhsa_user_sgpr_count 2
		.amdhsa_user_sgpr_dispatch_ptr 0
		.amdhsa_user_sgpr_queue_ptr 0
		.amdhsa_user_sgpr_kernarg_segment_ptr 1
		.amdhsa_user_sgpr_dispatch_id 0
		.amdhsa_user_sgpr_kernarg_preload_length 0
		.amdhsa_user_sgpr_kernarg_preload_offset 0
		.amdhsa_user_sgpr_private_segment_size 0
		.amdhsa_uses_dynamic_stack 0
		.amdhsa_enable_private_segment 0
		.amdhsa_system_sgpr_workgroup_id_x 1
		.amdhsa_system_sgpr_workgroup_id_y 0
		.amdhsa_system_sgpr_workgroup_id_z 0
		.amdhsa_system_sgpr_workgroup_info 0
		.amdhsa_system_vgpr_workitem_id 0
		.amdhsa_next_free_vgpr 1
		.amdhsa_next_free_sgpr 0
		.amdhsa_accum_offset 4
		.amdhsa_reserve_vcc 0
		.amdhsa_float_round_mode_32 0
		.amdhsa_float_round_mode_16_64 0
		.amdhsa_float_denorm_mode_32 3
		.amdhsa_float_denorm_mode_16_64 3
		.amdhsa_dx10_clamp 1
		.amdhsa_ieee_mode 1
		.amdhsa_fp16_overflow 0
		.amdhsa_tg_split 0
		.amdhsa_exception_fp_ieee_invalid_op 0
		.amdhsa_exception_fp_denorm_src 0
		.amdhsa_exception_fp_ieee_div_zero 0
		.amdhsa_exception_fp_ieee_overflow 0
		.amdhsa_exception_fp_ieee_underflow 0
		.amdhsa_exception_fp_ieee_inexact 0
		.amdhsa_exception_int_div_zero 0
	.end_amdhsa_kernel
	.section	.text._ZN7rocprim17ROCPRIM_400000_NS6detail17trampoline_kernelINS0_14default_configENS1_38merge_sort_block_merge_config_selectorIiNS0_10empty_typeEEEZZNS1_27merge_sort_block_merge_implIS3_N6thrust23THRUST_200600_302600_NS6detail15normal_iteratorINS9_10device_ptrIiEEEEPS5_jNS1_19radix_merge_compareILb0ELb1EiNS0_19identity_decomposerEEEEE10hipError_tT0_T1_T2_jT3_P12ihipStream_tbPNSt15iterator_traitsISK_E10value_typeEPNSQ_ISL_E10value_typeEPSM_NS1_7vsmem_tEENKUlT_SK_SL_SM_E_clIPiSE_SF_SF_EESJ_SZ_SK_SL_SM_EUlSZ_E0_NS1_11comp_targetILNS1_3genE4ELNS1_11target_archE910ELNS1_3gpuE8ELNS1_3repE0EEENS1_38merge_mergepath_config_static_selectorELNS0_4arch9wavefront6targetE1EEEvSL_,"axG",@progbits,_ZN7rocprim17ROCPRIM_400000_NS6detail17trampoline_kernelINS0_14default_configENS1_38merge_sort_block_merge_config_selectorIiNS0_10empty_typeEEEZZNS1_27merge_sort_block_merge_implIS3_N6thrust23THRUST_200600_302600_NS6detail15normal_iteratorINS9_10device_ptrIiEEEEPS5_jNS1_19radix_merge_compareILb0ELb1EiNS0_19identity_decomposerEEEEE10hipError_tT0_T1_T2_jT3_P12ihipStream_tbPNSt15iterator_traitsISK_E10value_typeEPNSQ_ISL_E10value_typeEPSM_NS1_7vsmem_tEENKUlT_SK_SL_SM_E_clIPiSE_SF_SF_EESJ_SZ_SK_SL_SM_EUlSZ_E0_NS1_11comp_targetILNS1_3genE4ELNS1_11target_archE910ELNS1_3gpuE8ELNS1_3repE0EEENS1_38merge_mergepath_config_static_selectorELNS0_4arch9wavefront6targetE1EEEvSL_,comdat
.Lfunc_end95:
	.size	_ZN7rocprim17ROCPRIM_400000_NS6detail17trampoline_kernelINS0_14default_configENS1_38merge_sort_block_merge_config_selectorIiNS0_10empty_typeEEEZZNS1_27merge_sort_block_merge_implIS3_N6thrust23THRUST_200600_302600_NS6detail15normal_iteratorINS9_10device_ptrIiEEEEPS5_jNS1_19radix_merge_compareILb0ELb1EiNS0_19identity_decomposerEEEEE10hipError_tT0_T1_T2_jT3_P12ihipStream_tbPNSt15iterator_traitsISK_E10value_typeEPNSQ_ISL_E10value_typeEPSM_NS1_7vsmem_tEENKUlT_SK_SL_SM_E_clIPiSE_SF_SF_EESJ_SZ_SK_SL_SM_EUlSZ_E0_NS1_11comp_targetILNS1_3genE4ELNS1_11target_archE910ELNS1_3gpuE8ELNS1_3repE0EEENS1_38merge_mergepath_config_static_selectorELNS0_4arch9wavefront6targetE1EEEvSL_, .Lfunc_end95-_ZN7rocprim17ROCPRIM_400000_NS6detail17trampoline_kernelINS0_14default_configENS1_38merge_sort_block_merge_config_selectorIiNS0_10empty_typeEEEZZNS1_27merge_sort_block_merge_implIS3_N6thrust23THRUST_200600_302600_NS6detail15normal_iteratorINS9_10device_ptrIiEEEEPS5_jNS1_19radix_merge_compareILb0ELb1EiNS0_19identity_decomposerEEEEE10hipError_tT0_T1_T2_jT3_P12ihipStream_tbPNSt15iterator_traitsISK_E10value_typeEPNSQ_ISL_E10value_typeEPSM_NS1_7vsmem_tEENKUlT_SK_SL_SM_E_clIPiSE_SF_SF_EESJ_SZ_SK_SL_SM_EUlSZ_E0_NS1_11comp_targetILNS1_3genE4ELNS1_11target_archE910ELNS1_3gpuE8ELNS1_3repE0EEENS1_38merge_mergepath_config_static_selectorELNS0_4arch9wavefront6targetE1EEEvSL_
                                        ; -- End function
	.set _ZN7rocprim17ROCPRIM_400000_NS6detail17trampoline_kernelINS0_14default_configENS1_38merge_sort_block_merge_config_selectorIiNS0_10empty_typeEEEZZNS1_27merge_sort_block_merge_implIS3_N6thrust23THRUST_200600_302600_NS6detail15normal_iteratorINS9_10device_ptrIiEEEEPS5_jNS1_19radix_merge_compareILb0ELb1EiNS0_19identity_decomposerEEEEE10hipError_tT0_T1_T2_jT3_P12ihipStream_tbPNSt15iterator_traitsISK_E10value_typeEPNSQ_ISL_E10value_typeEPSM_NS1_7vsmem_tEENKUlT_SK_SL_SM_E_clIPiSE_SF_SF_EESJ_SZ_SK_SL_SM_EUlSZ_E0_NS1_11comp_targetILNS1_3genE4ELNS1_11target_archE910ELNS1_3gpuE8ELNS1_3repE0EEENS1_38merge_mergepath_config_static_selectorELNS0_4arch9wavefront6targetE1EEEvSL_.num_vgpr, 0
	.set _ZN7rocprim17ROCPRIM_400000_NS6detail17trampoline_kernelINS0_14default_configENS1_38merge_sort_block_merge_config_selectorIiNS0_10empty_typeEEEZZNS1_27merge_sort_block_merge_implIS3_N6thrust23THRUST_200600_302600_NS6detail15normal_iteratorINS9_10device_ptrIiEEEEPS5_jNS1_19radix_merge_compareILb0ELb1EiNS0_19identity_decomposerEEEEE10hipError_tT0_T1_T2_jT3_P12ihipStream_tbPNSt15iterator_traitsISK_E10value_typeEPNSQ_ISL_E10value_typeEPSM_NS1_7vsmem_tEENKUlT_SK_SL_SM_E_clIPiSE_SF_SF_EESJ_SZ_SK_SL_SM_EUlSZ_E0_NS1_11comp_targetILNS1_3genE4ELNS1_11target_archE910ELNS1_3gpuE8ELNS1_3repE0EEENS1_38merge_mergepath_config_static_selectorELNS0_4arch9wavefront6targetE1EEEvSL_.num_agpr, 0
	.set _ZN7rocprim17ROCPRIM_400000_NS6detail17trampoline_kernelINS0_14default_configENS1_38merge_sort_block_merge_config_selectorIiNS0_10empty_typeEEEZZNS1_27merge_sort_block_merge_implIS3_N6thrust23THRUST_200600_302600_NS6detail15normal_iteratorINS9_10device_ptrIiEEEEPS5_jNS1_19radix_merge_compareILb0ELb1EiNS0_19identity_decomposerEEEEE10hipError_tT0_T1_T2_jT3_P12ihipStream_tbPNSt15iterator_traitsISK_E10value_typeEPNSQ_ISL_E10value_typeEPSM_NS1_7vsmem_tEENKUlT_SK_SL_SM_E_clIPiSE_SF_SF_EESJ_SZ_SK_SL_SM_EUlSZ_E0_NS1_11comp_targetILNS1_3genE4ELNS1_11target_archE910ELNS1_3gpuE8ELNS1_3repE0EEENS1_38merge_mergepath_config_static_selectorELNS0_4arch9wavefront6targetE1EEEvSL_.numbered_sgpr, 0
	.set _ZN7rocprim17ROCPRIM_400000_NS6detail17trampoline_kernelINS0_14default_configENS1_38merge_sort_block_merge_config_selectorIiNS0_10empty_typeEEEZZNS1_27merge_sort_block_merge_implIS3_N6thrust23THRUST_200600_302600_NS6detail15normal_iteratorINS9_10device_ptrIiEEEEPS5_jNS1_19radix_merge_compareILb0ELb1EiNS0_19identity_decomposerEEEEE10hipError_tT0_T1_T2_jT3_P12ihipStream_tbPNSt15iterator_traitsISK_E10value_typeEPNSQ_ISL_E10value_typeEPSM_NS1_7vsmem_tEENKUlT_SK_SL_SM_E_clIPiSE_SF_SF_EESJ_SZ_SK_SL_SM_EUlSZ_E0_NS1_11comp_targetILNS1_3genE4ELNS1_11target_archE910ELNS1_3gpuE8ELNS1_3repE0EEENS1_38merge_mergepath_config_static_selectorELNS0_4arch9wavefront6targetE1EEEvSL_.num_named_barrier, 0
	.set _ZN7rocprim17ROCPRIM_400000_NS6detail17trampoline_kernelINS0_14default_configENS1_38merge_sort_block_merge_config_selectorIiNS0_10empty_typeEEEZZNS1_27merge_sort_block_merge_implIS3_N6thrust23THRUST_200600_302600_NS6detail15normal_iteratorINS9_10device_ptrIiEEEEPS5_jNS1_19radix_merge_compareILb0ELb1EiNS0_19identity_decomposerEEEEE10hipError_tT0_T1_T2_jT3_P12ihipStream_tbPNSt15iterator_traitsISK_E10value_typeEPNSQ_ISL_E10value_typeEPSM_NS1_7vsmem_tEENKUlT_SK_SL_SM_E_clIPiSE_SF_SF_EESJ_SZ_SK_SL_SM_EUlSZ_E0_NS1_11comp_targetILNS1_3genE4ELNS1_11target_archE910ELNS1_3gpuE8ELNS1_3repE0EEENS1_38merge_mergepath_config_static_selectorELNS0_4arch9wavefront6targetE1EEEvSL_.private_seg_size, 0
	.set _ZN7rocprim17ROCPRIM_400000_NS6detail17trampoline_kernelINS0_14default_configENS1_38merge_sort_block_merge_config_selectorIiNS0_10empty_typeEEEZZNS1_27merge_sort_block_merge_implIS3_N6thrust23THRUST_200600_302600_NS6detail15normal_iteratorINS9_10device_ptrIiEEEEPS5_jNS1_19radix_merge_compareILb0ELb1EiNS0_19identity_decomposerEEEEE10hipError_tT0_T1_T2_jT3_P12ihipStream_tbPNSt15iterator_traitsISK_E10value_typeEPNSQ_ISL_E10value_typeEPSM_NS1_7vsmem_tEENKUlT_SK_SL_SM_E_clIPiSE_SF_SF_EESJ_SZ_SK_SL_SM_EUlSZ_E0_NS1_11comp_targetILNS1_3genE4ELNS1_11target_archE910ELNS1_3gpuE8ELNS1_3repE0EEENS1_38merge_mergepath_config_static_selectorELNS0_4arch9wavefront6targetE1EEEvSL_.uses_vcc, 0
	.set _ZN7rocprim17ROCPRIM_400000_NS6detail17trampoline_kernelINS0_14default_configENS1_38merge_sort_block_merge_config_selectorIiNS0_10empty_typeEEEZZNS1_27merge_sort_block_merge_implIS3_N6thrust23THRUST_200600_302600_NS6detail15normal_iteratorINS9_10device_ptrIiEEEEPS5_jNS1_19radix_merge_compareILb0ELb1EiNS0_19identity_decomposerEEEEE10hipError_tT0_T1_T2_jT3_P12ihipStream_tbPNSt15iterator_traitsISK_E10value_typeEPNSQ_ISL_E10value_typeEPSM_NS1_7vsmem_tEENKUlT_SK_SL_SM_E_clIPiSE_SF_SF_EESJ_SZ_SK_SL_SM_EUlSZ_E0_NS1_11comp_targetILNS1_3genE4ELNS1_11target_archE910ELNS1_3gpuE8ELNS1_3repE0EEENS1_38merge_mergepath_config_static_selectorELNS0_4arch9wavefront6targetE1EEEvSL_.uses_flat_scratch, 0
	.set _ZN7rocprim17ROCPRIM_400000_NS6detail17trampoline_kernelINS0_14default_configENS1_38merge_sort_block_merge_config_selectorIiNS0_10empty_typeEEEZZNS1_27merge_sort_block_merge_implIS3_N6thrust23THRUST_200600_302600_NS6detail15normal_iteratorINS9_10device_ptrIiEEEEPS5_jNS1_19radix_merge_compareILb0ELb1EiNS0_19identity_decomposerEEEEE10hipError_tT0_T1_T2_jT3_P12ihipStream_tbPNSt15iterator_traitsISK_E10value_typeEPNSQ_ISL_E10value_typeEPSM_NS1_7vsmem_tEENKUlT_SK_SL_SM_E_clIPiSE_SF_SF_EESJ_SZ_SK_SL_SM_EUlSZ_E0_NS1_11comp_targetILNS1_3genE4ELNS1_11target_archE910ELNS1_3gpuE8ELNS1_3repE0EEENS1_38merge_mergepath_config_static_selectorELNS0_4arch9wavefront6targetE1EEEvSL_.has_dyn_sized_stack, 0
	.set _ZN7rocprim17ROCPRIM_400000_NS6detail17trampoline_kernelINS0_14default_configENS1_38merge_sort_block_merge_config_selectorIiNS0_10empty_typeEEEZZNS1_27merge_sort_block_merge_implIS3_N6thrust23THRUST_200600_302600_NS6detail15normal_iteratorINS9_10device_ptrIiEEEEPS5_jNS1_19radix_merge_compareILb0ELb1EiNS0_19identity_decomposerEEEEE10hipError_tT0_T1_T2_jT3_P12ihipStream_tbPNSt15iterator_traitsISK_E10value_typeEPNSQ_ISL_E10value_typeEPSM_NS1_7vsmem_tEENKUlT_SK_SL_SM_E_clIPiSE_SF_SF_EESJ_SZ_SK_SL_SM_EUlSZ_E0_NS1_11comp_targetILNS1_3genE4ELNS1_11target_archE910ELNS1_3gpuE8ELNS1_3repE0EEENS1_38merge_mergepath_config_static_selectorELNS0_4arch9wavefront6targetE1EEEvSL_.has_recursion, 0
	.set _ZN7rocprim17ROCPRIM_400000_NS6detail17trampoline_kernelINS0_14default_configENS1_38merge_sort_block_merge_config_selectorIiNS0_10empty_typeEEEZZNS1_27merge_sort_block_merge_implIS3_N6thrust23THRUST_200600_302600_NS6detail15normal_iteratorINS9_10device_ptrIiEEEEPS5_jNS1_19radix_merge_compareILb0ELb1EiNS0_19identity_decomposerEEEEE10hipError_tT0_T1_T2_jT3_P12ihipStream_tbPNSt15iterator_traitsISK_E10value_typeEPNSQ_ISL_E10value_typeEPSM_NS1_7vsmem_tEENKUlT_SK_SL_SM_E_clIPiSE_SF_SF_EESJ_SZ_SK_SL_SM_EUlSZ_E0_NS1_11comp_targetILNS1_3genE4ELNS1_11target_archE910ELNS1_3gpuE8ELNS1_3repE0EEENS1_38merge_mergepath_config_static_selectorELNS0_4arch9wavefront6targetE1EEEvSL_.has_indirect_call, 0
	.section	.AMDGPU.csdata,"",@progbits
; Kernel info:
; codeLenInByte = 0
; TotalNumSgprs: 6
; NumVgprs: 0
; NumAgprs: 0
; TotalNumVgprs: 0
; ScratchSize: 0
; MemoryBound: 0
; FloatMode: 240
; IeeeMode: 1
; LDSByteSize: 0 bytes/workgroup (compile time only)
; SGPRBlocks: 0
; VGPRBlocks: 0
; NumSGPRsForWavesPerEU: 6
; NumVGPRsForWavesPerEU: 1
; AccumOffset: 4
; Occupancy: 8
; WaveLimiterHint : 0
; COMPUTE_PGM_RSRC2:SCRATCH_EN: 0
; COMPUTE_PGM_RSRC2:USER_SGPR: 2
; COMPUTE_PGM_RSRC2:TRAP_HANDLER: 0
; COMPUTE_PGM_RSRC2:TGID_X_EN: 1
; COMPUTE_PGM_RSRC2:TGID_Y_EN: 0
; COMPUTE_PGM_RSRC2:TGID_Z_EN: 0
; COMPUTE_PGM_RSRC2:TIDIG_COMP_CNT: 0
; COMPUTE_PGM_RSRC3_GFX90A:ACCUM_OFFSET: 0
; COMPUTE_PGM_RSRC3_GFX90A:TG_SPLIT: 0
	.section	.text._ZN7rocprim17ROCPRIM_400000_NS6detail17trampoline_kernelINS0_14default_configENS1_38merge_sort_block_merge_config_selectorIiNS0_10empty_typeEEEZZNS1_27merge_sort_block_merge_implIS3_N6thrust23THRUST_200600_302600_NS6detail15normal_iteratorINS9_10device_ptrIiEEEEPS5_jNS1_19radix_merge_compareILb0ELb1EiNS0_19identity_decomposerEEEEE10hipError_tT0_T1_T2_jT3_P12ihipStream_tbPNSt15iterator_traitsISK_E10value_typeEPNSQ_ISL_E10value_typeEPSM_NS1_7vsmem_tEENKUlT_SK_SL_SM_E_clIPiSE_SF_SF_EESJ_SZ_SK_SL_SM_EUlSZ_E0_NS1_11comp_targetILNS1_3genE3ELNS1_11target_archE908ELNS1_3gpuE7ELNS1_3repE0EEENS1_38merge_mergepath_config_static_selectorELNS0_4arch9wavefront6targetE1EEEvSL_,"axG",@progbits,_ZN7rocprim17ROCPRIM_400000_NS6detail17trampoline_kernelINS0_14default_configENS1_38merge_sort_block_merge_config_selectorIiNS0_10empty_typeEEEZZNS1_27merge_sort_block_merge_implIS3_N6thrust23THRUST_200600_302600_NS6detail15normal_iteratorINS9_10device_ptrIiEEEEPS5_jNS1_19radix_merge_compareILb0ELb1EiNS0_19identity_decomposerEEEEE10hipError_tT0_T1_T2_jT3_P12ihipStream_tbPNSt15iterator_traitsISK_E10value_typeEPNSQ_ISL_E10value_typeEPSM_NS1_7vsmem_tEENKUlT_SK_SL_SM_E_clIPiSE_SF_SF_EESJ_SZ_SK_SL_SM_EUlSZ_E0_NS1_11comp_targetILNS1_3genE3ELNS1_11target_archE908ELNS1_3gpuE7ELNS1_3repE0EEENS1_38merge_mergepath_config_static_selectorELNS0_4arch9wavefront6targetE1EEEvSL_,comdat
	.protected	_ZN7rocprim17ROCPRIM_400000_NS6detail17trampoline_kernelINS0_14default_configENS1_38merge_sort_block_merge_config_selectorIiNS0_10empty_typeEEEZZNS1_27merge_sort_block_merge_implIS3_N6thrust23THRUST_200600_302600_NS6detail15normal_iteratorINS9_10device_ptrIiEEEEPS5_jNS1_19radix_merge_compareILb0ELb1EiNS0_19identity_decomposerEEEEE10hipError_tT0_T1_T2_jT3_P12ihipStream_tbPNSt15iterator_traitsISK_E10value_typeEPNSQ_ISL_E10value_typeEPSM_NS1_7vsmem_tEENKUlT_SK_SL_SM_E_clIPiSE_SF_SF_EESJ_SZ_SK_SL_SM_EUlSZ_E0_NS1_11comp_targetILNS1_3genE3ELNS1_11target_archE908ELNS1_3gpuE7ELNS1_3repE0EEENS1_38merge_mergepath_config_static_selectorELNS0_4arch9wavefront6targetE1EEEvSL_ ; -- Begin function _ZN7rocprim17ROCPRIM_400000_NS6detail17trampoline_kernelINS0_14default_configENS1_38merge_sort_block_merge_config_selectorIiNS0_10empty_typeEEEZZNS1_27merge_sort_block_merge_implIS3_N6thrust23THRUST_200600_302600_NS6detail15normal_iteratorINS9_10device_ptrIiEEEEPS5_jNS1_19radix_merge_compareILb0ELb1EiNS0_19identity_decomposerEEEEE10hipError_tT0_T1_T2_jT3_P12ihipStream_tbPNSt15iterator_traitsISK_E10value_typeEPNSQ_ISL_E10value_typeEPSM_NS1_7vsmem_tEENKUlT_SK_SL_SM_E_clIPiSE_SF_SF_EESJ_SZ_SK_SL_SM_EUlSZ_E0_NS1_11comp_targetILNS1_3genE3ELNS1_11target_archE908ELNS1_3gpuE7ELNS1_3repE0EEENS1_38merge_mergepath_config_static_selectorELNS0_4arch9wavefront6targetE1EEEvSL_
	.globl	_ZN7rocprim17ROCPRIM_400000_NS6detail17trampoline_kernelINS0_14default_configENS1_38merge_sort_block_merge_config_selectorIiNS0_10empty_typeEEEZZNS1_27merge_sort_block_merge_implIS3_N6thrust23THRUST_200600_302600_NS6detail15normal_iteratorINS9_10device_ptrIiEEEEPS5_jNS1_19radix_merge_compareILb0ELb1EiNS0_19identity_decomposerEEEEE10hipError_tT0_T1_T2_jT3_P12ihipStream_tbPNSt15iterator_traitsISK_E10value_typeEPNSQ_ISL_E10value_typeEPSM_NS1_7vsmem_tEENKUlT_SK_SL_SM_E_clIPiSE_SF_SF_EESJ_SZ_SK_SL_SM_EUlSZ_E0_NS1_11comp_targetILNS1_3genE3ELNS1_11target_archE908ELNS1_3gpuE7ELNS1_3repE0EEENS1_38merge_mergepath_config_static_selectorELNS0_4arch9wavefront6targetE1EEEvSL_
	.p2align	8
	.type	_ZN7rocprim17ROCPRIM_400000_NS6detail17trampoline_kernelINS0_14default_configENS1_38merge_sort_block_merge_config_selectorIiNS0_10empty_typeEEEZZNS1_27merge_sort_block_merge_implIS3_N6thrust23THRUST_200600_302600_NS6detail15normal_iteratorINS9_10device_ptrIiEEEEPS5_jNS1_19radix_merge_compareILb0ELb1EiNS0_19identity_decomposerEEEEE10hipError_tT0_T1_T2_jT3_P12ihipStream_tbPNSt15iterator_traitsISK_E10value_typeEPNSQ_ISL_E10value_typeEPSM_NS1_7vsmem_tEENKUlT_SK_SL_SM_E_clIPiSE_SF_SF_EESJ_SZ_SK_SL_SM_EUlSZ_E0_NS1_11comp_targetILNS1_3genE3ELNS1_11target_archE908ELNS1_3gpuE7ELNS1_3repE0EEENS1_38merge_mergepath_config_static_selectorELNS0_4arch9wavefront6targetE1EEEvSL_,@function
_ZN7rocprim17ROCPRIM_400000_NS6detail17trampoline_kernelINS0_14default_configENS1_38merge_sort_block_merge_config_selectorIiNS0_10empty_typeEEEZZNS1_27merge_sort_block_merge_implIS3_N6thrust23THRUST_200600_302600_NS6detail15normal_iteratorINS9_10device_ptrIiEEEEPS5_jNS1_19radix_merge_compareILb0ELb1EiNS0_19identity_decomposerEEEEE10hipError_tT0_T1_T2_jT3_P12ihipStream_tbPNSt15iterator_traitsISK_E10value_typeEPNSQ_ISL_E10value_typeEPSM_NS1_7vsmem_tEENKUlT_SK_SL_SM_E_clIPiSE_SF_SF_EESJ_SZ_SK_SL_SM_EUlSZ_E0_NS1_11comp_targetILNS1_3genE3ELNS1_11target_archE908ELNS1_3gpuE7ELNS1_3repE0EEENS1_38merge_mergepath_config_static_selectorELNS0_4arch9wavefront6targetE1EEEvSL_: ; @_ZN7rocprim17ROCPRIM_400000_NS6detail17trampoline_kernelINS0_14default_configENS1_38merge_sort_block_merge_config_selectorIiNS0_10empty_typeEEEZZNS1_27merge_sort_block_merge_implIS3_N6thrust23THRUST_200600_302600_NS6detail15normal_iteratorINS9_10device_ptrIiEEEEPS5_jNS1_19radix_merge_compareILb0ELb1EiNS0_19identity_decomposerEEEEE10hipError_tT0_T1_T2_jT3_P12ihipStream_tbPNSt15iterator_traitsISK_E10value_typeEPNSQ_ISL_E10value_typeEPSM_NS1_7vsmem_tEENKUlT_SK_SL_SM_E_clIPiSE_SF_SF_EESJ_SZ_SK_SL_SM_EUlSZ_E0_NS1_11comp_targetILNS1_3genE3ELNS1_11target_archE908ELNS1_3gpuE7ELNS1_3repE0EEENS1_38merge_mergepath_config_static_selectorELNS0_4arch9wavefront6targetE1EEEvSL_
; %bb.0:
	.section	.rodata,"a",@progbits
	.p2align	6, 0x0
	.amdhsa_kernel _ZN7rocprim17ROCPRIM_400000_NS6detail17trampoline_kernelINS0_14default_configENS1_38merge_sort_block_merge_config_selectorIiNS0_10empty_typeEEEZZNS1_27merge_sort_block_merge_implIS3_N6thrust23THRUST_200600_302600_NS6detail15normal_iteratorINS9_10device_ptrIiEEEEPS5_jNS1_19radix_merge_compareILb0ELb1EiNS0_19identity_decomposerEEEEE10hipError_tT0_T1_T2_jT3_P12ihipStream_tbPNSt15iterator_traitsISK_E10value_typeEPNSQ_ISL_E10value_typeEPSM_NS1_7vsmem_tEENKUlT_SK_SL_SM_E_clIPiSE_SF_SF_EESJ_SZ_SK_SL_SM_EUlSZ_E0_NS1_11comp_targetILNS1_3genE3ELNS1_11target_archE908ELNS1_3gpuE7ELNS1_3repE0EEENS1_38merge_mergepath_config_static_selectorELNS0_4arch9wavefront6targetE1EEEvSL_
		.amdhsa_group_segment_fixed_size 0
		.amdhsa_private_segment_fixed_size 0
		.amdhsa_kernarg_size 64
		.amdhsa_user_sgpr_count 2
		.amdhsa_user_sgpr_dispatch_ptr 0
		.amdhsa_user_sgpr_queue_ptr 0
		.amdhsa_user_sgpr_kernarg_segment_ptr 1
		.amdhsa_user_sgpr_dispatch_id 0
		.amdhsa_user_sgpr_kernarg_preload_length 0
		.amdhsa_user_sgpr_kernarg_preload_offset 0
		.amdhsa_user_sgpr_private_segment_size 0
		.amdhsa_uses_dynamic_stack 0
		.amdhsa_enable_private_segment 0
		.amdhsa_system_sgpr_workgroup_id_x 1
		.amdhsa_system_sgpr_workgroup_id_y 0
		.amdhsa_system_sgpr_workgroup_id_z 0
		.amdhsa_system_sgpr_workgroup_info 0
		.amdhsa_system_vgpr_workitem_id 0
		.amdhsa_next_free_vgpr 1
		.amdhsa_next_free_sgpr 0
		.amdhsa_accum_offset 4
		.amdhsa_reserve_vcc 0
		.amdhsa_float_round_mode_32 0
		.amdhsa_float_round_mode_16_64 0
		.amdhsa_float_denorm_mode_32 3
		.amdhsa_float_denorm_mode_16_64 3
		.amdhsa_dx10_clamp 1
		.amdhsa_ieee_mode 1
		.amdhsa_fp16_overflow 0
		.amdhsa_tg_split 0
		.amdhsa_exception_fp_ieee_invalid_op 0
		.amdhsa_exception_fp_denorm_src 0
		.amdhsa_exception_fp_ieee_div_zero 0
		.amdhsa_exception_fp_ieee_overflow 0
		.amdhsa_exception_fp_ieee_underflow 0
		.amdhsa_exception_fp_ieee_inexact 0
		.amdhsa_exception_int_div_zero 0
	.end_amdhsa_kernel
	.section	.text._ZN7rocprim17ROCPRIM_400000_NS6detail17trampoline_kernelINS0_14default_configENS1_38merge_sort_block_merge_config_selectorIiNS0_10empty_typeEEEZZNS1_27merge_sort_block_merge_implIS3_N6thrust23THRUST_200600_302600_NS6detail15normal_iteratorINS9_10device_ptrIiEEEEPS5_jNS1_19radix_merge_compareILb0ELb1EiNS0_19identity_decomposerEEEEE10hipError_tT0_T1_T2_jT3_P12ihipStream_tbPNSt15iterator_traitsISK_E10value_typeEPNSQ_ISL_E10value_typeEPSM_NS1_7vsmem_tEENKUlT_SK_SL_SM_E_clIPiSE_SF_SF_EESJ_SZ_SK_SL_SM_EUlSZ_E0_NS1_11comp_targetILNS1_3genE3ELNS1_11target_archE908ELNS1_3gpuE7ELNS1_3repE0EEENS1_38merge_mergepath_config_static_selectorELNS0_4arch9wavefront6targetE1EEEvSL_,"axG",@progbits,_ZN7rocprim17ROCPRIM_400000_NS6detail17trampoline_kernelINS0_14default_configENS1_38merge_sort_block_merge_config_selectorIiNS0_10empty_typeEEEZZNS1_27merge_sort_block_merge_implIS3_N6thrust23THRUST_200600_302600_NS6detail15normal_iteratorINS9_10device_ptrIiEEEEPS5_jNS1_19radix_merge_compareILb0ELb1EiNS0_19identity_decomposerEEEEE10hipError_tT0_T1_T2_jT3_P12ihipStream_tbPNSt15iterator_traitsISK_E10value_typeEPNSQ_ISL_E10value_typeEPSM_NS1_7vsmem_tEENKUlT_SK_SL_SM_E_clIPiSE_SF_SF_EESJ_SZ_SK_SL_SM_EUlSZ_E0_NS1_11comp_targetILNS1_3genE3ELNS1_11target_archE908ELNS1_3gpuE7ELNS1_3repE0EEENS1_38merge_mergepath_config_static_selectorELNS0_4arch9wavefront6targetE1EEEvSL_,comdat
.Lfunc_end96:
	.size	_ZN7rocprim17ROCPRIM_400000_NS6detail17trampoline_kernelINS0_14default_configENS1_38merge_sort_block_merge_config_selectorIiNS0_10empty_typeEEEZZNS1_27merge_sort_block_merge_implIS3_N6thrust23THRUST_200600_302600_NS6detail15normal_iteratorINS9_10device_ptrIiEEEEPS5_jNS1_19radix_merge_compareILb0ELb1EiNS0_19identity_decomposerEEEEE10hipError_tT0_T1_T2_jT3_P12ihipStream_tbPNSt15iterator_traitsISK_E10value_typeEPNSQ_ISL_E10value_typeEPSM_NS1_7vsmem_tEENKUlT_SK_SL_SM_E_clIPiSE_SF_SF_EESJ_SZ_SK_SL_SM_EUlSZ_E0_NS1_11comp_targetILNS1_3genE3ELNS1_11target_archE908ELNS1_3gpuE7ELNS1_3repE0EEENS1_38merge_mergepath_config_static_selectorELNS0_4arch9wavefront6targetE1EEEvSL_, .Lfunc_end96-_ZN7rocprim17ROCPRIM_400000_NS6detail17trampoline_kernelINS0_14default_configENS1_38merge_sort_block_merge_config_selectorIiNS0_10empty_typeEEEZZNS1_27merge_sort_block_merge_implIS3_N6thrust23THRUST_200600_302600_NS6detail15normal_iteratorINS9_10device_ptrIiEEEEPS5_jNS1_19radix_merge_compareILb0ELb1EiNS0_19identity_decomposerEEEEE10hipError_tT0_T1_T2_jT3_P12ihipStream_tbPNSt15iterator_traitsISK_E10value_typeEPNSQ_ISL_E10value_typeEPSM_NS1_7vsmem_tEENKUlT_SK_SL_SM_E_clIPiSE_SF_SF_EESJ_SZ_SK_SL_SM_EUlSZ_E0_NS1_11comp_targetILNS1_3genE3ELNS1_11target_archE908ELNS1_3gpuE7ELNS1_3repE0EEENS1_38merge_mergepath_config_static_selectorELNS0_4arch9wavefront6targetE1EEEvSL_
                                        ; -- End function
	.set _ZN7rocprim17ROCPRIM_400000_NS6detail17trampoline_kernelINS0_14default_configENS1_38merge_sort_block_merge_config_selectorIiNS0_10empty_typeEEEZZNS1_27merge_sort_block_merge_implIS3_N6thrust23THRUST_200600_302600_NS6detail15normal_iteratorINS9_10device_ptrIiEEEEPS5_jNS1_19radix_merge_compareILb0ELb1EiNS0_19identity_decomposerEEEEE10hipError_tT0_T1_T2_jT3_P12ihipStream_tbPNSt15iterator_traitsISK_E10value_typeEPNSQ_ISL_E10value_typeEPSM_NS1_7vsmem_tEENKUlT_SK_SL_SM_E_clIPiSE_SF_SF_EESJ_SZ_SK_SL_SM_EUlSZ_E0_NS1_11comp_targetILNS1_3genE3ELNS1_11target_archE908ELNS1_3gpuE7ELNS1_3repE0EEENS1_38merge_mergepath_config_static_selectorELNS0_4arch9wavefront6targetE1EEEvSL_.num_vgpr, 0
	.set _ZN7rocprim17ROCPRIM_400000_NS6detail17trampoline_kernelINS0_14default_configENS1_38merge_sort_block_merge_config_selectorIiNS0_10empty_typeEEEZZNS1_27merge_sort_block_merge_implIS3_N6thrust23THRUST_200600_302600_NS6detail15normal_iteratorINS9_10device_ptrIiEEEEPS5_jNS1_19radix_merge_compareILb0ELb1EiNS0_19identity_decomposerEEEEE10hipError_tT0_T1_T2_jT3_P12ihipStream_tbPNSt15iterator_traitsISK_E10value_typeEPNSQ_ISL_E10value_typeEPSM_NS1_7vsmem_tEENKUlT_SK_SL_SM_E_clIPiSE_SF_SF_EESJ_SZ_SK_SL_SM_EUlSZ_E0_NS1_11comp_targetILNS1_3genE3ELNS1_11target_archE908ELNS1_3gpuE7ELNS1_3repE0EEENS1_38merge_mergepath_config_static_selectorELNS0_4arch9wavefront6targetE1EEEvSL_.num_agpr, 0
	.set _ZN7rocprim17ROCPRIM_400000_NS6detail17trampoline_kernelINS0_14default_configENS1_38merge_sort_block_merge_config_selectorIiNS0_10empty_typeEEEZZNS1_27merge_sort_block_merge_implIS3_N6thrust23THRUST_200600_302600_NS6detail15normal_iteratorINS9_10device_ptrIiEEEEPS5_jNS1_19radix_merge_compareILb0ELb1EiNS0_19identity_decomposerEEEEE10hipError_tT0_T1_T2_jT3_P12ihipStream_tbPNSt15iterator_traitsISK_E10value_typeEPNSQ_ISL_E10value_typeEPSM_NS1_7vsmem_tEENKUlT_SK_SL_SM_E_clIPiSE_SF_SF_EESJ_SZ_SK_SL_SM_EUlSZ_E0_NS1_11comp_targetILNS1_3genE3ELNS1_11target_archE908ELNS1_3gpuE7ELNS1_3repE0EEENS1_38merge_mergepath_config_static_selectorELNS0_4arch9wavefront6targetE1EEEvSL_.numbered_sgpr, 0
	.set _ZN7rocprim17ROCPRIM_400000_NS6detail17trampoline_kernelINS0_14default_configENS1_38merge_sort_block_merge_config_selectorIiNS0_10empty_typeEEEZZNS1_27merge_sort_block_merge_implIS3_N6thrust23THRUST_200600_302600_NS6detail15normal_iteratorINS9_10device_ptrIiEEEEPS5_jNS1_19radix_merge_compareILb0ELb1EiNS0_19identity_decomposerEEEEE10hipError_tT0_T1_T2_jT3_P12ihipStream_tbPNSt15iterator_traitsISK_E10value_typeEPNSQ_ISL_E10value_typeEPSM_NS1_7vsmem_tEENKUlT_SK_SL_SM_E_clIPiSE_SF_SF_EESJ_SZ_SK_SL_SM_EUlSZ_E0_NS1_11comp_targetILNS1_3genE3ELNS1_11target_archE908ELNS1_3gpuE7ELNS1_3repE0EEENS1_38merge_mergepath_config_static_selectorELNS0_4arch9wavefront6targetE1EEEvSL_.num_named_barrier, 0
	.set _ZN7rocprim17ROCPRIM_400000_NS6detail17trampoline_kernelINS0_14default_configENS1_38merge_sort_block_merge_config_selectorIiNS0_10empty_typeEEEZZNS1_27merge_sort_block_merge_implIS3_N6thrust23THRUST_200600_302600_NS6detail15normal_iteratorINS9_10device_ptrIiEEEEPS5_jNS1_19radix_merge_compareILb0ELb1EiNS0_19identity_decomposerEEEEE10hipError_tT0_T1_T2_jT3_P12ihipStream_tbPNSt15iterator_traitsISK_E10value_typeEPNSQ_ISL_E10value_typeEPSM_NS1_7vsmem_tEENKUlT_SK_SL_SM_E_clIPiSE_SF_SF_EESJ_SZ_SK_SL_SM_EUlSZ_E0_NS1_11comp_targetILNS1_3genE3ELNS1_11target_archE908ELNS1_3gpuE7ELNS1_3repE0EEENS1_38merge_mergepath_config_static_selectorELNS0_4arch9wavefront6targetE1EEEvSL_.private_seg_size, 0
	.set _ZN7rocprim17ROCPRIM_400000_NS6detail17trampoline_kernelINS0_14default_configENS1_38merge_sort_block_merge_config_selectorIiNS0_10empty_typeEEEZZNS1_27merge_sort_block_merge_implIS3_N6thrust23THRUST_200600_302600_NS6detail15normal_iteratorINS9_10device_ptrIiEEEEPS5_jNS1_19radix_merge_compareILb0ELb1EiNS0_19identity_decomposerEEEEE10hipError_tT0_T1_T2_jT3_P12ihipStream_tbPNSt15iterator_traitsISK_E10value_typeEPNSQ_ISL_E10value_typeEPSM_NS1_7vsmem_tEENKUlT_SK_SL_SM_E_clIPiSE_SF_SF_EESJ_SZ_SK_SL_SM_EUlSZ_E0_NS1_11comp_targetILNS1_3genE3ELNS1_11target_archE908ELNS1_3gpuE7ELNS1_3repE0EEENS1_38merge_mergepath_config_static_selectorELNS0_4arch9wavefront6targetE1EEEvSL_.uses_vcc, 0
	.set _ZN7rocprim17ROCPRIM_400000_NS6detail17trampoline_kernelINS0_14default_configENS1_38merge_sort_block_merge_config_selectorIiNS0_10empty_typeEEEZZNS1_27merge_sort_block_merge_implIS3_N6thrust23THRUST_200600_302600_NS6detail15normal_iteratorINS9_10device_ptrIiEEEEPS5_jNS1_19radix_merge_compareILb0ELb1EiNS0_19identity_decomposerEEEEE10hipError_tT0_T1_T2_jT3_P12ihipStream_tbPNSt15iterator_traitsISK_E10value_typeEPNSQ_ISL_E10value_typeEPSM_NS1_7vsmem_tEENKUlT_SK_SL_SM_E_clIPiSE_SF_SF_EESJ_SZ_SK_SL_SM_EUlSZ_E0_NS1_11comp_targetILNS1_3genE3ELNS1_11target_archE908ELNS1_3gpuE7ELNS1_3repE0EEENS1_38merge_mergepath_config_static_selectorELNS0_4arch9wavefront6targetE1EEEvSL_.uses_flat_scratch, 0
	.set _ZN7rocprim17ROCPRIM_400000_NS6detail17trampoline_kernelINS0_14default_configENS1_38merge_sort_block_merge_config_selectorIiNS0_10empty_typeEEEZZNS1_27merge_sort_block_merge_implIS3_N6thrust23THRUST_200600_302600_NS6detail15normal_iteratorINS9_10device_ptrIiEEEEPS5_jNS1_19radix_merge_compareILb0ELb1EiNS0_19identity_decomposerEEEEE10hipError_tT0_T1_T2_jT3_P12ihipStream_tbPNSt15iterator_traitsISK_E10value_typeEPNSQ_ISL_E10value_typeEPSM_NS1_7vsmem_tEENKUlT_SK_SL_SM_E_clIPiSE_SF_SF_EESJ_SZ_SK_SL_SM_EUlSZ_E0_NS1_11comp_targetILNS1_3genE3ELNS1_11target_archE908ELNS1_3gpuE7ELNS1_3repE0EEENS1_38merge_mergepath_config_static_selectorELNS0_4arch9wavefront6targetE1EEEvSL_.has_dyn_sized_stack, 0
	.set _ZN7rocprim17ROCPRIM_400000_NS6detail17trampoline_kernelINS0_14default_configENS1_38merge_sort_block_merge_config_selectorIiNS0_10empty_typeEEEZZNS1_27merge_sort_block_merge_implIS3_N6thrust23THRUST_200600_302600_NS6detail15normal_iteratorINS9_10device_ptrIiEEEEPS5_jNS1_19radix_merge_compareILb0ELb1EiNS0_19identity_decomposerEEEEE10hipError_tT0_T1_T2_jT3_P12ihipStream_tbPNSt15iterator_traitsISK_E10value_typeEPNSQ_ISL_E10value_typeEPSM_NS1_7vsmem_tEENKUlT_SK_SL_SM_E_clIPiSE_SF_SF_EESJ_SZ_SK_SL_SM_EUlSZ_E0_NS1_11comp_targetILNS1_3genE3ELNS1_11target_archE908ELNS1_3gpuE7ELNS1_3repE0EEENS1_38merge_mergepath_config_static_selectorELNS0_4arch9wavefront6targetE1EEEvSL_.has_recursion, 0
	.set _ZN7rocprim17ROCPRIM_400000_NS6detail17trampoline_kernelINS0_14default_configENS1_38merge_sort_block_merge_config_selectorIiNS0_10empty_typeEEEZZNS1_27merge_sort_block_merge_implIS3_N6thrust23THRUST_200600_302600_NS6detail15normal_iteratorINS9_10device_ptrIiEEEEPS5_jNS1_19radix_merge_compareILb0ELb1EiNS0_19identity_decomposerEEEEE10hipError_tT0_T1_T2_jT3_P12ihipStream_tbPNSt15iterator_traitsISK_E10value_typeEPNSQ_ISL_E10value_typeEPSM_NS1_7vsmem_tEENKUlT_SK_SL_SM_E_clIPiSE_SF_SF_EESJ_SZ_SK_SL_SM_EUlSZ_E0_NS1_11comp_targetILNS1_3genE3ELNS1_11target_archE908ELNS1_3gpuE7ELNS1_3repE0EEENS1_38merge_mergepath_config_static_selectorELNS0_4arch9wavefront6targetE1EEEvSL_.has_indirect_call, 0
	.section	.AMDGPU.csdata,"",@progbits
; Kernel info:
; codeLenInByte = 0
; TotalNumSgprs: 6
; NumVgprs: 0
; NumAgprs: 0
; TotalNumVgprs: 0
; ScratchSize: 0
; MemoryBound: 0
; FloatMode: 240
; IeeeMode: 1
; LDSByteSize: 0 bytes/workgroup (compile time only)
; SGPRBlocks: 0
; VGPRBlocks: 0
; NumSGPRsForWavesPerEU: 6
; NumVGPRsForWavesPerEU: 1
; AccumOffset: 4
; Occupancy: 8
; WaveLimiterHint : 0
; COMPUTE_PGM_RSRC2:SCRATCH_EN: 0
; COMPUTE_PGM_RSRC2:USER_SGPR: 2
; COMPUTE_PGM_RSRC2:TRAP_HANDLER: 0
; COMPUTE_PGM_RSRC2:TGID_X_EN: 1
; COMPUTE_PGM_RSRC2:TGID_Y_EN: 0
; COMPUTE_PGM_RSRC2:TGID_Z_EN: 0
; COMPUTE_PGM_RSRC2:TIDIG_COMP_CNT: 0
; COMPUTE_PGM_RSRC3_GFX90A:ACCUM_OFFSET: 0
; COMPUTE_PGM_RSRC3_GFX90A:TG_SPLIT: 0
	.section	.text._ZN7rocprim17ROCPRIM_400000_NS6detail17trampoline_kernelINS0_14default_configENS1_38merge_sort_block_merge_config_selectorIiNS0_10empty_typeEEEZZNS1_27merge_sort_block_merge_implIS3_N6thrust23THRUST_200600_302600_NS6detail15normal_iteratorINS9_10device_ptrIiEEEEPS5_jNS1_19radix_merge_compareILb0ELb1EiNS0_19identity_decomposerEEEEE10hipError_tT0_T1_T2_jT3_P12ihipStream_tbPNSt15iterator_traitsISK_E10value_typeEPNSQ_ISL_E10value_typeEPSM_NS1_7vsmem_tEENKUlT_SK_SL_SM_E_clIPiSE_SF_SF_EESJ_SZ_SK_SL_SM_EUlSZ_E0_NS1_11comp_targetILNS1_3genE2ELNS1_11target_archE906ELNS1_3gpuE6ELNS1_3repE0EEENS1_38merge_mergepath_config_static_selectorELNS0_4arch9wavefront6targetE1EEEvSL_,"axG",@progbits,_ZN7rocprim17ROCPRIM_400000_NS6detail17trampoline_kernelINS0_14default_configENS1_38merge_sort_block_merge_config_selectorIiNS0_10empty_typeEEEZZNS1_27merge_sort_block_merge_implIS3_N6thrust23THRUST_200600_302600_NS6detail15normal_iteratorINS9_10device_ptrIiEEEEPS5_jNS1_19radix_merge_compareILb0ELb1EiNS0_19identity_decomposerEEEEE10hipError_tT0_T1_T2_jT3_P12ihipStream_tbPNSt15iterator_traitsISK_E10value_typeEPNSQ_ISL_E10value_typeEPSM_NS1_7vsmem_tEENKUlT_SK_SL_SM_E_clIPiSE_SF_SF_EESJ_SZ_SK_SL_SM_EUlSZ_E0_NS1_11comp_targetILNS1_3genE2ELNS1_11target_archE906ELNS1_3gpuE6ELNS1_3repE0EEENS1_38merge_mergepath_config_static_selectorELNS0_4arch9wavefront6targetE1EEEvSL_,comdat
	.protected	_ZN7rocprim17ROCPRIM_400000_NS6detail17trampoline_kernelINS0_14default_configENS1_38merge_sort_block_merge_config_selectorIiNS0_10empty_typeEEEZZNS1_27merge_sort_block_merge_implIS3_N6thrust23THRUST_200600_302600_NS6detail15normal_iteratorINS9_10device_ptrIiEEEEPS5_jNS1_19radix_merge_compareILb0ELb1EiNS0_19identity_decomposerEEEEE10hipError_tT0_T1_T2_jT3_P12ihipStream_tbPNSt15iterator_traitsISK_E10value_typeEPNSQ_ISL_E10value_typeEPSM_NS1_7vsmem_tEENKUlT_SK_SL_SM_E_clIPiSE_SF_SF_EESJ_SZ_SK_SL_SM_EUlSZ_E0_NS1_11comp_targetILNS1_3genE2ELNS1_11target_archE906ELNS1_3gpuE6ELNS1_3repE0EEENS1_38merge_mergepath_config_static_selectorELNS0_4arch9wavefront6targetE1EEEvSL_ ; -- Begin function _ZN7rocprim17ROCPRIM_400000_NS6detail17trampoline_kernelINS0_14default_configENS1_38merge_sort_block_merge_config_selectorIiNS0_10empty_typeEEEZZNS1_27merge_sort_block_merge_implIS3_N6thrust23THRUST_200600_302600_NS6detail15normal_iteratorINS9_10device_ptrIiEEEEPS5_jNS1_19radix_merge_compareILb0ELb1EiNS0_19identity_decomposerEEEEE10hipError_tT0_T1_T2_jT3_P12ihipStream_tbPNSt15iterator_traitsISK_E10value_typeEPNSQ_ISL_E10value_typeEPSM_NS1_7vsmem_tEENKUlT_SK_SL_SM_E_clIPiSE_SF_SF_EESJ_SZ_SK_SL_SM_EUlSZ_E0_NS1_11comp_targetILNS1_3genE2ELNS1_11target_archE906ELNS1_3gpuE6ELNS1_3repE0EEENS1_38merge_mergepath_config_static_selectorELNS0_4arch9wavefront6targetE1EEEvSL_
	.globl	_ZN7rocprim17ROCPRIM_400000_NS6detail17trampoline_kernelINS0_14default_configENS1_38merge_sort_block_merge_config_selectorIiNS0_10empty_typeEEEZZNS1_27merge_sort_block_merge_implIS3_N6thrust23THRUST_200600_302600_NS6detail15normal_iteratorINS9_10device_ptrIiEEEEPS5_jNS1_19radix_merge_compareILb0ELb1EiNS0_19identity_decomposerEEEEE10hipError_tT0_T1_T2_jT3_P12ihipStream_tbPNSt15iterator_traitsISK_E10value_typeEPNSQ_ISL_E10value_typeEPSM_NS1_7vsmem_tEENKUlT_SK_SL_SM_E_clIPiSE_SF_SF_EESJ_SZ_SK_SL_SM_EUlSZ_E0_NS1_11comp_targetILNS1_3genE2ELNS1_11target_archE906ELNS1_3gpuE6ELNS1_3repE0EEENS1_38merge_mergepath_config_static_selectorELNS0_4arch9wavefront6targetE1EEEvSL_
	.p2align	8
	.type	_ZN7rocprim17ROCPRIM_400000_NS6detail17trampoline_kernelINS0_14default_configENS1_38merge_sort_block_merge_config_selectorIiNS0_10empty_typeEEEZZNS1_27merge_sort_block_merge_implIS3_N6thrust23THRUST_200600_302600_NS6detail15normal_iteratorINS9_10device_ptrIiEEEEPS5_jNS1_19radix_merge_compareILb0ELb1EiNS0_19identity_decomposerEEEEE10hipError_tT0_T1_T2_jT3_P12ihipStream_tbPNSt15iterator_traitsISK_E10value_typeEPNSQ_ISL_E10value_typeEPSM_NS1_7vsmem_tEENKUlT_SK_SL_SM_E_clIPiSE_SF_SF_EESJ_SZ_SK_SL_SM_EUlSZ_E0_NS1_11comp_targetILNS1_3genE2ELNS1_11target_archE906ELNS1_3gpuE6ELNS1_3repE0EEENS1_38merge_mergepath_config_static_selectorELNS0_4arch9wavefront6targetE1EEEvSL_,@function
_ZN7rocprim17ROCPRIM_400000_NS6detail17trampoline_kernelINS0_14default_configENS1_38merge_sort_block_merge_config_selectorIiNS0_10empty_typeEEEZZNS1_27merge_sort_block_merge_implIS3_N6thrust23THRUST_200600_302600_NS6detail15normal_iteratorINS9_10device_ptrIiEEEEPS5_jNS1_19radix_merge_compareILb0ELb1EiNS0_19identity_decomposerEEEEE10hipError_tT0_T1_T2_jT3_P12ihipStream_tbPNSt15iterator_traitsISK_E10value_typeEPNSQ_ISL_E10value_typeEPSM_NS1_7vsmem_tEENKUlT_SK_SL_SM_E_clIPiSE_SF_SF_EESJ_SZ_SK_SL_SM_EUlSZ_E0_NS1_11comp_targetILNS1_3genE2ELNS1_11target_archE906ELNS1_3gpuE6ELNS1_3repE0EEENS1_38merge_mergepath_config_static_selectorELNS0_4arch9wavefront6targetE1EEEvSL_: ; @_ZN7rocprim17ROCPRIM_400000_NS6detail17trampoline_kernelINS0_14default_configENS1_38merge_sort_block_merge_config_selectorIiNS0_10empty_typeEEEZZNS1_27merge_sort_block_merge_implIS3_N6thrust23THRUST_200600_302600_NS6detail15normal_iteratorINS9_10device_ptrIiEEEEPS5_jNS1_19radix_merge_compareILb0ELb1EiNS0_19identity_decomposerEEEEE10hipError_tT0_T1_T2_jT3_P12ihipStream_tbPNSt15iterator_traitsISK_E10value_typeEPNSQ_ISL_E10value_typeEPSM_NS1_7vsmem_tEENKUlT_SK_SL_SM_E_clIPiSE_SF_SF_EESJ_SZ_SK_SL_SM_EUlSZ_E0_NS1_11comp_targetILNS1_3genE2ELNS1_11target_archE906ELNS1_3gpuE6ELNS1_3repE0EEENS1_38merge_mergepath_config_static_selectorELNS0_4arch9wavefront6targetE1EEEvSL_
; %bb.0:
	.section	.rodata,"a",@progbits
	.p2align	6, 0x0
	.amdhsa_kernel _ZN7rocprim17ROCPRIM_400000_NS6detail17trampoline_kernelINS0_14default_configENS1_38merge_sort_block_merge_config_selectorIiNS0_10empty_typeEEEZZNS1_27merge_sort_block_merge_implIS3_N6thrust23THRUST_200600_302600_NS6detail15normal_iteratorINS9_10device_ptrIiEEEEPS5_jNS1_19radix_merge_compareILb0ELb1EiNS0_19identity_decomposerEEEEE10hipError_tT0_T1_T2_jT3_P12ihipStream_tbPNSt15iterator_traitsISK_E10value_typeEPNSQ_ISL_E10value_typeEPSM_NS1_7vsmem_tEENKUlT_SK_SL_SM_E_clIPiSE_SF_SF_EESJ_SZ_SK_SL_SM_EUlSZ_E0_NS1_11comp_targetILNS1_3genE2ELNS1_11target_archE906ELNS1_3gpuE6ELNS1_3repE0EEENS1_38merge_mergepath_config_static_selectorELNS0_4arch9wavefront6targetE1EEEvSL_
		.amdhsa_group_segment_fixed_size 0
		.amdhsa_private_segment_fixed_size 0
		.amdhsa_kernarg_size 64
		.amdhsa_user_sgpr_count 2
		.amdhsa_user_sgpr_dispatch_ptr 0
		.amdhsa_user_sgpr_queue_ptr 0
		.amdhsa_user_sgpr_kernarg_segment_ptr 1
		.amdhsa_user_sgpr_dispatch_id 0
		.amdhsa_user_sgpr_kernarg_preload_length 0
		.amdhsa_user_sgpr_kernarg_preload_offset 0
		.amdhsa_user_sgpr_private_segment_size 0
		.amdhsa_uses_dynamic_stack 0
		.amdhsa_enable_private_segment 0
		.amdhsa_system_sgpr_workgroup_id_x 1
		.amdhsa_system_sgpr_workgroup_id_y 0
		.amdhsa_system_sgpr_workgroup_id_z 0
		.amdhsa_system_sgpr_workgroup_info 0
		.amdhsa_system_vgpr_workitem_id 0
		.amdhsa_next_free_vgpr 1
		.amdhsa_next_free_sgpr 0
		.amdhsa_accum_offset 4
		.amdhsa_reserve_vcc 0
		.amdhsa_float_round_mode_32 0
		.amdhsa_float_round_mode_16_64 0
		.amdhsa_float_denorm_mode_32 3
		.amdhsa_float_denorm_mode_16_64 3
		.amdhsa_dx10_clamp 1
		.amdhsa_ieee_mode 1
		.amdhsa_fp16_overflow 0
		.amdhsa_tg_split 0
		.amdhsa_exception_fp_ieee_invalid_op 0
		.amdhsa_exception_fp_denorm_src 0
		.amdhsa_exception_fp_ieee_div_zero 0
		.amdhsa_exception_fp_ieee_overflow 0
		.amdhsa_exception_fp_ieee_underflow 0
		.amdhsa_exception_fp_ieee_inexact 0
		.amdhsa_exception_int_div_zero 0
	.end_amdhsa_kernel
	.section	.text._ZN7rocprim17ROCPRIM_400000_NS6detail17trampoline_kernelINS0_14default_configENS1_38merge_sort_block_merge_config_selectorIiNS0_10empty_typeEEEZZNS1_27merge_sort_block_merge_implIS3_N6thrust23THRUST_200600_302600_NS6detail15normal_iteratorINS9_10device_ptrIiEEEEPS5_jNS1_19radix_merge_compareILb0ELb1EiNS0_19identity_decomposerEEEEE10hipError_tT0_T1_T2_jT3_P12ihipStream_tbPNSt15iterator_traitsISK_E10value_typeEPNSQ_ISL_E10value_typeEPSM_NS1_7vsmem_tEENKUlT_SK_SL_SM_E_clIPiSE_SF_SF_EESJ_SZ_SK_SL_SM_EUlSZ_E0_NS1_11comp_targetILNS1_3genE2ELNS1_11target_archE906ELNS1_3gpuE6ELNS1_3repE0EEENS1_38merge_mergepath_config_static_selectorELNS0_4arch9wavefront6targetE1EEEvSL_,"axG",@progbits,_ZN7rocprim17ROCPRIM_400000_NS6detail17trampoline_kernelINS0_14default_configENS1_38merge_sort_block_merge_config_selectorIiNS0_10empty_typeEEEZZNS1_27merge_sort_block_merge_implIS3_N6thrust23THRUST_200600_302600_NS6detail15normal_iteratorINS9_10device_ptrIiEEEEPS5_jNS1_19radix_merge_compareILb0ELb1EiNS0_19identity_decomposerEEEEE10hipError_tT0_T1_T2_jT3_P12ihipStream_tbPNSt15iterator_traitsISK_E10value_typeEPNSQ_ISL_E10value_typeEPSM_NS1_7vsmem_tEENKUlT_SK_SL_SM_E_clIPiSE_SF_SF_EESJ_SZ_SK_SL_SM_EUlSZ_E0_NS1_11comp_targetILNS1_3genE2ELNS1_11target_archE906ELNS1_3gpuE6ELNS1_3repE0EEENS1_38merge_mergepath_config_static_selectorELNS0_4arch9wavefront6targetE1EEEvSL_,comdat
.Lfunc_end97:
	.size	_ZN7rocprim17ROCPRIM_400000_NS6detail17trampoline_kernelINS0_14default_configENS1_38merge_sort_block_merge_config_selectorIiNS0_10empty_typeEEEZZNS1_27merge_sort_block_merge_implIS3_N6thrust23THRUST_200600_302600_NS6detail15normal_iteratorINS9_10device_ptrIiEEEEPS5_jNS1_19radix_merge_compareILb0ELb1EiNS0_19identity_decomposerEEEEE10hipError_tT0_T1_T2_jT3_P12ihipStream_tbPNSt15iterator_traitsISK_E10value_typeEPNSQ_ISL_E10value_typeEPSM_NS1_7vsmem_tEENKUlT_SK_SL_SM_E_clIPiSE_SF_SF_EESJ_SZ_SK_SL_SM_EUlSZ_E0_NS1_11comp_targetILNS1_3genE2ELNS1_11target_archE906ELNS1_3gpuE6ELNS1_3repE0EEENS1_38merge_mergepath_config_static_selectorELNS0_4arch9wavefront6targetE1EEEvSL_, .Lfunc_end97-_ZN7rocprim17ROCPRIM_400000_NS6detail17trampoline_kernelINS0_14default_configENS1_38merge_sort_block_merge_config_selectorIiNS0_10empty_typeEEEZZNS1_27merge_sort_block_merge_implIS3_N6thrust23THRUST_200600_302600_NS6detail15normal_iteratorINS9_10device_ptrIiEEEEPS5_jNS1_19radix_merge_compareILb0ELb1EiNS0_19identity_decomposerEEEEE10hipError_tT0_T1_T2_jT3_P12ihipStream_tbPNSt15iterator_traitsISK_E10value_typeEPNSQ_ISL_E10value_typeEPSM_NS1_7vsmem_tEENKUlT_SK_SL_SM_E_clIPiSE_SF_SF_EESJ_SZ_SK_SL_SM_EUlSZ_E0_NS1_11comp_targetILNS1_3genE2ELNS1_11target_archE906ELNS1_3gpuE6ELNS1_3repE0EEENS1_38merge_mergepath_config_static_selectorELNS0_4arch9wavefront6targetE1EEEvSL_
                                        ; -- End function
	.set _ZN7rocprim17ROCPRIM_400000_NS6detail17trampoline_kernelINS0_14default_configENS1_38merge_sort_block_merge_config_selectorIiNS0_10empty_typeEEEZZNS1_27merge_sort_block_merge_implIS3_N6thrust23THRUST_200600_302600_NS6detail15normal_iteratorINS9_10device_ptrIiEEEEPS5_jNS1_19radix_merge_compareILb0ELb1EiNS0_19identity_decomposerEEEEE10hipError_tT0_T1_T2_jT3_P12ihipStream_tbPNSt15iterator_traitsISK_E10value_typeEPNSQ_ISL_E10value_typeEPSM_NS1_7vsmem_tEENKUlT_SK_SL_SM_E_clIPiSE_SF_SF_EESJ_SZ_SK_SL_SM_EUlSZ_E0_NS1_11comp_targetILNS1_3genE2ELNS1_11target_archE906ELNS1_3gpuE6ELNS1_3repE0EEENS1_38merge_mergepath_config_static_selectorELNS0_4arch9wavefront6targetE1EEEvSL_.num_vgpr, 0
	.set _ZN7rocprim17ROCPRIM_400000_NS6detail17trampoline_kernelINS0_14default_configENS1_38merge_sort_block_merge_config_selectorIiNS0_10empty_typeEEEZZNS1_27merge_sort_block_merge_implIS3_N6thrust23THRUST_200600_302600_NS6detail15normal_iteratorINS9_10device_ptrIiEEEEPS5_jNS1_19radix_merge_compareILb0ELb1EiNS0_19identity_decomposerEEEEE10hipError_tT0_T1_T2_jT3_P12ihipStream_tbPNSt15iterator_traitsISK_E10value_typeEPNSQ_ISL_E10value_typeEPSM_NS1_7vsmem_tEENKUlT_SK_SL_SM_E_clIPiSE_SF_SF_EESJ_SZ_SK_SL_SM_EUlSZ_E0_NS1_11comp_targetILNS1_3genE2ELNS1_11target_archE906ELNS1_3gpuE6ELNS1_3repE0EEENS1_38merge_mergepath_config_static_selectorELNS0_4arch9wavefront6targetE1EEEvSL_.num_agpr, 0
	.set _ZN7rocprim17ROCPRIM_400000_NS6detail17trampoline_kernelINS0_14default_configENS1_38merge_sort_block_merge_config_selectorIiNS0_10empty_typeEEEZZNS1_27merge_sort_block_merge_implIS3_N6thrust23THRUST_200600_302600_NS6detail15normal_iteratorINS9_10device_ptrIiEEEEPS5_jNS1_19radix_merge_compareILb0ELb1EiNS0_19identity_decomposerEEEEE10hipError_tT0_T1_T2_jT3_P12ihipStream_tbPNSt15iterator_traitsISK_E10value_typeEPNSQ_ISL_E10value_typeEPSM_NS1_7vsmem_tEENKUlT_SK_SL_SM_E_clIPiSE_SF_SF_EESJ_SZ_SK_SL_SM_EUlSZ_E0_NS1_11comp_targetILNS1_3genE2ELNS1_11target_archE906ELNS1_3gpuE6ELNS1_3repE0EEENS1_38merge_mergepath_config_static_selectorELNS0_4arch9wavefront6targetE1EEEvSL_.numbered_sgpr, 0
	.set _ZN7rocprim17ROCPRIM_400000_NS6detail17trampoline_kernelINS0_14default_configENS1_38merge_sort_block_merge_config_selectorIiNS0_10empty_typeEEEZZNS1_27merge_sort_block_merge_implIS3_N6thrust23THRUST_200600_302600_NS6detail15normal_iteratorINS9_10device_ptrIiEEEEPS5_jNS1_19radix_merge_compareILb0ELb1EiNS0_19identity_decomposerEEEEE10hipError_tT0_T1_T2_jT3_P12ihipStream_tbPNSt15iterator_traitsISK_E10value_typeEPNSQ_ISL_E10value_typeEPSM_NS1_7vsmem_tEENKUlT_SK_SL_SM_E_clIPiSE_SF_SF_EESJ_SZ_SK_SL_SM_EUlSZ_E0_NS1_11comp_targetILNS1_3genE2ELNS1_11target_archE906ELNS1_3gpuE6ELNS1_3repE0EEENS1_38merge_mergepath_config_static_selectorELNS0_4arch9wavefront6targetE1EEEvSL_.num_named_barrier, 0
	.set _ZN7rocprim17ROCPRIM_400000_NS6detail17trampoline_kernelINS0_14default_configENS1_38merge_sort_block_merge_config_selectorIiNS0_10empty_typeEEEZZNS1_27merge_sort_block_merge_implIS3_N6thrust23THRUST_200600_302600_NS6detail15normal_iteratorINS9_10device_ptrIiEEEEPS5_jNS1_19radix_merge_compareILb0ELb1EiNS0_19identity_decomposerEEEEE10hipError_tT0_T1_T2_jT3_P12ihipStream_tbPNSt15iterator_traitsISK_E10value_typeEPNSQ_ISL_E10value_typeEPSM_NS1_7vsmem_tEENKUlT_SK_SL_SM_E_clIPiSE_SF_SF_EESJ_SZ_SK_SL_SM_EUlSZ_E0_NS1_11comp_targetILNS1_3genE2ELNS1_11target_archE906ELNS1_3gpuE6ELNS1_3repE0EEENS1_38merge_mergepath_config_static_selectorELNS0_4arch9wavefront6targetE1EEEvSL_.private_seg_size, 0
	.set _ZN7rocprim17ROCPRIM_400000_NS6detail17trampoline_kernelINS0_14default_configENS1_38merge_sort_block_merge_config_selectorIiNS0_10empty_typeEEEZZNS1_27merge_sort_block_merge_implIS3_N6thrust23THRUST_200600_302600_NS6detail15normal_iteratorINS9_10device_ptrIiEEEEPS5_jNS1_19radix_merge_compareILb0ELb1EiNS0_19identity_decomposerEEEEE10hipError_tT0_T1_T2_jT3_P12ihipStream_tbPNSt15iterator_traitsISK_E10value_typeEPNSQ_ISL_E10value_typeEPSM_NS1_7vsmem_tEENKUlT_SK_SL_SM_E_clIPiSE_SF_SF_EESJ_SZ_SK_SL_SM_EUlSZ_E0_NS1_11comp_targetILNS1_3genE2ELNS1_11target_archE906ELNS1_3gpuE6ELNS1_3repE0EEENS1_38merge_mergepath_config_static_selectorELNS0_4arch9wavefront6targetE1EEEvSL_.uses_vcc, 0
	.set _ZN7rocprim17ROCPRIM_400000_NS6detail17trampoline_kernelINS0_14default_configENS1_38merge_sort_block_merge_config_selectorIiNS0_10empty_typeEEEZZNS1_27merge_sort_block_merge_implIS3_N6thrust23THRUST_200600_302600_NS6detail15normal_iteratorINS9_10device_ptrIiEEEEPS5_jNS1_19radix_merge_compareILb0ELb1EiNS0_19identity_decomposerEEEEE10hipError_tT0_T1_T2_jT3_P12ihipStream_tbPNSt15iterator_traitsISK_E10value_typeEPNSQ_ISL_E10value_typeEPSM_NS1_7vsmem_tEENKUlT_SK_SL_SM_E_clIPiSE_SF_SF_EESJ_SZ_SK_SL_SM_EUlSZ_E0_NS1_11comp_targetILNS1_3genE2ELNS1_11target_archE906ELNS1_3gpuE6ELNS1_3repE0EEENS1_38merge_mergepath_config_static_selectorELNS0_4arch9wavefront6targetE1EEEvSL_.uses_flat_scratch, 0
	.set _ZN7rocprim17ROCPRIM_400000_NS6detail17trampoline_kernelINS0_14default_configENS1_38merge_sort_block_merge_config_selectorIiNS0_10empty_typeEEEZZNS1_27merge_sort_block_merge_implIS3_N6thrust23THRUST_200600_302600_NS6detail15normal_iteratorINS9_10device_ptrIiEEEEPS5_jNS1_19radix_merge_compareILb0ELb1EiNS0_19identity_decomposerEEEEE10hipError_tT0_T1_T2_jT3_P12ihipStream_tbPNSt15iterator_traitsISK_E10value_typeEPNSQ_ISL_E10value_typeEPSM_NS1_7vsmem_tEENKUlT_SK_SL_SM_E_clIPiSE_SF_SF_EESJ_SZ_SK_SL_SM_EUlSZ_E0_NS1_11comp_targetILNS1_3genE2ELNS1_11target_archE906ELNS1_3gpuE6ELNS1_3repE0EEENS1_38merge_mergepath_config_static_selectorELNS0_4arch9wavefront6targetE1EEEvSL_.has_dyn_sized_stack, 0
	.set _ZN7rocprim17ROCPRIM_400000_NS6detail17trampoline_kernelINS0_14default_configENS1_38merge_sort_block_merge_config_selectorIiNS0_10empty_typeEEEZZNS1_27merge_sort_block_merge_implIS3_N6thrust23THRUST_200600_302600_NS6detail15normal_iteratorINS9_10device_ptrIiEEEEPS5_jNS1_19radix_merge_compareILb0ELb1EiNS0_19identity_decomposerEEEEE10hipError_tT0_T1_T2_jT3_P12ihipStream_tbPNSt15iterator_traitsISK_E10value_typeEPNSQ_ISL_E10value_typeEPSM_NS1_7vsmem_tEENKUlT_SK_SL_SM_E_clIPiSE_SF_SF_EESJ_SZ_SK_SL_SM_EUlSZ_E0_NS1_11comp_targetILNS1_3genE2ELNS1_11target_archE906ELNS1_3gpuE6ELNS1_3repE0EEENS1_38merge_mergepath_config_static_selectorELNS0_4arch9wavefront6targetE1EEEvSL_.has_recursion, 0
	.set _ZN7rocprim17ROCPRIM_400000_NS6detail17trampoline_kernelINS0_14default_configENS1_38merge_sort_block_merge_config_selectorIiNS0_10empty_typeEEEZZNS1_27merge_sort_block_merge_implIS3_N6thrust23THRUST_200600_302600_NS6detail15normal_iteratorINS9_10device_ptrIiEEEEPS5_jNS1_19radix_merge_compareILb0ELb1EiNS0_19identity_decomposerEEEEE10hipError_tT0_T1_T2_jT3_P12ihipStream_tbPNSt15iterator_traitsISK_E10value_typeEPNSQ_ISL_E10value_typeEPSM_NS1_7vsmem_tEENKUlT_SK_SL_SM_E_clIPiSE_SF_SF_EESJ_SZ_SK_SL_SM_EUlSZ_E0_NS1_11comp_targetILNS1_3genE2ELNS1_11target_archE906ELNS1_3gpuE6ELNS1_3repE0EEENS1_38merge_mergepath_config_static_selectorELNS0_4arch9wavefront6targetE1EEEvSL_.has_indirect_call, 0
	.section	.AMDGPU.csdata,"",@progbits
; Kernel info:
; codeLenInByte = 0
; TotalNumSgprs: 6
; NumVgprs: 0
; NumAgprs: 0
; TotalNumVgprs: 0
; ScratchSize: 0
; MemoryBound: 0
; FloatMode: 240
; IeeeMode: 1
; LDSByteSize: 0 bytes/workgroup (compile time only)
; SGPRBlocks: 0
; VGPRBlocks: 0
; NumSGPRsForWavesPerEU: 6
; NumVGPRsForWavesPerEU: 1
; AccumOffset: 4
; Occupancy: 8
; WaveLimiterHint : 0
; COMPUTE_PGM_RSRC2:SCRATCH_EN: 0
; COMPUTE_PGM_RSRC2:USER_SGPR: 2
; COMPUTE_PGM_RSRC2:TRAP_HANDLER: 0
; COMPUTE_PGM_RSRC2:TGID_X_EN: 1
; COMPUTE_PGM_RSRC2:TGID_Y_EN: 0
; COMPUTE_PGM_RSRC2:TGID_Z_EN: 0
; COMPUTE_PGM_RSRC2:TIDIG_COMP_CNT: 0
; COMPUTE_PGM_RSRC3_GFX90A:ACCUM_OFFSET: 0
; COMPUTE_PGM_RSRC3_GFX90A:TG_SPLIT: 0
	.section	.text._ZN7rocprim17ROCPRIM_400000_NS6detail17trampoline_kernelINS0_14default_configENS1_38merge_sort_block_merge_config_selectorIiNS0_10empty_typeEEEZZNS1_27merge_sort_block_merge_implIS3_N6thrust23THRUST_200600_302600_NS6detail15normal_iteratorINS9_10device_ptrIiEEEEPS5_jNS1_19radix_merge_compareILb0ELb1EiNS0_19identity_decomposerEEEEE10hipError_tT0_T1_T2_jT3_P12ihipStream_tbPNSt15iterator_traitsISK_E10value_typeEPNSQ_ISL_E10value_typeEPSM_NS1_7vsmem_tEENKUlT_SK_SL_SM_E_clIPiSE_SF_SF_EESJ_SZ_SK_SL_SM_EUlSZ_E0_NS1_11comp_targetILNS1_3genE9ELNS1_11target_archE1100ELNS1_3gpuE3ELNS1_3repE0EEENS1_38merge_mergepath_config_static_selectorELNS0_4arch9wavefront6targetE1EEEvSL_,"axG",@progbits,_ZN7rocprim17ROCPRIM_400000_NS6detail17trampoline_kernelINS0_14default_configENS1_38merge_sort_block_merge_config_selectorIiNS0_10empty_typeEEEZZNS1_27merge_sort_block_merge_implIS3_N6thrust23THRUST_200600_302600_NS6detail15normal_iteratorINS9_10device_ptrIiEEEEPS5_jNS1_19radix_merge_compareILb0ELb1EiNS0_19identity_decomposerEEEEE10hipError_tT0_T1_T2_jT3_P12ihipStream_tbPNSt15iterator_traitsISK_E10value_typeEPNSQ_ISL_E10value_typeEPSM_NS1_7vsmem_tEENKUlT_SK_SL_SM_E_clIPiSE_SF_SF_EESJ_SZ_SK_SL_SM_EUlSZ_E0_NS1_11comp_targetILNS1_3genE9ELNS1_11target_archE1100ELNS1_3gpuE3ELNS1_3repE0EEENS1_38merge_mergepath_config_static_selectorELNS0_4arch9wavefront6targetE1EEEvSL_,comdat
	.protected	_ZN7rocprim17ROCPRIM_400000_NS6detail17trampoline_kernelINS0_14default_configENS1_38merge_sort_block_merge_config_selectorIiNS0_10empty_typeEEEZZNS1_27merge_sort_block_merge_implIS3_N6thrust23THRUST_200600_302600_NS6detail15normal_iteratorINS9_10device_ptrIiEEEEPS5_jNS1_19radix_merge_compareILb0ELb1EiNS0_19identity_decomposerEEEEE10hipError_tT0_T1_T2_jT3_P12ihipStream_tbPNSt15iterator_traitsISK_E10value_typeEPNSQ_ISL_E10value_typeEPSM_NS1_7vsmem_tEENKUlT_SK_SL_SM_E_clIPiSE_SF_SF_EESJ_SZ_SK_SL_SM_EUlSZ_E0_NS1_11comp_targetILNS1_3genE9ELNS1_11target_archE1100ELNS1_3gpuE3ELNS1_3repE0EEENS1_38merge_mergepath_config_static_selectorELNS0_4arch9wavefront6targetE1EEEvSL_ ; -- Begin function _ZN7rocprim17ROCPRIM_400000_NS6detail17trampoline_kernelINS0_14default_configENS1_38merge_sort_block_merge_config_selectorIiNS0_10empty_typeEEEZZNS1_27merge_sort_block_merge_implIS3_N6thrust23THRUST_200600_302600_NS6detail15normal_iteratorINS9_10device_ptrIiEEEEPS5_jNS1_19radix_merge_compareILb0ELb1EiNS0_19identity_decomposerEEEEE10hipError_tT0_T1_T2_jT3_P12ihipStream_tbPNSt15iterator_traitsISK_E10value_typeEPNSQ_ISL_E10value_typeEPSM_NS1_7vsmem_tEENKUlT_SK_SL_SM_E_clIPiSE_SF_SF_EESJ_SZ_SK_SL_SM_EUlSZ_E0_NS1_11comp_targetILNS1_3genE9ELNS1_11target_archE1100ELNS1_3gpuE3ELNS1_3repE0EEENS1_38merge_mergepath_config_static_selectorELNS0_4arch9wavefront6targetE1EEEvSL_
	.globl	_ZN7rocprim17ROCPRIM_400000_NS6detail17trampoline_kernelINS0_14default_configENS1_38merge_sort_block_merge_config_selectorIiNS0_10empty_typeEEEZZNS1_27merge_sort_block_merge_implIS3_N6thrust23THRUST_200600_302600_NS6detail15normal_iteratorINS9_10device_ptrIiEEEEPS5_jNS1_19radix_merge_compareILb0ELb1EiNS0_19identity_decomposerEEEEE10hipError_tT0_T1_T2_jT3_P12ihipStream_tbPNSt15iterator_traitsISK_E10value_typeEPNSQ_ISL_E10value_typeEPSM_NS1_7vsmem_tEENKUlT_SK_SL_SM_E_clIPiSE_SF_SF_EESJ_SZ_SK_SL_SM_EUlSZ_E0_NS1_11comp_targetILNS1_3genE9ELNS1_11target_archE1100ELNS1_3gpuE3ELNS1_3repE0EEENS1_38merge_mergepath_config_static_selectorELNS0_4arch9wavefront6targetE1EEEvSL_
	.p2align	8
	.type	_ZN7rocprim17ROCPRIM_400000_NS6detail17trampoline_kernelINS0_14default_configENS1_38merge_sort_block_merge_config_selectorIiNS0_10empty_typeEEEZZNS1_27merge_sort_block_merge_implIS3_N6thrust23THRUST_200600_302600_NS6detail15normal_iteratorINS9_10device_ptrIiEEEEPS5_jNS1_19radix_merge_compareILb0ELb1EiNS0_19identity_decomposerEEEEE10hipError_tT0_T1_T2_jT3_P12ihipStream_tbPNSt15iterator_traitsISK_E10value_typeEPNSQ_ISL_E10value_typeEPSM_NS1_7vsmem_tEENKUlT_SK_SL_SM_E_clIPiSE_SF_SF_EESJ_SZ_SK_SL_SM_EUlSZ_E0_NS1_11comp_targetILNS1_3genE9ELNS1_11target_archE1100ELNS1_3gpuE3ELNS1_3repE0EEENS1_38merge_mergepath_config_static_selectorELNS0_4arch9wavefront6targetE1EEEvSL_,@function
_ZN7rocprim17ROCPRIM_400000_NS6detail17trampoline_kernelINS0_14default_configENS1_38merge_sort_block_merge_config_selectorIiNS0_10empty_typeEEEZZNS1_27merge_sort_block_merge_implIS3_N6thrust23THRUST_200600_302600_NS6detail15normal_iteratorINS9_10device_ptrIiEEEEPS5_jNS1_19radix_merge_compareILb0ELb1EiNS0_19identity_decomposerEEEEE10hipError_tT0_T1_T2_jT3_P12ihipStream_tbPNSt15iterator_traitsISK_E10value_typeEPNSQ_ISL_E10value_typeEPSM_NS1_7vsmem_tEENKUlT_SK_SL_SM_E_clIPiSE_SF_SF_EESJ_SZ_SK_SL_SM_EUlSZ_E0_NS1_11comp_targetILNS1_3genE9ELNS1_11target_archE1100ELNS1_3gpuE3ELNS1_3repE0EEENS1_38merge_mergepath_config_static_selectorELNS0_4arch9wavefront6targetE1EEEvSL_: ; @_ZN7rocprim17ROCPRIM_400000_NS6detail17trampoline_kernelINS0_14default_configENS1_38merge_sort_block_merge_config_selectorIiNS0_10empty_typeEEEZZNS1_27merge_sort_block_merge_implIS3_N6thrust23THRUST_200600_302600_NS6detail15normal_iteratorINS9_10device_ptrIiEEEEPS5_jNS1_19radix_merge_compareILb0ELb1EiNS0_19identity_decomposerEEEEE10hipError_tT0_T1_T2_jT3_P12ihipStream_tbPNSt15iterator_traitsISK_E10value_typeEPNSQ_ISL_E10value_typeEPSM_NS1_7vsmem_tEENKUlT_SK_SL_SM_E_clIPiSE_SF_SF_EESJ_SZ_SK_SL_SM_EUlSZ_E0_NS1_11comp_targetILNS1_3genE9ELNS1_11target_archE1100ELNS1_3gpuE3ELNS1_3repE0EEENS1_38merge_mergepath_config_static_selectorELNS0_4arch9wavefront6targetE1EEEvSL_
; %bb.0:
	.section	.rodata,"a",@progbits
	.p2align	6, 0x0
	.amdhsa_kernel _ZN7rocprim17ROCPRIM_400000_NS6detail17trampoline_kernelINS0_14default_configENS1_38merge_sort_block_merge_config_selectorIiNS0_10empty_typeEEEZZNS1_27merge_sort_block_merge_implIS3_N6thrust23THRUST_200600_302600_NS6detail15normal_iteratorINS9_10device_ptrIiEEEEPS5_jNS1_19radix_merge_compareILb0ELb1EiNS0_19identity_decomposerEEEEE10hipError_tT0_T1_T2_jT3_P12ihipStream_tbPNSt15iterator_traitsISK_E10value_typeEPNSQ_ISL_E10value_typeEPSM_NS1_7vsmem_tEENKUlT_SK_SL_SM_E_clIPiSE_SF_SF_EESJ_SZ_SK_SL_SM_EUlSZ_E0_NS1_11comp_targetILNS1_3genE9ELNS1_11target_archE1100ELNS1_3gpuE3ELNS1_3repE0EEENS1_38merge_mergepath_config_static_selectorELNS0_4arch9wavefront6targetE1EEEvSL_
		.amdhsa_group_segment_fixed_size 0
		.amdhsa_private_segment_fixed_size 0
		.amdhsa_kernarg_size 64
		.amdhsa_user_sgpr_count 2
		.amdhsa_user_sgpr_dispatch_ptr 0
		.amdhsa_user_sgpr_queue_ptr 0
		.amdhsa_user_sgpr_kernarg_segment_ptr 1
		.amdhsa_user_sgpr_dispatch_id 0
		.amdhsa_user_sgpr_kernarg_preload_length 0
		.amdhsa_user_sgpr_kernarg_preload_offset 0
		.amdhsa_user_sgpr_private_segment_size 0
		.amdhsa_uses_dynamic_stack 0
		.amdhsa_enable_private_segment 0
		.amdhsa_system_sgpr_workgroup_id_x 1
		.amdhsa_system_sgpr_workgroup_id_y 0
		.amdhsa_system_sgpr_workgroup_id_z 0
		.amdhsa_system_sgpr_workgroup_info 0
		.amdhsa_system_vgpr_workitem_id 0
		.amdhsa_next_free_vgpr 1
		.amdhsa_next_free_sgpr 0
		.amdhsa_accum_offset 4
		.amdhsa_reserve_vcc 0
		.amdhsa_float_round_mode_32 0
		.amdhsa_float_round_mode_16_64 0
		.amdhsa_float_denorm_mode_32 3
		.amdhsa_float_denorm_mode_16_64 3
		.amdhsa_dx10_clamp 1
		.amdhsa_ieee_mode 1
		.amdhsa_fp16_overflow 0
		.amdhsa_tg_split 0
		.amdhsa_exception_fp_ieee_invalid_op 0
		.amdhsa_exception_fp_denorm_src 0
		.amdhsa_exception_fp_ieee_div_zero 0
		.amdhsa_exception_fp_ieee_overflow 0
		.amdhsa_exception_fp_ieee_underflow 0
		.amdhsa_exception_fp_ieee_inexact 0
		.amdhsa_exception_int_div_zero 0
	.end_amdhsa_kernel
	.section	.text._ZN7rocprim17ROCPRIM_400000_NS6detail17trampoline_kernelINS0_14default_configENS1_38merge_sort_block_merge_config_selectorIiNS0_10empty_typeEEEZZNS1_27merge_sort_block_merge_implIS3_N6thrust23THRUST_200600_302600_NS6detail15normal_iteratorINS9_10device_ptrIiEEEEPS5_jNS1_19radix_merge_compareILb0ELb1EiNS0_19identity_decomposerEEEEE10hipError_tT0_T1_T2_jT3_P12ihipStream_tbPNSt15iterator_traitsISK_E10value_typeEPNSQ_ISL_E10value_typeEPSM_NS1_7vsmem_tEENKUlT_SK_SL_SM_E_clIPiSE_SF_SF_EESJ_SZ_SK_SL_SM_EUlSZ_E0_NS1_11comp_targetILNS1_3genE9ELNS1_11target_archE1100ELNS1_3gpuE3ELNS1_3repE0EEENS1_38merge_mergepath_config_static_selectorELNS0_4arch9wavefront6targetE1EEEvSL_,"axG",@progbits,_ZN7rocprim17ROCPRIM_400000_NS6detail17trampoline_kernelINS0_14default_configENS1_38merge_sort_block_merge_config_selectorIiNS0_10empty_typeEEEZZNS1_27merge_sort_block_merge_implIS3_N6thrust23THRUST_200600_302600_NS6detail15normal_iteratorINS9_10device_ptrIiEEEEPS5_jNS1_19radix_merge_compareILb0ELb1EiNS0_19identity_decomposerEEEEE10hipError_tT0_T1_T2_jT3_P12ihipStream_tbPNSt15iterator_traitsISK_E10value_typeEPNSQ_ISL_E10value_typeEPSM_NS1_7vsmem_tEENKUlT_SK_SL_SM_E_clIPiSE_SF_SF_EESJ_SZ_SK_SL_SM_EUlSZ_E0_NS1_11comp_targetILNS1_3genE9ELNS1_11target_archE1100ELNS1_3gpuE3ELNS1_3repE0EEENS1_38merge_mergepath_config_static_selectorELNS0_4arch9wavefront6targetE1EEEvSL_,comdat
.Lfunc_end98:
	.size	_ZN7rocprim17ROCPRIM_400000_NS6detail17trampoline_kernelINS0_14default_configENS1_38merge_sort_block_merge_config_selectorIiNS0_10empty_typeEEEZZNS1_27merge_sort_block_merge_implIS3_N6thrust23THRUST_200600_302600_NS6detail15normal_iteratorINS9_10device_ptrIiEEEEPS5_jNS1_19radix_merge_compareILb0ELb1EiNS0_19identity_decomposerEEEEE10hipError_tT0_T1_T2_jT3_P12ihipStream_tbPNSt15iterator_traitsISK_E10value_typeEPNSQ_ISL_E10value_typeEPSM_NS1_7vsmem_tEENKUlT_SK_SL_SM_E_clIPiSE_SF_SF_EESJ_SZ_SK_SL_SM_EUlSZ_E0_NS1_11comp_targetILNS1_3genE9ELNS1_11target_archE1100ELNS1_3gpuE3ELNS1_3repE0EEENS1_38merge_mergepath_config_static_selectorELNS0_4arch9wavefront6targetE1EEEvSL_, .Lfunc_end98-_ZN7rocprim17ROCPRIM_400000_NS6detail17trampoline_kernelINS0_14default_configENS1_38merge_sort_block_merge_config_selectorIiNS0_10empty_typeEEEZZNS1_27merge_sort_block_merge_implIS3_N6thrust23THRUST_200600_302600_NS6detail15normal_iteratorINS9_10device_ptrIiEEEEPS5_jNS1_19radix_merge_compareILb0ELb1EiNS0_19identity_decomposerEEEEE10hipError_tT0_T1_T2_jT3_P12ihipStream_tbPNSt15iterator_traitsISK_E10value_typeEPNSQ_ISL_E10value_typeEPSM_NS1_7vsmem_tEENKUlT_SK_SL_SM_E_clIPiSE_SF_SF_EESJ_SZ_SK_SL_SM_EUlSZ_E0_NS1_11comp_targetILNS1_3genE9ELNS1_11target_archE1100ELNS1_3gpuE3ELNS1_3repE0EEENS1_38merge_mergepath_config_static_selectorELNS0_4arch9wavefront6targetE1EEEvSL_
                                        ; -- End function
	.set _ZN7rocprim17ROCPRIM_400000_NS6detail17trampoline_kernelINS0_14default_configENS1_38merge_sort_block_merge_config_selectorIiNS0_10empty_typeEEEZZNS1_27merge_sort_block_merge_implIS3_N6thrust23THRUST_200600_302600_NS6detail15normal_iteratorINS9_10device_ptrIiEEEEPS5_jNS1_19radix_merge_compareILb0ELb1EiNS0_19identity_decomposerEEEEE10hipError_tT0_T1_T2_jT3_P12ihipStream_tbPNSt15iterator_traitsISK_E10value_typeEPNSQ_ISL_E10value_typeEPSM_NS1_7vsmem_tEENKUlT_SK_SL_SM_E_clIPiSE_SF_SF_EESJ_SZ_SK_SL_SM_EUlSZ_E0_NS1_11comp_targetILNS1_3genE9ELNS1_11target_archE1100ELNS1_3gpuE3ELNS1_3repE0EEENS1_38merge_mergepath_config_static_selectorELNS0_4arch9wavefront6targetE1EEEvSL_.num_vgpr, 0
	.set _ZN7rocprim17ROCPRIM_400000_NS6detail17trampoline_kernelINS0_14default_configENS1_38merge_sort_block_merge_config_selectorIiNS0_10empty_typeEEEZZNS1_27merge_sort_block_merge_implIS3_N6thrust23THRUST_200600_302600_NS6detail15normal_iteratorINS9_10device_ptrIiEEEEPS5_jNS1_19radix_merge_compareILb0ELb1EiNS0_19identity_decomposerEEEEE10hipError_tT0_T1_T2_jT3_P12ihipStream_tbPNSt15iterator_traitsISK_E10value_typeEPNSQ_ISL_E10value_typeEPSM_NS1_7vsmem_tEENKUlT_SK_SL_SM_E_clIPiSE_SF_SF_EESJ_SZ_SK_SL_SM_EUlSZ_E0_NS1_11comp_targetILNS1_3genE9ELNS1_11target_archE1100ELNS1_3gpuE3ELNS1_3repE0EEENS1_38merge_mergepath_config_static_selectorELNS0_4arch9wavefront6targetE1EEEvSL_.num_agpr, 0
	.set _ZN7rocprim17ROCPRIM_400000_NS6detail17trampoline_kernelINS0_14default_configENS1_38merge_sort_block_merge_config_selectorIiNS0_10empty_typeEEEZZNS1_27merge_sort_block_merge_implIS3_N6thrust23THRUST_200600_302600_NS6detail15normal_iteratorINS9_10device_ptrIiEEEEPS5_jNS1_19radix_merge_compareILb0ELb1EiNS0_19identity_decomposerEEEEE10hipError_tT0_T1_T2_jT3_P12ihipStream_tbPNSt15iterator_traitsISK_E10value_typeEPNSQ_ISL_E10value_typeEPSM_NS1_7vsmem_tEENKUlT_SK_SL_SM_E_clIPiSE_SF_SF_EESJ_SZ_SK_SL_SM_EUlSZ_E0_NS1_11comp_targetILNS1_3genE9ELNS1_11target_archE1100ELNS1_3gpuE3ELNS1_3repE0EEENS1_38merge_mergepath_config_static_selectorELNS0_4arch9wavefront6targetE1EEEvSL_.numbered_sgpr, 0
	.set _ZN7rocprim17ROCPRIM_400000_NS6detail17trampoline_kernelINS0_14default_configENS1_38merge_sort_block_merge_config_selectorIiNS0_10empty_typeEEEZZNS1_27merge_sort_block_merge_implIS3_N6thrust23THRUST_200600_302600_NS6detail15normal_iteratorINS9_10device_ptrIiEEEEPS5_jNS1_19radix_merge_compareILb0ELb1EiNS0_19identity_decomposerEEEEE10hipError_tT0_T1_T2_jT3_P12ihipStream_tbPNSt15iterator_traitsISK_E10value_typeEPNSQ_ISL_E10value_typeEPSM_NS1_7vsmem_tEENKUlT_SK_SL_SM_E_clIPiSE_SF_SF_EESJ_SZ_SK_SL_SM_EUlSZ_E0_NS1_11comp_targetILNS1_3genE9ELNS1_11target_archE1100ELNS1_3gpuE3ELNS1_3repE0EEENS1_38merge_mergepath_config_static_selectorELNS0_4arch9wavefront6targetE1EEEvSL_.num_named_barrier, 0
	.set _ZN7rocprim17ROCPRIM_400000_NS6detail17trampoline_kernelINS0_14default_configENS1_38merge_sort_block_merge_config_selectorIiNS0_10empty_typeEEEZZNS1_27merge_sort_block_merge_implIS3_N6thrust23THRUST_200600_302600_NS6detail15normal_iteratorINS9_10device_ptrIiEEEEPS5_jNS1_19radix_merge_compareILb0ELb1EiNS0_19identity_decomposerEEEEE10hipError_tT0_T1_T2_jT3_P12ihipStream_tbPNSt15iterator_traitsISK_E10value_typeEPNSQ_ISL_E10value_typeEPSM_NS1_7vsmem_tEENKUlT_SK_SL_SM_E_clIPiSE_SF_SF_EESJ_SZ_SK_SL_SM_EUlSZ_E0_NS1_11comp_targetILNS1_3genE9ELNS1_11target_archE1100ELNS1_3gpuE3ELNS1_3repE0EEENS1_38merge_mergepath_config_static_selectorELNS0_4arch9wavefront6targetE1EEEvSL_.private_seg_size, 0
	.set _ZN7rocprim17ROCPRIM_400000_NS6detail17trampoline_kernelINS0_14default_configENS1_38merge_sort_block_merge_config_selectorIiNS0_10empty_typeEEEZZNS1_27merge_sort_block_merge_implIS3_N6thrust23THRUST_200600_302600_NS6detail15normal_iteratorINS9_10device_ptrIiEEEEPS5_jNS1_19radix_merge_compareILb0ELb1EiNS0_19identity_decomposerEEEEE10hipError_tT0_T1_T2_jT3_P12ihipStream_tbPNSt15iterator_traitsISK_E10value_typeEPNSQ_ISL_E10value_typeEPSM_NS1_7vsmem_tEENKUlT_SK_SL_SM_E_clIPiSE_SF_SF_EESJ_SZ_SK_SL_SM_EUlSZ_E0_NS1_11comp_targetILNS1_3genE9ELNS1_11target_archE1100ELNS1_3gpuE3ELNS1_3repE0EEENS1_38merge_mergepath_config_static_selectorELNS0_4arch9wavefront6targetE1EEEvSL_.uses_vcc, 0
	.set _ZN7rocprim17ROCPRIM_400000_NS6detail17trampoline_kernelINS0_14default_configENS1_38merge_sort_block_merge_config_selectorIiNS0_10empty_typeEEEZZNS1_27merge_sort_block_merge_implIS3_N6thrust23THRUST_200600_302600_NS6detail15normal_iteratorINS9_10device_ptrIiEEEEPS5_jNS1_19radix_merge_compareILb0ELb1EiNS0_19identity_decomposerEEEEE10hipError_tT0_T1_T2_jT3_P12ihipStream_tbPNSt15iterator_traitsISK_E10value_typeEPNSQ_ISL_E10value_typeEPSM_NS1_7vsmem_tEENKUlT_SK_SL_SM_E_clIPiSE_SF_SF_EESJ_SZ_SK_SL_SM_EUlSZ_E0_NS1_11comp_targetILNS1_3genE9ELNS1_11target_archE1100ELNS1_3gpuE3ELNS1_3repE0EEENS1_38merge_mergepath_config_static_selectorELNS0_4arch9wavefront6targetE1EEEvSL_.uses_flat_scratch, 0
	.set _ZN7rocprim17ROCPRIM_400000_NS6detail17trampoline_kernelINS0_14default_configENS1_38merge_sort_block_merge_config_selectorIiNS0_10empty_typeEEEZZNS1_27merge_sort_block_merge_implIS3_N6thrust23THRUST_200600_302600_NS6detail15normal_iteratorINS9_10device_ptrIiEEEEPS5_jNS1_19radix_merge_compareILb0ELb1EiNS0_19identity_decomposerEEEEE10hipError_tT0_T1_T2_jT3_P12ihipStream_tbPNSt15iterator_traitsISK_E10value_typeEPNSQ_ISL_E10value_typeEPSM_NS1_7vsmem_tEENKUlT_SK_SL_SM_E_clIPiSE_SF_SF_EESJ_SZ_SK_SL_SM_EUlSZ_E0_NS1_11comp_targetILNS1_3genE9ELNS1_11target_archE1100ELNS1_3gpuE3ELNS1_3repE0EEENS1_38merge_mergepath_config_static_selectorELNS0_4arch9wavefront6targetE1EEEvSL_.has_dyn_sized_stack, 0
	.set _ZN7rocprim17ROCPRIM_400000_NS6detail17trampoline_kernelINS0_14default_configENS1_38merge_sort_block_merge_config_selectorIiNS0_10empty_typeEEEZZNS1_27merge_sort_block_merge_implIS3_N6thrust23THRUST_200600_302600_NS6detail15normal_iteratorINS9_10device_ptrIiEEEEPS5_jNS1_19radix_merge_compareILb0ELb1EiNS0_19identity_decomposerEEEEE10hipError_tT0_T1_T2_jT3_P12ihipStream_tbPNSt15iterator_traitsISK_E10value_typeEPNSQ_ISL_E10value_typeEPSM_NS1_7vsmem_tEENKUlT_SK_SL_SM_E_clIPiSE_SF_SF_EESJ_SZ_SK_SL_SM_EUlSZ_E0_NS1_11comp_targetILNS1_3genE9ELNS1_11target_archE1100ELNS1_3gpuE3ELNS1_3repE0EEENS1_38merge_mergepath_config_static_selectorELNS0_4arch9wavefront6targetE1EEEvSL_.has_recursion, 0
	.set _ZN7rocprim17ROCPRIM_400000_NS6detail17trampoline_kernelINS0_14default_configENS1_38merge_sort_block_merge_config_selectorIiNS0_10empty_typeEEEZZNS1_27merge_sort_block_merge_implIS3_N6thrust23THRUST_200600_302600_NS6detail15normal_iteratorINS9_10device_ptrIiEEEEPS5_jNS1_19radix_merge_compareILb0ELb1EiNS0_19identity_decomposerEEEEE10hipError_tT0_T1_T2_jT3_P12ihipStream_tbPNSt15iterator_traitsISK_E10value_typeEPNSQ_ISL_E10value_typeEPSM_NS1_7vsmem_tEENKUlT_SK_SL_SM_E_clIPiSE_SF_SF_EESJ_SZ_SK_SL_SM_EUlSZ_E0_NS1_11comp_targetILNS1_3genE9ELNS1_11target_archE1100ELNS1_3gpuE3ELNS1_3repE0EEENS1_38merge_mergepath_config_static_selectorELNS0_4arch9wavefront6targetE1EEEvSL_.has_indirect_call, 0
	.section	.AMDGPU.csdata,"",@progbits
; Kernel info:
; codeLenInByte = 0
; TotalNumSgprs: 6
; NumVgprs: 0
; NumAgprs: 0
; TotalNumVgprs: 0
; ScratchSize: 0
; MemoryBound: 0
; FloatMode: 240
; IeeeMode: 1
; LDSByteSize: 0 bytes/workgroup (compile time only)
; SGPRBlocks: 0
; VGPRBlocks: 0
; NumSGPRsForWavesPerEU: 6
; NumVGPRsForWavesPerEU: 1
; AccumOffset: 4
; Occupancy: 8
; WaveLimiterHint : 0
; COMPUTE_PGM_RSRC2:SCRATCH_EN: 0
; COMPUTE_PGM_RSRC2:USER_SGPR: 2
; COMPUTE_PGM_RSRC2:TRAP_HANDLER: 0
; COMPUTE_PGM_RSRC2:TGID_X_EN: 1
; COMPUTE_PGM_RSRC2:TGID_Y_EN: 0
; COMPUTE_PGM_RSRC2:TGID_Z_EN: 0
; COMPUTE_PGM_RSRC2:TIDIG_COMP_CNT: 0
; COMPUTE_PGM_RSRC3_GFX90A:ACCUM_OFFSET: 0
; COMPUTE_PGM_RSRC3_GFX90A:TG_SPLIT: 0
	.section	.text._ZN7rocprim17ROCPRIM_400000_NS6detail17trampoline_kernelINS0_14default_configENS1_38merge_sort_block_merge_config_selectorIiNS0_10empty_typeEEEZZNS1_27merge_sort_block_merge_implIS3_N6thrust23THRUST_200600_302600_NS6detail15normal_iteratorINS9_10device_ptrIiEEEEPS5_jNS1_19radix_merge_compareILb0ELb1EiNS0_19identity_decomposerEEEEE10hipError_tT0_T1_T2_jT3_P12ihipStream_tbPNSt15iterator_traitsISK_E10value_typeEPNSQ_ISL_E10value_typeEPSM_NS1_7vsmem_tEENKUlT_SK_SL_SM_E_clIPiSE_SF_SF_EESJ_SZ_SK_SL_SM_EUlSZ_E0_NS1_11comp_targetILNS1_3genE8ELNS1_11target_archE1030ELNS1_3gpuE2ELNS1_3repE0EEENS1_38merge_mergepath_config_static_selectorELNS0_4arch9wavefront6targetE1EEEvSL_,"axG",@progbits,_ZN7rocprim17ROCPRIM_400000_NS6detail17trampoline_kernelINS0_14default_configENS1_38merge_sort_block_merge_config_selectorIiNS0_10empty_typeEEEZZNS1_27merge_sort_block_merge_implIS3_N6thrust23THRUST_200600_302600_NS6detail15normal_iteratorINS9_10device_ptrIiEEEEPS5_jNS1_19radix_merge_compareILb0ELb1EiNS0_19identity_decomposerEEEEE10hipError_tT0_T1_T2_jT3_P12ihipStream_tbPNSt15iterator_traitsISK_E10value_typeEPNSQ_ISL_E10value_typeEPSM_NS1_7vsmem_tEENKUlT_SK_SL_SM_E_clIPiSE_SF_SF_EESJ_SZ_SK_SL_SM_EUlSZ_E0_NS1_11comp_targetILNS1_3genE8ELNS1_11target_archE1030ELNS1_3gpuE2ELNS1_3repE0EEENS1_38merge_mergepath_config_static_selectorELNS0_4arch9wavefront6targetE1EEEvSL_,comdat
	.protected	_ZN7rocprim17ROCPRIM_400000_NS6detail17trampoline_kernelINS0_14default_configENS1_38merge_sort_block_merge_config_selectorIiNS0_10empty_typeEEEZZNS1_27merge_sort_block_merge_implIS3_N6thrust23THRUST_200600_302600_NS6detail15normal_iteratorINS9_10device_ptrIiEEEEPS5_jNS1_19radix_merge_compareILb0ELb1EiNS0_19identity_decomposerEEEEE10hipError_tT0_T1_T2_jT3_P12ihipStream_tbPNSt15iterator_traitsISK_E10value_typeEPNSQ_ISL_E10value_typeEPSM_NS1_7vsmem_tEENKUlT_SK_SL_SM_E_clIPiSE_SF_SF_EESJ_SZ_SK_SL_SM_EUlSZ_E0_NS1_11comp_targetILNS1_3genE8ELNS1_11target_archE1030ELNS1_3gpuE2ELNS1_3repE0EEENS1_38merge_mergepath_config_static_selectorELNS0_4arch9wavefront6targetE1EEEvSL_ ; -- Begin function _ZN7rocprim17ROCPRIM_400000_NS6detail17trampoline_kernelINS0_14default_configENS1_38merge_sort_block_merge_config_selectorIiNS0_10empty_typeEEEZZNS1_27merge_sort_block_merge_implIS3_N6thrust23THRUST_200600_302600_NS6detail15normal_iteratorINS9_10device_ptrIiEEEEPS5_jNS1_19radix_merge_compareILb0ELb1EiNS0_19identity_decomposerEEEEE10hipError_tT0_T1_T2_jT3_P12ihipStream_tbPNSt15iterator_traitsISK_E10value_typeEPNSQ_ISL_E10value_typeEPSM_NS1_7vsmem_tEENKUlT_SK_SL_SM_E_clIPiSE_SF_SF_EESJ_SZ_SK_SL_SM_EUlSZ_E0_NS1_11comp_targetILNS1_3genE8ELNS1_11target_archE1030ELNS1_3gpuE2ELNS1_3repE0EEENS1_38merge_mergepath_config_static_selectorELNS0_4arch9wavefront6targetE1EEEvSL_
	.globl	_ZN7rocprim17ROCPRIM_400000_NS6detail17trampoline_kernelINS0_14default_configENS1_38merge_sort_block_merge_config_selectorIiNS0_10empty_typeEEEZZNS1_27merge_sort_block_merge_implIS3_N6thrust23THRUST_200600_302600_NS6detail15normal_iteratorINS9_10device_ptrIiEEEEPS5_jNS1_19radix_merge_compareILb0ELb1EiNS0_19identity_decomposerEEEEE10hipError_tT0_T1_T2_jT3_P12ihipStream_tbPNSt15iterator_traitsISK_E10value_typeEPNSQ_ISL_E10value_typeEPSM_NS1_7vsmem_tEENKUlT_SK_SL_SM_E_clIPiSE_SF_SF_EESJ_SZ_SK_SL_SM_EUlSZ_E0_NS1_11comp_targetILNS1_3genE8ELNS1_11target_archE1030ELNS1_3gpuE2ELNS1_3repE0EEENS1_38merge_mergepath_config_static_selectorELNS0_4arch9wavefront6targetE1EEEvSL_
	.p2align	8
	.type	_ZN7rocprim17ROCPRIM_400000_NS6detail17trampoline_kernelINS0_14default_configENS1_38merge_sort_block_merge_config_selectorIiNS0_10empty_typeEEEZZNS1_27merge_sort_block_merge_implIS3_N6thrust23THRUST_200600_302600_NS6detail15normal_iteratorINS9_10device_ptrIiEEEEPS5_jNS1_19radix_merge_compareILb0ELb1EiNS0_19identity_decomposerEEEEE10hipError_tT0_T1_T2_jT3_P12ihipStream_tbPNSt15iterator_traitsISK_E10value_typeEPNSQ_ISL_E10value_typeEPSM_NS1_7vsmem_tEENKUlT_SK_SL_SM_E_clIPiSE_SF_SF_EESJ_SZ_SK_SL_SM_EUlSZ_E0_NS1_11comp_targetILNS1_3genE8ELNS1_11target_archE1030ELNS1_3gpuE2ELNS1_3repE0EEENS1_38merge_mergepath_config_static_selectorELNS0_4arch9wavefront6targetE1EEEvSL_,@function
_ZN7rocprim17ROCPRIM_400000_NS6detail17trampoline_kernelINS0_14default_configENS1_38merge_sort_block_merge_config_selectorIiNS0_10empty_typeEEEZZNS1_27merge_sort_block_merge_implIS3_N6thrust23THRUST_200600_302600_NS6detail15normal_iteratorINS9_10device_ptrIiEEEEPS5_jNS1_19radix_merge_compareILb0ELb1EiNS0_19identity_decomposerEEEEE10hipError_tT0_T1_T2_jT3_P12ihipStream_tbPNSt15iterator_traitsISK_E10value_typeEPNSQ_ISL_E10value_typeEPSM_NS1_7vsmem_tEENKUlT_SK_SL_SM_E_clIPiSE_SF_SF_EESJ_SZ_SK_SL_SM_EUlSZ_E0_NS1_11comp_targetILNS1_3genE8ELNS1_11target_archE1030ELNS1_3gpuE2ELNS1_3repE0EEENS1_38merge_mergepath_config_static_selectorELNS0_4arch9wavefront6targetE1EEEvSL_: ; @_ZN7rocprim17ROCPRIM_400000_NS6detail17trampoline_kernelINS0_14default_configENS1_38merge_sort_block_merge_config_selectorIiNS0_10empty_typeEEEZZNS1_27merge_sort_block_merge_implIS3_N6thrust23THRUST_200600_302600_NS6detail15normal_iteratorINS9_10device_ptrIiEEEEPS5_jNS1_19radix_merge_compareILb0ELb1EiNS0_19identity_decomposerEEEEE10hipError_tT0_T1_T2_jT3_P12ihipStream_tbPNSt15iterator_traitsISK_E10value_typeEPNSQ_ISL_E10value_typeEPSM_NS1_7vsmem_tEENKUlT_SK_SL_SM_E_clIPiSE_SF_SF_EESJ_SZ_SK_SL_SM_EUlSZ_E0_NS1_11comp_targetILNS1_3genE8ELNS1_11target_archE1030ELNS1_3gpuE2ELNS1_3repE0EEENS1_38merge_mergepath_config_static_selectorELNS0_4arch9wavefront6targetE1EEEvSL_
; %bb.0:
	.section	.rodata,"a",@progbits
	.p2align	6, 0x0
	.amdhsa_kernel _ZN7rocprim17ROCPRIM_400000_NS6detail17trampoline_kernelINS0_14default_configENS1_38merge_sort_block_merge_config_selectorIiNS0_10empty_typeEEEZZNS1_27merge_sort_block_merge_implIS3_N6thrust23THRUST_200600_302600_NS6detail15normal_iteratorINS9_10device_ptrIiEEEEPS5_jNS1_19radix_merge_compareILb0ELb1EiNS0_19identity_decomposerEEEEE10hipError_tT0_T1_T2_jT3_P12ihipStream_tbPNSt15iterator_traitsISK_E10value_typeEPNSQ_ISL_E10value_typeEPSM_NS1_7vsmem_tEENKUlT_SK_SL_SM_E_clIPiSE_SF_SF_EESJ_SZ_SK_SL_SM_EUlSZ_E0_NS1_11comp_targetILNS1_3genE8ELNS1_11target_archE1030ELNS1_3gpuE2ELNS1_3repE0EEENS1_38merge_mergepath_config_static_selectorELNS0_4arch9wavefront6targetE1EEEvSL_
		.amdhsa_group_segment_fixed_size 0
		.amdhsa_private_segment_fixed_size 0
		.amdhsa_kernarg_size 64
		.amdhsa_user_sgpr_count 2
		.amdhsa_user_sgpr_dispatch_ptr 0
		.amdhsa_user_sgpr_queue_ptr 0
		.amdhsa_user_sgpr_kernarg_segment_ptr 1
		.amdhsa_user_sgpr_dispatch_id 0
		.amdhsa_user_sgpr_kernarg_preload_length 0
		.amdhsa_user_sgpr_kernarg_preload_offset 0
		.amdhsa_user_sgpr_private_segment_size 0
		.amdhsa_uses_dynamic_stack 0
		.amdhsa_enable_private_segment 0
		.amdhsa_system_sgpr_workgroup_id_x 1
		.amdhsa_system_sgpr_workgroup_id_y 0
		.amdhsa_system_sgpr_workgroup_id_z 0
		.amdhsa_system_sgpr_workgroup_info 0
		.amdhsa_system_vgpr_workitem_id 0
		.amdhsa_next_free_vgpr 1
		.amdhsa_next_free_sgpr 0
		.amdhsa_accum_offset 4
		.amdhsa_reserve_vcc 0
		.amdhsa_float_round_mode_32 0
		.amdhsa_float_round_mode_16_64 0
		.amdhsa_float_denorm_mode_32 3
		.amdhsa_float_denorm_mode_16_64 3
		.amdhsa_dx10_clamp 1
		.amdhsa_ieee_mode 1
		.amdhsa_fp16_overflow 0
		.amdhsa_tg_split 0
		.amdhsa_exception_fp_ieee_invalid_op 0
		.amdhsa_exception_fp_denorm_src 0
		.amdhsa_exception_fp_ieee_div_zero 0
		.amdhsa_exception_fp_ieee_overflow 0
		.amdhsa_exception_fp_ieee_underflow 0
		.amdhsa_exception_fp_ieee_inexact 0
		.amdhsa_exception_int_div_zero 0
	.end_amdhsa_kernel
	.section	.text._ZN7rocprim17ROCPRIM_400000_NS6detail17trampoline_kernelINS0_14default_configENS1_38merge_sort_block_merge_config_selectorIiNS0_10empty_typeEEEZZNS1_27merge_sort_block_merge_implIS3_N6thrust23THRUST_200600_302600_NS6detail15normal_iteratorINS9_10device_ptrIiEEEEPS5_jNS1_19radix_merge_compareILb0ELb1EiNS0_19identity_decomposerEEEEE10hipError_tT0_T1_T2_jT3_P12ihipStream_tbPNSt15iterator_traitsISK_E10value_typeEPNSQ_ISL_E10value_typeEPSM_NS1_7vsmem_tEENKUlT_SK_SL_SM_E_clIPiSE_SF_SF_EESJ_SZ_SK_SL_SM_EUlSZ_E0_NS1_11comp_targetILNS1_3genE8ELNS1_11target_archE1030ELNS1_3gpuE2ELNS1_3repE0EEENS1_38merge_mergepath_config_static_selectorELNS0_4arch9wavefront6targetE1EEEvSL_,"axG",@progbits,_ZN7rocprim17ROCPRIM_400000_NS6detail17trampoline_kernelINS0_14default_configENS1_38merge_sort_block_merge_config_selectorIiNS0_10empty_typeEEEZZNS1_27merge_sort_block_merge_implIS3_N6thrust23THRUST_200600_302600_NS6detail15normal_iteratorINS9_10device_ptrIiEEEEPS5_jNS1_19radix_merge_compareILb0ELb1EiNS0_19identity_decomposerEEEEE10hipError_tT0_T1_T2_jT3_P12ihipStream_tbPNSt15iterator_traitsISK_E10value_typeEPNSQ_ISL_E10value_typeEPSM_NS1_7vsmem_tEENKUlT_SK_SL_SM_E_clIPiSE_SF_SF_EESJ_SZ_SK_SL_SM_EUlSZ_E0_NS1_11comp_targetILNS1_3genE8ELNS1_11target_archE1030ELNS1_3gpuE2ELNS1_3repE0EEENS1_38merge_mergepath_config_static_selectorELNS0_4arch9wavefront6targetE1EEEvSL_,comdat
.Lfunc_end99:
	.size	_ZN7rocprim17ROCPRIM_400000_NS6detail17trampoline_kernelINS0_14default_configENS1_38merge_sort_block_merge_config_selectorIiNS0_10empty_typeEEEZZNS1_27merge_sort_block_merge_implIS3_N6thrust23THRUST_200600_302600_NS6detail15normal_iteratorINS9_10device_ptrIiEEEEPS5_jNS1_19radix_merge_compareILb0ELb1EiNS0_19identity_decomposerEEEEE10hipError_tT0_T1_T2_jT3_P12ihipStream_tbPNSt15iterator_traitsISK_E10value_typeEPNSQ_ISL_E10value_typeEPSM_NS1_7vsmem_tEENKUlT_SK_SL_SM_E_clIPiSE_SF_SF_EESJ_SZ_SK_SL_SM_EUlSZ_E0_NS1_11comp_targetILNS1_3genE8ELNS1_11target_archE1030ELNS1_3gpuE2ELNS1_3repE0EEENS1_38merge_mergepath_config_static_selectorELNS0_4arch9wavefront6targetE1EEEvSL_, .Lfunc_end99-_ZN7rocprim17ROCPRIM_400000_NS6detail17trampoline_kernelINS0_14default_configENS1_38merge_sort_block_merge_config_selectorIiNS0_10empty_typeEEEZZNS1_27merge_sort_block_merge_implIS3_N6thrust23THRUST_200600_302600_NS6detail15normal_iteratorINS9_10device_ptrIiEEEEPS5_jNS1_19radix_merge_compareILb0ELb1EiNS0_19identity_decomposerEEEEE10hipError_tT0_T1_T2_jT3_P12ihipStream_tbPNSt15iterator_traitsISK_E10value_typeEPNSQ_ISL_E10value_typeEPSM_NS1_7vsmem_tEENKUlT_SK_SL_SM_E_clIPiSE_SF_SF_EESJ_SZ_SK_SL_SM_EUlSZ_E0_NS1_11comp_targetILNS1_3genE8ELNS1_11target_archE1030ELNS1_3gpuE2ELNS1_3repE0EEENS1_38merge_mergepath_config_static_selectorELNS0_4arch9wavefront6targetE1EEEvSL_
                                        ; -- End function
	.set _ZN7rocprim17ROCPRIM_400000_NS6detail17trampoline_kernelINS0_14default_configENS1_38merge_sort_block_merge_config_selectorIiNS0_10empty_typeEEEZZNS1_27merge_sort_block_merge_implIS3_N6thrust23THRUST_200600_302600_NS6detail15normal_iteratorINS9_10device_ptrIiEEEEPS5_jNS1_19radix_merge_compareILb0ELb1EiNS0_19identity_decomposerEEEEE10hipError_tT0_T1_T2_jT3_P12ihipStream_tbPNSt15iterator_traitsISK_E10value_typeEPNSQ_ISL_E10value_typeEPSM_NS1_7vsmem_tEENKUlT_SK_SL_SM_E_clIPiSE_SF_SF_EESJ_SZ_SK_SL_SM_EUlSZ_E0_NS1_11comp_targetILNS1_3genE8ELNS1_11target_archE1030ELNS1_3gpuE2ELNS1_3repE0EEENS1_38merge_mergepath_config_static_selectorELNS0_4arch9wavefront6targetE1EEEvSL_.num_vgpr, 0
	.set _ZN7rocprim17ROCPRIM_400000_NS6detail17trampoline_kernelINS0_14default_configENS1_38merge_sort_block_merge_config_selectorIiNS0_10empty_typeEEEZZNS1_27merge_sort_block_merge_implIS3_N6thrust23THRUST_200600_302600_NS6detail15normal_iteratorINS9_10device_ptrIiEEEEPS5_jNS1_19radix_merge_compareILb0ELb1EiNS0_19identity_decomposerEEEEE10hipError_tT0_T1_T2_jT3_P12ihipStream_tbPNSt15iterator_traitsISK_E10value_typeEPNSQ_ISL_E10value_typeEPSM_NS1_7vsmem_tEENKUlT_SK_SL_SM_E_clIPiSE_SF_SF_EESJ_SZ_SK_SL_SM_EUlSZ_E0_NS1_11comp_targetILNS1_3genE8ELNS1_11target_archE1030ELNS1_3gpuE2ELNS1_3repE0EEENS1_38merge_mergepath_config_static_selectorELNS0_4arch9wavefront6targetE1EEEvSL_.num_agpr, 0
	.set _ZN7rocprim17ROCPRIM_400000_NS6detail17trampoline_kernelINS0_14default_configENS1_38merge_sort_block_merge_config_selectorIiNS0_10empty_typeEEEZZNS1_27merge_sort_block_merge_implIS3_N6thrust23THRUST_200600_302600_NS6detail15normal_iteratorINS9_10device_ptrIiEEEEPS5_jNS1_19radix_merge_compareILb0ELb1EiNS0_19identity_decomposerEEEEE10hipError_tT0_T1_T2_jT3_P12ihipStream_tbPNSt15iterator_traitsISK_E10value_typeEPNSQ_ISL_E10value_typeEPSM_NS1_7vsmem_tEENKUlT_SK_SL_SM_E_clIPiSE_SF_SF_EESJ_SZ_SK_SL_SM_EUlSZ_E0_NS1_11comp_targetILNS1_3genE8ELNS1_11target_archE1030ELNS1_3gpuE2ELNS1_3repE0EEENS1_38merge_mergepath_config_static_selectorELNS0_4arch9wavefront6targetE1EEEvSL_.numbered_sgpr, 0
	.set _ZN7rocprim17ROCPRIM_400000_NS6detail17trampoline_kernelINS0_14default_configENS1_38merge_sort_block_merge_config_selectorIiNS0_10empty_typeEEEZZNS1_27merge_sort_block_merge_implIS3_N6thrust23THRUST_200600_302600_NS6detail15normal_iteratorINS9_10device_ptrIiEEEEPS5_jNS1_19radix_merge_compareILb0ELb1EiNS0_19identity_decomposerEEEEE10hipError_tT0_T1_T2_jT3_P12ihipStream_tbPNSt15iterator_traitsISK_E10value_typeEPNSQ_ISL_E10value_typeEPSM_NS1_7vsmem_tEENKUlT_SK_SL_SM_E_clIPiSE_SF_SF_EESJ_SZ_SK_SL_SM_EUlSZ_E0_NS1_11comp_targetILNS1_3genE8ELNS1_11target_archE1030ELNS1_3gpuE2ELNS1_3repE0EEENS1_38merge_mergepath_config_static_selectorELNS0_4arch9wavefront6targetE1EEEvSL_.num_named_barrier, 0
	.set _ZN7rocprim17ROCPRIM_400000_NS6detail17trampoline_kernelINS0_14default_configENS1_38merge_sort_block_merge_config_selectorIiNS0_10empty_typeEEEZZNS1_27merge_sort_block_merge_implIS3_N6thrust23THRUST_200600_302600_NS6detail15normal_iteratorINS9_10device_ptrIiEEEEPS5_jNS1_19radix_merge_compareILb0ELb1EiNS0_19identity_decomposerEEEEE10hipError_tT0_T1_T2_jT3_P12ihipStream_tbPNSt15iterator_traitsISK_E10value_typeEPNSQ_ISL_E10value_typeEPSM_NS1_7vsmem_tEENKUlT_SK_SL_SM_E_clIPiSE_SF_SF_EESJ_SZ_SK_SL_SM_EUlSZ_E0_NS1_11comp_targetILNS1_3genE8ELNS1_11target_archE1030ELNS1_3gpuE2ELNS1_3repE0EEENS1_38merge_mergepath_config_static_selectorELNS0_4arch9wavefront6targetE1EEEvSL_.private_seg_size, 0
	.set _ZN7rocprim17ROCPRIM_400000_NS6detail17trampoline_kernelINS0_14default_configENS1_38merge_sort_block_merge_config_selectorIiNS0_10empty_typeEEEZZNS1_27merge_sort_block_merge_implIS3_N6thrust23THRUST_200600_302600_NS6detail15normal_iteratorINS9_10device_ptrIiEEEEPS5_jNS1_19radix_merge_compareILb0ELb1EiNS0_19identity_decomposerEEEEE10hipError_tT0_T1_T2_jT3_P12ihipStream_tbPNSt15iterator_traitsISK_E10value_typeEPNSQ_ISL_E10value_typeEPSM_NS1_7vsmem_tEENKUlT_SK_SL_SM_E_clIPiSE_SF_SF_EESJ_SZ_SK_SL_SM_EUlSZ_E0_NS1_11comp_targetILNS1_3genE8ELNS1_11target_archE1030ELNS1_3gpuE2ELNS1_3repE0EEENS1_38merge_mergepath_config_static_selectorELNS0_4arch9wavefront6targetE1EEEvSL_.uses_vcc, 0
	.set _ZN7rocprim17ROCPRIM_400000_NS6detail17trampoline_kernelINS0_14default_configENS1_38merge_sort_block_merge_config_selectorIiNS0_10empty_typeEEEZZNS1_27merge_sort_block_merge_implIS3_N6thrust23THRUST_200600_302600_NS6detail15normal_iteratorINS9_10device_ptrIiEEEEPS5_jNS1_19radix_merge_compareILb0ELb1EiNS0_19identity_decomposerEEEEE10hipError_tT0_T1_T2_jT3_P12ihipStream_tbPNSt15iterator_traitsISK_E10value_typeEPNSQ_ISL_E10value_typeEPSM_NS1_7vsmem_tEENKUlT_SK_SL_SM_E_clIPiSE_SF_SF_EESJ_SZ_SK_SL_SM_EUlSZ_E0_NS1_11comp_targetILNS1_3genE8ELNS1_11target_archE1030ELNS1_3gpuE2ELNS1_3repE0EEENS1_38merge_mergepath_config_static_selectorELNS0_4arch9wavefront6targetE1EEEvSL_.uses_flat_scratch, 0
	.set _ZN7rocprim17ROCPRIM_400000_NS6detail17trampoline_kernelINS0_14default_configENS1_38merge_sort_block_merge_config_selectorIiNS0_10empty_typeEEEZZNS1_27merge_sort_block_merge_implIS3_N6thrust23THRUST_200600_302600_NS6detail15normal_iteratorINS9_10device_ptrIiEEEEPS5_jNS1_19radix_merge_compareILb0ELb1EiNS0_19identity_decomposerEEEEE10hipError_tT0_T1_T2_jT3_P12ihipStream_tbPNSt15iterator_traitsISK_E10value_typeEPNSQ_ISL_E10value_typeEPSM_NS1_7vsmem_tEENKUlT_SK_SL_SM_E_clIPiSE_SF_SF_EESJ_SZ_SK_SL_SM_EUlSZ_E0_NS1_11comp_targetILNS1_3genE8ELNS1_11target_archE1030ELNS1_3gpuE2ELNS1_3repE0EEENS1_38merge_mergepath_config_static_selectorELNS0_4arch9wavefront6targetE1EEEvSL_.has_dyn_sized_stack, 0
	.set _ZN7rocprim17ROCPRIM_400000_NS6detail17trampoline_kernelINS0_14default_configENS1_38merge_sort_block_merge_config_selectorIiNS0_10empty_typeEEEZZNS1_27merge_sort_block_merge_implIS3_N6thrust23THRUST_200600_302600_NS6detail15normal_iteratorINS9_10device_ptrIiEEEEPS5_jNS1_19radix_merge_compareILb0ELb1EiNS0_19identity_decomposerEEEEE10hipError_tT0_T1_T2_jT3_P12ihipStream_tbPNSt15iterator_traitsISK_E10value_typeEPNSQ_ISL_E10value_typeEPSM_NS1_7vsmem_tEENKUlT_SK_SL_SM_E_clIPiSE_SF_SF_EESJ_SZ_SK_SL_SM_EUlSZ_E0_NS1_11comp_targetILNS1_3genE8ELNS1_11target_archE1030ELNS1_3gpuE2ELNS1_3repE0EEENS1_38merge_mergepath_config_static_selectorELNS0_4arch9wavefront6targetE1EEEvSL_.has_recursion, 0
	.set _ZN7rocprim17ROCPRIM_400000_NS6detail17trampoline_kernelINS0_14default_configENS1_38merge_sort_block_merge_config_selectorIiNS0_10empty_typeEEEZZNS1_27merge_sort_block_merge_implIS3_N6thrust23THRUST_200600_302600_NS6detail15normal_iteratorINS9_10device_ptrIiEEEEPS5_jNS1_19radix_merge_compareILb0ELb1EiNS0_19identity_decomposerEEEEE10hipError_tT0_T1_T2_jT3_P12ihipStream_tbPNSt15iterator_traitsISK_E10value_typeEPNSQ_ISL_E10value_typeEPSM_NS1_7vsmem_tEENKUlT_SK_SL_SM_E_clIPiSE_SF_SF_EESJ_SZ_SK_SL_SM_EUlSZ_E0_NS1_11comp_targetILNS1_3genE8ELNS1_11target_archE1030ELNS1_3gpuE2ELNS1_3repE0EEENS1_38merge_mergepath_config_static_selectorELNS0_4arch9wavefront6targetE1EEEvSL_.has_indirect_call, 0
	.section	.AMDGPU.csdata,"",@progbits
; Kernel info:
; codeLenInByte = 0
; TotalNumSgprs: 6
; NumVgprs: 0
; NumAgprs: 0
; TotalNumVgprs: 0
; ScratchSize: 0
; MemoryBound: 0
; FloatMode: 240
; IeeeMode: 1
; LDSByteSize: 0 bytes/workgroup (compile time only)
; SGPRBlocks: 0
; VGPRBlocks: 0
; NumSGPRsForWavesPerEU: 6
; NumVGPRsForWavesPerEU: 1
; AccumOffset: 4
; Occupancy: 8
; WaveLimiterHint : 0
; COMPUTE_PGM_RSRC2:SCRATCH_EN: 0
; COMPUTE_PGM_RSRC2:USER_SGPR: 2
; COMPUTE_PGM_RSRC2:TRAP_HANDLER: 0
; COMPUTE_PGM_RSRC2:TGID_X_EN: 1
; COMPUTE_PGM_RSRC2:TGID_Y_EN: 0
; COMPUTE_PGM_RSRC2:TGID_Z_EN: 0
; COMPUTE_PGM_RSRC2:TIDIG_COMP_CNT: 0
; COMPUTE_PGM_RSRC3_GFX90A:ACCUM_OFFSET: 0
; COMPUTE_PGM_RSRC3_GFX90A:TG_SPLIT: 0
	.section	.text._ZN7rocprim17ROCPRIM_400000_NS6detail17trampoline_kernelINS0_14default_configENS1_38merge_sort_block_merge_config_selectorIiNS0_10empty_typeEEEZZNS1_27merge_sort_block_merge_implIS3_N6thrust23THRUST_200600_302600_NS6detail15normal_iteratorINS9_10device_ptrIiEEEEPS5_jNS1_19radix_merge_compareILb0ELb1EiNS0_19identity_decomposerEEEEE10hipError_tT0_T1_T2_jT3_P12ihipStream_tbPNSt15iterator_traitsISK_E10value_typeEPNSQ_ISL_E10value_typeEPSM_NS1_7vsmem_tEENKUlT_SK_SL_SM_E_clIPiSE_SF_SF_EESJ_SZ_SK_SL_SM_EUlSZ_E1_NS1_11comp_targetILNS1_3genE0ELNS1_11target_archE4294967295ELNS1_3gpuE0ELNS1_3repE0EEENS1_36merge_oddeven_config_static_selectorELNS0_4arch9wavefront6targetE1EEEvSL_,"axG",@progbits,_ZN7rocprim17ROCPRIM_400000_NS6detail17trampoline_kernelINS0_14default_configENS1_38merge_sort_block_merge_config_selectorIiNS0_10empty_typeEEEZZNS1_27merge_sort_block_merge_implIS3_N6thrust23THRUST_200600_302600_NS6detail15normal_iteratorINS9_10device_ptrIiEEEEPS5_jNS1_19radix_merge_compareILb0ELb1EiNS0_19identity_decomposerEEEEE10hipError_tT0_T1_T2_jT3_P12ihipStream_tbPNSt15iterator_traitsISK_E10value_typeEPNSQ_ISL_E10value_typeEPSM_NS1_7vsmem_tEENKUlT_SK_SL_SM_E_clIPiSE_SF_SF_EESJ_SZ_SK_SL_SM_EUlSZ_E1_NS1_11comp_targetILNS1_3genE0ELNS1_11target_archE4294967295ELNS1_3gpuE0ELNS1_3repE0EEENS1_36merge_oddeven_config_static_selectorELNS0_4arch9wavefront6targetE1EEEvSL_,comdat
	.protected	_ZN7rocprim17ROCPRIM_400000_NS6detail17trampoline_kernelINS0_14default_configENS1_38merge_sort_block_merge_config_selectorIiNS0_10empty_typeEEEZZNS1_27merge_sort_block_merge_implIS3_N6thrust23THRUST_200600_302600_NS6detail15normal_iteratorINS9_10device_ptrIiEEEEPS5_jNS1_19radix_merge_compareILb0ELb1EiNS0_19identity_decomposerEEEEE10hipError_tT0_T1_T2_jT3_P12ihipStream_tbPNSt15iterator_traitsISK_E10value_typeEPNSQ_ISL_E10value_typeEPSM_NS1_7vsmem_tEENKUlT_SK_SL_SM_E_clIPiSE_SF_SF_EESJ_SZ_SK_SL_SM_EUlSZ_E1_NS1_11comp_targetILNS1_3genE0ELNS1_11target_archE4294967295ELNS1_3gpuE0ELNS1_3repE0EEENS1_36merge_oddeven_config_static_selectorELNS0_4arch9wavefront6targetE1EEEvSL_ ; -- Begin function _ZN7rocprim17ROCPRIM_400000_NS6detail17trampoline_kernelINS0_14default_configENS1_38merge_sort_block_merge_config_selectorIiNS0_10empty_typeEEEZZNS1_27merge_sort_block_merge_implIS3_N6thrust23THRUST_200600_302600_NS6detail15normal_iteratorINS9_10device_ptrIiEEEEPS5_jNS1_19radix_merge_compareILb0ELb1EiNS0_19identity_decomposerEEEEE10hipError_tT0_T1_T2_jT3_P12ihipStream_tbPNSt15iterator_traitsISK_E10value_typeEPNSQ_ISL_E10value_typeEPSM_NS1_7vsmem_tEENKUlT_SK_SL_SM_E_clIPiSE_SF_SF_EESJ_SZ_SK_SL_SM_EUlSZ_E1_NS1_11comp_targetILNS1_3genE0ELNS1_11target_archE4294967295ELNS1_3gpuE0ELNS1_3repE0EEENS1_36merge_oddeven_config_static_selectorELNS0_4arch9wavefront6targetE1EEEvSL_
	.globl	_ZN7rocprim17ROCPRIM_400000_NS6detail17trampoline_kernelINS0_14default_configENS1_38merge_sort_block_merge_config_selectorIiNS0_10empty_typeEEEZZNS1_27merge_sort_block_merge_implIS3_N6thrust23THRUST_200600_302600_NS6detail15normal_iteratorINS9_10device_ptrIiEEEEPS5_jNS1_19radix_merge_compareILb0ELb1EiNS0_19identity_decomposerEEEEE10hipError_tT0_T1_T2_jT3_P12ihipStream_tbPNSt15iterator_traitsISK_E10value_typeEPNSQ_ISL_E10value_typeEPSM_NS1_7vsmem_tEENKUlT_SK_SL_SM_E_clIPiSE_SF_SF_EESJ_SZ_SK_SL_SM_EUlSZ_E1_NS1_11comp_targetILNS1_3genE0ELNS1_11target_archE4294967295ELNS1_3gpuE0ELNS1_3repE0EEENS1_36merge_oddeven_config_static_selectorELNS0_4arch9wavefront6targetE1EEEvSL_
	.p2align	8
	.type	_ZN7rocprim17ROCPRIM_400000_NS6detail17trampoline_kernelINS0_14default_configENS1_38merge_sort_block_merge_config_selectorIiNS0_10empty_typeEEEZZNS1_27merge_sort_block_merge_implIS3_N6thrust23THRUST_200600_302600_NS6detail15normal_iteratorINS9_10device_ptrIiEEEEPS5_jNS1_19radix_merge_compareILb0ELb1EiNS0_19identity_decomposerEEEEE10hipError_tT0_T1_T2_jT3_P12ihipStream_tbPNSt15iterator_traitsISK_E10value_typeEPNSQ_ISL_E10value_typeEPSM_NS1_7vsmem_tEENKUlT_SK_SL_SM_E_clIPiSE_SF_SF_EESJ_SZ_SK_SL_SM_EUlSZ_E1_NS1_11comp_targetILNS1_3genE0ELNS1_11target_archE4294967295ELNS1_3gpuE0ELNS1_3repE0EEENS1_36merge_oddeven_config_static_selectorELNS0_4arch9wavefront6targetE1EEEvSL_,@function
_ZN7rocprim17ROCPRIM_400000_NS6detail17trampoline_kernelINS0_14default_configENS1_38merge_sort_block_merge_config_selectorIiNS0_10empty_typeEEEZZNS1_27merge_sort_block_merge_implIS3_N6thrust23THRUST_200600_302600_NS6detail15normal_iteratorINS9_10device_ptrIiEEEEPS5_jNS1_19radix_merge_compareILb0ELb1EiNS0_19identity_decomposerEEEEE10hipError_tT0_T1_T2_jT3_P12ihipStream_tbPNSt15iterator_traitsISK_E10value_typeEPNSQ_ISL_E10value_typeEPSM_NS1_7vsmem_tEENKUlT_SK_SL_SM_E_clIPiSE_SF_SF_EESJ_SZ_SK_SL_SM_EUlSZ_E1_NS1_11comp_targetILNS1_3genE0ELNS1_11target_archE4294967295ELNS1_3gpuE0ELNS1_3repE0EEENS1_36merge_oddeven_config_static_selectorELNS0_4arch9wavefront6targetE1EEEvSL_: ; @_ZN7rocprim17ROCPRIM_400000_NS6detail17trampoline_kernelINS0_14default_configENS1_38merge_sort_block_merge_config_selectorIiNS0_10empty_typeEEEZZNS1_27merge_sort_block_merge_implIS3_N6thrust23THRUST_200600_302600_NS6detail15normal_iteratorINS9_10device_ptrIiEEEEPS5_jNS1_19radix_merge_compareILb0ELb1EiNS0_19identity_decomposerEEEEE10hipError_tT0_T1_T2_jT3_P12ihipStream_tbPNSt15iterator_traitsISK_E10value_typeEPNSQ_ISL_E10value_typeEPSM_NS1_7vsmem_tEENKUlT_SK_SL_SM_E_clIPiSE_SF_SF_EESJ_SZ_SK_SL_SM_EUlSZ_E1_NS1_11comp_targetILNS1_3genE0ELNS1_11target_archE4294967295ELNS1_3gpuE0ELNS1_3repE0EEENS1_36merge_oddeven_config_static_selectorELNS0_4arch9wavefront6targetE1EEEvSL_
; %bb.0:
	s_load_dword s18, s[0:1], 0x20
	s_waitcnt lgkmcnt(0)
	s_lshr_b32 s3, s18, 8
	s_cmp_lg_u32 s2, s3
	s_cselect_b64 s[14:15], -1, 0
	s_cmp_eq_u32 s2, s3
	s_cselect_b64 s[12:13], -1, 0
	s_lshl_b32 s16, s2, 8
	s_sub_i32 s3, s18, s16
	v_cmp_gt_u32_e64 s[6:7], s3, v0
	s_or_b64 s[4:5], s[14:15], s[6:7]
	s_and_saveexec_b64 s[8:9], s[4:5]
	s_cbranch_execz .LBB100_20
; %bb.1:
	s_load_dwordx4 s[8:11], s[0:1], 0x0
	s_load_dword s19, s[0:1], 0x24
	s_mov_b32 s17, 0
	s_lshl_b64 s[4:5], s[16:17], 2
	v_lshlrev_b32_e32 v1, 2, v0
	s_waitcnt lgkmcnt(0)
	s_add_u32 s4, s8, s4
	s_addc_u32 s5, s9, s5
	global_load_dword v2, v1, s[4:5]
	s_lshr_b32 s3, s19, 8
	s_sub_i32 s4, 0, s3
	s_and_b32 s2, s2, s4
	s_and_b32 s3, s2, s3
	s_lshl_b32 s20, s2, 8
	s_sub_i32 s17, 0, s19
	s_cmp_eq_u32 s3, 0
	s_cselect_b64 s[4:5], -1, 0
	s_and_b64 s[2:3], s[4:5], exec
	s_cselect_b32 s17, s19, s17
	s_add_i32 s17, s17, s20
	s_cmp_gt_u32 s18, s17
	v_add_u32_e32 v0, s16, v0
	s_cbranch_scc1 .LBB100_3
; %bb.2:
	v_cmp_gt_u32_e32 vcc, s18, v0
	s_or_b64 s[2:3], vcc, s[14:15]
	s_and_b64 s[2:3], s[2:3], exec
	s_cbranch_execz .LBB100_4
	s_branch .LBB100_18
.LBB100_3:
	s_mov_b64 s[2:3], 0
.LBB100_4:
	s_load_dword s14, s[0:1], 0x28
	s_min_u32 s15, s17, s18
	s_add_i32 s0, s15, s19
	s_min_u32 s16, s0, s18
	s_min_u32 s0, s20, s15
	s_add_i32 s20, s20, s15
	v_subrev_u32_e32 v0, s20, v0
	v_add_u32_e32 v3, s0, v0
	s_waitcnt vmcnt(0) lgkmcnt(0)
	v_and_b32_e32 v4, s14, v2
	s_and_b64 vcc, exec, s[12:13]
	s_cbranch_vccz .LBB100_12
; %bb.5:
                                        ; implicit-def: $vgpr0
	s_and_saveexec_b64 s[0:1], s[6:7]
	s_cbranch_execz .LBB100_11
; %bb.6:
	s_cmp_ge_u32 s17, s16
	v_mov_b32_e32 v5, s15
	s_cbranch_scc1 .LBB100_10
; %bb.7:
	s_mov_b64 s[6:7], 0
	v_mov_b32_e32 v6, s16
	v_mov_b32_e32 v5, s15
	;; [unrolled: 1-line block ×3, first 2 shown]
.LBB100_8:                              ; =>This Inner Loop Header: Depth=1
	v_add_u32_e32 v0, v5, v6
	v_lshrrev_b32_e32 v0, 1, v0
	v_lshl_add_u64 v[8:9], v[0:1], 2, s[8:9]
	global_load_dword v7, v[8:9], off
	v_add_u32_e32 v8, 1, v0
	s_waitcnt vmcnt(0)
	v_and_b32_e32 v7, s14, v7
	v_cmp_gt_i32_e32 vcc, v4, v7
	s_nop 1
	v_cndmask_b32_e64 v9, 0, 1, vcc
	v_cmp_le_i32_e32 vcc, v7, v4
	s_nop 1
	v_cndmask_b32_e64 v7, 0, 1, vcc
	v_cndmask_b32_e64 v7, v7, v9, s[4:5]
	v_and_b32_e32 v7, 1, v7
	v_cmp_eq_u32_e32 vcc, 1, v7
	s_nop 1
	v_cndmask_b32_e32 v6, v0, v6, vcc
	v_cndmask_b32_e32 v5, v5, v8, vcc
	v_cmp_ge_u32_e32 vcc, v5, v6
	s_or_b64 s[6:7], vcc, s[6:7]
	s_andn2_b64 exec, exec, s[6:7]
	s_cbranch_execnz .LBB100_8
; %bb.9:
	s_or_b64 exec, exec, s[6:7]
.LBB100_10:
	v_add_u32_e32 v0, v5, v3
	s_or_b64 s[2:3], s[2:3], exec
.LBB100_11:
	s_or_b64 exec, exec, s[0:1]
	s_branch .LBB100_18
.LBB100_12:
                                        ; implicit-def: $vgpr0
	s_cbranch_execz .LBB100_18
; %bb.13:
	s_cmp_ge_u32 s17, s16
	v_mov_b32_e32 v5, s15
	s_cbranch_scc1 .LBB100_17
; %bb.14:
	s_mov_b64 s[0:1], 0
	v_mov_b32_e32 v6, s16
	v_mov_b32_e32 v5, s15
	;; [unrolled: 1-line block ×3, first 2 shown]
.LBB100_15:                             ; =>This Inner Loop Header: Depth=1
	v_add_u32_e32 v0, v5, v6
	v_lshrrev_b32_e32 v0, 1, v0
	v_lshl_add_u64 v[8:9], v[0:1], 2, s[8:9]
	global_load_dword v7, v[8:9], off
	v_add_u32_e32 v8, 1, v0
	s_waitcnt vmcnt(0)
	v_and_b32_e32 v7, s14, v7
	v_cmp_gt_i32_e32 vcc, v4, v7
	s_nop 1
	v_cndmask_b32_e64 v9, 0, 1, vcc
	v_cmp_le_i32_e32 vcc, v7, v4
	s_nop 1
	v_cndmask_b32_e64 v7, 0, 1, vcc
	v_cndmask_b32_e64 v7, v7, v9, s[4:5]
	v_and_b32_e32 v7, 1, v7
	v_cmp_eq_u32_e32 vcc, 1, v7
	s_nop 1
	v_cndmask_b32_e32 v6, v0, v6, vcc
	v_cndmask_b32_e32 v5, v5, v8, vcc
	v_cmp_ge_u32_e32 vcc, v5, v6
	s_or_b64 s[0:1], vcc, s[0:1]
	s_andn2_b64 exec, exec, s[0:1]
	s_cbranch_execnz .LBB100_15
; %bb.16:
	s_or_b64 exec, exec, s[0:1]
.LBB100_17:
	v_add_u32_e32 v0, v5, v3
	s_mov_b64 s[2:3], -1
.LBB100_18:
	s_and_b64 exec, exec, s[2:3]
	s_cbranch_execz .LBB100_20
; %bb.19:
	v_mov_b32_e32 v4, s10
	v_mov_b32_e32 v5, s11
	;; [unrolled: 1-line block ×3, first 2 shown]
	v_lshl_add_u64 v[0:1], v[0:1], 2, v[4:5]
	s_waitcnt vmcnt(0)
	global_store_dword v[0:1], v2, off
.LBB100_20:
	s_endpgm
	.section	.rodata,"a",@progbits
	.p2align	6, 0x0
	.amdhsa_kernel _ZN7rocprim17ROCPRIM_400000_NS6detail17trampoline_kernelINS0_14default_configENS1_38merge_sort_block_merge_config_selectorIiNS0_10empty_typeEEEZZNS1_27merge_sort_block_merge_implIS3_N6thrust23THRUST_200600_302600_NS6detail15normal_iteratorINS9_10device_ptrIiEEEEPS5_jNS1_19radix_merge_compareILb0ELb1EiNS0_19identity_decomposerEEEEE10hipError_tT0_T1_T2_jT3_P12ihipStream_tbPNSt15iterator_traitsISK_E10value_typeEPNSQ_ISL_E10value_typeEPSM_NS1_7vsmem_tEENKUlT_SK_SL_SM_E_clIPiSE_SF_SF_EESJ_SZ_SK_SL_SM_EUlSZ_E1_NS1_11comp_targetILNS1_3genE0ELNS1_11target_archE4294967295ELNS1_3gpuE0ELNS1_3repE0EEENS1_36merge_oddeven_config_static_selectorELNS0_4arch9wavefront6targetE1EEEvSL_
		.amdhsa_group_segment_fixed_size 0
		.amdhsa_private_segment_fixed_size 0
		.amdhsa_kernarg_size 48
		.amdhsa_user_sgpr_count 2
		.amdhsa_user_sgpr_dispatch_ptr 0
		.amdhsa_user_sgpr_queue_ptr 0
		.amdhsa_user_sgpr_kernarg_segment_ptr 1
		.amdhsa_user_sgpr_dispatch_id 0
		.amdhsa_user_sgpr_kernarg_preload_length 0
		.amdhsa_user_sgpr_kernarg_preload_offset 0
		.amdhsa_user_sgpr_private_segment_size 0
		.amdhsa_uses_dynamic_stack 0
		.amdhsa_enable_private_segment 0
		.amdhsa_system_sgpr_workgroup_id_x 1
		.amdhsa_system_sgpr_workgroup_id_y 0
		.amdhsa_system_sgpr_workgroup_id_z 0
		.amdhsa_system_sgpr_workgroup_info 0
		.amdhsa_system_vgpr_workitem_id 0
		.amdhsa_next_free_vgpr 10
		.amdhsa_next_free_sgpr 21
		.amdhsa_accum_offset 12
		.amdhsa_reserve_vcc 1
		.amdhsa_float_round_mode_32 0
		.amdhsa_float_round_mode_16_64 0
		.amdhsa_float_denorm_mode_32 3
		.amdhsa_float_denorm_mode_16_64 3
		.amdhsa_dx10_clamp 1
		.amdhsa_ieee_mode 1
		.amdhsa_fp16_overflow 0
		.amdhsa_tg_split 0
		.amdhsa_exception_fp_ieee_invalid_op 0
		.amdhsa_exception_fp_denorm_src 0
		.amdhsa_exception_fp_ieee_div_zero 0
		.amdhsa_exception_fp_ieee_overflow 0
		.amdhsa_exception_fp_ieee_underflow 0
		.amdhsa_exception_fp_ieee_inexact 0
		.amdhsa_exception_int_div_zero 0
	.end_amdhsa_kernel
	.section	.text._ZN7rocprim17ROCPRIM_400000_NS6detail17trampoline_kernelINS0_14default_configENS1_38merge_sort_block_merge_config_selectorIiNS0_10empty_typeEEEZZNS1_27merge_sort_block_merge_implIS3_N6thrust23THRUST_200600_302600_NS6detail15normal_iteratorINS9_10device_ptrIiEEEEPS5_jNS1_19radix_merge_compareILb0ELb1EiNS0_19identity_decomposerEEEEE10hipError_tT0_T1_T2_jT3_P12ihipStream_tbPNSt15iterator_traitsISK_E10value_typeEPNSQ_ISL_E10value_typeEPSM_NS1_7vsmem_tEENKUlT_SK_SL_SM_E_clIPiSE_SF_SF_EESJ_SZ_SK_SL_SM_EUlSZ_E1_NS1_11comp_targetILNS1_3genE0ELNS1_11target_archE4294967295ELNS1_3gpuE0ELNS1_3repE0EEENS1_36merge_oddeven_config_static_selectorELNS0_4arch9wavefront6targetE1EEEvSL_,"axG",@progbits,_ZN7rocprim17ROCPRIM_400000_NS6detail17trampoline_kernelINS0_14default_configENS1_38merge_sort_block_merge_config_selectorIiNS0_10empty_typeEEEZZNS1_27merge_sort_block_merge_implIS3_N6thrust23THRUST_200600_302600_NS6detail15normal_iteratorINS9_10device_ptrIiEEEEPS5_jNS1_19radix_merge_compareILb0ELb1EiNS0_19identity_decomposerEEEEE10hipError_tT0_T1_T2_jT3_P12ihipStream_tbPNSt15iterator_traitsISK_E10value_typeEPNSQ_ISL_E10value_typeEPSM_NS1_7vsmem_tEENKUlT_SK_SL_SM_E_clIPiSE_SF_SF_EESJ_SZ_SK_SL_SM_EUlSZ_E1_NS1_11comp_targetILNS1_3genE0ELNS1_11target_archE4294967295ELNS1_3gpuE0ELNS1_3repE0EEENS1_36merge_oddeven_config_static_selectorELNS0_4arch9wavefront6targetE1EEEvSL_,comdat
.Lfunc_end100:
	.size	_ZN7rocprim17ROCPRIM_400000_NS6detail17trampoline_kernelINS0_14default_configENS1_38merge_sort_block_merge_config_selectorIiNS0_10empty_typeEEEZZNS1_27merge_sort_block_merge_implIS3_N6thrust23THRUST_200600_302600_NS6detail15normal_iteratorINS9_10device_ptrIiEEEEPS5_jNS1_19radix_merge_compareILb0ELb1EiNS0_19identity_decomposerEEEEE10hipError_tT0_T1_T2_jT3_P12ihipStream_tbPNSt15iterator_traitsISK_E10value_typeEPNSQ_ISL_E10value_typeEPSM_NS1_7vsmem_tEENKUlT_SK_SL_SM_E_clIPiSE_SF_SF_EESJ_SZ_SK_SL_SM_EUlSZ_E1_NS1_11comp_targetILNS1_3genE0ELNS1_11target_archE4294967295ELNS1_3gpuE0ELNS1_3repE0EEENS1_36merge_oddeven_config_static_selectorELNS0_4arch9wavefront6targetE1EEEvSL_, .Lfunc_end100-_ZN7rocprim17ROCPRIM_400000_NS6detail17trampoline_kernelINS0_14default_configENS1_38merge_sort_block_merge_config_selectorIiNS0_10empty_typeEEEZZNS1_27merge_sort_block_merge_implIS3_N6thrust23THRUST_200600_302600_NS6detail15normal_iteratorINS9_10device_ptrIiEEEEPS5_jNS1_19radix_merge_compareILb0ELb1EiNS0_19identity_decomposerEEEEE10hipError_tT0_T1_T2_jT3_P12ihipStream_tbPNSt15iterator_traitsISK_E10value_typeEPNSQ_ISL_E10value_typeEPSM_NS1_7vsmem_tEENKUlT_SK_SL_SM_E_clIPiSE_SF_SF_EESJ_SZ_SK_SL_SM_EUlSZ_E1_NS1_11comp_targetILNS1_3genE0ELNS1_11target_archE4294967295ELNS1_3gpuE0ELNS1_3repE0EEENS1_36merge_oddeven_config_static_selectorELNS0_4arch9wavefront6targetE1EEEvSL_
                                        ; -- End function
	.set _ZN7rocprim17ROCPRIM_400000_NS6detail17trampoline_kernelINS0_14default_configENS1_38merge_sort_block_merge_config_selectorIiNS0_10empty_typeEEEZZNS1_27merge_sort_block_merge_implIS3_N6thrust23THRUST_200600_302600_NS6detail15normal_iteratorINS9_10device_ptrIiEEEEPS5_jNS1_19radix_merge_compareILb0ELb1EiNS0_19identity_decomposerEEEEE10hipError_tT0_T1_T2_jT3_P12ihipStream_tbPNSt15iterator_traitsISK_E10value_typeEPNSQ_ISL_E10value_typeEPSM_NS1_7vsmem_tEENKUlT_SK_SL_SM_E_clIPiSE_SF_SF_EESJ_SZ_SK_SL_SM_EUlSZ_E1_NS1_11comp_targetILNS1_3genE0ELNS1_11target_archE4294967295ELNS1_3gpuE0ELNS1_3repE0EEENS1_36merge_oddeven_config_static_selectorELNS0_4arch9wavefront6targetE1EEEvSL_.num_vgpr, 10
	.set _ZN7rocprim17ROCPRIM_400000_NS6detail17trampoline_kernelINS0_14default_configENS1_38merge_sort_block_merge_config_selectorIiNS0_10empty_typeEEEZZNS1_27merge_sort_block_merge_implIS3_N6thrust23THRUST_200600_302600_NS6detail15normal_iteratorINS9_10device_ptrIiEEEEPS5_jNS1_19radix_merge_compareILb0ELb1EiNS0_19identity_decomposerEEEEE10hipError_tT0_T1_T2_jT3_P12ihipStream_tbPNSt15iterator_traitsISK_E10value_typeEPNSQ_ISL_E10value_typeEPSM_NS1_7vsmem_tEENKUlT_SK_SL_SM_E_clIPiSE_SF_SF_EESJ_SZ_SK_SL_SM_EUlSZ_E1_NS1_11comp_targetILNS1_3genE0ELNS1_11target_archE4294967295ELNS1_3gpuE0ELNS1_3repE0EEENS1_36merge_oddeven_config_static_selectorELNS0_4arch9wavefront6targetE1EEEvSL_.num_agpr, 0
	.set _ZN7rocprim17ROCPRIM_400000_NS6detail17trampoline_kernelINS0_14default_configENS1_38merge_sort_block_merge_config_selectorIiNS0_10empty_typeEEEZZNS1_27merge_sort_block_merge_implIS3_N6thrust23THRUST_200600_302600_NS6detail15normal_iteratorINS9_10device_ptrIiEEEEPS5_jNS1_19radix_merge_compareILb0ELb1EiNS0_19identity_decomposerEEEEE10hipError_tT0_T1_T2_jT3_P12ihipStream_tbPNSt15iterator_traitsISK_E10value_typeEPNSQ_ISL_E10value_typeEPSM_NS1_7vsmem_tEENKUlT_SK_SL_SM_E_clIPiSE_SF_SF_EESJ_SZ_SK_SL_SM_EUlSZ_E1_NS1_11comp_targetILNS1_3genE0ELNS1_11target_archE4294967295ELNS1_3gpuE0ELNS1_3repE0EEENS1_36merge_oddeven_config_static_selectorELNS0_4arch9wavefront6targetE1EEEvSL_.numbered_sgpr, 21
	.set _ZN7rocprim17ROCPRIM_400000_NS6detail17trampoline_kernelINS0_14default_configENS1_38merge_sort_block_merge_config_selectorIiNS0_10empty_typeEEEZZNS1_27merge_sort_block_merge_implIS3_N6thrust23THRUST_200600_302600_NS6detail15normal_iteratorINS9_10device_ptrIiEEEEPS5_jNS1_19radix_merge_compareILb0ELb1EiNS0_19identity_decomposerEEEEE10hipError_tT0_T1_T2_jT3_P12ihipStream_tbPNSt15iterator_traitsISK_E10value_typeEPNSQ_ISL_E10value_typeEPSM_NS1_7vsmem_tEENKUlT_SK_SL_SM_E_clIPiSE_SF_SF_EESJ_SZ_SK_SL_SM_EUlSZ_E1_NS1_11comp_targetILNS1_3genE0ELNS1_11target_archE4294967295ELNS1_3gpuE0ELNS1_3repE0EEENS1_36merge_oddeven_config_static_selectorELNS0_4arch9wavefront6targetE1EEEvSL_.num_named_barrier, 0
	.set _ZN7rocprim17ROCPRIM_400000_NS6detail17trampoline_kernelINS0_14default_configENS1_38merge_sort_block_merge_config_selectorIiNS0_10empty_typeEEEZZNS1_27merge_sort_block_merge_implIS3_N6thrust23THRUST_200600_302600_NS6detail15normal_iteratorINS9_10device_ptrIiEEEEPS5_jNS1_19radix_merge_compareILb0ELb1EiNS0_19identity_decomposerEEEEE10hipError_tT0_T1_T2_jT3_P12ihipStream_tbPNSt15iterator_traitsISK_E10value_typeEPNSQ_ISL_E10value_typeEPSM_NS1_7vsmem_tEENKUlT_SK_SL_SM_E_clIPiSE_SF_SF_EESJ_SZ_SK_SL_SM_EUlSZ_E1_NS1_11comp_targetILNS1_3genE0ELNS1_11target_archE4294967295ELNS1_3gpuE0ELNS1_3repE0EEENS1_36merge_oddeven_config_static_selectorELNS0_4arch9wavefront6targetE1EEEvSL_.private_seg_size, 0
	.set _ZN7rocprim17ROCPRIM_400000_NS6detail17trampoline_kernelINS0_14default_configENS1_38merge_sort_block_merge_config_selectorIiNS0_10empty_typeEEEZZNS1_27merge_sort_block_merge_implIS3_N6thrust23THRUST_200600_302600_NS6detail15normal_iteratorINS9_10device_ptrIiEEEEPS5_jNS1_19radix_merge_compareILb0ELb1EiNS0_19identity_decomposerEEEEE10hipError_tT0_T1_T2_jT3_P12ihipStream_tbPNSt15iterator_traitsISK_E10value_typeEPNSQ_ISL_E10value_typeEPSM_NS1_7vsmem_tEENKUlT_SK_SL_SM_E_clIPiSE_SF_SF_EESJ_SZ_SK_SL_SM_EUlSZ_E1_NS1_11comp_targetILNS1_3genE0ELNS1_11target_archE4294967295ELNS1_3gpuE0ELNS1_3repE0EEENS1_36merge_oddeven_config_static_selectorELNS0_4arch9wavefront6targetE1EEEvSL_.uses_vcc, 1
	.set _ZN7rocprim17ROCPRIM_400000_NS6detail17trampoline_kernelINS0_14default_configENS1_38merge_sort_block_merge_config_selectorIiNS0_10empty_typeEEEZZNS1_27merge_sort_block_merge_implIS3_N6thrust23THRUST_200600_302600_NS6detail15normal_iteratorINS9_10device_ptrIiEEEEPS5_jNS1_19radix_merge_compareILb0ELb1EiNS0_19identity_decomposerEEEEE10hipError_tT0_T1_T2_jT3_P12ihipStream_tbPNSt15iterator_traitsISK_E10value_typeEPNSQ_ISL_E10value_typeEPSM_NS1_7vsmem_tEENKUlT_SK_SL_SM_E_clIPiSE_SF_SF_EESJ_SZ_SK_SL_SM_EUlSZ_E1_NS1_11comp_targetILNS1_3genE0ELNS1_11target_archE4294967295ELNS1_3gpuE0ELNS1_3repE0EEENS1_36merge_oddeven_config_static_selectorELNS0_4arch9wavefront6targetE1EEEvSL_.uses_flat_scratch, 0
	.set _ZN7rocprim17ROCPRIM_400000_NS6detail17trampoline_kernelINS0_14default_configENS1_38merge_sort_block_merge_config_selectorIiNS0_10empty_typeEEEZZNS1_27merge_sort_block_merge_implIS3_N6thrust23THRUST_200600_302600_NS6detail15normal_iteratorINS9_10device_ptrIiEEEEPS5_jNS1_19radix_merge_compareILb0ELb1EiNS0_19identity_decomposerEEEEE10hipError_tT0_T1_T2_jT3_P12ihipStream_tbPNSt15iterator_traitsISK_E10value_typeEPNSQ_ISL_E10value_typeEPSM_NS1_7vsmem_tEENKUlT_SK_SL_SM_E_clIPiSE_SF_SF_EESJ_SZ_SK_SL_SM_EUlSZ_E1_NS1_11comp_targetILNS1_3genE0ELNS1_11target_archE4294967295ELNS1_3gpuE0ELNS1_3repE0EEENS1_36merge_oddeven_config_static_selectorELNS0_4arch9wavefront6targetE1EEEvSL_.has_dyn_sized_stack, 0
	.set _ZN7rocprim17ROCPRIM_400000_NS6detail17trampoline_kernelINS0_14default_configENS1_38merge_sort_block_merge_config_selectorIiNS0_10empty_typeEEEZZNS1_27merge_sort_block_merge_implIS3_N6thrust23THRUST_200600_302600_NS6detail15normal_iteratorINS9_10device_ptrIiEEEEPS5_jNS1_19radix_merge_compareILb0ELb1EiNS0_19identity_decomposerEEEEE10hipError_tT0_T1_T2_jT3_P12ihipStream_tbPNSt15iterator_traitsISK_E10value_typeEPNSQ_ISL_E10value_typeEPSM_NS1_7vsmem_tEENKUlT_SK_SL_SM_E_clIPiSE_SF_SF_EESJ_SZ_SK_SL_SM_EUlSZ_E1_NS1_11comp_targetILNS1_3genE0ELNS1_11target_archE4294967295ELNS1_3gpuE0ELNS1_3repE0EEENS1_36merge_oddeven_config_static_selectorELNS0_4arch9wavefront6targetE1EEEvSL_.has_recursion, 0
	.set _ZN7rocprim17ROCPRIM_400000_NS6detail17trampoline_kernelINS0_14default_configENS1_38merge_sort_block_merge_config_selectorIiNS0_10empty_typeEEEZZNS1_27merge_sort_block_merge_implIS3_N6thrust23THRUST_200600_302600_NS6detail15normal_iteratorINS9_10device_ptrIiEEEEPS5_jNS1_19radix_merge_compareILb0ELb1EiNS0_19identity_decomposerEEEEE10hipError_tT0_T1_T2_jT3_P12ihipStream_tbPNSt15iterator_traitsISK_E10value_typeEPNSQ_ISL_E10value_typeEPSM_NS1_7vsmem_tEENKUlT_SK_SL_SM_E_clIPiSE_SF_SF_EESJ_SZ_SK_SL_SM_EUlSZ_E1_NS1_11comp_targetILNS1_3genE0ELNS1_11target_archE4294967295ELNS1_3gpuE0ELNS1_3repE0EEENS1_36merge_oddeven_config_static_selectorELNS0_4arch9wavefront6targetE1EEEvSL_.has_indirect_call, 0
	.section	.AMDGPU.csdata,"",@progbits
; Kernel info:
; codeLenInByte = 608
; TotalNumSgprs: 27
; NumVgprs: 10
; NumAgprs: 0
; TotalNumVgprs: 10
; ScratchSize: 0
; MemoryBound: 0
; FloatMode: 240
; IeeeMode: 1
; LDSByteSize: 0 bytes/workgroup (compile time only)
; SGPRBlocks: 3
; VGPRBlocks: 1
; NumSGPRsForWavesPerEU: 27
; NumVGPRsForWavesPerEU: 10
; AccumOffset: 12
; Occupancy: 8
; WaveLimiterHint : 0
; COMPUTE_PGM_RSRC2:SCRATCH_EN: 0
; COMPUTE_PGM_RSRC2:USER_SGPR: 2
; COMPUTE_PGM_RSRC2:TRAP_HANDLER: 0
; COMPUTE_PGM_RSRC2:TGID_X_EN: 1
; COMPUTE_PGM_RSRC2:TGID_Y_EN: 0
; COMPUTE_PGM_RSRC2:TGID_Z_EN: 0
; COMPUTE_PGM_RSRC2:TIDIG_COMP_CNT: 0
; COMPUTE_PGM_RSRC3_GFX90A:ACCUM_OFFSET: 2
; COMPUTE_PGM_RSRC3_GFX90A:TG_SPLIT: 0
	.section	.text._ZN7rocprim17ROCPRIM_400000_NS6detail17trampoline_kernelINS0_14default_configENS1_38merge_sort_block_merge_config_selectorIiNS0_10empty_typeEEEZZNS1_27merge_sort_block_merge_implIS3_N6thrust23THRUST_200600_302600_NS6detail15normal_iteratorINS9_10device_ptrIiEEEEPS5_jNS1_19radix_merge_compareILb0ELb1EiNS0_19identity_decomposerEEEEE10hipError_tT0_T1_T2_jT3_P12ihipStream_tbPNSt15iterator_traitsISK_E10value_typeEPNSQ_ISL_E10value_typeEPSM_NS1_7vsmem_tEENKUlT_SK_SL_SM_E_clIPiSE_SF_SF_EESJ_SZ_SK_SL_SM_EUlSZ_E1_NS1_11comp_targetILNS1_3genE10ELNS1_11target_archE1201ELNS1_3gpuE5ELNS1_3repE0EEENS1_36merge_oddeven_config_static_selectorELNS0_4arch9wavefront6targetE1EEEvSL_,"axG",@progbits,_ZN7rocprim17ROCPRIM_400000_NS6detail17trampoline_kernelINS0_14default_configENS1_38merge_sort_block_merge_config_selectorIiNS0_10empty_typeEEEZZNS1_27merge_sort_block_merge_implIS3_N6thrust23THRUST_200600_302600_NS6detail15normal_iteratorINS9_10device_ptrIiEEEEPS5_jNS1_19radix_merge_compareILb0ELb1EiNS0_19identity_decomposerEEEEE10hipError_tT0_T1_T2_jT3_P12ihipStream_tbPNSt15iterator_traitsISK_E10value_typeEPNSQ_ISL_E10value_typeEPSM_NS1_7vsmem_tEENKUlT_SK_SL_SM_E_clIPiSE_SF_SF_EESJ_SZ_SK_SL_SM_EUlSZ_E1_NS1_11comp_targetILNS1_3genE10ELNS1_11target_archE1201ELNS1_3gpuE5ELNS1_3repE0EEENS1_36merge_oddeven_config_static_selectorELNS0_4arch9wavefront6targetE1EEEvSL_,comdat
	.protected	_ZN7rocprim17ROCPRIM_400000_NS6detail17trampoline_kernelINS0_14default_configENS1_38merge_sort_block_merge_config_selectorIiNS0_10empty_typeEEEZZNS1_27merge_sort_block_merge_implIS3_N6thrust23THRUST_200600_302600_NS6detail15normal_iteratorINS9_10device_ptrIiEEEEPS5_jNS1_19radix_merge_compareILb0ELb1EiNS0_19identity_decomposerEEEEE10hipError_tT0_T1_T2_jT3_P12ihipStream_tbPNSt15iterator_traitsISK_E10value_typeEPNSQ_ISL_E10value_typeEPSM_NS1_7vsmem_tEENKUlT_SK_SL_SM_E_clIPiSE_SF_SF_EESJ_SZ_SK_SL_SM_EUlSZ_E1_NS1_11comp_targetILNS1_3genE10ELNS1_11target_archE1201ELNS1_3gpuE5ELNS1_3repE0EEENS1_36merge_oddeven_config_static_selectorELNS0_4arch9wavefront6targetE1EEEvSL_ ; -- Begin function _ZN7rocprim17ROCPRIM_400000_NS6detail17trampoline_kernelINS0_14default_configENS1_38merge_sort_block_merge_config_selectorIiNS0_10empty_typeEEEZZNS1_27merge_sort_block_merge_implIS3_N6thrust23THRUST_200600_302600_NS6detail15normal_iteratorINS9_10device_ptrIiEEEEPS5_jNS1_19radix_merge_compareILb0ELb1EiNS0_19identity_decomposerEEEEE10hipError_tT0_T1_T2_jT3_P12ihipStream_tbPNSt15iterator_traitsISK_E10value_typeEPNSQ_ISL_E10value_typeEPSM_NS1_7vsmem_tEENKUlT_SK_SL_SM_E_clIPiSE_SF_SF_EESJ_SZ_SK_SL_SM_EUlSZ_E1_NS1_11comp_targetILNS1_3genE10ELNS1_11target_archE1201ELNS1_3gpuE5ELNS1_3repE0EEENS1_36merge_oddeven_config_static_selectorELNS0_4arch9wavefront6targetE1EEEvSL_
	.globl	_ZN7rocprim17ROCPRIM_400000_NS6detail17trampoline_kernelINS0_14default_configENS1_38merge_sort_block_merge_config_selectorIiNS0_10empty_typeEEEZZNS1_27merge_sort_block_merge_implIS3_N6thrust23THRUST_200600_302600_NS6detail15normal_iteratorINS9_10device_ptrIiEEEEPS5_jNS1_19radix_merge_compareILb0ELb1EiNS0_19identity_decomposerEEEEE10hipError_tT0_T1_T2_jT3_P12ihipStream_tbPNSt15iterator_traitsISK_E10value_typeEPNSQ_ISL_E10value_typeEPSM_NS1_7vsmem_tEENKUlT_SK_SL_SM_E_clIPiSE_SF_SF_EESJ_SZ_SK_SL_SM_EUlSZ_E1_NS1_11comp_targetILNS1_3genE10ELNS1_11target_archE1201ELNS1_3gpuE5ELNS1_3repE0EEENS1_36merge_oddeven_config_static_selectorELNS0_4arch9wavefront6targetE1EEEvSL_
	.p2align	8
	.type	_ZN7rocprim17ROCPRIM_400000_NS6detail17trampoline_kernelINS0_14default_configENS1_38merge_sort_block_merge_config_selectorIiNS0_10empty_typeEEEZZNS1_27merge_sort_block_merge_implIS3_N6thrust23THRUST_200600_302600_NS6detail15normal_iteratorINS9_10device_ptrIiEEEEPS5_jNS1_19radix_merge_compareILb0ELb1EiNS0_19identity_decomposerEEEEE10hipError_tT0_T1_T2_jT3_P12ihipStream_tbPNSt15iterator_traitsISK_E10value_typeEPNSQ_ISL_E10value_typeEPSM_NS1_7vsmem_tEENKUlT_SK_SL_SM_E_clIPiSE_SF_SF_EESJ_SZ_SK_SL_SM_EUlSZ_E1_NS1_11comp_targetILNS1_3genE10ELNS1_11target_archE1201ELNS1_3gpuE5ELNS1_3repE0EEENS1_36merge_oddeven_config_static_selectorELNS0_4arch9wavefront6targetE1EEEvSL_,@function
_ZN7rocprim17ROCPRIM_400000_NS6detail17trampoline_kernelINS0_14default_configENS1_38merge_sort_block_merge_config_selectorIiNS0_10empty_typeEEEZZNS1_27merge_sort_block_merge_implIS3_N6thrust23THRUST_200600_302600_NS6detail15normal_iteratorINS9_10device_ptrIiEEEEPS5_jNS1_19radix_merge_compareILb0ELb1EiNS0_19identity_decomposerEEEEE10hipError_tT0_T1_T2_jT3_P12ihipStream_tbPNSt15iterator_traitsISK_E10value_typeEPNSQ_ISL_E10value_typeEPSM_NS1_7vsmem_tEENKUlT_SK_SL_SM_E_clIPiSE_SF_SF_EESJ_SZ_SK_SL_SM_EUlSZ_E1_NS1_11comp_targetILNS1_3genE10ELNS1_11target_archE1201ELNS1_3gpuE5ELNS1_3repE0EEENS1_36merge_oddeven_config_static_selectorELNS0_4arch9wavefront6targetE1EEEvSL_: ; @_ZN7rocprim17ROCPRIM_400000_NS6detail17trampoline_kernelINS0_14default_configENS1_38merge_sort_block_merge_config_selectorIiNS0_10empty_typeEEEZZNS1_27merge_sort_block_merge_implIS3_N6thrust23THRUST_200600_302600_NS6detail15normal_iteratorINS9_10device_ptrIiEEEEPS5_jNS1_19radix_merge_compareILb0ELb1EiNS0_19identity_decomposerEEEEE10hipError_tT0_T1_T2_jT3_P12ihipStream_tbPNSt15iterator_traitsISK_E10value_typeEPNSQ_ISL_E10value_typeEPSM_NS1_7vsmem_tEENKUlT_SK_SL_SM_E_clIPiSE_SF_SF_EESJ_SZ_SK_SL_SM_EUlSZ_E1_NS1_11comp_targetILNS1_3genE10ELNS1_11target_archE1201ELNS1_3gpuE5ELNS1_3repE0EEENS1_36merge_oddeven_config_static_selectorELNS0_4arch9wavefront6targetE1EEEvSL_
; %bb.0:
	.section	.rodata,"a",@progbits
	.p2align	6, 0x0
	.amdhsa_kernel _ZN7rocprim17ROCPRIM_400000_NS6detail17trampoline_kernelINS0_14default_configENS1_38merge_sort_block_merge_config_selectorIiNS0_10empty_typeEEEZZNS1_27merge_sort_block_merge_implIS3_N6thrust23THRUST_200600_302600_NS6detail15normal_iteratorINS9_10device_ptrIiEEEEPS5_jNS1_19radix_merge_compareILb0ELb1EiNS0_19identity_decomposerEEEEE10hipError_tT0_T1_T2_jT3_P12ihipStream_tbPNSt15iterator_traitsISK_E10value_typeEPNSQ_ISL_E10value_typeEPSM_NS1_7vsmem_tEENKUlT_SK_SL_SM_E_clIPiSE_SF_SF_EESJ_SZ_SK_SL_SM_EUlSZ_E1_NS1_11comp_targetILNS1_3genE10ELNS1_11target_archE1201ELNS1_3gpuE5ELNS1_3repE0EEENS1_36merge_oddeven_config_static_selectorELNS0_4arch9wavefront6targetE1EEEvSL_
		.amdhsa_group_segment_fixed_size 0
		.amdhsa_private_segment_fixed_size 0
		.amdhsa_kernarg_size 48
		.amdhsa_user_sgpr_count 2
		.amdhsa_user_sgpr_dispatch_ptr 0
		.amdhsa_user_sgpr_queue_ptr 0
		.amdhsa_user_sgpr_kernarg_segment_ptr 1
		.amdhsa_user_sgpr_dispatch_id 0
		.amdhsa_user_sgpr_kernarg_preload_length 0
		.amdhsa_user_sgpr_kernarg_preload_offset 0
		.amdhsa_user_sgpr_private_segment_size 0
		.amdhsa_uses_dynamic_stack 0
		.amdhsa_enable_private_segment 0
		.amdhsa_system_sgpr_workgroup_id_x 1
		.amdhsa_system_sgpr_workgroup_id_y 0
		.amdhsa_system_sgpr_workgroup_id_z 0
		.amdhsa_system_sgpr_workgroup_info 0
		.amdhsa_system_vgpr_workitem_id 0
		.amdhsa_next_free_vgpr 1
		.amdhsa_next_free_sgpr 0
		.amdhsa_accum_offset 4
		.amdhsa_reserve_vcc 0
		.amdhsa_float_round_mode_32 0
		.amdhsa_float_round_mode_16_64 0
		.amdhsa_float_denorm_mode_32 3
		.amdhsa_float_denorm_mode_16_64 3
		.amdhsa_dx10_clamp 1
		.amdhsa_ieee_mode 1
		.amdhsa_fp16_overflow 0
		.amdhsa_tg_split 0
		.amdhsa_exception_fp_ieee_invalid_op 0
		.amdhsa_exception_fp_denorm_src 0
		.amdhsa_exception_fp_ieee_div_zero 0
		.amdhsa_exception_fp_ieee_overflow 0
		.amdhsa_exception_fp_ieee_underflow 0
		.amdhsa_exception_fp_ieee_inexact 0
		.amdhsa_exception_int_div_zero 0
	.end_amdhsa_kernel
	.section	.text._ZN7rocprim17ROCPRIM_400000_NS6detail17trampoline_kernelINS0_14default_configENS1_38merge_sort_block_merge_config_selectorIiNS0_10empty_typeEEEZZNS1_27merge_sort_block_merge_implIS3_N6thrust23THRUST_200600_302600_NS6detail15normal_iteratorINS9_10device_ptrIiEEEEPS5_jNS1_19radix_merge_compareILb0ELb1EiNS0_19identity_decomposerEEEEE10hipError_tT0_T1_T2_jT3_P12ihipStream_tbPNSt15iterator_traitsISK_E10value_typeEPNSQ_ISL_E10value_typeEPSM_NS1_7vsmem_tEENKUlT_SK_SL_SM_E_clIPiSE_SF_SF_EESJ_SZ_SK_SL_SM_EUlSZ_E1_NS1_11comp_targetILNS1_3genE10ELNS1_11target_archE1201ELNS1_3gpuE5ELNS1_3repE0EEENS1_36merge_oddeven_config_static_selectorELNS0_4arch9wavefront6targetE1EEEvSL_,"axG",@progbits,_ZN7rocprim17ROCPRIM_400000_NS6detail17trampoline_kernelINS0_14default_configENS1_38merge_sort_block_merge_config_selectorIiNS0_10empty_typeEEEZZNS1_27merge_sort_block_merge_implIS3_N6thrust23THRUST_200600_302600_NS6detail15normal_iteratorINS9_10device_ptrIiEEEEPS5_jNS1_19radix_merge_compareILb0ELb1EiNS0_19identity_decomposerEEEEE10hipError_tT0_T1_T2_jT3_P12ihipStream_tbPNSt15iterator_traitsISK_E10value_typeEPNSQ_ISL_E10value_typeEPSM_NS1_7vsmem_tEENKUlT_SK_SL_SM_E_clIPiSE_SF_SF_EESJ_SZ_SK_SL_SM_EUlSZ_E1_NS1_11comp_targetILNS1_3genE10ELNS1_11target_archE1201ELNS1_3gpuE5ELNS1_3repE0EEENS1_36merge_oddeven_config_static_selectorELNS0_4arch9wavefront6targetE1EEEvSL_,comdat
.Lfunc_end101:
	.size	_ZN7rocprim17ROCPRIM_400000_NS6detail17trampoline_kernelINS0_14default_configENS1_38merge_sort_block_merge_config_selectorIiNS0_10empty_typeEEEZZNS1_27merge_sort_block_merge_implIS3_N6thrust23THRUST_200600_302600_NS6detail15normal_iteratorINS9_10device_ptrIiEEEEPS5_jNS1_19radix_merge_compareILb0ELb1EiNS0_19identity_decomposerEEEEE10hipError_tT0_T1_T2_jT3_P12ihipStream_tbPNSt15iterator_traitsISK_E10value_typeEPNSQ_ISL_E10value_typeEPSM_NS1_7vsmem_tEENKUlT_SK_SL_SM_E_clIPiSE_SF_SF_EESJ_SZ_SK_SL_SM_EUlSZ_E1_NS1_11comp_targetILNS1_3genE10ELNS1_11target_archE1201ELNS1_3gpuE5ELNS1_3repE0EEENS1_36merge_oddeven_config_static_selectorELNS0_4arch9wavefront6targetE1EEEvSL_, .Lfunc_end101-_ZN7rocprim17ROCPRIM_400000_NS6detail17trampoline_kernelINS0_14default_configENS1_38merge_sort_block_merge_config_selectorIiNS0_10empty_typeEEEZZNS1_27merge_sort_block_merge_implIS3_N6thrust23THRUST_200600_302600_NS6detail15normal_iteratorINS9_10device_ptrIiEEEEPS5_jNS1_19radix_merge_compareILb0ELb1EiNS0_19identity_decomposerEEEEE10hipError_tT0_T1_T2_jT3_P12ihipStream_tbPNSt15iterator_traitsISK_E10value_typeEPNSQ_ISL_E10value_typeEPSM_NS1_7vsmem_tEENKUlT_SK_SL_SM_E_clIPiSE_SF_SF_EESJ_SZ_SK_SL_SM_EUlSZ_E1_NS1_11comp_targetILNS1_3genE10ELNS1_11target_archE1201ELNS1_3gpuE5ELNS1_3repE0EEENS1_36merge_oddeven_config_static_selectorELNS0_4arch9wavefront6targetE1EEEvSL_
                                        ; -- End function
	.set _ZN7rocprim17ROCPRIM_400000_NS6detail17trampoline_kernelINS0_14default_configENS1_38merge_sort_block_merge_config_selectorIiNS0_10empty_typeEEEZZNS1_27merge_sort_block_merge_implIS3_N6thrust23THRUST_200600_302600_NS6detail15normal_iteratorINS9_10device_ptrIiEEEEPS5_jNS1_19radix_merge_compareILb0ELb1EiNS0_19identity_decomposerEEEEE10hipError_tT0_T1_T2_jT3_P12ihipStream_tbPNSt15iterator_traitsISK_E10value_typeEPNSQ_ISL_E10value_typeEPSM_NS1_7vsmem_tEENKUlT_SK_SL_SM_E_clIPiSE_SF_SF_EESJ_SZ_SK_SL_SM_EUlSZ_E1_NS1_11comp_targetILNS1_3genE10ELNS1_11target_archE1201ELNS1_3gpuE5ELNS1_3repE0EEENS1_36merge_oddeven_config_static_selectorELNS0_4arch9wavefront6targetE1EEEvSL_.num_vgpr, 0
	.set _ZN7rocprim17ROCPRIM_400000_NS6detail17trampoline_kernelINS0_14default_configENS1_38merge_sort_block_merge_config_selectorIiNS0_10empty_typeEEEZZNS1_27merge_sort_block_merge_implIS3_N6thrust23THRUST_200600_302600_NS6detail15normal_iteratorINS9_10device_ptrIiEEEEPS5_jNS1_19radix_merge_compareILb0ELb1EiNS0_19identity_decomposerEEEEE10hipError_tT0_T1_T2_jT3_P12ihipStream_tbPNSt15iterator_traitsISK_E10value_typeEPNSQ_ISL_E10value_typeEPSM_NS1_7vsmem_tEENKUlT_SK_SL_SM_E_clIPiSE_SF_SF_EESJ_SZ_SK_SL_SM_EUlSZ_E1_NS1_11comp_targetILNS1_3genE10ELNS1_11target_archE1201ELNS1_3gpuE5ELNS1_3repE0EEENS1_36merge_oddeven_config_static_selectorELNS0_4arch9wavefront6targetE1EEEvSL_.num_agpr, 0
	.set _ZN7rocprim17ROCPRIM_400000_NS6detail17trampoline_kernelINS0_14default_configENS1_38merge_sort_block_merge_config_selectorIiNS0_10empty_typeEEEZZNS1_27merge_sort_block_merge_implIS3_N6thrust23THRUST_200600_302600_NS6detail15normal_iteratorINS9_10device_ptrIiEEEEPS5_jNS1_19radix_merge_compareILb0ELb1EiNS0_19identity_decomposerEEEEE10hipError_tT0_T1_T2_jT3_P12ihipStream_tbPNSt15iterator_traitsISK_E10value_typeEPNSQ_ISL_E10value_typeEPSM_NS1_7vsmem_tEENKUlT_SK_SL_SM_E_clIPiSE_SF_SF_EESJ_SZ_SK_SL_SM_EUlSZ_E1_NS1_11comp_targetILNS1_3genE10ELNS1_11target_archE1201ELNS1_3gpuE5ELNS1_3repE0EEENS1_36merge_oddeven_config_static_selectorELNS0_4arch9wavefront6targetE1EEEvSL_.numbered_sgpr, 0
	.set _ZN7rocprim17ROCPRIM_400000_NS6detail17trampoline_kernelINS0_14default_configENS1_38merge_sort_block_merge_config_selectorIiNS0_10empty_typeEEEZZNS1_27merge_sort_block_merge_implIS3_N6thrust23THRUST_200600_302600_NS6detail15normal_iteratorINS9_10device_ptrIiEEEEPS5_jNS1_19radix_merge_compareILb0ELb1EiNS0_19identity_decomposerEEEEE10hipError_tT0_T1_T2_jT3_P12ihipStream_tbPNSt15iterator_traitsISK_E10value_typeEPNSQ_ISL_E10value_typeEPSM_NS1_7vsmem_tEENKUlT_SK_SL_SM_E_clIPiSE_SF_SF_EESJ_SZ_SK_SL_SM_EUlSZ_E1_NS1_11comp_targetILNS1_3genE10ELNS1_11target_archE1201ELNS1_3gpuE5ELNS1_3repE0EEENS1_36merge_oddeven_config_static_selectorELNS0_4arch9wavefront6targetE1EEEvSL_.num_named_barrier, 0
	.set _ZN7rocprim17ROCPRIM_400000_NS6detail17trampoline_kernelINS0_14default_configENS1_38merge_sort_block_merge_config_selectorIiNS0_10empty_typeEEEZZNS1_27merge_sort_block_merge_implIS3_N6thrust23THRUST_200600_302600_NS6detail15normal_iteratorINS9_10device_ptrIiEEEEPS5_jNS1_19radix_merge_compareILb0ELb1EiNS0_19identity_decomposerEEEEE10hipError_tT0_T1_T2_jT3_P12ihipStream_tbPNSt15iterator_traitsISK_E10value_typeEPNSQ_ISL_E10value_typeEPSM_NS1_7vsmem_tEENKUlT_SK_SL_SM_E_clIPiSE_SF_SF_EESJ_SZ_SK_SL_SM_EUlSZ_E1_NS1_11comp_targetILNS1_3genE10ELNS1_11target_archE1201ELNS1_3gpuE5ELNS1_3repE0EEENS1_36merge_oddeven_config_static_selectorELNS0_4arch9wavefront6targetE1EEEvSL_.private_seg_size, 0
	.set _ZN7rocprim17ROCPRIM_400000_NS6detail17trampoline_kernelINS0_14default_configENS1_38merge_sort_block_merge_config_selectorIiNS0_10empty_typeEEEZZNS1_27merge_sort_block_merge_implIS3_N6thrust23THRUST_200600_302600_NS6detail15normal_iteratorINS9_10device_ptrIiEEEEPS5_jNS1_19radix_merge_compareILb0ELb1EiNS0_19identity_decomposerEEEEE10hipError_tT0_T1_T2_jT3_P12ihipStream_tbPNSt15iterator_traitsISK_E10value_typeEPNSQ_ISL_E10value_typeEPSM_NS1_7vsmem_tEENKUlT_SK_SL_SM_E_clIPiSE_SF_SF_EESJ_SZ_SK_SL_SM_EUlSZ_E1_NS1_11comp_targetILNS1_3genE10ELNS1_11target_archE1201ELNS1_3gpuE5ELNS1_3repE0EEENS1_36merge_oddeven_config_static_selectorELNS0_4arch9wavefront6targetE1EEEvSL_.uses_vcc, 0
	.set _ZN7rocprim17ROCPRIM_400000_NS6detail17trampoline_kernelINS0_14default_configENS1_38merge_sort_block_merge_config_selectorIiNS0_10empty_typeEEEZZNS1_27merge_sort_block_merge_implIS3_N6thrust23THRUST_200600_302600_NS6detail15normal_iteratorINS9_10device_ptrIiEEEEPS5_jNS1_19radix_merge_compareILb0ELb1EiNS0_19identity_decomposerEEEEE10hipError_tT0_T1_T2_jT3_P12ihipStream_tbPNSt15iterator_traitsISK_E10value_typeEPNSQ_ISL_E10value_typeEPSM_NS1_7vsmem_tEENKUlT_SK_SL_SM_E_clIPiSE_SF_SF_EESJ_SZ_SK_SL_SM_EUlSZ_E1_NS1_11comp_targetILNS1_3genE10ELNS1_11target_archE1201ELNS1_3gpuE5ELNS1_3repE0EEENS1_36merge_oddeven_config_static_selectorELNS0_4arch9wavefront6targetE1EEEvSL_.uses_flat_scratch, 0
	.set _ZN7rocprim17ROCPRIM_400000_NS6detail17trampoline_kernelINS0_14default_configENS1_38merge_sort_block_merge_config_selectorIiNS0_10empty_typeEEEZZNS1_27merge_sort_block_merge_implIS3_N6thrust23THRUST_200600_302600_NS6detail15normal_iteratorINS9_10device_ptrIiEEEEPS5_jNS1_19radix_merge_compareILb0ELb1EiNS0_19identity_decomposerEEEEE10hipError_tT0_T1_T2_jT3_P12ihipStream_tbPNSt15iterator_traitsISK_E10value_typeEPNSQ_ISL_E10value_typeEPSM_NS1_7vsmem_tEENKUlT_SK_SL_SM_E_clIPiSE_SF_SF_EESJ_SZ_SK_SL_SM_EUlSZ_E1_NS1_11comp_targetILNS1_3genE10ELNS1_11target_archE1201ELNS1_3gpuE5ELNS1_3repE0EEENS1_36merge_oddeven_config_static_selectorELNS0_4arch9wavefront6targetE1EEEvSL_.has_dyn_sized_stack, 0
	.set _ZN7rocprim17ROCPRIM_400000_NS6detail17trampoline_kernelINS0_14default_configENS1_38merge_sort_block_merge_config_selectorIiNS0_10empty_typeEEEZZNS1_27merge_sort_block_merge_implIS3_N6thrust23THRUST_200600_302600_NS6detail15normal_iteratorINS9_10device_ptrIiEEEEPS5_jNS1_19radix_merge_compareILb0ELb1EiNS0_19identity_decomposerEEEEE10hipError_tT0_T1_T2_jT3_P12ihipStream_tbPNSt15iterator_traitsISK_E10value_typeEPNSQ_ISL_E10value_typeEPSM_NS1_7vsmem_tEENKUlT_SK_SL_SM_E_clIPiSE_SF_SF_EESJ_SZ_SK_SL_SM_EUlSZ_E1_NS1_11comp_targetILNS1_3genE10ELNS1_11target_archE1201ELNS1_3gpuE5ELNS1_3repE0EEENS1_36merge_oddeven_config_static_selectorELNS0_4arch9wavefront6targetE1EEEvSL_.has_recursion, 0
	.set _ZN7rocprim17ROCPRIM_400000_NS6detail17trampoline_kernelINS0_14default_configENS1_38merge_sort_block_merge_config_selectorIiNS0_10empty_typeEEEZZNS1_27merge_sort_block_merge_implIS3_N6thrust23THRUST_200600_302600_NS6detail15normal_iteratorINS9_10device_ptrIiEEEEPS5_jNS1_19radix_merge_compareILb0ELb1EiNS0_19identity_decomposerEEEEE10hipError_tT0_T1_T2_jT3_P12ihipStream_tbPNSt15iterator_traitsISK_E10value_typeEPNSQ_ISL_E10value_typeEPSM_NS1_7vsmem_tEENKUlT_SK_SL_SM_E_clIPiSE_SF_SF_EESJ_SZ_SK_SL_SM_EUlSZ_E1_NS1_11comp_targetILNS1_3genE10ELNS1_11target_archE1201ELNS1_3gpuE5ELNS1_3repE0EEENS1_36merge_oddeven_config_static_selectorELNS0_4arch9wavefront6targetE1EEEvSL_.has_indirect_call, 0
	.section	.AMDGPU.csdata,"",@progbits
; Kernel info:
; codeLenInByte = 0
; TotalNumSgprs: 6
; NumVgprs: 0
; NumAgprs: 0
; TotalNumVgprs: 0
; ScratchSize: 0
; MemoryBound: 0
; FloatMode: 240
; IeeeMode: 1
; LDSByteSize: 0 bytes/workgroup (compile time only)
; SGPRBlocks: 0
; VGPRBlocks: 0
; NumSGPRsForWavesPerEU: 6
; NumVGPRsForWavesPerEU: 1
; AccumOffset: 4
; Occupancy: 8
; WaveLimiterHint : 0
; COMPUTE_PGM_RSRC2:SCRATCH_EN: 0
; COMPUTE_PGM_RSRC2:USER_SGPR: 2
; COMPUTE_PGM_RSRC2:TRAP_HANDLER: 0
; COMPUTE_PGM_RSRC2:TGID_X_EN: 1
; COMPUTE_PGM_RSRC2:TGID_Y_EN: 0
; COMPUTE_PGM_RSRC2:TGID_Z_EN: 0
; COMPUTE_PGM_RSRC2:TIDIG_COMP_CNT: 0
; COMPUTE_PGM_RSRC3_GFX90A:ACCUM_OFFSET: 0
; COMPUTE_PGM_RSRC3_GFX90A:TG_SPLIT: 0
	.section	.text._ZN7rocprim17ROCPRIM_400000_NS6detail17trampoline_kernelINS0_14default_configENS1_38merge_sort_block_merge_config_selectorIiNS0_10empty_typeEEEZZNS1_27merge_sort_block_merge_implIS3_N6thrust23THRUST_200600_302600_NS6detail15normal_iteratorINS9_10device_ptrIiEEEEPS5_jNS1_19radix_merge_compareILb0ELb1EiNS0_19identity_decomposerEEEEE10hipError_tT0_T1_T2_jT3_P12ihipStream_tbPNSt15iterator_traitsISK_E10value_typeEPNSQ_ISL_E10value_typeEPSM_NS1_7vsmem_tEENKUlT_SK_SL_SM_E_clIPiSE_SF_SF_EESJ_SZ_SK_SL_SM_EUlSZ_E1_NS1_11comp_targetILNS1_3genE5ELNS1_11target_archE942ELNS1_3gpuE9ELNS1_3repE0EEENS1_36merge_oddeven_config_static_selectorELNS0_4arch9wavefront6targetE1EEEvSL_,"axG",@progbits,_ZN7rocprim17ROCPRIM_400000_NS6detail17trampoline_kernelINS0_14default_configENS1_38merge_sort_block_merge_config_selectorIiNS0_10empty_typeEEEZZNS1_27merge_sort_block_merge_implIS3_N6thrust23THRUST_200600_302600_NS6detail15normal_iteratorINS9_10device_ptrIiEEEEPS5_jNS1_19radix_merge_compareILb0ELb1EiNS0_19identity_decomposerEEEEE10hipError_tT0_T1_T2_jT3_P12ihipStream_tbPNSt15iterator_traitsISK_E10value_typeEPNSQ_ISL_E10value_typeEPSM_NS1_7vsmem_tEENKUlT_SK_SL_SM_E_clIPiSE_SF_SF_EESJ_SZ_SK_SL_SM_EUlSZ_E1_NS1_11comp_targetILNS1_3genE5ELNS1_11target_archE942ELNS1_3gpuE9ELNS1_3repE0EEENS1_36merge_oddeven_config_static_selectorELNS0_4arch9wavefront6targetE1EEEvSL_,comdat
	.protected	_ZN7rocprim17ROCPRIM_400000_NS6detail17trampoline_kernelINS0_14default_configENS1_38merge_sort_block_merge_config_selectorIiNS0_10empty_typeEEEZZNS1_27merge_sort_block_merge_implIS3_N6thrust23THRUST_200600_302600_NS6detail15normal_iteratorINS9_10device_ptrIiEEEEPS5_jNS1_19radix_merge_compareILb0ELb1EiNS0_19identity_decomposerEEEEE10hipError_tT0_T1_T2_jT3_P12ihipStream_tbPNSt15iterator_traitsISK_E10value_typeEPNSQ_ISL_E10value_typeEPSM_NS1_7vsmem_tEENKUlT_SK_SL_SM_E_clIPiSE_SF_SF_EESJ_SZ_SK_SL_SM_EUlSZ_E1_NS1_11comp_targetILNS1_3genE5ELNS1_11target_archE942ELNS1_3gpuE9ELNS1_3repE0EEENS1_36merge_oddeven_config_static_selectorELNS0_4arch9wavefront6targetE1EEEvSL_ ; -- Begin function _ZN7rocprim17ROCPRIM_400000_NS6detail17trampoline_kernelINS0_14default_configENS1_38merge_sort_block_merge_config_selectorIiNS0_10empty_typeEEEZZNS1_27merge_sort_block_merge_implIS3_N6thrust23THRUST_200600_302600_NS6detail15normal_iteratorINS9_10device_ptrIiEEEEPS5_jNS1_19radix_merge_compareILb0ELb1EiNS0_19identity_decomposerEEEEE10hipError_tT0_T1_T2_jT3_P12ihipStream_tbPNSt15iterator_traitsISK_E10value_typeEPNSQ_ISL_E10value_typeEPSM_NS1_7vsmem_tEENKUlT_SK_SL_SM_E_clIPiSE_SF_SF_EESJ_SZ_SK_SL_SM_EUlSZ_E1_NS1_11comp_targetILNS1_3genE5ELNS1_11target_archE942ELNS1_3gpuE9ELNS1_3repE0EEENS1_36merge_oddeven_config_static_selectorELNS0_4arch9wavefront6targetE1EEEvSL_
	.globl	_ZN7rocprim17ROCPRIM_400000_NS6detail17trampoline_kernelINS0_14default_configENS1_38merge_sort_block_merge_config_selectorIiNS0_10empty_typeEEEZZNS1_27merge_sort_block_merge_implIS3_N6thrust23THRUST_200600_302600_NS6detail15normal_iteratorINS9_10device_ptrIiEEEEPS5_jNS1_19radix_merge_compareILb0ELb1EiNS0_19identity_decomposerEEEEE10hipError_tT0_T1_T2_jT3_P12ihipStream_tbPNSt15iterator_traitsISK_E10value_typeEPNSQ_ISL_E10value_typeEPSM_NS1_7vsmem_tEENKUlT_SK_SL_SM_E_clIPiSE_SF_SF_EESJ_SZ_SK_SL_SM_EUlSZ_E1_NS1_11comp_targetILNS1_3genE5ELNS1_11target_archE942ELNS1_3gpuE9ELNS1_3repE0EEENS1_36merge_oddeven_config_static_selectorELNS0_4arch9wavefront6targetE1EEEvSL_
	.p2align	8
	.type	_ZN7rocprim17ROCPRIM_400000_NS6detail17trampoline_kernelINS0_14default_configENS1_38merge_sort_block_merge_config_selectorIiNS0_10empty_typeEEEZZNS1_27merge_sort_block_merge_implIS3_N6thrust23THRUST_200600_302600_NS6detail15normal_iteratorINS9_10device_ptrIiEEEEPS5_jNS1_19radix_merge_compareILb0ELb1EiNS0_19identity_decomposerEEEEE10hipError_tT0_T1_T2_jT3_P12ihipStream_tbPNSt15iterator_traitsISK_E10value_typeEPNSQ_ISL_E10value_typeEPSM_NS1_7vsmem_tEENKUlT_SK_SL_SM_E_clIPiSE_SF_SF_EESJ_SZ_SK_SL_SM_EUlSZ_E1_NS1_11comp_targetILNS1_3genE5ELNS1_11target_archE942ELNS1_3gpuE9ELNS1_3repE0EEENS1_36merge_oddeven_config_static_selectorELNS0_4arch9wavefront6targetE1EEEvSL_,@function
_ZN7rocprim17ROCPRIM_400000_NS6detail17trampoline_kernelINS0_14default_configENS1_38merge_sort_block_merge_config_selectorIiNS0_10empty_typeEEEZZNS1_27merge_sort_block_merge_implIS3_N6thrust23THRUST_200600_302600_NS6detail15normal_iteratorINS9_10device_ptrIiEEEEPS5_jNS1_19radix_merge_compareILb0ELb1EiNS0_19identity_decomposerEEEEE10hipError_tT0_T1_T2_jT3_P12ihipStream_tbPNSt15iterator_traitsISK_E10value_typeEPNSQ_ISL_E10value_typeEPSM_NS1_7vsmem_tEENKUlT_SK_SL_SM_E_clIPiSE_SF_SF_EESJ_SZ_SK_SL_SM_EUlSZ_E1_NS1_11comp_targetILNS1_3genE5ELNS1_11target_archE942ELNS1_3gpuE9ELNS1_3repE0EEENS1_36merge_oddeven_config_static_selectorELNS0_4arch9wavefront6targetE1EEEvSL_: ; @_ZN7rocprim17ROCPRIM_400000_NS6detail17trampoline_kernelINS0_14default_configENS1_38merge_sort_block_merge_config_selectorIiNS0_10empty_typeEEEZZNS1_27merge_sort_block_merge_implIS3_N6thrust23THRUST_200600_302600_NS6detail15normal_iteratorINS9_10device_ptrIiEEEEPS5_jNS1_19radix_merge_compareILb0ELb1EiNS0_19identity_decomposerEEEEE10hipError_tT0_T1_T2_jT3_P12ihipStream_tbPNSt15iterator_traitsISK_E10value_typeEPNSQ_ISL_E10value_typeEPSM_NS1_7vsmem_tEENKUlT_SK_SL_SM_E_clIPiSE_SF_SF_EESJ_SZ_SK_SL_SM_EUlSZ_E1_NS1_11comp_targetILNS1_3genE5ELNS1_11target_archE942ELNS1_3gpuE9ELNS1_3repE0EEENS1_36merge_oddeven_config_static_selectorELNS0_4arch9wavefront6targetE1EEEvSL_
; %bb.0:
	.section	.rodata,"a",@progbits
	.p2align	6, 0x0
	.amdhsa_kernel _ZN7rocprim17ROCPRIM_400000_NS6detail17trampoline_kernelINS0_14default_configENS1_38merge_sort_block_merge_config_selectorIiNS0_10empty_typeEEEZZNS1_27merge_sort_block_merge_implIS3_N6thrust23THRUST_200600_302600_NS6detail15normal_iteratorINS9_10device_ptrIiEEEEPS5_jNS1_19radix_merge_compareILb0ELb1EiNS0_19identity_decomposerEEEEE10hipError_tT0_T1_T2_jT3_P12ihipStream_tbPNSt15iterator_traitsISK_E10value_typeEPNSQ_ISL_E10value_typeEPSM_NS1_7vsmem_tEENKUlT_SK_SL_SM_E_clIPiSE_SF_SF_EESJ_SZ_SK_SL_SM_EUlSZ_E1_NS1_11comp_targetILNS1_3genE5ELNS1_11target_archE942ELNS1_3gpuE9ELNS1_3repE0EEENS1_36merge_oddeven_config_static_selectorELNS0_4arch9wavefront6targetE1EEEvSL_
		.amdhsa_group_segment_fixed_size 0
		.amdhsa_private_segment_fixed_size 0
		.amdhsa_kernarg_size 48
		.amdhsa_user_sgpr_count 2
		.amdhsa_user_sgpr_dispatch_ptr 0
		.amdhsa_user_sgpr_queue_ptr 0
		.amdhsa_user_sgpr_kernarg_segment_ptr 1
		.amdhsa_user_sgpr_dispatch_id 0
		.amdhsa_user_sgpr_kernarg_preload_length 0
		.amdhsa_user_sgpr_kernarg_preload_offset 0
		.amdhsa_user_sgpr_private_segment_size 0
		.amdhsa_uses_dynamic_stack 0
		.amdhsa_enable_private_segment 0
		.amdhsa_system_sgpr_workgroup_id_x 1
		.amdhsa_system_sgpr_workgroup_id_y 0
		.amdhsa_system_sgpr_workgroup_id_z 0
		.amdhsa_system_sgpr_workgroup_info 0
		.amdhsa_system_vgpr_workitem_id 0
		.amdhsa_next_free_vgpr 1
		.amdhsa_next_free_sgpr 0
		.amdhsa_accum_offset 4
		.amdhsa_reserve_vcc 0
		.amdhsa_float_round_mode_32 0
		.amdhsa_float_round_mode_16_64 0
		.amdhsa_float_denorm_mode_32 3
		.amdhsa_float_denorm_mode_16_64 3
		.amdhsa_dx10_clamp 1
		.amdhsa_ieee_mode 1
		.amdhsa_fp16_overflow 0
		.amdhsa_tg_split 0
		.amdhsa_exception_fp_ieee_invalid_op 0
		.amdhsa_exception_fp_denorm_src 0
		.amdhsa_exception_fp_ieee_div_zero 0
		.amdhsa_exception_fp_ieee_overflow 0
		.amdhsa_exception_fp_ieee_underflow 0
		.amdhsa_exception_fp_ieee_inexact 0
		.amdhsa_exception_int_div_zero 0
	.end_amdhsa_kernel
	.section	.text._ZN7rocprim17ROCPRIM_400000_NS6detail17trampoline_kernelINS0_14default_configENS1_38merge_sort_block_merge_config_selectorIiNS0_10empty_typeEEEZZNS1_27merge_sort_block_merge_implIS3_N6thrust23THRUST_200600_302600_NS6detail15normal_iteratorINS9_10device_ptrIiEEEEPS5_jNS1_19radix_merge_compareILb0ELb1EiNS0_19identity_decomposerEEEEE10hipError_tT0_T1_T2_jT3_P12ihipStream_tbPNSt15iterator_traitsISK_E10value_typeEPNSQ_ISL_E10value_typeEPSM_NS1_7vsmem_tEENKUlT_SK_SL_SM_E_clIPiSE_SF_SF_EESJ_SZ_SK_SL_SM_EUlSZ_E1_NS1_11comp_targetILNS1_3genE5ELNS1_11target_archE942ELNS1_3gpuE9ELNS1_3repE0EEENS1_36merge_oddeven_config_static_selectorELNS0_4arch9wavefront6targetE1EEEvSL_,"axG",@progbits,_ZN7rocprim17ROCPRIM_400000_NS6detail17trampoline_kernelINS0_14default_configENS1_38merge_sort_block_merge_config_selectorIiNS0_10empty_typeEEEZZNS1_27merge_sort_block_merge_implIS3_N6thrust23THRUST_200600_302600_NS6detail15normal_iteratorINS9_10device_ptrIiEEEEPS5_jNS1_19radix_merge_compareILb0ELb1EiNS0_19identity_decomposerEEEEE10hipError_tT0_T1_T2_jT3_P12ihipStream_tbPNSt15iterator_traitsISK_E10value_typeEPNSQ_ISL_E10value_typeEPSM_NS1_7vsmem_tEENKUlT_SK_SL_SM_E_clIPiSE_SF_SF_EESJ_SZ_SK_SL_SM_EUlSZ_E1_NS1_11comp_targetILNS1_3genE5ELNS1_11target_archE942ELNS1_3gpuE9ELNS1_3repE0EEENS1_36merge_oddeven_config_static_selectorELNS0_4arch9wavefront6targetE1EEEvSL_,comdat
.Lfunc_end102:
	.size	_ZN7rocprim17ROCPRIM_400000_NS6detail17trampoline_kernelINS0_14default_configENS1_38merge_sort_block_merge_config_selectorIiNS0_10empty_typeEEEZZNS1_27merge_sort_block_merge_implIS3_N6thrust23THRUST_200600_302600_NS6detail15normal_iteratorINS9_10device_ptrIiEEEEPS5_jNS1_19radix_merge_compareILb0ELb1EiNS0_19identity_decomposerEEEEE10hipError_tT0_T1_T2_jT3_P12ihipStream_tbPNSt15iterator_traitsISK_E10value_typeEPNSQ_ISL_E10value_typeEPSM_NS1_7vsmem_tEENKUlT_SK_SL_SM_E_clIPiSE_SF_SF_EESJ_SZ_SK_SL_SM_EUlSZ_E1_NS1_11comp_targetILNS1_3genE5ELNS1_11target_archE942ELNS1_3gpuE9ELNS1_3repE0EEENS1_36merge_oddeven_config_static_selectorELNS0_4arch9wavefront6targetE1EEEvSL_, .Lfunc_end102-_ZN7rocprim17ROCPRIM_400000_NS6detail17trampoline_kernelINS0_14default_configENS1_38merge_sort_block_merge_config_selectorIiNS0_10empty_typeEEEZZNS1_27merge_sort_block_merge_implIS3_N6thrust23THRUST_200600_302600_NS6detail15normal_iteratorINS9_10device_ptrIiEEEEPS5_jNS1_19radix_merge_compareILb0ELb1EiNS0_19identity_decomposerEEEEE10hipError_tT0_T1_T2_jT3_P12ihipStream_tbPNSt15iterator_traitsISK_E10value_typeEPNSQ_ISL_E10value_typeEPSM_NS1_7vsmem_tEENKUlT_SK_SL_SM_E_clIPiSE_SF_SF_EESJ_SZ_SK_SL_SM_EUlSZ_E1_NS1_11comp_targetILNS1_3genE5ELNS1_11target_archE942ELNS1_3gpuE9ELNS1_3repE0EEENS1_36merge_oddeven_config_static_selectorELNS0_4arch9wavefront6targetE1EEEvSL_
                                        ; -- End function
	.set _ZN7rocprim17ROCPRIM_400000_NS6detail17trampoline_kernelINS0_14default_configENS1_38merge_sort_block_merge_config_selectorIiNS0_10empty_typeEEEZZNS1_27merge_sort_block_merge_implIS3_N6thrust23THRUST_200600_302600_NS6detail15normal_iteratorINS9_10device_ptrIiEEEEPS5_jNS1_19radix_merge_compareILb0ELb1EiNS0_19identity_decomposerEEEEE10hipError_tT0_T1_T2_jT3_P12ihipStream_tbPNSt15iterator_traitsISK_E10value_typeEPNSQ_ISL_E10value_typeEPSM_NS1_7vsmem_tEENKUlT_SK_SL_SM_E_clIPiSE_SF_SF_EESJ_SZ_SK_SL_SM_EUlSZ_E1_NS1_11comp_targetILNS1_3genE5ELNS1_11target_archE942ELNS1_3gpuE9ELNS1_3repE0EEENS1_36merge_oddeven_config_static_selectorELNS0_4arch9wavefront6targetE1EEEvSL_.num_vgpr, 0
	.set _ZN7rocprim17ROCPRIM_400000_NS6detail17trampoline_kernelINS0_14default_configENS1_38merge_sort_block_merge_config_selectorIiNS0_10empty_typeEEEZZNS1_27merge_sort_block_merge_implIS3_N6thrust23THRUST_200600_302600_NS6detail15normal_iteratorINS9_10device_ptrIiEEEEPS5_jNS1_19radix_merge_compareILb0ELb1EiNS0_19identity_decomposerEEEEE10hipError_tT0_T1_T2_jT3_P12ihipStream_tbPNSt15iterator_traitsISK_E10value_typeEPNSQ_ISL_E10value_typeEPSM_NS1_7vsmem_tEENKUlT_SK_SL_SM_E_clIPiSE_SF_SF_EESJ_SZ_SK_SL_SM_EUlSZ_E1_NS1_11comp_targetILNS1_3genE5ELNS1_11target_archE942ELNS1_3gpuE9ELNS1_3repE0EEENS1_36merge_oddeven_config_static_selectorELNS0_4arch9wavefront6targetE1EEEvSL_.num_agpr, 0
	.set _ZN7rocprim17ROCPRIM_400000_NS6detail17trampoline_kernelINS0_14default_configENS1_38merge_sort_block_merge_config_selectorIiNS0_10empty_typeEEEZZNS1_27merge_sort_block_merge_implIS3_N6thrust23THRUST_200600_302600_NS6detail15normal_iteratorINS9_10device_ptrIiEEEEPS5_jNS1_19radix_merge_compareILb0ELb1EiNS0_19identity_decomposerEEEEE10hipError_tT0_T1_T2_jT3_P12ihipStream_tbPNSt15iterator_traitsISK_E10value_typeEPNSQ_ISL_E10value_typeEPSM_NS1_7vsmem_tEENKUlT_SK_SL_SM_E_clIPiSE_SF_SF_EESJ_SZ_SK_SL_SM_EUlSZ_E1_NS1_11comp_targetILNS1_3genE5ELNS1_11target_archE942ELNS1_3gpuE9ELNS1_3repE0EEENS1_36merge_oddeven_config_static_selectorELNS0_4arch9wavefront6targetE1EEEvSL_.numbered_sgpr, 0
	.set _ZN7rocprim17ROCPRIM_400000_NS6detail17trampoline_kernelINS0_14default_configENS1_38merge_sort_block_merge_config_selectorIiNS0_10empty_typeEEEZZNS1_27merge_sort_block_merge_implIS3_N6thrust23THRUST_200600_302600_NS6detail15normal_iteratorINS9_10device_ptrIiEEEEPS5_jNS1_19radix_merge_compareILb0ELb1EiNS0_19identity_decomposerEEEEE10hipError_tT0_T1_T2_jT3_P12ihipStream_tbPNSt15iterator_traitsISK_E10value_typeEPNSQ_ISL_E10value_typeEPSM_NS1_7vsmem_tEENKUlT_SK_SL_SM_E_clIPiSE_SF_SF_EESJ_SZ_SK_SL_SM_EUlSZ_E1_NS1_11comp_targetILNS1_3genE5ELNS1_11target_archE942ELNS1_3gpuE9ELNS1_3repE0EEENS1_36merge_oddeven_config_static_selectorELNS0_4arch9wavefront6targetE1EEEvSL_.num_named_barrier, 0
	.set _ZN7rocprim17ROCPRIM_400000_NS6detail17trampoline_kernelINS0_14default_configENS1_38merge_sort_block_merge_config_selectorIiNS0_10empty_typeEEEZZNS1_27merge_sort_block_merge_implIS3_N6thrust23THRUST_200600_302600_NS6detail15normal_iteratorINS9_10device_ptrIiEEEEPS5_jNS1_19radix_merge_compareILb0ELb1EiNS0_19identity_decomposerEEEEE10hipError_tT0_T1_T2_jT3_P12ihipStream_tbPNSt15iterator_traitsISK_E10value_typeEPNSQ_ISL_E10value_typeEPSM_NS1_7vsmem_tEENKUlT_SK_SL_SM_E_clIPiSE_SF_SF_EESJ_SZ_SK_SL_SM_EUlSZ_E1_NS1_11comp_targetILNS1_3genE5ELNS1_11target_archE942ELNS1_3gpuE9ELNS1_3repE0EEENS1_36merge_oddeven_config_static_selectorELNS0_4arch9wavefront6targetE1EEEvSL_.private_seg_size, 0
	.set _ZN7rocprim17ROCPRIM_400000_NS6detail17trampoline_kernelINS0_14default_configENS1_38merge_sort_block_merge_config_selectorIiNS0_10empty_typeEEEZZNS1_27merge_sort_block_merge_implIS3_N6thrust23THRUST_200600_302600_NS6detail15normal_iteratorINS9_10device_ptrIiEEEEPS5_jNS1_19radix_merge_compareILb0ELb1EiNS0_19identity_decomposerEEEEE10hipError_tT0_T1_T2_jT3_P12ihipStream_tbPNSt15iterator_traitsISK_E10value_typeEPNSQ_ISL_E10value_typeEPSM_NS1_7vsmem_tEENKUlT_SK_SL_SM_E_clIPiSE_SF_SF_EESJ_SZ_SK_SL_SM_EUlSZ_E1_NS1_11comp_targetILNS1_3genE5ELNS1_11target_archE942ELNS1_3gpuE9ELNS1_3repE0EEENS1_36merge_oddeven_config_static_selectorELNS0_4arch9wavefront6targetE1EEEvSL_.uses_vcc, 0
	.set _ZN7rocprim17ROCPRIM_400000_NS6detail17trampoline_kernelINS0_14default_configENS1_38merge_sort_block_merge_config_selectorIiNS0_10empty_typeEEEZZNS1_27merge_sort_block_merge_implIS3_N6thrust23THRUST_200600_302600_NS6detail15normal_iteratorINS9_10device_ptrIiEEEEPS5_jNS1_19radix_merge_compareILb0ELb1EiNS0_19identity_decomposerEEEEE10hipError_tT0_T1_T2_jT3_P12ihipStream_tbPNSt15iterator_traitsISK_E10value_typeEPNSQ_ISL_E10value_typeEPSM_NS1_7vsmem_tEENKUlT_SK_SL_SM_E_clIPiSE_SF_SF_EESJ_SZ_SK_SL_SM_EUlSZ_E1_NS1_11comp_targetILNS1_3genE5ELNS1_11target_archE942ELNS1_3gpuE9ELNS1_3repE0EEENS1_36merge_oddeven_config_static_selectorELNS0_4arch9wavefront6targetE1EEEvSL_.uses_flat_scratch, 0
	.set _ZN7rocprim17ROCPRIM_400000_NS6detail17trampoline_kernelINS0_14default_configENS1_38merge_sort_block_merge_config_selectorIiNS0_10empty_typeEEEZZNS1_27merge_sort_block_merge_implIS3_N6thrust23THRUST_200600_302600_NS6detail15normal_iteratorINS9_10device_ptrIiEEEEPS5_jNS1_19radix_merge_compareILb0ELb1EiNS0_19identity_decomposerEEEEE10hipError_tT0_T1_T2_jT3_P12ihipStream_tbPNSt15iterator_traitsISK_E10value_typeEPNSQ_ISL_E10value_typeEPSM_NS1_7vsmem_tEENKUlT_SK_SL_SM_E_clIPiSE_SF_SF_EESJ_SZ_SK_SL_SM_EUlSZ_E1_NS1_11comp_targetILNS1_3genE5ELNS1_11target_archE942ELNS1_3gpuE9ELNS1_3repE0EEENS1_36merge_oddeven_config_static_selectorELNS0_4arch9wavefront6targetE1EEEvSL_.has_dyn_sized_stack, 0
	.set _ZN7rocprim17ROCPRIM_400000_NS6detail17trampoline_kernelINS0_14default_configENS1_38merge_sort_block_merge_config_selectorIiNS0_10empty_typeEEEZZNS1_27merge_sort_block_merge_implIS3_N6thrust23THRUST_200600_302600_NS6detail15normal_iteratorINS9_10device_ptrIiEEEEPS5_jNS1_19radix_merge_compareILb0ELb1EiNS0_19identity_decomposerEEEEE10hipError_tT0_T1_T2_jT3_P12ihipStream_tbPNSt15iterator_traitsISK_E10value_typeEPNSQ_ISL_E10value_typeEPSM_NS1_7vsmem_tEENKUlT_SK_SL_SM_E_clIPiSE_SF_SF_EESJ_SZ_SK_SL_SM_EUlSZ_E1_NS1_11comp_targetILNS1_3genE5ELNS1_11target_archE942ELNS1_3gpuE9ELNS1_3repE0EEENS1_36merge_oddeven_config_static_selectorELNS0_4arch9wavefront6targetE1EEEvSL_.has_recursion, 0
	.set _ZN7rocprim17ROCPRIM_400000_NS6detail17trampoline_kernelINS0_14default_configENS1_38merge_sort_block_merge_config_selectorIiNS0_10empty_typeEEEZZNS1_27merge_sort_block_merge_implIS3_N6thrust23THRUST_200600_302600_NS6detail15normal_iteratorINS9_10device_ptrIiEEEEPS5_jNS1_19radix_merge_compareILb0ELb1EiNS0_19identity_decomposerEEEEE10hipError_tT0_T1_T2_jT3_P12ihipStream_tbPNSt15iterator_traitsISK_E10value_typeEPNSQ_ISL_E10value_typeEPSM_NS1_7vsmem_tEENKUlT_SK_SL_SM_E_clIPiSE_SF_SF_EESJ_SZ_SK_SL_SM_EUlSZ_E1_NS1_11comp_targetILNS1_3genE5ELNS1_11target_archE942ELNS1_3gpuE9ELNS1_3repE0EEENS1_36merge_oddeven_config_static_selectorELNS0_4arch9wavefront6targetE1EEEvSL_.has_indirect_call, 0
	.section	.AMDGPU.csdata,"",@progbits
; Kernel info:
; codeLenInByte = 0
; TotalNumSgprs: 6
; NumVgprs: 0
; NumAgprs: 0
; TotalNumVgprs: 0
; ScratchSize: 0
; MemoryBound: 0
; FloatMode: 240
; IeeeMode: 1
; LDSByteSize: 0 bytes/workgroup (compile time only)
; SGPRBlocks: 0
; VGPRBlocks: 0
; NumSGPRsForWavesPerEU: 6
; NumVGPRsForWavesPerEU: 1
; AccumOffset: 4
; Occupancy: 8
; WaveLimiterHint : 0
; COMPUTE_PGM_RSRC2:SCRATCH_EN: 0
; COMPUTE_PGM_RSRC2:USER_SGPR: 2
; COMPUTE_PGM_RSRC2:TRAP_HANDLER: 0
; COMPUTE_PGM_RSRC2:TGID_X_EN: 1
; COMPUTE_PGM_RSRC2:TGID_Y_EN: 0
; COMPUTE_PGM_RSRC2:TGID_Z_EN: 0
; COMPUTE_PGM_RSRC2:TIDIG_COMP_CNT: 0
; COMPUTE_PGM_RSRC3_GFX90A:ACCUM_OFFSET: 0
; COMPUTE_PGM_RSRC3_GFX90A:TG_SPLIT: 0
	.section	.text._ZN7rocprim17ROCPRIM_400000_NS6detail17trampoline_kernelINS0_14default_configENS1_38merge_sort_block_merge_config_selectorIiNS0_10empty_typeEEEZZNS1_27merge_sort_block_merge_implIS3_N6thrust23THRUST_200600_302600_NS6detail15normal_iteratorINS9_10device_ptrIiEEEEPS5_jNS1_19radix_merge_compareILb0ELb1EiNS0_19identity_decomposerEEEEE10hipError_tT0_T1_T2_jT3_P12ihipStream_tbPNSt15iterator_traitsISK_E10value_typeEPNSQ_ISL_E10value_typeEPSM_NS1_7vsmem_tEENKUlT_SK_SL_SM_E_clIPiSE_SF_SF_EESJ_SZ_SK_SL_SM_EUlSZ_E1_NS1_11comp_targetILNS1_3genE4ELNS1_11target_archE910ELNS1_3gpuE8ELNS1_3repE0EEENS1_36merge_oddeven_config_static_selectorELNS0_4arch9wavefront6targetE1EEEvSL_,"axG",@progbits,_ZN7rocprim17ROCPRIM_400000_NS6detail17trampoline_kernelINS0_14default_configENS1_38merge_sort_block_merge_config_selectorIiNS0_10empty_typeEEEZZNS1_27merge_sort_block_merge_implIS3_N6thrust23THRUST_200600_302600_NS6detail15normal_iteratorINS9_10device_ptrIiEEEEPS5_jNS1_19radix_merge_compareILb0ELb1EiNS0_19identity_decomposerEEEEE10hipError_tT0_T1_T2_jT3_P12ihipStream_tbPNSt15iterator_traitsISK_E10value_typeEPNSQ_ISL_E10value_typeEPSM_NS1_7vsmem_tEENKUlT_SK_SL_SM_E_clIPiSE_SF_SF_EESJ_SZ_SK_SL_SM_EUlSZ_E1_NS1_11comp_targetILNS1_3genE4ELNS1_11target_archE910ELNS1_3gpuE8ELNS1_3repE0EEENS1_36merge_oddeven_config_static_selectorELNS0_4arch9wavefront6targetE1EEEvSL_,comdat
	.protected	_ZN7rocprim17ROCPRIM_400000_NS6detail17trampoline_kernelINS0_14default_configENS1_38merge_sort_block_merge_config_selectorIiNS0_10empty_typeEEEZZNS1_27merge_sort_block_merge_implIS3_N6thrust23THRUST_200600_302600_NS6detail15normal_iteratorINS9_10device_ptrIiEEEEPS5_jNS1_19radix_merge_compareILb0ELb1EiNS0_19identity_decomposerEEEEE10hipError_tT0_T1_T2_jT3_P12ihipStream_tbPNSt15iterator_traitsISK_E10value_typeEPNSQ_ISL_E10value_typeEPSM_NS1_7vsmem_tEENKUlT_SK_SL_SM_E_clIPiSE_SF_SF_EESJ_SZ_SK_SL_SM_EUlSZ_E1_NS1_11comp_targetILNS1_3genE4ELNS1_11target_archE910ELNS1_3gpuE8ELNS1_3repE0EEENS1_36merge_oddeven_config_static_selectorELNS0_4arch9wavefront6targetE1EEEvSL_ ; -- Begin function _ZN7rocprim17ROCPRIM_400000_NS6detail17trampoline_kernelINS0_14default_configENS1_38merge_sort_block_merge_config_selectorIiNS0_10empty_typeEEEZZNS1_27merge_sort_block_merge_implIS3_N6thrust23THRUST_200600_302600_NS6detail15normal_iteratorINS9_10device_ptrIiEEEEPS5_jNS1_19radix_merge_compareILb0ELb1EiNS0_19identity_decomposerEEEEE10hipError_tT0_T1_T2_jT3_P12ihipStream_tbPNSt15iterator_traitsISK_E10value_typeEPNSQ_ISL_E10value_typeEPSM_NS1_7vsmem_tEENKUlT_SK_SL_SM_E_clIPiSE_SF_SF_EESJ_SZ_SK_SL_SM_EUlSZ_E1_NS1_11comp_targetILNS1_3genE4ELNS1_11target_archE910ELNS1_3gpuE8ELNS1_3repE0EEENS1_36merge_oddeven_config_static_selectorELNS0_4arch9wavefront6targetE1EEEvSL_
	.globl	_ZN7rocprim17ROCPRIM_400000_NS6detail17trampoline_kernelINS0_14default_configENS1_38merge_sort_block_merge_config_selectorIiNS0_10empty_typeEEEZZNS1_27merge_sort_block_merge_implIS3_N6thrust23THRUST_200600_302600_NS6detail15normal_iteratorINS9_10device_ptrIiEEEEPS5_jNS1_19radix_merge_compareILb0ELb1EiNS0_19identity_decomposerEEEEE10hipError_tT0_T1_T2_jT3_P12ihipStream_tbPNSt15iterator_traitsISK_E10value_typeEPNSQ_ISL_E10value_typeEPSM_NS1_7vsmem_tEENKUlT_SK_SL_SM_E_clIPiSE_SF_SF_EESJ_SZ_SK_SL_SM_EUlSZ_E1_NS1_11comp_targetILNS1_3genE4ELNS1_11target_archE910ELNS1_3gpuE8ELNS1_3repE0EEENS1_36merge_oddeven_config_static_selectorELNS0_4arch9wavefront6targetE1EEEvSL_
	.p2align	8
	.type	_ZN7rocprim17ROCPRIM_400000_NS6detail17trampoline_kernelINS0_14default_configENS1_38merge_sort_block_merge_config_selectorIiNS0_10empty_typeEEEZZNS1_27merge_sort_block_merge_implIS3_N6thrust23THRUST_200600_302600_NS6detail15normal_iteratorINS9_10device_ptrIiEEEEPS5_jNS1_19radix_merge_compareILb0ELb1EiNS0_19identity_decomposerEEEEE10hipError_tT0_T1_T2_jT3_P12ihipStream_tbPNSt15iterator_traitsISK_E10value_typeEPNSQ_ISL_E10value_typeEPSM_NS1_7vsmem_tEENKUlT_SK_SL_SM_E_clIPiSE_SF_SF_EESJ_SZ_SK_SL_SM_EUlSZ_E1_NS1_11comp_targetILNS1_3genE4ELNS1_11target_archE910ELNS1_3gpuE8ELNS1_3repE0EEENS1_36merge_oddeven_config_static_selectorELNS0_4arch9wavefront6targetE1EEEvSL_,@function
_ZN7rocprim17ROCPRIM_400000_NS6detail17trampoline_kernelINS0_14default_configENS1_38merge_sort_block_merge_config_selectorIiNS0_10empty_typeEEEZZNS1_27merge_sort_block_merge_implIS3_N6thrust23THRUST_200600_302600_NS6detail15normal_iteratorINS9_10device_ptrIiEEEEPS5_jNS1_19radix_merge_compareILb0ELb1EiNS0_19identity_decomposerEEEEE10hipError_tT0_T1_T2_jT3_P12ihipStream_tbPNSt15iterator_traitsISK_E10value_typeEPNSQ_ISL_E10value_typeEPSM_NS1_7vsmem_tEENKUlT_SK_SL_SM_E_clIPiSE_SF_SF_EESJ_SZ_SK_SL_SM_EUlSZ_E1_NS1_11comp_targetILNS1_3genE4ELNS1_11target_archE910ELNS1_3gpuE8ELNS1_3repE0EEENS1_36merge_oddeven_config_static_selectorELNS0_4arch9wavefront6targetE1EEEvSL_: ; @_ZN7rocprim17ROCPRIM_400000_NS6detail17trampoline_kernelINS0_14default_configENS1_38merge_sort_block_merge_config_selectorIiNS0_10empty_typeEEEZZNS1_27merge_sort_block_merge_implIS3_N6thrust23THRUST_200600_302600_NS6detail15normal_iteratorINS9_10device_ptrIiEEEEPS5_jNS1_19radix_merge_compareILb0ELb1EiNS0_19identity_decomposerEEEEE10hipError_tT0_T1_T2_jT3_P12ihipStream_tbPNSt15iterator_traitsISK_E10value_typeEPNSQ_ISL_E10value_typeEPSM_NS1_7vsmem_tEENKUlT_SK_SL_SM_E_clIPiSE_SF_SF_EESJ_SZ_SK_SL_SM_EUlSZ_E1_NS1_11comp_targetILNS1_3genE4ELNS1_11target_archE910ELNS1_3gpuE8ELNS1_3repE0EEENS1_36merge_oddeven_config_static_selectorELNS0_4arch9wavefront6targetE1EEEvSL_
; %bb.0:
	.section	.rodata,"a",@progbits
	.p2align	6, 0x0
	.amdhsa_kernel _ZN7rocprim17ROCPRIM_400000_NS6detail17trampoline_kernelINS0_14default_configENS1_38merge_sort_block_merge_config_selectorIiNS0_10empty_typeEEEZZNS1_27merge_sort_block_merge_implIS3_N6thrust23THRUST_200600_302600_NS6detail15normal_iteratorINS9_10device_ptrIiEEEEPS5_jNS1_19radix_merge_compareILb0ELb1EiNS0_19identity_decomposerEEEEE10hipError_tT0_T1_T2_jT3_P12ihipStream_tbPNSt15iterator_traitsISK_E10value_typeEPNSQ_ISL_E10value_typeEPSM_NS1_7vsmem_tEENKUlT_SK_SL_SM_E_clIPiSE_SF_SF_EESJ_SZ_SK_SL_SM_EUlSZ_E1_NS1_11comp_targetILNS1_3genE4ELNS1_11target_archE910ELNS1_3gpuE8ELNS1_3repE0EEENS1_36merge_oddeven_config_static_selectorELNS0_4arch9wavefront6targetE1EEEvSL_
		.amdhsa_group_segment_fixed_size 0
		.amdhsa_private_segment_fixed_size 0
		.amdhsa_kernarg_size 48
		.amdhsa_user_sgpr_count 2
		.amdhsa_user_sgpr_dispatch_ptr 0
		.amdhsa_user_sgpr_queue_ptr 0
		.amdhsa_user_sgpr_kernarg_segment_ptr 1
		.amdhsa_user_sgpr_dispatch_id 0
		.amdhsa_user_sgpr_kernarg_preload_length 0
		.amdhsa_user_sgpr_kernarg_preload_offset 0
		.amdhsa_user_sgpr_private_segment_size 0
		.amdhsa_uses_dynamic_stack 0
		.amdhsa_enable_private_segment 0
		.amdhsa_system_sgpr_workgroup_id_x 1
		.amdhsa_system_sgpr_workgroup_id_y 0
		.amdhsa_system_sgpr_workgroup_id_z 0
		.amdhsa_system_sgpr_workgroup_info 0
		.amdhsa_system_vgpr_workitem_id 0
		.amdhsa_next_free_vgpr 1
		.amdhsa_next_free_sgpr 0
		.amdhsa_accum_offset 4
		.amdhsa_reserve_vcc 0
		.amdhsa_float_round_mode_32 0
		.amdhsa_float_round_mode_16_64 0
		.amdhsa_float_denorm_mode_32 3
		.amdhsa_float_denorm_mode_16_64 3
		.amdhsa_dx10_clamp 1
		.amdhsa_ieee_mode 1
		.amdhsa_fp16_overflow 0
		.amdhsa_tg_split 0
		.amdhsa_exception_fp_ieee_invalid_op 0
		.amdhsa_exception_fp_denorm_src 0
		.amdhsa_exception_fp_ieee_div_zero 0
		.amdhsa_exception_fp_ieee_overflow 0
		.amdhsa_exception_fp_ieee_underflow 0
		.amdhsa_exception_fp_ieee_inexact 0
		.amdhsa_exception_int_div_zero 0
	.end_amdhsa_kernel
	.section	.text._ZN7rocprim17ROCPRIM_400000_NS6detail17trampoline_kernelINS0_14default_configENS1_38merge_sort_block_merge_config_selectorIiNS0_10empty_typeEEEZZNS1_27merge_sort_block_merge_implIS3_N6thrust23THRUST_200600_302600_NS6detail15normal_iteratorINS9_10device_ptrIiEEEEPS5_jNS1_19radix_merge_compareILb0ELb1EiNS0_19identity_decomposerEEEEE10hipError_tT0_T1_T2_jT3_P12ihipStream_tbPNSt15iterator_traitsISK_E10value_typeEPNSQ_ISL_E10value_typeEPSM_NS1_7vsmem_tEENKUlT_SK_SL_SM_E_clIPiSE_SF_SF_EESJ_SZ_SK_SL_SM_EUlSZ_E1_NS1_11comp_targetILNS1_3genE4ELNS1_11target_archE910ELNS1_3gpuE8ELNS1_3repE0EEENS1_36merge_oddeven_config_static_selectorELNS0_4arch9wavefront6targetE1EEEvSL_,"axG",@progbits,_ZN7rocprim17ROCPRIM_400000_NS6detail17trampoline_kernelINS0_14default_configENS1_38merge_sort_block_merge_config_selectorIiNS0_10empty_typeEEEZZNS1_27merge_sort_block_merge_implIS3_N6thrust23THRUST_200600_302600_NS6detail15normal_iteratorINS9_10device_ptrIiEEEEPS5_jNS1_19radix_merge_compareILb0ELb1EiNS0_19identity_decomposerEEEEE10hipError_tT0_T1_T2_jT3_P12ihipStream_tbPNSt15iterator_traitsISK_E10value_typeEPNSQ_ISL_E10value_typeEPSM_NS1_7vsmem_tEENKUlT_SK_SL_SM_E_clIPiSE_SF_SF_EESJ_SZ_SK_SL_SM_EUlSZ_E1_NS1_11comp_targetILNS1_3genE4ELNS1_11target_archE910ELNS1_3gpuE8ELNS1_3repE0EEENS1_36merge_oddeven_config_static_selectorELNS0_4arch9wavefront6targetE1EEEvSL_,comdat
.Lfunc_end103:
	.size	_ZN7rocprim17ROCPRIM_400000_NS6detail17trampoline_kernelINS0_14default_configENS1_38merge_sort_block_merge_config_selectorIiNS0_10empty_typeEEEZZNS1_27merge_sort_block_merge_implIS3_N6thrust23THRUST_200600_302600_NS6detail15normal_iteratorINS9_10device_ptrIiEEEEPS5_jNS1_19radix_merge_compareILb0ELb1EiNS0_19identity_decomposerEEEEE10hipError_tT0_T1_T2_jT3_P12ihipStream_tbPNSt15iterator_traitsISK_E10value_typeEPNSQ_ISL_E10value_typeEPSM_NS1_7vsmem_tEENKUlT_SK_SL_SM_E_clIPiSE_SF_SF_EESJ_SZ_SK_SL_SM_EUlSZ_E1_NS1_11comp_targetILNS1_3genE4ELNS1_11target_archE910ELNS1_3gpuE8ELNS1_3repE0EEENS1_36merge_oddeven_config_static_selectorELNS0_4arch9wavefront6targetE1EEEvSL_, .Lfunc_end103-_ZN7rocprim17ROCPRIM_400000_NS6detail17trampoline_kernelINS0_14default_configENS1_38merge_sort_block_merge_config_selectorIiNS0_10empty_typeEEEZZNS1_27merge_sort_block_merge_implIS3_N6thrust23THRUST_200600_302600_NS6detail15normal_iteratorINS9_10device_ptrIiEEEEPS5_jNS1_19radix_merge_compareILb0ELb1EiNS0_19identity_decomposerEEEEE10hipError_tT0_T1_T2_jT3_P12ihipStream_tbPNSt15iterator_traitsISK_E10value_typeEPNSQ_ISL_E10value_typeEPSM_NS1_7vsmem_tEENKUlT_SK_SL_SM_E_clIPiSE_SF_SF_EESJ_SZ_SK_SL_SM_EUlSZ_E1_NS1_11comp_targetILNS1_3genE4ELNS1_11target_archE910ELNS1_3gpuE8ELNS1_3repE0EEENS1_36merge_oddeven_config_static_selectorELNS0_4arch9wavefront6targetE1EEEvSL_
                                        ; -- End function
	.set _ZN7rocprim17ROCPRIM_400000_NS6detail17trampoline_kernelINS0_14default_configENS1_38merge_sort_block_merge_config_selectorIiNS0_10empty_typeEEEZZNS1_27merge_sort_block_merge_implIS3_N6thrust23THRUST_200600_302600_NS6detail15normal_iteratorINS9_10device_ptrIiEEEEPS5_jNS1_19radix_merge_compareILb0ELb1EiNS0_19identity_decomposerEEEEE10hipError_tT0_T1_T2_jT3_P12ihipStream_tbPNSt15iterator_traitsISK_E10value_typeEPNSQ_ISL_E10value_typeEPSM_NS1_7vsmem_tEENKUlT_SK_SL_SM_E_clIPiSE_SF_SF_EESJ_SZ_SK_SL_SM_EUlSZ_E1_NS1_11comp_targetILNS1_3genE4ELNS1_11target_archE910ELNS1_3gpuE8ELNS1_3repE0EEENS1_36merge_oddeven_config_static_selectorELNS0_4arch9wavefront6targetE1EEEvSL_.num_vgpr, 0
	.set _ZN7rocprim17ROCPRIM_400000_NS6detail17trampoline_kernelINS0_14default_configENS1_38merge_sort_block_merge_config_selectorIiNS0_10empty_typeEEEZZNS1_27merge_sort_block_merge_implIS3_N6thrust23THRUST_200600_302600_NS6detail15normal_iteratorINS9_10device_ptrIiEEEEPS5_jNS1_19radix_merge_compareILb0ELb1EiNS0_19identity_decomposerEEEEE10hipError_tT0_T1_T2_jT3_P12ihipStream_tbPNSt15iterator_traitsISK_E10value_typeEPNSQ_ISL_E10value_typeEPSM_NS1_7vsmem_tEENKUlT_SK_SL_SM_E_clIPiSE_SF_SF_EESJ_SZ_SK_SL_SM_EUlSZ_E1_NS1_11comp_targetILNS1_3genE4ELNS1_11target_archE910ELNS1_3gpuE8ELNS1_3repE0EEENS1_36merge_oddeven_config_static_selectorELNS0_4arch9wavefront6targetE1EEEvSL_.num_agpr, 0
	.set _ZN7rocprim17ROCPRIM_400000_NS6detail17trampoline_kernelINS0_14default_configENS1_38merge_sort_block_merge_config_selectorIiNS0_10empty_typeEEEZZNS1_27merge_sort_block_merge_implIS3_N6thrust23THRUST_200600_302600_NS6detail15normal_iteratorINS9_10device_ptrIiEEEEPS5_jNS1_19radix_merge_compareILb0ELb1EiNS0_19identity_decomposerEEEEE10hipError_tT0_T1_T2_jT3_P12ihipStream_tbPNSt15iterator_traitsISK_E10value_typeEPNSQ_ISL_E10value_typeEPSM_NS1_7vsmem_tEENKUlT_SK_SL_SM_E_clIPiSE_SF_SF_EESJ_SZ_SK_SL_SM_EUlSZ_E1_NS1_11comp_targetILNS1_3genE4ELNS1_11target_archE910ELNS1_3gpuE8ELNS1_3repE0EEENS1_36merge_oddeven_config_static_selectorELNS0_4arch9wavefront6targetE1EEEvSL_.numbered_sgpr, 0
	.set _ZN7rocprim17ROCPRIM_400000_NS6detail17trampoline_kernelINS0_14default_configENS1_38merge_sort_block_merge_config_selectorIiNS0_10empty_typeEEEZZNS1_27merge_sort_block_merge_implIS3_N6thrust23THRUST_200600_302600_NS6detail15normal_iteratorINS9_10device_ptrIiEEEEPS5_jNS1_19radix_merge_compareILb0ELb1EiNS0_19identity_decomposerEEEEE10hipError_tT0_T1_T2_jT3_P12ihipStream_tbPNSt15iterator_traitsISK_E10value_typeEPNSQ_ISL_E10value_typeEPSM_NS1_7vsmem_tEENKUlT_SK_SL_SM_E_clIPiSE_SF_SF_EESJ_SZ_SK_SL_SM_EUlSZ_E1_NS1_11comp_targetILNS1_3genE4ELNS1_11target_archE910ELNS1_3gpuE8ELNS1_3repE0EEENS1_36merge_oddeven_config_static_selectorELNS0_4arch9wavefront6targetE1EEEvSL_.num_named_barrier, 0
	.set _ZN7rocprim17ROCPRIM_400000_NS6detail17trampoline_kernelINS0_14default_configENS1_38merge_sort_block_merge_config_selectorIiNS0_10empty_typeEEEZZNS1_27merge_sort_block_merge_implIS3_N6thrust23THRUST_200600_302600_NS6detail15normal_iteratorINS9_10device_ptrIiEEEEPS5_jNS1_19radix_merge_compareILb0ELb1EiNS0_19identity_decomposerEEEEE10hipError_tT0_T1_T2_jT3_P12ihipStream_tbPNSt15iterator_traitsISK_E10value_typeEPNSQ_ISL_E10value_typeEPSM_NS1_7vsmem_tEENKUlT_SK_SL_SM_E_clIPiSE_SF_SF_EESJ_SZ_SK_SL_SM_EUlSZ_E1_NS1_11comp_targetILNS1_3genE4ELNS1_11target_archE910ELNS1_3gpuE8ELNS1_3repE0EEENS1_36merge_oddeven_config_static_selectorELNS0_4arch9wavefront6targetE1EEEvSL_.private_seg_size, 0
	.set _ZN7rocprim17ROCPRIM_400000_NS6detail17trampoline_kernelINS0_14default_configENS1_38merge_sort_block_merge_config_selectorIiNS0_10empty_typeEEEZZNS1_27merge_sort_block_merge_implIS3_N6thrust23THRUST_200600_302600_NS6detail15normal_iteratorINS9_10device_ptrIiEEEEPS5_jNS1_19radix_merge_compareILb0ELb1EiNS0_19identity_decomposerEEEEE10hipError_tT0_T1_T2_jT3_P12ihipStream_tbPNSt15iterator_traitsISK_E10value_typeEPNSQ_ISL_E10value_typeEPSM_NS1_7vsmem_tEENKUlT_SK_SL_SM_E_clIPiSE_SF_SF_EESJ_SZ_SK_SL_SM_EUlSZ_E1_NS1_11comp_targetILNS1_3genE4ELNS1_11target_archE910ELNS1_3gpuE8ELNS1_3repE0EEENS1_36merge_oddeven_config_static_selectorELNS0_4arch9wavefront6targetE1EEEvSL_.uses_vcc, 0
	.set _ZN7rocprim17ROCPRIM_400000_NS6detail17trampoline_kernelINS0_14default_configENS1_38merge_sort_block_merge_config_selectorIiNS0_10empty_typeEEEZZNS1_27merge_sort_block_merge_implIS3_N6thrust23THRUST_200600_302600_NS6detail15normal_iteratorINS9_10device_ptrIiEEEEPS5_jNS1_19radix_merge_compareILb0ELb1EiNS0_19identity_decomposerEEEEE10hipError_tT0_T1_T2_jT3_P12ihipStream_tbPNSt15iterator_traitsISK_E10value_typeEPNSQ_ISL_E10value_typeEPSM_NS1_7vsmem_tEENKUlT_SK_SL_SM_E_clIPiSE_SF_SF_EESJ_SZ_SK_SL_SM_EUlSZ_E1_NS1_11comp_targetILNS1_3genE4ELNS1_11target_archE910ELNS1_3gpuE8ELNS1_3repE0EEENS1_36merge_oddeven_config_static_selectorELNS0_4arch9wavefront6targetE1EEEvSL_.uses_flat_scratch, 0
	.set _ZN7rocprim17ROCPRIM_400000_NS6detail17trampoline_kernelINS0_14default_configENS1_38merge_sort_block_merge_config_selectorIiNS0_10empty_typeEEEZZNS1_27merge_sort_block_merge_implIS3_N6thrust23THRUST_200600_302600_NS6detail15normal_iteratorINS9_10device_ptrIiEEEEPS5_jNS1_19radix_merge_compareILb0ELb1EiNS0_19identity_decomposerEEEEE10hipError_tT0_T1_T2_jT3_P12ihipStream_tbPNSt15iterator_traitsISK_E10value_typeEPNSQ_ISL_E10value_typeEPSM_NS1_7vsmem_tEENKUlT_SK_SL_SM_E_clIPiSE_SF_SF_EESJ_SZ_SK_SL_SM_EUlSZ_E1_NS1_11comp_targetILNS1_3genE4ELNS1_11target_archE910ELNS1_3gpuE8ELNS1_3repE0EEENS1_36merge_oddeven_config_static_selectorELNS0_4arch9wavefront6targetE1EEEvSL_.has_dyn_sized_stack, 0
	.set _ZN7rocprim17ROCPRIM_400000_NS6detail17trampoline_kernelINS0_14default_configENS1_38merge_sort_block_merge_config_selectorIiNS0_10empty_typeEEEZZNS1_27merge_sort_block_merge_implIS3_N6thrust23THRUST_200600_302600_NS6detail15normal_iteratorINS9_10device_ptrIiEEEEPS5_jNS1_19radix_merge_compareILb0ELb1EiNS0_19identity_decomposerEEEEE10hipError_tT0_T1_T2_jT3_P12ihipStream_tbPNSt15iterator_traitsISK_E10value_typeEPNSQ_ISL_E10value_typeEPSM_NS1_7vsmem_tEENKUlT_SK_SL_SM_E_clIPiSE_SF_SF_EESJ_SZ_SK_SL_SM_EUlSZ_E1_NS1_11comp_targetILNS1_3genE4ELNS1_11target_archE910ELNS1_3gpuE8ELNS1_3repE0EEENS1_36merge_oddeven_config_static_selectorELNS0_4arch9wavefront6targetE1EEEvSL_.has_recursion, 0
	.set _ZN7rocprim17ROCPRIM_400000_NS6detail17trampoline_kernelINS0_14default_configENS1_38merge_sort_block_merge_config_selectorIiNS0_10empty_typeEEEZZNS1_27merge_sort_block_merge_implIS3_N6thrust23THRUST_200600_302600_NS6detail15normal_iteratorINS9_10device_ptrIiEEEEPS5_jNS1_19radix_merge_compareILb0ELb1EiNS0_19identity_decomposerEEEEE10hipError_tT0_T1_T2_jT3_P12ihipStream_tbPNSt15iterator_traitsISK_E10value_typeEPNSQ_ISL_E10value_typeEPSM_NS1_7vsmem_tEENKUlT_SK_SL_SM_E_clIPiSE_SF_SF_EESJ_SZ_SK_SL_SM_EUlSZ_E1_NS1_11comp_targetILNS1_3genE4ELNS1_11target_archE910ELNS1_3gpuE8ELNS1_3repE0EEENS1_36merge_oddeven_config_static_selectorELNS0_4arch9wavefront6targetE1EEEvSL_.has_indirect_call, 0
	.section	.AMDGPU.csdata,"",@progbits
; Kernel info:
; codeLenInByte = 0
; TotalNumSgprs: 6
; NumVgprs: 0
; NumAgprs: 0
; TotalNumVgprs: 0
; ScratchSize: 0
; MemoryBound: 0
; FloatMode: 240
; IeeeMode: 1
; LDSByteSize: 0 bytes/workgroup (compile time only)
; SGPRBlocks: 0
; VGPRBlocks: 0
; NumSGPRsForWavesPerEU: 6
; NumVGPRsForWavesPerEU: 1
; AccumOffset: 4
; Occupancy: 8
; WaveLimiterHint : 0
; COMPUTE_PGM_RSRC2:SCRATCH_EN: 0
; COMPUTE_PGM_RSRC2:USER_SGPR: 2
; COMPUTE_PGM_RSRC2:TRAP_HANDLER: 0
; COMPUTE_PGM_RSRC2:TGID_X_EN: 1
; COMPUTE_PGM_RSRC2:TGID_Y_EN: 0
; COMPUTE_PGM_RSRC2:TGID_Z_EN: 0
; COMPUTE_PGM_RSRC2:TIDIG_COMP_CNT: 0
; COMPUTE_PGM_RSRC3_GFX90A:ACCUM_OFFSET: 0
; COMPUTE_PGM_RSRC3_GFX90A:TG_SPLIT: 0
	.section	.text._ZN7rocprim17ROCPRIM_400000_NS6detail17trampoline_kernelINS0_14default_configENS1_38merge_sort_block_merge_config_selectorIiNS0_10empty_typeEEEZZNS1_27merge_sort_block_merge_implIS3_N6thrust23THRUST_200600_302600_NS6detail15normal_iteratorINS9_10device_ptrIiEEEEPS5_jNS1_19radix_merge_compareILb0ELb1EiNS0_19identity_decomposerEEEEE10hipError_tT0_T1_T2_jT3_P12ihipStream_tbPNSt15iterator_traitsISK_E10value_typeEPNSQ_ISL_E10value_typeEPSM_NS1_7vsmem_tEENKUlT_SK_SL_SM_E_clIPiSE_SF_SF_EESJ_SZ_SK_SL_SM_EUlSZ_E1_NS1_11comp_targetILNS1_3genE3ELNS1_11target_archE908ELNS1_3gpuE7ELNS1_3repE0EEENS1_36merge_oddeven_config_static_selectorELNS0_4arch9wavefront6targetE1EEEvSL_,"axG",@progbits,_ZN7rocprim17ROCPRIM_400000_NS6detail17trampoline_kernelINS0_14default_configENS1_38merge_sort_block_merge_config_selectorIiNS0_10empty_typeEEEZZNS1_27merge_sort_block_merge_implIS3_N6thrust23THRUST_200600_302600_NS6detail15normal_iteratorINS9_10device_ptrIiEEEEPS5_jNS1_19radix_merge_compareILb0ELb1EiNS0_19identity_decomposerEEEEE10hipError_tT0_T1_T2_jT3_P12ihipStream_tbPNSt15iterator_traitsISK_E10value_typeEPNSQ_ISL_E10value_typeEPSM_NS1_7vsmem_tEENKUlT_SK_SL_SM_E_clIPiSE_SF_SF_EESJ_SZ_SK_SL_SM_EUlSZ_E1_NS1_11comp_targetILNS1_3genE3ELNS1_11target_archE908ELNS1_3gpuE7ELNS1_3repE0EEENS1_36merge_oddeven_config_static_selectorELNS0_4arch9wavefront6targetE1EEEvSL_,comdat
	.protected	_ZN7rocprim17ROCPRIM_400000_NS6detail17trampoline_kernelINS0_14default_configENS1_38merge_sort_block_merge_config_selectorIiNS0_10empty_typeEEEZZNS1_27merge_sort_block_merge_implIS3_N6thrust23THRUST_200600_302600_NS6detail15normal_iteratorINS9_10device_ptrIiEEEEPS5_jNS1_19radix_merge_compareILb0ELb1EiNS0_19identity_decomposerEEEEE10hipError_tT0_T1_T2_jT3_P12ihipStream_tbPNSt15iterator_traitsISK_E10value_typeEPNSQ_ISL_E10value_typeEPSM_NS1_7vsmem_tEENKUlT_SK_SL_SM_E_clIPiSE_SF_SF_EESJ_SZ_SK_SL_SM_EUlSZ_E1_NS1_11comp_targetILNS1_3genE3ELNS1_11target_archE908ELNS1_3gpuE7ELNS1_3repE0EEENS1_36merge_oddeven_config_static_selectorELNS0_4arch9wavefront6targetE1EEEvSL_ ; -- Begin function _ZN7rocprim17ROCPRIM_400000_NS6detail17trampoline_kernelINS0_14default_configENS1_38merge_sort_block_merge_config_selectorIiNS0_10empty_typeEEEZZNS1_27merge_sort_block_merge_implIS3_N6thrust23THRUST_200600_302600_NS6detail15normal_iteratorINS9_10device_ptrIiEEEEPS5_jNS1_19radix_merge_compareILb0ELb1EiNS0_19identity_decomposerEEEEE10hipError_tT0_T1_T2_jT3_P12ihipStream_tbPNSt15iterator_traitsISK_E10value_typeEPNSQ_ISL_E10value_typeEPSM_NS1_7vsmem_tEENKUlT_SK_SL_SM_E_clIPiSE_SF_SF_EESJ_SZ_SK_SL_SM_EUlSZ_E1_NS1_11comp_targetILNS1_3genE3ELNS1_11target_archE908ELNS1_3gpuE7ELNS1_3repE0EEENS1_36merge_oddeven_config_static_selectorELNS0_4arch9wavefront6targetE1EEEvSL_
	.globl	_ZN7rocprim17ROCPRIM_400000_NS6detail17trampoline_kernelINS0_14default_configENS1_38merge_sort_block_merge_config_selectorIiNS0_10empty_typeEEEZZNS1_27merge_sort_block_merge_implIS3_N6thrust23THRUST_200600_302600_NS6detail15normal_iteratorINS9_10device_ptrIiEEEEPS5_jNS1_19radix_merge_compareILb0ELb1EiNS0_19identity_decomposerEEEEE10hipError_tT0_T1_T2_jT3_P12ihipStream_tbPNSt15iterator_traitsISK_E10value_typeEPNSQ_ISL_E10value_typeEPSM_NS1_7vsmem_tEENKUlT_SK_SL_SM_E_clIPiSE_SF_SF_EESJ_SZ_SK_SL_SM_EUlSZ_E1_NS1_11comp_targetILNS1_3genE3ELNS1_11target_archE908ELNS1_3gpuE7ELNS1_3repE0EEENS1_36merge_oddeven_config_static_selectorELNS0_4arch9wavefront6targetE1EEEvSL_
	.p2align	8
	.type	_ZN7rocprim17ROCPRIM_400000_NS6detail17trampoline_kernelINS0_14default_configENS1_38merge_sort_block_merge_config_selectorIiNS0_10empty_typeEEEZZNS1_27merge_sort_block_merge_implIS3_N6thrust23THRUST_200600_302600_NS6detail15normal_iteratorINS9_10device_ptrIiEEEEPS5_jNS1_19radix_merge_compareILb0ELb1EiNS0_19identity_decomposerEEEEE10hipError_tT0_T1_T2_jT3_P12ihipStream_tbPNSt15iterator_traitsISK_E10value_typeEPNSQ_ISL_E10value_typeEPSM_NS1_7vsmem_tEENKUlT_SK_SL_SM_E_clIPiSE_SF_SF_EESJ_SZ_SK_SL_SM_EUlSZ_E1_NS1_11comp_targetILNS1_3genE3ELNS1_11target_archE908ELNS1_3gpuE7ELNS1_3repE0EEENS1_36merge_oddeven_config_static_selectorELNS0_4arch9wavefront6targetE1EEEvSL_,@function
_ZN7rocprim17ROCPRIM_400000_NS6detail17trampoline_kernelINS0_14default_configENS1_38merge_sort_block_merge_config_selectorIiNS0_10empty_typeEEEZZNS1_27merge_sort_block_merge_implIS3_N6thrust23THRUST_200600_302600_NS6detail15normal_iteratorINS9_10device_ptrIiEEEEPS5_jNS1_19radix_merge_compareILb0ELb1EiNS0_19identity_decomposerEEEEE10hipError_tT0_T1_T2_jT3_P12ihipStream_tbPNSt15iterator_traitsISK_E10value_typeEPNSQ_ISL_E10value_typeEPSM_NS1_7vsmem_tEENKUlT_SK_SL_SM_E_clIPiSE_SF_SF_EESJ_SZ_SK_SL_SM_EUlSZ_E1_NS1_11comp_targetILNS1_3genE3ELNS1_11target_archE908ELNS1_3gpuE7ELNS1_3repE0EEENS1_36merge_oddeven_config_static_selectorELNS0_4arch9wavefront6targetE1EEEvSL_: ; @_ZN7rocprim17ROCPRIM_400000_NS6detail17trampoline_kernelINS0_14default_configENS1_38merge_sort_block_merge_config_selectorIiNS0_10empty_typeEEEZZNS1_27merge_sort_block_merge_implIS3_N6thrust23THRUST_200600_302600_NS6detail15normal_iteratorINS9_10device_ptrIiEEEEPS5_jNS1_19radix_merge_compareILb0ELb1EiNS0_19identity_decomposerEEEEE10hipError_tT0_T1_T2_jT3_P12ihipStream_tbPNSt15iterator_traitsISK_E10value_typeEPNSQ_ISL_E10value_typeEPSM_NS1_7vsmem_tEENKUlT_SK_SL_SM_E_clIPiSE_SF_SF_EESJ_SZ_SK_SL_SM_EUlSZ_E1_NS1_11comp_targetILNS1_3genE3ELNS1_11target_archE908ELNS1_3gpuE7ELNS1_3repE0EEENS1_36merge_oddeven_config_static_selectorELNS0_4arch9wavefront6targetE1EEEvSL_
; %bb.0:
	.section	.rodata,"a",@progbits
	.p2align	6, 0x0
	.amdhsa_kernel _ZN7rocprim17ROCPRIM_400000_NS6detail17trampoline_kernelINS0_14default_configENS1_38merge_sort_block_merge_config_selectorIiNS0_10empty_typeEEEZZNS1_27merge_sort_block_merge_implIS3_N6thrust23THRUST_200600_302600_NS6detail15normal_iteratorINS9_10device_ptrIiEEEEPS5_jNS1_19radix_merge_compareILb0ELb1EiNS0_19identity_decomposerEEEEE10hipError_tT0_T1_T2_jT3_P12ihipStream_tbPNSt15iterator_traitsISK_E10value_typeEPNSQ_ISL_E10value_typeEPSM_NS1_7vsmem_tEENKUlT_SK_SL_SM_E_clIPiSE_SF_SF_EESJ_SZ_SK_SL_SM_EUlSZ_E1_NS1_11comp_targetILNS1_3genE3ELNS1_11target_archE908ELNS1_3gpuE7ELNS1_3repE0EEENS1_36merge_oddeven_config_static_selectorELNS0_4arch9wavefront6targetE1EEEvSL_
		.amdhsa_group_segment_fixed_size 0
		.amdhsa_private_segment_fixed_size 0
		.amdhsa_kernarg_size 48
		.amdhsa_user_sgpr_count 2
		.amdhsa_user_sgpr_dispatch_ptr 0
		.amdhsa_user_sgpr_queue_ptr 0
		.amdhsa_user_sgpr_kernarg_segment_ptr 1
		.amdhsa_user_sgpr_dispatch_id 0
		.amdhsa_user_sgpr_kernarg_preload_length 0
		.amdhsa_user_sgpr_kernarg_preload_offset 0
		.amdhsa_user_sgpr_private_segment_size 0
		.amdhsa_uses_dynamic_stack 0
		.amdhsa_enable_private_segment 0
		.amdhsa_system_sgpr_workgroup_id_x 1
		.amdhsa_system_sgpr_workgroup_id_y 0
		.amdhsa_system_sgpr_workgroup_id_z 0
		.amdhsa_system_sgpr_workgroup_info 0
		.amdhsa_system_vgpr_workitem_id 0
		.amdhsa_next_free_vgpr 1
		.amdhsa_next_free_sgpr 0
		.amdhsa_accum_offset 4
		.amdhsa_reserve_vcc 0
		.amdhsa_float_round_mode_32 0
		.amdhsa_float_round_mode_16_64 0
		.amdhsa_float_denorm_mode_32 3
		.amdhsa_float_denorm_mode_16_64 3
		.amdhsa_dx10_clamp 1
		.amdhsa_ieee_mode 1
		.amdhsa_fp16_overflow 0
		.amdhsa_tg_split 0
		.amdhsa_exception_fp_ieee_invalid_op 0
		.amdhsa_exception_fp_denorm_src 0
		.amdhsa_exception_fp_ieee_div_zero 0
		.amdhsa_exception_fp_ieee_overflow 0
		.amdhsa_exception_fp_ieee_underflow 0
		.amdhsa_exception_fp_ieee_inexact 0
		.amdhsa_exception_int_div_zero 0
	.end_amdhsa_kernel
	.section	.text._ZN7rocprim17ROCPRIM_400000_NS6detail17trampoline_kernelINS0_14default_configENS1_38merge_sort_block_merge_config_selectorIiNS0_10empty_typeEEEZZNS1_27merge_sort_block_merge_implIS3_N6thrust23THRUST_200600_302600_NS6detail15normal_iteratorINS9_10device_ptrIiEEEEPS5_jNS1_19radix_merge_compareILb0ELb1EiNS0_19identity_decomposerEEEEE10hipError_tT0_T1_T2_jT3_P12ihipStream_tbPNSt15iterator_traitsISK_E10value_typeEPNSQ_ISL_E10value_typeEPSM_NS1_7vsmem_tEENKUlT_SK_SL_SM_E_clIPiSE_SF_SF_EESJ_SZ_SK_SL_SM_EUlSZ_E1_NS1_11comp_targetILNS1_3genE3ELNS1_11target_archE908ELNS1_3gpuE7ELNS1_3repE0EEENS1_36merge_oddeven_config_static_selectorELNS0_4arch9wavefront6targetE1EEEvSL_,"axG",@progbits,_ZN7rocprim17ROCPRIM_400000_NS6detail17trampoline_kernelINS0_14default_configENS1_38merge_sort_block_merge_config_selectorIiNS0_10empty_typeEEEZZNS1_27merge_sort_block_merge_implIS3_N6thrust23THRUST_200600_302600_NS6detail15normal_iteratorINS9_10device_ptrIiEEEEPS5_jNS1_19radix_merge_compareILb0ELb1EiNS0_19identity_decomposerEEEEE10hipError_tT0_T1_T2_jT3_P12ihipStream_tbPNSt15iterator_traitsISK_E10value_typeEPNSQ_ISL_E10value_typeEPSM_NS1_7vsmem_tEENKUlT_SK_SL_SM_E_clIPiSE_SF_SF_EESJ_SZ_SK_SL_SM_EUlSZ_E1_NS1_11comp_targetILNS1_3genE3ELNS1_11target_archE908ELNS1_3gpuE7ELNS1_3repE0EEENS1_36merge_oddeven_config_static_selectorELNS0_4arch9wavefront6targetE1EEEvSL_,comdat
.Lfunc_end104:
	.size	_ZN7rocprim17ROCPRIM_400000_NS6detail17trampoline_kernelINS0_14default_configENS1_38merge_sort_block_merge_config_selectorIiNS0_10empty_typeEEEZZNS1_27merge_sort_block_merge_implIS3_N6thrust23THRUST_200600_302600_NS6detail15normal_iteratorINS9_10device_ptrIiEEEEPS5_jNS1_19radix_merge_compareILb0ELb1EiNS0_19identity_decomposerEEEEE10hipError_tT0_T1_T2_jT3_P12ihipStream_tbPNSt15iterator_traitsISK_E10value_typeEPNSQ_ISL_E10value_typeEPSM_NS1_7vsmem_tEENKUlT_SK_SL_SM_E_clIPiSE_SF_SF_EESJ_SZ_SK_SL_SM_EUlSZ_E1_NS1_11comp_targetILNS1_3genE3ELNS1_11target_archE908ELNS1_3gpuE7ELNS1_3repE0EEENS1_36merge_oddeven_config_static_selectorELNS0_4arch9wavefront6targetE1EEEvSL_, .Lfunc_end104-_ZN7rocprim17ROCPRIM_400000_NS6detail17trampoline_kernelINS0_14default_configENS1_38merge_sort_block_merge_config_selectorIiNS0_10empty_typeEEEZZNS1_27merge_sort_block_merge_implIS3_N6thrust23THRUST_200600_302600_NS6detail15normal_iteratorINS9_10device_ptrIiEEEEPS5_jNS1_19radix_merge_compareILb0ELb1EiNS0_19identity_decomposerEEEEE10hipError_tT0_T1_T2_jT3_P12ihipStream_tbPNSt15iterator_traitsISK_E10value_typeEPNSQ_ISL_E10value_typeEPSM_NS1_7vsmem_tEENKUlT_SK_SL_SM_E_clIPiSE_SF_SF_EESJ_SZ_SK_SL_SM_EUlSZ_E1_NS1_11comp_targetILNS1_3genE3ELNS1_11target_archE908ELNS1_3gpuE7ELNS1_3repE0EEENS1_36merge_oddeven_config_static_selectorELNS0_4arch9wavefront6targetE1EEEvSL_
                                        ; -- End function
	.set _ZN7rocprim17ROCPRIM_400000_NS6detail17trampoline_kernelINS0_14default_configENS1_38merge_sort_block_merge_config_selectorIiNS0_10empty_typeEEEZZNS1_27merge_sort_block_merge_implIS3_N6thrust23THRUST_200600_302600_NS6detail15normal_iteratorINS9_10device_ptrIiEEEEPS5_jNS1_19radix_merge_compareILb0ELb1EiNS0_19identity_decomposerEEEEE10hipError_tT0_T1_T2_jT3_P12ihipStream_tbPNSt15iterator_traitsISK_E10value_typeEPNSQ_ISL_E10value_typeEPSM_NS1_7vsmem_tEENKUlT_SK_SL_SM_E_clIPiSE_SF_SF_EESJ_SZ_SK_SL_SM_EUlSZ_E1_NS1_11comp_targetILNS1_3genE3ELNS1_11target_archE908ELNS1_3gpuE7ELNS1_3repE0EEENS1_36merge_oddeven_config_static_selectorELNS0_4arch9wavefront6targetE1EEEvSL_.num_vgpr, 0
	.set _ZN7rocprim17ROCPRIM_400000_NS6detail17trampoline_kernelINS0_14default_configENS1_38merge_sort_block_merge_config_selectorIiNS0_10empty_typeEEEZZNS1_27merge_sort_block_merge_implIS3_N6thrust23THRUST_200600_302600_NS6detail15normal_iteratorINS9_10device_ptrIiEEEEPS5_jNS1_19radix_merge_compareILb0ELb1EiNS0_19identity_decomposerEEEEE10hipError_tT0_T1_T2_jT3_P12ihipStream_tbPNSt15iterator_traitsISK_E10value_typeEPNSQ_ISL_E10value_typeEPSM_NS1_7vsmem_tEENKUlT_SK_SL_SM_E_clIPiSE_SF_SF_EESJ_SZ_SK_SL_SM_EUlSZ_E1_NS1_11comp_targetILNS1_3genE3ELNS1_11target_archE908ELNS1_3gpuE7ELNS1_3repE0EEENS1_36merge_oddeven_config_static_selectorELNS0_4arch9wavefront6targetE1EEEvSL_.num_agpr, 0
	.set _ZN7rocprim17ROCPRIM_400000_NS6detail17trampoline_kernelINS0_14default_configENS1_38merge_sort_block_merge_config_selectorIiNS0_10empty_typeEEEZZNS1_27merge_sort_block_merge_implIS3_N6thrust23THRUST_200600_302600_NS6detail15normal_iteratorINS9_10device_ptrIiEEEEPS5_jNS1_19radix_merge_compareILb0ELb1EiNS0_19identity_decomposerEEEEE10hipError_tT0_T1_T2_jT3_P12ihipStream_tbPNSt15iterator_traitsISK_E10value_typeEPNSQ_ISL_E10value_typeEPSM_NS1_7vsmem_tEENKUlT_SK_SL_SM_E_clIPiSE_SF_SF_EESJ_SZ_SK_SL_SM_EUlSZ_E1_NS1_11comp_targetILNS1_3genE3ELNS1_11target_archE908ELNS1_3gpuE7ELNS1_3repE0EEENS1_36merge_oddeven_config_static_selectorELNS0_4arch9wavefront6targetE1EEEvSL_.numbered_sgpr, 0
	.set _ZN7rocprim17ROCPRIM_400000_NS6detail17trampoline_kernelINS0_14default_configENS1_38merge_sort_block_merge_config_selectorIiNS0_10empty_typeEEEZZNS1_27merge_sort_block_merge_implIS3_N6thrust23THRUST_200600_302600_NS6detail15normal_iteratorINS9_10device_ptrIiEEEEPS5_jNS1_19radix_merge_compareILb0ELb1EiNS0_19identity_decomposerEEEEE10hipError_tT0_T1_T2_jT3_P12ihipStream_tbPNSt15iterator_traitsISK_E10value_typeEPNSQ_ISL_E10value_typeEPSM_NS1_7vsmem_tEENKUlT_SK_SL_SM_E_clIPiSE_SF_SF_EESJ_SZ_SK_SL_SM_EUlSZ_E1_NS1_11comp_targetILNS1_3genE3ELNS1_11target_archE908ELNS1_3gpuE7ELNS1_3repE0EEENS1_36merge_oddeven_config_static_selectorELNS0_4arch9wavefront6targetE1EEEvSL_.num_named_barrier, 0
	.set _ZN7rocprim17ROCPRIM_400000_NS6detail17trampoline_kernelINS0_14default_configENS1_38merge_sort_block_merge_config_selectorIiNS0_10empty_typeEEEZZNS1_27merge_sort_block_merge_implIS3_N6thrust23THRUST_200600_302600_NS6detail15normal_iteratorINS9_10device_ptrIiEEEEPS5_jNS1_19radix_merge_compareILb0ELb1EiNS0_19identity_decomposerEEEEE10hipError_tT0_T1_T2_jT3_P12ihipStream_tbPNSt15iterator_traitsISK_E10value_typeEPNSQ_ISL_E10value_typeEPSM_NS1_7vsmem_tEENKUlT_SK_SL_SM_E_clIPiSE_SF_SF_EESJ_SZ_SK_SL_SM_EUlSZ_E1_NS1_11comp_targetILNS1_3genE3ELNS1_11target_archE908ELNS1_3gpuE7ELNS1_3repE0EEENS1_36merge_oddeven_config_static_selectorELNS0_4arch9wavefront6targetE1EEEvSL_.private_seg_size, 0
	.set _ZN7rocprim17ROCPRIM_400000_NS6detail17trampoline_kernelINS0_14default_configENS1_38merge_sort_block_merge_config_selectorIiNS0_10empty_typeEEEZZNS1_27merge_sort_block_merge_implIS3_N6thrust23THRUST_200600_302600_NS6detail15normal_iteratorINS9_10device_ptrIiEEEEPS5_jNS1_19radix_merge_compareILb0ELb1EiNS0_19identity_decomposerEEEEE10hipError_tT0_T1_T2_jT3_P12ihipStream_tbPNSt15iterator_traitsISK_E10value_typeEPNSQ_ISL_E10value_typeEPSM_NS1_7vsmem_tEENKUlT_SK_SL_SM_E_clIPiSE_SF_SF_EESJ_SZ_SK_SL_SM_EUlSZ_E1_NS1_11comp_targetILNS1_3genE3ELNS1_11target_archE908ELNS1_3gpuE7ELNS1_3repE0EEENS1_36merge_oddeven_config_static_selectorELNS0_4arch9wavefront6targetE1EEEvSL_.uses_vcc, 0
	.set _ZN7rocprim17ROCPRIM_400000_NS6detail17trampoline_kernelINS0_14default_configENS1_38merge_sort_block_merge_config_selectorIiNS0_10empty_typeEEEZZNS1_27merge_sort_block_merge_implIS3_N6thrust23THRUST_200600_302600_NS6detail15normal_iteratorINS9_10device_ptrIiEEEEPS5_jNS1_19radix_merge_compareILb0ELb1EiNS0_19identity_decomposerEEEEE10hipError_tT0_T1_T2_jT3_P12ihipStream_tbPNSt15iterator_traitsISK_E10value_typeEPNSQ_ISL_E10value_typeEPSM_NS1_7vsmem_tEENKUlT_SK_SL_SM_E_clIPiSE_SF_SF_EESJ_SZ_SK_SL_SM_EUlSZ_E1_NS1_11comp_targetILNS1_3genE3ELNS1_11target_archE908ELNS1_3gpuE7ELNS1_3repE0EEENS1_36merge_oddeven_config_static_selectorELNS0_4arch9wavefront6targetE1EEEvSL_.uses_flat_scratch, 0
	.set _ZN7rocprim17ROCPRIM_400000_NS6detail17trampoline_kernelINS0_14default_configENS1_38merge_sort_block_merge_config_selectorIiNS0_10empty_typeEEEZZNS1_27merge_sort_block_merge_implIS3_N6thrust23THRUST_200600_302600_NS6detail15normal_iteratorINS9_10device_ptrIiEEEEPS5_jNS1_19radix_merge_compareILb0ELb1EiNS0_19identity_decomposerEEEEE10hipError_tT0_T1_T2_jT3_P12ihipStream_tbPNSt15iterator_traitsISK_E10value_typeEPNSQ_ISL_E10value_typeEPSM_NS1_7vsmem_tEENKUlT_SK_SL_SM_E_clIPiSE_SF_SF_EESJ_SZ_SK_SL_SM_EUlSZ_E1_NS1_11comp_targetILNS1_3genE3ELNS1_11target_archE908ELNS1_3gpuE7ELNS1_3repE0EEENS1_36merge_oddeven_config_static_selectorELNS0_4arch9wavefront6targetE1EEEvSL_.has_dyn_sized_stack, 0
	.set _ZN7rocprim17ROCPRIM_400000_NS6detail17trampoline_kernelINS0_14default_configENS1_38merge_sort_block_merge_config_selectorIiNS0_10empty_typeEEEZZNS1_27merge_sort_block_merge_implIS3_N6thrust23THRUST_200600_302600_NS6detail15normal_iteratorINS9_10device_ptrIiEEEEPS5_jNS1_19radix_merge_compareILb0ELb1EiNS0_19identity_decomposerEEEEE10hipError_tT0_T1_T2_jT3_P12ihipStream_tbPNSt15iterator_traitsISK_E10value_typeEPNSQ_ISL_E10value_typeEPSM_NS1_7vsmem_tEENKUlT_SK_SL_SM_E_clIPiSE_SF_SF_EESJ_SZ_SK_SL_SM_EUlSZ_E1_NS1_11comp_targetILNS1_3genE3ELNS1_11target_archE908ELNS1_3gpuE7ELNS1_3repE0EEENS1_36merge_oddeven_config_static_selectorELNS0_4arch9wavefront6targetE1EEEvSL_.has_recursion, 0
	.set _ZN7rocprim17ROCPRIM_400000_NS6detail17trampoline_kernelINS0_14default_configENS1_38merge_sort_block_merge_config_selectorIiNS0_10empty_typeEEEZZNS1_27merge_sort_block_merge_implIS3_N6thrust23THRUST_200600_302600_NS6detail15normal_iteratorINS9_10device_ptrIiEEEEPS5_jNS1_19radix_merge_compareILb0ELb1EiNS0_19identity_decomposerEEEEE10hipError_tT0_T1_T2_jT3_P12ihipStream_tbPNSt15iterator_traitsISK_E10value_typeEPNSQ_ISL_E10value_typeEPSM_NS1_7vsmem_tEENKUlT_SK_SL_SM_E_clIPiSE_SF_SF_EESJ_SZ_SK_SL_SM_EUlSZ_E1_NS1_11comp_targetILNS1_3genE3ELNS1_11target_archE908ELNS1_3gpuE7ELNS1_3repE0EEENS1_36merge_oddeven_config_static_selectorELNS0_4arch9wavefront6targetE1EEEvSL_.has_indirect_call, 0
	.section	.AMDGPU.csdata,"",@progbits
; Kernel info:
; codeLenInByte = 0
; TotalNumSgprs: 6
; NumVgprs: 0
; NumAgprs: 0
; TotalNumVgprs: 0
; ScratchSize: 0
; MemoryBound: 0
; FloatMode: 240
; IeeeMode: 1
; LDSByteSize: 0 bytes/workgroup (compile time only)
; SGPRBlocks: 0
; VGPRBlocks: 0
; NumSGPRsForWavesPerEU: 6
; NumVGPRsForWavesPerEU: 1
; AccumOffset: 4
; Occupancy: 8
; WaveLimiterHint : 0
; COMPUTE_PGM_RSRC2:SCRATCH_EN: 0
; COMPUTE_PGM_RSRC2:USER_SGPR: 2
; COMPUTE_PGM_RSRC2:TRAP_HANDLER: 0
; COMPUTE_PGM_RSRC2:TGID_X_EN: 1
; COMPUTE_PGM_RSRC2:TGID_Y_EN: 0
; COMPUTE_PGM_RSRC2:TGID_Z_EN: 0
; COMPUTE_PGM_RSRC2:TIDIG_COMP_CNT: 0
; COMPUTE_PGM_RSRC3_GFX90A:ACCUM_OFFSET: 0
; COMPUTE_PGM_RSRC3_GFX90A:TG_SPLIT: 0
	.section	.text._ZN7rocprim17ROCPRIM_400000_NS6detail17trampoline_kernelINS0_14default_configENS1_38merge_sort_block_merge_config_selectorIiNS0_10empty_typeEEEZZNS1_27merge_sort_block_merge_implIS3_N6thrust23THRUST_200600_302600_NS6detail15normal_iteratorINS9_10device_ptrIiEEEEPS5_jNS1_19radix_merge_compareILb0ELb1EiNS0_19identity_decomposerEEEEE10hipError_tT0_T1_T2_jT3_P12ihipStream_tbPNSt15iterator_traitsISK_E10value_typeEPNSQ_ISL_E10value_typeEPSM_NS1_7vsmem_tEENKUlT_SK_SL_SM_E_clIPiSE_SF_SF_EESJ_SZ_SK_SL_SM_EUlSZ_E1_NS1_11comp_targetILNS1_3genE2ELNS1_11target_archE906ELNS1_3gpuE6ELNS1_3repE0EEENS1_36merge_oddeven_config_static_selectorELNS0_4arch9wavefront6targetE1EEEvSL_,"axG",@progbits,_ZN7rocprim17ROCPRIM_400000_NS6detail17trampoline_kernelINS0_14default_configENS1_38merge_sort_block_merge_config_selectorIiNS0_10empty_typeEEEZZNS1_27merge_sort_block_merge_implIS3_N6thrust23THRUST_200600_302600_NS6detail15normal_iteratorINS9_10device_ptrIiEEEEPS5_jNS1_19radix_merge_compareILb0ELb1EiNS0_19identity_decomposerEEEEE10hipError_tT0_T1_T2_jT3_P12ihipStream_tbPNSt15iterator_traitsISK_E10value_typeEPNSQ_ISL_E10value_typeEPSM_NS1_7vsmem_tEENKUlT_SK_SL_SM_E_clIPiSE_SF_SF_EESJ_SZ_SK_SL_SM_EUlSZ_E1_NS1_11comp_targetILNS1_3genE2ELNS1_11target_archE906ELNS1_3gpuE6ELNS1_3repE0EEENS1_36merge_oddeven_config_static_selectorELNS0_4arch9wavefront6targetE1EEEvSL_,comdat
	.protected	_ZN7rocprim17ROCPRIM_400000_NS6detail17trampoline_kernelINS0_14default_configENS1_38merge_sort_block_merge_config_selectorIiNS0_10empty_typeEEEZZNS1_27merge_sort_block_merge_implIS3_N6thrust23THRUST_200600_302600_NS6detail15normal_iteratorINS9_10device_ptrIiEEEEPS5_jNS1_19radix_merge_compareILb0ELb1EiNS0_19identity_decomposerEEEEE10hipError_tT0_T1_T2_jT3_P12ihipStream_tbPNSt15iterator_traitsISK_E10value_typeEPNSQ_ISL_E10value_typeEPSM_NS1_7vsmem_tEENKUlT_SK_SL_SM_E_clIPiSE_SF_SF_EESJ_SZ_SK_SL_SM_EUlSZ_E1_NS1_11comp_targetILNS1_3genE2ELNS1_11target_archE906ELNS1_3gpuE6ELNS1_3repE0EEENS1_36merge_oddeven_config_static_selectorELNS0_4arch9wavefront6targetE1EEEvSL_ ; -- Begin function _ZN7rocprim17ROCPRIM_400000_NS6detail17trampoline_kernelINS0_14default_configENS1_38merge_sort_block_merge_config_selectorIiNS0_10empty_typeEEEZZNS1_27merge_sort_block_merge_implIS3_N6thrust23THRUST_200600_302600_NS6detail15normal_iteratorINS9_10device_ptrIiEEEEPS5_jNS1_19radix_merge_compareILb0ELb1EiNS0_19identity_decomposerEEEEE10hipError_tT0_T1_T2_jT3_P12ihipStream_tbPNSt15iterator_traitsISK_E10value_typeEPNSQ_ISL_E10value_typeEPSM_NS1_7vsmem_tEENKUlT_SK_SL_SM_E_clIPiSE_SF_SF_EESJ_SZ_SK_SL_SM_EUlSZ_E1_NS1_11comp_targetILNS1_3genE2ELNS1_11target_archE906ELNS1_3gpuE6ELNS1_3repE0EEENS1_36merge_oddeven_config_static_selectorELNS0_4arch9wavefront6targetE1EEEvSL_
	.globl	_ZN7rocprim17ROCPRIM_400000_NS6detail17trampoline_kernelINS0_14default_configENS1_38merge_sort_block_merge_config_selectorIiNS0_10empty_typeEEEZZNS1_27merge_sort_block_merge_implIS3_N6thrust23THRUST_200600_302600_NS6detail15normal_iteratorINS9_10device_ptrIiEEEEPS5_jNS1_19radix_merge_compareILb0ELb1EiNS0_19identity_decomposerEEEEE10hipError_tT0_T1_T2_jT3_P12ihipStream_tbPNSt15iterator_traitsISK_E10value_typeEPNSQ_ISL_E10value_typeEPSM_NS1_7vsmem_tEENKUlT_SK_SL_SM_E_clIPiSE_SF_SF_EESJ_SZ_SK_SL_SM_EUlSZ_E1_NS1_11comp_targetILNS1_3genE2ELNS1_11target_archE906ELNS1_3gpuE6ELNS1_3repE0EEENS1_36merge_oddeven_config_static_selectorELNS0_4arch9wavefront6targetE1EEEvSL_
	.p2align	8
	.type	_ZN7rocprim17ROCPRIM_400000_NS6detail17trampoline_kernelINS0_14default_configENS1_38merge_sort_block_merge_config_selectorIiNS0_10empty_typeEEEZZNS1_27merge_sort_block_merge_implIS3_N6thrust23THRUST_200600_302600_NS6detail15normal_iteratorINS9_10device_ptrIiEEEEPS5_jNS1_19radix_merge_compareILb0ELb1EiNS0_19identity_decomposerEEEEE10hipError_tT0_T1_T2_jT3_P12ihipStream_tbPNSt15iterator_traitsISK_E10value_typeEPNSQ_ISL_E10value_typeEPSM_NS1_7vsmem_tEENKUlT_SK_SL_SM_E_clIPiSE_SF_SF_EESJ_SZ_SK_SL_SM_EUlSZ_E1_NS1_11comp_targetILNS1_3genE2ELNS1_11target_archE906ELNS1_3gpuE6ELNS1_3repE0EEENS1_36merge_oddeven_config_static_selectorELNS0_4arch9wavefront6targetE1EEEvSL_,@function
_ZN7rocprim17ROCPRIM_400000_NS6detail17trampoline_kernelINS0_14default_configENS1_38merge_sort_block_merge_config_selectorIiNS0_10empty_typeEEEZZNS1_27merge_sort_block_merge_implIS3_N6thrust23THRUST_200600_302600_NS6detail15normal_iteratorINS9_10device_ptrIiEEEEPS5_jNS1_19radix_merge_compareILb0ELb1EiNS0_19identity_decomposerEEEEE10hipError_tT0_T1_T2_jT3_P12ihipStream_tbPNSt15iterator_traitsISK_E10value_typeEPNSQ_ISL_E10value_typeEPSM_NS1_7vsmem_tEENKUlT_SK_SL_SM_E_clIPiSE_SF_SF_EESJ_SZ_SK_SL_SM_EUlSZ_E1_NS1_11comp_targetILNS1_3genE2ELNS1_11target_archE906ELNS1_3gpuE6ELNS1_3repE0EEENS1_36merge_oddeven_config_static_selectorELNS0_4arch9wavefront6targetE1EEEvSL_: ; @_ZN7rocprim17ROCPRIM_400000_NS6detail17trampoline_kernelINS0_14default_configENS1_38merge_sort_block_merge_config_selectorIiNS0_10empty_typeEEEZZNS1_27merge_sort_block_merge_implIS3_N6thrust23THRUST_200600_302600_NS6detail15normal_iteratorINS9_10device_ptrIiEEEEPS5_jNS1_19radix_merge_compareILb0ELb1EiNS0_19identity_decomposerEEEEE10hipError_tT0_T1_T2_jT3_P12ihipStream_tbPNSt15iterator_traitsISK_E10value_typeEPNSQ_ISL_E10value_typeEPSM_NS1_7vsmem_tEENKUlT_SK_SL_SM_E_clIPiSE_SF_SF_EESJ_SZ_SK_SL_SM_EUlSZ_E1_NS1_11comp_targetILNS1_3genE2ELNS1_11target_archE906ELNS1_3gpuE6ELNS1_3repE0EEENS1_36merge_oddeven_config_static_selectorELNS0_4arch9wavefront6targetE1EEEvSL_
; %bb.0:
	.section	.rodata,"a",@progbits
	.p2align	6, 0x0
	.amdhsa_kernel _ZN7rocprim17ROCPRIM_400000_NS6detail17trampoline_kernelINS0_14default_configENS1_38merge_sort_block_merge_config_selectorIiNS0_10empty_typeEEEZZNS1_27merge_sort_block_merge_implIS3_N6thrust23THRUST_200600_302600_NS6detail15normal_iteratorINS9_10device_ptrIiEEEEPS5_jNS1_19radix_merge_compareILb0ELb1EiNS0_19identity_decomposerEEEEE10hipError_tT0_T1_T2_jT3_P12ihipStream_tbPNSt15iterator_traitsISK_E10value_typeEPNSQ_ISL_E10value_typeEPSM_NS1_7vsmem_tEENKUlT_SK_SL_SM_E_clIPiSE_SF_SF_EESJ_SZ_SK_SL_SM_EUlSZ_E1_NS1_11comp_targetILNS1_3genE2ELNS1_11target_archE906ELNS1_3gpuE6ELNS1_3repE0EEENS1_36merge_oddeven_config_static_selectorELNS0_4arch9wavefront6targetE1EEEvSL_
		.amdhsa_group_segment_fixed_size 0
		.amdhsa_private_segment_fixed_size 0
		.amdhsa_kernarg_size 48
		.amdhsa_user_sgpr_count 2
		.amdhsa_user_sgpr_dispatch_ptr 0
		.amdhsa_user_sgpr_queue_ptr 0
		.amdhsa_user_sgpr_kernarg_segment_ptr 1
		.amdhsa_user_sgpr_dispatch_id 0
		.amdhsa_user_sgpr_kernarg_preload_length 0
		.amdhsa_user_sgpr_kernarg_preload_offset 0
		.amdhsa_user_sgpr_private_segment_size 0
		.amdhsa_uses_dynamic_stack 0
		.amdhsa_enable_private_segment 0
		.amdhsa_system_sgpr_workgroup_id_x 1
		.amdhsa_system_sgpr_workgroup_id_y 0
		.amdhsa_system_sgpr_workgroup_id_z 0
		.amdhsa_system_sgpr_workgroup_info 0
		.amdhsa_system_vgpr_workitem_id 0
		.amdhsa_next_free_vgpr 1
		.amdhsa_next_free_sgpr 0
		.amdhsa_accum_offset 4
		.amdhsa_reserve_vcc 0
		.amdhsa_float_round_mode_32 0
		.amdhsa_float_round_mode_16_64 0
		.amdhsa_float_denorm_mode_32 3
		.amdhsa_float_denorm_mode_16_64 3
		.amdhsa_dx10_clamp 1
		.amdhsa_ieee_mode 1
		.amdhsa_fp16_overflow 0
		.amdhsa_tg_split 0
		.amdhsa_exception_fp_ieee_invalid_op 0
		.amdhsa_exception_fp_denorm_src 0
		.amdhsa_exception_fp_ieee_div_zero 0
		.amdhsa_exception_fp_ieee_overflow 0
		.amdhsa_exception_fp_ieee_underflow 0
		.amdhsa_exception_fp_ieee_inexact 0
		.amdhsa_exception_int_div_zero 0
	.end_amdhsa_kernel
	.section	.text._ZN7rocprim17ROCPRIM_400000_NS6detail17trampoline_kernelINS0_14default_configENS1_38merge_sort_block_merge_config_selectorIiNS0_10empty_typeEEEZZNS1_27merge_sort_block_merge_implIS3_N6thrust23THRUST_200600_302600_NS6detail15normal_iteratorINS9_10device_ptrIiEEEEPS5_jNS1_19radix_merge_compareILb0ELb1EiNS0_19identity_decomposerEEEEE10hipError_tT0_T1_T2_jT3_P12ihipStream_tbPNSt15iterator_traitsISK_E10value_typeEPNSQ_ISL_E10value_typeEPSM_NS1_7vsmem_tEENKUlT_SK_SL_SM_E_clIPiSE_SF_SF_EESJ_SZ_SK_SL_SM_EUlSZ_E1_NS1_11comp_targetILNS1_3genE2ELNS1_11target_archE906ELNS1_3gpuE6ELNS1_3repE0EEENS1_36merge_oddeven_config_static_selectorELNS0_4arch9wavefront6targetE1EEEvSL_,"axG",@progbits,_ZN7rocprim17ROCPRIM_400000_NS6detail17trampoline_kernelINS0_14default_configENS1_38merge_sort_block_merge_config_selectorIiNS0_10empty_typeEEEZZNS1_27merge_sort_block_merge_implIS3_N6thrust23THRUST_200600_302600_NS6detail15normal_iteratorINS9_10device_ptrIiEEEEPS5_jNS1_19radix_merge_compareILb0ELb1EiNS0_19identity_decomposerEEEEE10hipError_tT0_T1_T2_jT3_P12ihipStream_tbPNSt15iterator_traitsISK_E10value_typeEPNSQ_ISL_E10value_typeEPSM_NS1_7vsmem_tEENKUlT_SK_SL_SM_E_clIPiSE_SF_SF_EESJ_SZ_SK_SL_SM_EUlSZ_E1_NS1_11comp_targetILNS1_3genE2ELNS1_11target_archE906ELNS1_3gpuE6ELNS1_3repE0EEENS1_36merge_oddeven_config_static_selectorELNS0_4arch9wavefront6targetE1EEEvSL_,comdat
.Lfunc_end105:
	.size	_ZN7rocprim17ROCPRIM_400000_NS6detail17trampoline_kernelINS0_14default_configENS1_38merge_sort_block_merge_config_selectorIiNS0_10empty_typeEEEZZNS1_27merge_sort_block_merge_implIS3_N6thrust23THRUST_200600_302600_NS6detail15normal_iteratorINS9_10device_ptrIiEEEEPS5_jNS1_19radix_merge_compareILb0ELb1EiNS0_19identity_decomposerEEEEE10hipError_tT0_T1_T2_jT3_P12ihipStream_tbPNSt15iterator_traitsISK_E10value_typeEPNSQ_ISL_E10value_typeEPSM_NS1_7vsmem_tEENKUlT_SK_SL_SM_E_clIPiSE_SF_SF_EESJ_SZ_SK_SL_SM_EUlSZ_E1_NS1_11comp_targetILNS1_3genE2ELNS1_11target_archE906ELNS1_3gpuE6ELNS1_3repE0EEENS1_36merge_oddeven_config_static_selectorELNS0_4arch9wavefront6targetE1EEEvSL_, .Lfunc_end105-_ZN7rocprim17ROCPRIM_400000_NS6detail17trampoline_kernelINS0_14default_configENS1_38merge_sort_block_merge_config_selectorIiNS0_10empty_typeEEEZZNS1_27merge_sort_block_merge_implIS3_N6thrust23THRUST_200600_302600_NS6detail15normal_iteratorINS9_10device_ptrIiEEEEPS5_jNS1_19radix_merge_compareILb0ELb1EiNS0_19identity_decomposerEEEEE10hipError_tT0_T1_T2_jT3_P12ihipStream_tbPNSt15iterator_traitsISK_E10value_typeEPNSQ_ISL_E10value_typeEPSM_NS1_7vsmem_tEENKUlT_SK_SL_SM_E_clIPiSE_SF_SF_EESJ_SZ_SK_SL_SM_EUlSZ_E1_NS1_11comp_targetILNS1_3genE2ELNS1_11target_archE906ELNS1_3gpuE6ELNS1_3repE0EEENS1_36merge_oddeven_config_static_selectorELNS0_4arch9wavefront6targetE1EEEvSL_
                                        ; -- End function
	.set _ZN7rocprim17ROCPRIM_400000_NS6detail17trampoline_kernelINS0_14default_configENS1_38merge_sort_block_merge_config_selectorIiNS0_10empty_typeEEEZZNS1_27merge_sort_block_merge_implIS3_N6thrust23THRUST_200600_302600_NS6detail15normal_iteratorINS9_10device_ptrIiEEEEPS5_jNS1_19radix_merge_compareILb0ELb1EiNS0_19identity_decomposerEEEEE10hipError_tT0_T1_T2_jT3_P12ihipStream_tbPNSt15iterator_traitsISK_E10value_typeEPNSQ_ISL_E10value_typeEPSM_NS1_7vsmem_tEENKUlT_SK_SL_SM_E_clIPiSE_SF_SF_EESJ_SZ_SK_SL_SM_EUlSZ_E1_NS1_11comp_targetILNS1_3genE2ELNS1_11target_archE906ELNS1_3gpuE6ELNS1_3repE0EEENS1_36merge_oddeven_config_static_selectorELNS0_4arch9wavefront6targetE1EEEvSL_.num_vgpr, 0
	.set _ZN7rocprim17ROCPRIM_400000_NS6detail17trampoline_kernelINS0_14default_configENS1_38merge_sort_block_merge_config_selectorIiNS0_10empty_typeEEEZZNS1_27merge_sort_block_merge_implIS3_N6thrust23THRUST_200600_302600_NS6detail15normal_iteratorINS9_10device_ptrIiEEEEPS5_jNS1_19radix_merge_compareILb0ELb1EiNS0_19identity_decomposerEEEEE10hipError_tT0_T1_T2_jT3_P12ihipStream_tbPNSt15iterator_traitsISK_E10value_typeEPNSQ_ISL_E10value_typeEPSM_NS1_7vsmem_tEENKUlT_SK_SL_SM_E_clIPiSE_SF_SF_EESJ_SZ_SK_SL_SM_EUlSZ_E1_NS1_11comp_targetILNS1_3genE2ELNS1_11target_archE906ELNS1_3gpuE6ELNS1_3repE0EEENS1_36merge_oddeven_config_static_selectorELNS0_4arch9wavefront6targetE1EEEvSL_.num_agpr, 0
	.set _ZN7rocprim17ROCPRIM_400000_NS6detail17trampoline_kernelINS0_14default_configENS1_38merge_sort_block_merge_config_selectorIiNS0_10empty_typeEEEZZNS1_27merge_sort_block_merge_implIS3_N6thrust23THRUST_200600_302600_NS6detail15normal_iteratorINS9_10device_ptrIiEEEEPS5_jNS1_19radix_merge_compareILb0ELb1EiNS0_19identity_decomposerEEEEE10hipError_tT0_T1_T2_jT3_P12ihipStream_tbPNSt15iterator_traitsISK_E10value_typeEPNSQ_ISL_E10value_typeEPSM_NS1_7vsmem_tEENKUlT_SK_SL_SM_E_clIPiSE_SF_SF_EESJ_SZ_SK_SL_SM_EUlSZ_E1_NS1_11comp_targetILNS1_3genE2ELNS1_11target_archE906ELNS1_3gpuE6ELNS1_3repE0EEENS1_36merge_oddeven_config_static_selectorELNS0_4arch9wavefront6targetE1EEEvSL_.numbered_sgpr, 0
	.set _ZN7rocprim17ROCPRIM_400000_NS6detail17trampoline_kernelINS0_14default_configENS1_38merge_sort_block_merge_config_selectorIiNS0_10empty_typeEEEZZNS1_27merge_sort_block_merge_implIS3_N6thrust23THRUST_200600_302600_NS6detail15normal_iteratorINS9_10device_ptrIiEEEEPS5_jNS1_19radix_merge_compareILb0ELb1EiNS0_19identity_decomposerEEEEE10hipError_tT0_T1_T2_jT3_P12ihipStream_tbPNSt15iterator_traitsISK_E10value_typeEPNSQ_ISL_E10value_typeEPSM_NS1_7vsmem_tEENKUlT_SK_SL_SM_E_clIPiSE_SF_SF_EESJ_SZ_SK_SL_SM_EUlSZ_E1_NS1_11comp_targetILNS1_3genE2ELNS1_11target_archE906ELNS1_3gpuE6ELNS1_3repE0EEENS1_36merge_oddeven_config_static_selectorELNS0_4arch9wavefront6targetE1EEEvSL_.num_named_barrier, 0
	.set _ZN7rocprim17ROCPRIM_400000_NS6detail17trampoline_kernelINS0_14default_configENS1_38merge_sort_block_merge_config_selectorIiNS0_10empty_typeEEEZZNS1_27merge_sort_block_merge_implIS3_N6thrust23THRUST_200600_302600_NS6detail15normal_iteratorINS9_10device_ptrIiEEEEPS5_jNS1_19radix_merge_compareILb0ELb1EiNS0_19identity_decomposerEEEEE10hipError_tT0_T1_T2_jT3_P12ihipStream_tbPNSt15iterator_traitsISK_E10value_typeEPNSQ_ISL_E10value_typeEPSM_NS1_7vsmem_tEENKUlT_SK_SL_SM_E_clIPiSE_SF_SF_EESJ_SZ_SK_SL_SM_EUlSZ_E1_NS1_11comp_targetILNS1_3genE2ELNS1_11target_archE906ELNS1_3gpuE6ELNS1_3repE0EEENS1_36merge_oddeven_config_static_selectorELNS0_4arch9wavefront6targetE1EEEvSL_.private_seg_size, 0
	.set _ZN7rocprim17ROCPRIM_400000_NS6detail17trampoline_kernelINS0_14default_configENS1_38merge_sort_block_merge_config_selectorIiNS0_10empty_typeEEEZZNS1_27merge_sort_block_merge_implIS3_N6thrust23THRUST_200600_302600_NS6detail15normal_iteratorINS9_10device_ptrIiEEEEPS5_jNS1_19radix_merge_compareILb0ELb1EiNS0_19identity_decomposerEEEEE10hipError_tT0_T1_T2_jT3_P12ihipStream_tbPNSt15iterator_traitsISK_E10value_typeEPNSQ_ISL_E10value_typeEPSM_NS1_7vsmem_tEENKUlT_SK_SL_SM_E_clIPiSE_SF_SF_EESJ_SZ_SK_SL_SM_EUlSZ_E1_NS1_11comp_targetILNS1_3genE2ELNS1_11target_archE906ELNS1_3gpuE6ELNS1_3repE0EEENS1_36merge_oddeven_config_static_selectorELNS0_4arch9wavefront6targetE1EEEvSL_.uses_vcc, 0
	.set _ZN7rocprim17ROCPRIM_400000_NS6detail17trampoline_kernelINS0_14default_configENS1_38merge_sort_block_merge_config_selectorIiNS0_10empty_typeEEEZZNS1_27merge_sort_block_merge_implIS3_N6thrust23THRUST_200600_302600_NS6detail15normal_iteratorINS9_10device_ptrIiEEEEPS5_jNS1_19radix_merge_compareILb0ELb1EiNS0_19identity_decomposerEEEEE10hipError_tT0_T1_T2_jT3_P12ihipStream_tbPNSt15iterator_traitsISK_E10value_typeEPNSQ_ISL_E10value_typeEPSM_NS1_7vsmem_tEENKUlT_SK_SL_SM_E_clIPiSE_SF_SF_EESJ_SZ_SK_SL_SM_EUlSZ_E1_NS1_11comp_targetILNS1_3genE2ELNS1_11target_archE906ELNS1_3gpuE6ELNS1_3repE0EEENS1_36merge_oddeven_config_static_selectorELNS0_4arch9wavefront6targetE1EEEvSL_.uses_flat_scratch, 0
	.set _ZN7rocprim17ROCPRIM_400000_NS6detail17trampoline_kernelINS0_14default_configENS1_38merge_sort_block_merge_config_selectorIiNS0_10empty_typeEEEZZNS1_27merge_sort_block_merge_implIS3_N6thrust23THRUST_200600_302600_NS6detail15normal_iteratorINS9_10device_ptrIiEEEEPS5_jNS1_19radix_merge_compareILb0ELb1EiNS0_19identity_decomposerEEEEE10hipError_tT0_T1_T2_jT3_P12ihipStream_tbPNSt15iterator_traitsISK_E10value_typeEPNSQ_ISL_E10value_typeEPSM_NS1_7vsmem_tEENKUlT_SK_SL_SM_E_clIPiSE_SF_SF_EESJ_SZ_SK_SL_SM_EUlSZ_E1_NS1_11comp_targetILNS1_3genE2ELNS1_11target_archE906ELNS1_3gpuE6ELNS1_3repE0EEENS1_36merge_oddeven_config_static_selectorELNS0_4arch9wavefront6targetE1EEEvSL_.has_dyn_sized_stack, 0
	.set _ZN7rocprim17ROCPRIM_400000_NS6detail17trampoline_kernelINS0_14default_configENS1_38merge_sort_block_merge_config_selectorIiNS0_10empty_typeEEEZZNS1_27merge_sort_block_merge_implIS3_N6thrust23THRUST_200600_302600_NS6detail15normal_iteratorINS9_10device_ptrIiEEEEPS5_jNS1_19radix_merge_compareILb0ELb1EiNS0_19identity_decomposerEEEEE10hipError_tT0_T1_T2_jT3_P12ihipStream_tbPNSt15iterator_traitsISK_E10value_typeEPNSQ_ISL_E10value_typeEPSM_NS1_7vsmem_tEENKUlT_SK_SL_SM_E_clIPiSE_SF_SF_EESJ_SZ_SK_SL_SM_EUlSZ_E1_NS1_11comp_targetILNS1_3genE2ELNS1_11target_archE906ELNS1_3gpuE6ELNS1_3repE0EEENS1_36merge_oddeven_config_static_selectorELNS0_4arch9wavefront6targetE1EEEvSL_.has_recursion, 0
	.set _ZN7rocprim17ROCPRIM_400000_NS6detail17trampoline_kernelINS0_14default_configENS1_38merge_sort_block_merge_config_selectorIiNS0_10empty_typeEEEZZNS1_27merge_sort_block_merge_implIS3_N6thrust23THRUST_200600_302600_NS6detail15normal_iteratorINS9_10device_ptrIiEEEEPS5_jNS1_19radix_merge_compareILb0ELb1EiNS0_19identity_decomposerEEEEE10hipError_tT0_T1_T2_jT3_P12ihipStream_tbPNSt15iterator_traitsISK_E10value_typeEPNSQ_ISL_E10value_typeEPSM_NS1_7vsmem_tEENKUlT_SK_SL_SM_E_clIPiSE_SF_SF_EESJ_SZ_SK_SL_SM_EUlSZ_E1_NS1_11comp_targetILNS1_3genE2ELNS1_11target_archE906ELNS1_3gpuE6ELNS1_3repE0EEENS1_36merge_oddeven_config_static_selectorELNS0_4arch9wavefront6targetE1EEEvSL_.has_indirect_call, 0
	.section	.AMDGPU.csdata,"",@progbits
; Kernel info:
; codeLenInByte = 0
; TotalNumSgprs: 6
; NumVgprs: 0
; NumAgprs: 0
; TotalNumVgprs: 0
; ScratchSize: 0
; MemoryBound: 0
; FloatMode: 240
; IeeeMode: 1
; LDSByteSize: 0 bytes/workgroup (compile time only)
; SGPRBlocks: 0
; VGPRBlocks: 0
; NumSGPRsForWavesPerEU: 6
; NumVGPRsForWavesPerEU: 1
; AccumOffset: 4
; Occupancy: 8
; WaveLimiterHint : 0
; COMPUTE_PGM_RSRC2:SCRATCH_EN: 0
; COMPUTE_PGM_RSRC2:USER_SGPR: 2
; COMPUTE_PGM_RSRC2:TRAP_HANDLER: 0
; COMPUTE_PGM_RSRC2:TGID_X_EN: 1
; COMPUTE_PGM_RSRC2:TGID_Y_EN: 0
; COMPUTE_PGM_RSRC2:TGID_Z_EN: 0
; COMPUTE_PGM_RSRC2:TIDIG_COMP_CNT: 0
; COMPUTE_PGM_RSRC3_GFX90A:ACCUM_OFFSET: 0
; COMPUTE_PGM_RSRC3_GFX90A:TG_SPLIT: 0
	.section	.text._ZN7rocprim17ROCPRIM_400000_NS6detail17trampoline_kernelINS0_14default_configENS1_38merge_sort_block_merge_config_selectorIiNS0_10empty_typeEEEZZNS1_27merge_sort_block_merge_implIS3_N6thrust23THRUST_200600_302600_NS6detail15normal_iteratorINS9_10device_ptrIiEEEEPS5_jNS1_19radix_merge_compareILb0ELb1EiNS0_19identity_decomposerEEEEE10hipError_tT0_T1_T2_jT3_P12ihipStream_tbPNSt15iterator_traitsISK_E10value_typeEPNSQ_ISL_E10value_typeEPSM_NS1_7vsmem_tEENKUlT_SK_SL_SM_E_clIPiSE_SF_SF_EESJ_SZ_SK_SL_SM_EUlSZ_E1_NS1_11comp_targetILNS1_3genE9ELNS1_11target_archE1100ELNS1_3gpuE3ELNS1_3repE0EEENS1_36merge_oddeven_config_static_selectorELNS0_4arch9wavefront6targetE1EEEvSL_,"axG",@progbits,_ZN7rocprim17ROCPRIM_400000_NS6detail17trampoline_kernelINS0_14default_configENS1_38merge_sort_block_merge_config_selectorIiNS0_10empty_typeEEEZZNS1_27merge_sort_block_merge_implIS3_N6thrust23THRUST_200600_302600_NS6detail15normal_iteratorINS9_10device_ptrIiEEEEPS5_jNS1_19radix_merge_compareILb0ELb1EiNS0_19identity_decomposerEEEEE10hipError_tT0_T1_T2_jT3_P12ihipStream_tbPNSt15iterator_traitsISK_E10value_typeEPNSQ_ISL_E10value_typeEPSM_NS1_7vsmem_tEENKUlT_SK_SL_SM_E_clIPiSE_SF_SF_EESJ_SZ_SK_SL_SM_EUlSZ_E1_NS1_11comp_targetILNS1_3genE9ELNS1_11target_archE1100ELNS1_3gpuE3ELNS1_3repE0EEENS1_36merge_oddeven_config_static_selectorELNS0_4arch9wavefront6targetE1EEEvSL_,comdat
	.protected	_ZN7rocprim17ROCPRIM_400000_NS6detail17trampoline_kernelINS0_14default_configENS1_38merge_sort_block_merge_config_selectorIiNS0_10empty_typeEEEZZNS1_27merge_sort_block_merge_implIS3_N6thrust23THRUST_200600_302600_NS6detail15normal_iteratorINS9_10device_ptrIiEEEEPS5_jNS1_19radix_merge_compareILb0ELb1EiNS0_19identity_decomposerEEEEE10hipError_tT0_T1_T2_jT3_P12ihipStream_tbPNSt15iterator_traitsISK_E10value_typeEPNSQ_ISL_E10value_typeEPSM_NS1_7vsmem_tEENKUlT_SK_SL_SM_E_clIPiSE_SF_SF_EESJ_SZ_SK_SL_SM_EUlSZ_E1_NS1_11comp_targetILNS1_3genE9ELNS1_11target_archE1100ELNS1_3gpuE3ELNS1_3repE0EEENS1_36merge_oddeven_config_static_selectorELNS0_4arch9wavefront6targetE1EEEvSL_ ; -- Begin function _ZN7rocprim17ROCPRIM_400000_NS6detail17trampoline_kernelINS0_14default_configENS1_38merge_sort_block_merge_config_selectorIiNS0_10empty_typeEEEZZNS1_27merge_sort_block_merge_implIS3_N6thrust23THRUST_200600_302600_NS6detail15normal_iteratorINS9_10device_ptrIiEEEEPS5_jNS1_19radix_merge_compareILb0ELb1EiNS0_19identity_decomposerEEEEE10hipError_tT0_T1_T2_jT3_P12ihipStream_tbPNSt15iterator_traitsISK_E10value_typeEPNSQ_ISL_E10value_typeEPSM_NS1_7vsmem_tEENKUlT_SK_SL_SM_E_clIPiSE_SF_SF_EESJ_SZ_SK_SL_SM_EUlSZ_E1_NS1_11comp_targetILNS1_3genE9ELNS1_11target_archE1100ELNS1_3gpuE3ELNS1_3repE0EEENS1_36merge_oddeven_config_static_selectorELNS0_4arch9wavefront6targetE1EEEvSL_
	.globl	_ZN7rocprim17ROCPRIM_400000_NS6detail17trampoline_kernelINS0_14default_configENS1_38merge_sort_block_merge_config_selectorIiNS0_10empty_typeEEEZZNS1_27merge_sort_block_merge_implIS3_N6thrust23THRUST_200600_302600_NS6detail15normal_iteratorINS9_10device_ptrIiEEEEPS5_jNS1_19radix_merge_compareILb0ELb1EiNS0_19identity_decomposerEEEEE10hipError_tT0_T1_T2_jT3_P12ihipStream_tbPNSt15iterator_traitsISK_E10value_typeEPNSQ_ISL_E10value_typeEPSM_NS1_7vsmem_tEENKUlT_SK_SL_SM_E_clIPiSE_SF_SF_EESJ_SZ_SK_SL_SM_EUlSZ_E1_NS1_11comp_targetILNS1_3genE9ELNS1_11target_archE1100ELNS1_3gpuE3ELNS1_3repE0EEENS1_36merge_oddeven_config_static_selectorELNS0_4arch9wavefront6targetE1EEEvSL_
	.p2align	8
	.type	_ZN7rocprim17ROCPRIM_400000_NS6detail17trampoline_kernelINS0_14default_configENS1_38merge_sort_block_merge_config_selectorIiNS0_10empty_typeEEEZZNS1_27merge_sort_block_merge_implIS3_N6thrust23THRUST_200600_302600_NS6detail15normal_iteratorINS9_10device_ptrIiEEEEPS5_jNS1_19radix_merge_compareILb0ELb1EiNS0_19identity_decomposerEEEEE10hipError_tT0_T1_T2_jT3_P12ihipStream_tbPNSt15iterator_traitsISK_E10value_typeEPNSQ_ISL_E10value_typeEPSM_NS1_7vsmem_tEENKUlT_SK_SL_SM_E_clIPiSE_SF_SF_EESJ_SZ_SK_SL_SM_EUlSZ_E1_NS1_11comp_targetILNS1_3genE9ELNS1_11target_archE1100ELNS1_3gpuE3ELNS1_3repE0EEENS1_36merge_oddeven_config_static_selectorELNS0_4arch9wavefront6targetE1EEEvSL_,@function
_ZN7rocprim17ROCPRIM_400000_NS6detail17trampoline_kernelINS0_14default_configENS1_38merge_sort_block_merge_config_selectorIiNS0_10empty_typeEEEZZNS1_27merge_sort_block_merge_implIS3_N6thrust23THRUST_200600_302600_NS6detail15normal_iteratorINS9_10device_ptrIiEEEEPS5_jNS1_19radix_merge_compareILb0ELb1EiNS0_19identity_decomposerEEEEE10hipError_tT0_T1_T2_jT3_P12ihipStream_tbPNSt15iterator_traitsISK_E10value_typeEPNSQ_ISL_E10value_typeEPSM_NS1_7vsmem_tEENKUlT_SK_SL_SM_E_clIPiSE_SF_SF_EESJ_SZ_SK_SL_SM_EUlSZ_E1_NS1_11comp_targetILNS1_3genE9ELNS1_11target_archE1100ELNS1_3gpuE3ELNS1_3repE0EEENS1_36merge_oddeven_config_static_selectorELNS0_4arch9wavefront6targetE1EEEvSL_: ; @_ZN7rocprim17ROCPRIM_400000_NS6detail17trampoline_kernelINS0_14default_configENS1_38merge_sort_block_merge_config_selectorIiNS0_10empty_typeEEEZZNS1_27merge_sort_block_merge_implIS3_N6thrust23THRUST_200600_302600_NS6detail15normal_iteratorINS9_10device_ptrIiEEEEPS5_jNS1_19radix_merge_compareILb0ELb1EiNS0_19identity_decomposerEEEEE10hipError_tT0_T1_T2_jT3_P12ihipStream_tbPNSt15iterator_traitsISK_E10value_typeEPNSQ_ISL_E10value_typeEPSM_NS1_7vsmem_tEENKUlT_SK_SL_SM_E_clIPiSE_SF_SF_EESJ_SZ_SK_SL_SM_EUlSZ_E1_NS1_11comp_targetILNS1_3genE9ELNS1_11target_archE1100ELNS1_3gpuE3ELNS1_3repE0EEENS1_36merge_oddeven_config_static_selectorELNS0_4arch9wavefront6targetE1EEEvSL_
; %bb.0:
	.section	.rodata,"a",@progbits
	.p2align	6, 0x0
	.amdhsa_kernel _ZN7rocprim17ROCPRIM_400000_NS6detail17trampoline_kernelINS0_14default_configENS1_38merge_sort_block_merge_config_selectorIiNS0_10empty_typeEEEZZNS1_27merge_sort_block_merge_implIS3_N6thrust23THRUST_200600_302600_NS6detail15normal_iteratorINS9_10device_ptrIiEEEEPS5_jNS1_19radix_merge_compareILb0ELb1EiNS0_19identity_decomposerEEEEE10hipError_tT0_T1_T2_jT3_P12ihipStream_tbPNSt15iterator_traitsISK_E10value_typeEPNSQ_ISL_E10value_typeEPSM_NS1_7vsmem_tEENKUlT_SK_SL_SM_E_clIPiSE_SF_SF_EESJ_SZ_SK_SL_SM_EUlSZ_E1_NS1_11comp_targetILNS1_3genE9ELNS1_11target_archE1100ELNS1_3gpuE3ELNS1_3repE0EEENS1_36merge_oddeven_config_static_selectorELNS0_4arch9wavefront6targetE1EEEvSL_
		.amdhsa_group_segment_fixed_size 0
		.amdhsa_private_segment_fixed_size 0
		.amdhsa_kernarg_size 48
		.amdhsa_user_sgpr_count 2
		.amdhsa_user_sgpr_dispatch_ptr 0
		.amdhsa_user_sgpr_queue_ptr 0
		.amdhsa_user_sgpr_kernarg_segment_ptr 1
		.amdhsa_user_sgpr_dispatch_id 0
		.amdhsa_user_sgpr_kernarg_preload_length 0
		.amdhsa_user_sgpr_kernarg_preload_offset 0
		.amdhsa_user_sgpr_private_segment_size 0
		.amdhsa_uses_dynamic_stack 0
		.amdhsa_enable_private_segment 0
		.amdhsa_system_sgpr_workgroup_id_x 1
		.amdhsa_system_sgpr_workgroup_id_y 0
		.amdhsa_system_sgpr_workgroup_id_z 0
		.amdhsa_system_sgpr_workgroup_info 0
		.amdhsa_system_vgpr_workitem_id 0
		.amdhsa_next_free_vgpr 1
		.amdhsa_next_free_sgpr 0
		.amdhsa_accum_offset 4
		.amdhsa_reserve_vcc 0
		.amdhsa_float_round_mode_32 0
		.amdhsa_float_round_mode_16_64 0
		.amdhsa_float_denorm_mode_32 3
		.amdhsa_float_denorm_mode_16_64 3
		.amdhsa_dx10_clamp 1
		.amdhsa_ieee_mode 1
		.amdhsa_fp16_overflow 0
		.amdhsa_tg_split 0
		.amdhsa_exception_fp_ieee_invalid_op 0
		.amdhsa_exception_fp_denorm_src 0
		.amdhsa_exception_fp_ieee_div_zero 0
		.amdhsa_exception_fp_ieee_overflow 0
		.amdhsa_exception_fp_ieee_underflow 0
		.amdhsa_exception_fp_ieee_inexact 0
		.amdhsa_exception_int_div_zero 0
	.end_amdhsa_kernel
	.section	.text._ZN7rocprim17ROCPRIM_400000_NS6detail17trampoline_kernelINS0_14default_configENS1_38merge_sort_block_merge_config_selectorIiNS0_10empty_typeEEEZZNS1_27merge_sort_block_merge_implIS3_N6thrust23THRUST_200600_302600_NS6detail15normal_iteratorINS9_10device_ptrIiEEEEPS5_jNS1_19radix_merge_compareILb0ELb1EiNS0_19identity_decomposerEEEEE10hipError_tT0_T1_T2_jT3_P12ihipStream_tbPNSt15iterator_traitsISK_E10value_typeEPNSQ_ISL_E10value_typeEPSM_NS1_7vsmem_tEENKUlT_SK_SL_SM_E_clIPiSE_SF_SF_EESJ_SZ_SK_SL_SM_EUlSZ_E1_NS1_11comp_targetILNS1_3genE9ELNS1_11target_archE1100ELNS1_3gpuE3ELNS1_3repE0EEENS1_36merge_oddeven_config_static_selectorELNS0_4arch9wavefront6targetE1EEEvSL_,"axG",@progbits,_ZN7rocprim17ROCPRIM_400000_NS6detail17trampoline_kernelINS0_14default_configENS1_38merge_sort_block_merge_config_selectorIiNS0_10empty_typeEEEZZNS1_27merge_sort_block_merge_implIS3_N6thrust23THRUST_200600_302600_NS6detail15normal_iteratorINS9_10device_ptrIiEEEEPS5_jNS1_19radix_merge_compareILb0ELb1EiNS0_19identity_decomposerEEEEE10hipError_tT0_T1_T2_jT3_P12ihipStream_tbPNSt15iterator_traitsISK_E10value_typeEPNSQ_ISL_E10value_typeEPSM_NS1_7vsmem_tEENKUlT_SK_SL_SM_E_clIPiSE_SF_SF_EESJ_SZ_SK_SL_SM_EUlSZ_E1_NS1_11comp_targetILNS1_3genE9ELNS1_11target_archE1100ELNS1_3gpuE3ELNS1_3repE0EEENS1_36merge_oddeven_config_static_selectorELNS0_4arch9wavefront6targetE1EEEvSL_,comdat
.Lfunc_end106:
	.size	_ZN7rocprim17ROCPRIM_400000_NS6detail17trampoline_kernelINS0_14default_configENS1_38merge_sort_block_merge_config_selectorIiNS0_10empty_typeEEEZZNS1_27merge_sort_block_merge_implIS3_N6thrust23THRUST_200600_302600_NS6detail15normal_iteratorINS9_10device_ptrIiEEEEPS5_jNS1_19radix_merge_compareILb0ELb1EiNS0_19identity_decomposerEEEEE10hipError_tT0_T1_T2_jT3_P12ihipStream_tbPNSt15iterator_traitsISK_E10value_typeEPNSQ_ISL_E10value_typeEPSM_NS1_7vsmem_tEENKUlT_SK_SL_SM_E_clIPiSE_SF_SF_EESJ_SZ_SK_SL_SM_EUlSZ_E1_NS1_11comp_targetILNS1_3genE9ELNS1_11target_archE1100ELNS1_3gpuE3ELNS1_3repE0EEENS1_36merge_oddeven_config_static_selectorELNS0_4arch9wavefront6targetE1EEEvSL_, .Lfunc_end106-_ZN7rocprim17ROCPRIM_400000_NS6detail17trampoline_kernelINS0_14default_configENS1_38merge_sort_block_merge_config_selectorIiNS0_10empty_typeEEEZZNS1_27merge_sort_block_merge_implIS3_N6thrust23THRUST_200600_302600_NS6detail15normal_iteratorINS9_10device_ptrIiEEEEPS5_jNS1_19radix_merge_compareILb0ELb1EiNS0_19identity_decomposerEEEEE10hipError_tT0_T1_T2_jT3_P12ihipStream_tbPNSt15iterator_traitsISK_E10value_typeEPNSQ_ISL_E10value_typeEPSM_NS1_7vsmem_tEENKUlT_SK_SL_SM_E_clIPiSE_SF_SF_EESJ_SZ_SK_SL_SM_EUlSZ_E1_NS1_11comp_targetILNS1_3genE9ELNS1_11target_archE1100ELNS1_3gpuE3ELNS1_3repE0EEENS1_36merge_oddeven_config_static_selectorELNS0_4arch9wavefront6targetE1EEEvSL_
                                        ; -- End function
	.set _ZN7rocprim17ROCPRIM_400000_NS6detail17trampoline_kernelINS0_14default_configENS1_38merge_sort_block_merge_config_selectorIiNS0_10empty_typeEEEZZNS1_27merge_sort_block_merge_implIS3_N6thrust23THRUST_200600_302600_NS6detail15normal_iteratorINS9_10device_ptrIiEEEEPS5_jNS1_19radix_merge_compareILb0ELb1EiNS0_19identity_decomposerEEEEE10hipError_tT0_T1_T2_jT3_P12ihipStream_tbPNSt15iterator_traitsISK_E10value_typeEPNSQ_ISL_E10value_typeEPSM_NS1_7vsmem_tEENKUlT_SK_SL_SM_E_clIPiSE_SF_SF_EESJ_SZ_SK_SL_SM_EUlSZ_E1_NS1_11comp_targetILNS1_3genE9ELNS1_11target_archE1100ELNS1_3gpuE3ELNS1_3repE0EEENS1_36merge_oddeven_config_static_selectorELNS0_4arch9wavefront6targetE1EEEvSL_.num_vgpr, 0
	.set _ZN7rocprim17ROCPRIM_400000_NS6detail17trampoline_kernelINS0_14default_configENS1_38merge_sort_block_merge_config_selectorIiNS0_10empty_typeEEEZZNS1_27merge_sort_block_merge_implIS3_N6thrust23THRUST_200600_302600_NS6detail15normal_iteratorINS9_10device_ptrIiEEEEPS5_jNS1_19radix_merge_compareILb0ELb1EiNS0_19identity_decomposerEEEEE10hipError_tT0_T1_T2_jT3_P12ihipStream_tbPNSt15iterator_traitsISK_E10value_typeEPNSQ_ISL_E10value_typeEPSM_NS1_7vsmem_tEENKUlT_SK_SL_SM_E_clIPiSE_SF_SF_EESJ_SZ_SK_SL_SM_EUlSZ_E1_NS1_11comp_targetILNS1_3genE9ELNS1_11target_archE1100ELNS1_3gpuE3ELNS1_3repE0EEENS1_36merge_oddeven_config_static_selectorELNS0_4arch9wavefront6targetE1EEEvSL_.num_agpr, 0
	.set _ZN7rocprim17ROCPRIM_400000_NS6detail17trampoline_kernelINS0_14default_configENS1_38merge_sort_block_merge_config_selectorIiNS0_10empty_typeEEEZZNS1_27merge_sort_block_merge_implIS3_N6thrust23THRUST_200600_302600_NS6detail15normal_iteratorINS9_10device_ptrIiEEEEPS5_jNS1_19radix_merge_compareILb0ELb1EiNS0_19identity_decomposerEEEEE10hipError_tT0_T1_T2_jT3_P12ihipStream_tbPNSt15iterator_traitsISK_E10value_typeEPNSQ_ISL_E10value_typeEPSM_NS1_7vsmem_tEENKUlT_SK_SL_SM_E_clIPiSE_SF_SF_EESJ_SZ_SK_SL_SM_EUlSZ_E1_NS1_11comp_targetILNS1_3genE9ELNS1_11target_archE1100ELNS1_3gpuE3ELNS1_3repE0EEENS1_36merge_oddeven_config_static_selectorELNS0_4arch9wavefront6targetE1EEEvSL_.numbered_sgpr, 0
	.set _ZN7rocprim17ROCPRIM_400000_NS6detail17trampoline_kernelINS0_14default_configENS1_38merge_sort_block_merge_config_selectorIiNS0_10empty_typeEEEZZNS1_27merge_sort_block_merge_implIS3_N6thrust23THRUST_200600_302600_NS6detail15normal_iteratorINS9_10device_ptrIiEEEEPS5_jNS1_19radix_merge_compareILb0ELb1EiNS0_19identity_decomposerEEEEE10hipError_tT0_T1_T2_jT3_P12ihipStream_tbPNSt15iterator_traitsISK_E10value_typeEPNSQ_ISL_E10value_typeEPSM_NS1_7vsmem_tEENKUlT_SK_SL_SM_E_clIPiSE_SF_SF_EESJ_SZ_SK_SL_SM_EUlSZ_E1_NS1_11comp_targetILNS1_3genE9ELNS1_11target_archE1100ELNS1_3gpuE3ELNS1_3repE0EEENS1_36merge_oddeven_config_static_selectorELNS0_4arch9wavefront6targetE1EEEvSL_.num_named_barrier, 0
	.set _ZN7rocprim17ROCPRIM_400000_NS6detail17trampoline_kernelINS0_14default_configENS1_38merge_sort_block_merge_config_selectorIiNS0_10empty_typeEEEZZNS1_27merge_sort_block_merge_implIS3_N6thrust23THRUST_200600_302600_NS6detail15normal_iteratorINS9_10device_ptrIiEEEEPS5_jNS1_19radix_merge_compareILb0ELb1EiNS0_19identity_decomposerEEEEE10hipError_tT0_T1_T2_jT3_P12ihipStream_tbPNSt15iterator_traitsISK_E10value_typeEPNSQ_ISL_E10value_typeEPSM_NS1_7vsmem_tEENKUlT_SK_SL_SM_E_clIPiSE_SF_SF_EESJ_SZ_SK_SL_SM_EUlSZ_E1_NS1_11comp_targetILNS1_3genE9ELNS1_11target_archE1100ELNS1_3gpuE3ELNS1_3repE0EEENS1_36merge_oddeven_config_static_selectorELNS0_4arch9wavefront6targetE1EEEvSL_.private_seg_size, 0
	.set _ZN7rocprim17ROCPRIM_400000_NS6detail17trampoline_kernelINS0_14default_configENS1_38merge_sort_block_merge_config_selectorIiNS0_10empty_typeEEEZZNS1_27merge_sort_block_merge_implIS3_N6thrust23THRUST_200600_302600_NS6detail15normal_iteratorINS9_10device_ptrIiEEEEPS5_jNS1_19radix_merge_compareILb0ELb1EiNS0_19identity_decomposerEEEEE10hipError_tT0_T1_T2_jT3_P12ihipStream_tbPNSt15iterator_traitsISK_E10value_typeEPNSQ_ISL_E10value_typeEPSM_NS1_7vsmem_tEENKUlT_SK_SL_SM_E_clIPiSE_SF_SF_EESJ_SZ_SK_SL_SM_EUlSZ_E1_NS1_11comp_targetILNS1_3genE9ELNS1_11target_archE1100ELNS1_3gpuE3ELNS1_3repE0EEENS1_36merge_oddeven_config_static_selectorELNS0_4arch9wavefront6targetE1EEEvSL_.uses_vcc, 0
	.set _ZN7rocprim17ROCPRIM_400000_NS6detail17trampoline_kernelINS0_14default_configENS1_38merge_sort_block_merge_config_selectorIiNS0_10empty_typeEEEZZNS1_27merge_sort_block_merge_implIS3_N6thrust23THRUST_200600_302600_NS6detail15normal_iteratorINS9_10device_ptrIiEEEEPS5_jNS1_19radix_merge_compareILb0ELb1EiNS0_19identity_decomposerEEEEE10hipError_tT0_T1_T2_jT3_P12ihipStream_tbPNSt15iterator_traitsISK_E10value_typeEPNSQ_ISL_E10value_typeEPSM_NS1_7vsmem_tEENKUlT_SK_SL_SM_E_clIPiSE_SF_SF_EESJ_SZ_SK_SL_SM_EUlSZ_E1_NS1_11comp_targetILNS1_3genE9ELNS1_11target_archE1100ELNS1_3gpuE3ELNS1_3repE0EEENS1_36merge_oddeven_config_static_selectorELNS0_4arch9wavefront6targetE1EEEvSL_.uses_flat_scratch, 0
	.set _ZN7rocprim17ROCPRIM_400000_NS6detail17trampoline_kernelINS0_14default_configENS1_38merge_sort_block_merge_config_selectorIiNS0_10empty_typeEEEZZNS1_27merge_sort_block_merge_implIS3_N6thrust23THRUST_200600_302600_NS6detail15normal_iteratorINS9_10device_ptrIiEEEEPS5_jNS1_19radix_merge_compareILb0ELb1EiNS0_19identity_decomposerEEEEE10hipError_tT0_T1_T2_jT3_P12ihipStream_tbPNSt15iterator_traitsISK_E10value_typeEPNSQ_ISL_E10value_typeEPSM_NS1_7vsmem_tEENKUlT_SK_SL_SM_E_clIPiSE_SF_SF_EESJ_SZ_SK_SL_SM_EUlSZ_E1_NS1_11comp_targetILNS1_3genE9ELNS1_11target_archE1100ELNS1_3gpuE3ELNS1_3repE0EEENS1_36merge_oddeven_config_static_selectorELNS0_4arch9wavefront6targetE1EEEvSL_.has_dyn_sized_stack, 0
	.set _ZN7rocprim17ROCPRIM_400000_NS6detail17trampoline_kernelINS0_14default_configENS1_38merge_sort_block_merge_config_selectorIiNS0_10empty_typeEEEZZNS1_27merge_sort_block_merge_implIS3_N6thrust23THRUST_200600_302600_NS6detail15normal_iteratorINS9_10device_ptrIiEEEEPS5_jNS1_19radix_merge_compareILb0ELb1EiNS0_19identity_decomposerEEEEE10hipError_tT0_T1_T2_jT3_P12ihipStream_tbPNSt15iterator_traitsISK_E10value_typeEPNSQ_ISL_E10value_typeEPSM_NS1_7vsmem_tEENKUlT_SK_SL_SM_E_clIPiSE_SF_SF_EESJ_SZ_SK_SL_SM_EUlSZ_E1_NS1_11comp_targetILNS1_3genE9ELNS1_11target_archE1100ELNS1_3gpuE3ELNS1_3repE0EEENS1_36merge_oddeven_config_static_selectorELNS0_4arch9wavefront6targetE1EEEvSL_.has_recursion, 0
	.set _ZN7rocprim17ROCPRIM_400000_NS6detail17trampoline_kernelINS0_14default_configENS1_38merge_sort_block_merge_config_selectorIiNS0_10empty_typeEEEZZNS1_27merge_sort_block_merge_implIS3_N6thrust23THRUST_200600_302600_NS6detail15normal_iteratorINS9_10device_ptrIiEEEEPS5_jNS1_19radix_merge_compareILb0ELb1EiNS0_19identity_decomposerEEEEE10hipError_tT0_T1_T2_jT3_P12ihipStream_tbPNSt15iterator_traitsISK_E10value_typeEPNSQ_ISL_E10value_typeEPSM_NS1_7vsmem_tEENKUlT_SK_SL_SM_E_clIPiSE_SF_SF_EESJ_SZ_SK_SL_SM_EUlSZ_E1_NS1_11comp_targetILNS1_3genE9ELNS1_11target_archE1100ELNS1_3gpuE3ELNS1_3repE0EEENS1_36merge_oddeven_config_static_selectorELNS0_4arch9wavefront6targetE1EEEvSL_.has_indirect_call, 0
	.section	.AMDGPU.csdata,"",@progbits
; Kernel info:
; codeLenInByte = 0
; TotalNumSgprs: 6
; NumVgprs: 0
; NumAgprs: 0
; TotalNumVgprs: 0
; ScratchSize: 0
; MemoryBound: 0
; FloatMode: 240
; IeeeMode: 1
; LDSByteSize: 0 bytes/workgroup (compile time only)
; SGPRBlocks: 0
; VGPRBlocks: 0
; NumSGPRsForWavesPerEU: 6
; NumVGPRsForWavesPerEU: 1
; AccumOffset: 4
; Occupancy: 8
; WaveLimiterHint : 0
; COMPUTE_PGM_RSRC2:SCRATCH_EN: 0
; COMPUTE_PGM_RSRC2:USER_SGPR: 2
; COMPUTE_PGM_RSRC2:TRAP_HANDLER: 0
; COMPUTE_PGM_RSRC2:TGID_X_EN: 1
; COMPUTE_PGM_RSRC2:TGID_Y_EN: 0
; COMPUTE_PGM_RSRC2:TGID_Z_EN: 0
; COMPUTE_PGM_RSRC2:TIDIG_COMP_CNT: 0
; COMPUTE_PGM_RSRC3_GFX90A:ACCUM_OFFSET: 0
; COMPUTE_PGM_RSRC3_GFX90A:TG_SPLIT: 0
	.section	.text._ZN7rocprim17ROCPRIM_400000_NS6detail17trampoline_kernelINS0_14default_configENS1_38merge_sort_block_merge_config_selectorIiNS0_10empty_typeEEEZZNS1_27merge_sort_block_merge_implIS3_N6thrust23THRUST_200600_302600_NS6detail15normal_iteratorINS9_10device_ptrIiEEEEPS5_jNS1_19radix_merge_compareILb0ELb1EiNS0_19identity_decomposerEEEEE10hipError_tT0_T1_T2_jT3_P12ihipStream_tbPNSt15iterator_traitsISK_E10value_typeEPNSQ_ISL_E10value_typeEPSM_NS1_7vsmem_tEENKUlT_SK_SL_SM_E_clIPiSE_SF_SF_EESJ_SZ_SK_SL_SM_EUlSZ_E1_NS1_11comp_targetILNS1_3genE8ELNS1_11target_archE1030ELNS1_3gpuE2ELNS1_3repE0EEENS1_36merge_oddeven_config_static_selectorELNS0_4arch9wavefront6targetE1EEEvSL_,"axG",@progbits,_ZN7rocprim17ROCPRIM_400000_NS6detail17trampoline_kernelINS0_14default_configENS1_38merge_sort_block_merge_config_selectorIiNS0_10empty_typeEEEZZNS1_27merge_sort_block_merge_implIS3_N6thrust23THRUST_200600_302600_NS6detail15normal_iteratorINS9_10device_ptrIiEEEEPS5_jNS1_19radix_merge_compareILb0ELb1EiNS0_19identity_decomposerEEEEE10hipError_tT0_T1_T2_jT3_P12ihipStream_tbPNSt15iterator_traitsISK_E10value_typeEPNSQ_ISL_E10value_typeEPSM_NS1_7vsmem_tEENKUlT_SK_SL_SM_E_clIPiSE_SF_SF_EESJ_SZ_SK_SL_SM_EUlSZ_E1_NS1_11comp_targetILNS1_3genE8ELNS1_11target_archE1030ELNS1_3gpuE2ELNS1_3repE0EEENS1_36merge_oddeven_config_static_selectorELNS0_4arch9wavefront6targetE1EEEvSL_,comdat
	.protected	_ZN7rocprim17ROCPRIM_400000_NS6detail17trampoline_kernelINS0_14default_configENS1_38merge_sort_block_merge_config_selectorIiNS0_10empty_typeEEEZZNS1_27merge_sort_block_merge_implIS3_N6thrust23THRUST_200600_302600_NS6detail15normal_iteratorINS9_10device_ptrIiEEEEPS5_jNS1_19radix_merge_compareILb0ELb1EiNS0_19identity_decomposerEEEEE10hipError_tT0_T1_T2_jT3_P12ihipStream_tbPNSt15iterator_traitsISK_E10value_typeEPNSQ_ISL_E10value_typeEPSM_NS1_7vsmem_tEENKUlT_SK_SL_SM_E_clIPiSE_SF_SF_EESJ_SZ_SK_SL_SM_EUlSZ_E1_NS1_11comp_targetILNS1_3genE8ELNS1_11target_archE1030ELNS1_3gpuE2ELNS1_3repE0EEENS1_36merge_oddeven_config_static_selectorELNS0_4arch9wavefront6targetE1EEEvSL_ ; -- Begin function _ZN7rocprim17ROCPRIM_400000_NS6detail17trampoline_kernelINS0_14default_configENS1_38merge_sort_block_merge_config_selectorIiNS0_10empty_typeEEEZZNS1_27merge_sort_block_merge_implIS3_N6thrust23THRUST_200600_302600_NS6detail15normal_iteratorINS9_10device_ptrIiEEEEPS5_jNS1_19radix_merge_compareILb0ELb1EiNS0_19identity_decomposerEEEEE10hipError_tT0_T1_T2_jT3_P12ihipStream_tbPNSt15iterator_traitsISK_E10value_typeEPNSQ_ISL_E10value_typeEPSM_NS1_7vsmem_tEENKUlT_SK_SL_SM_E_clIPiSE_SF_SF_EESJ_SZ_SK_SL_SM_EUlSZ_E1_NS1_11comp_targetILNS1_3genE8ELNS1_11target_archE1030ELNS1_3gpuE2ELNS1_3repE0EEENS1_36merge_oddeven_config_static_selectorELNS0_4arch9wavefront6targetE1EEEvSL_
	.globl	_ZN7rocprim17ROCPRIM_400000_NS6detail17trampoline_kernelINS0_14default_configENS1_38merge_sort_block_merge_config_selectorIiNS0_10empty_typeEEEZZNS1_27merge_sort_block_merge_implIS3_N6thrust23THRUST_200600_302600_NS6detail15normal_iteratorINS9_10device_ptrIiEEEEPS5_jNS1_19radix_merge_compareILb0ELb1EiNS0_19identity_decomposerEEEEE10hipError_tT0_T1_T2_jT3_P12ihipStream_tbPNSt15iterator_traitsISK_E10value_typeEPNSQ_ISL_E10value_typeEPSM_NS1_7vsmem_tEENKUlT_SK_SL_SM_E_clIPiSE_SF_SF_EESJ_SZ_SK_SL_SM_EUlSZ_E1_NS1_11comp_targetILNS1_3genE8ELNS1_11target_archE1030ELNS1_3gpuE2ELNS1_3repE0EEENS1_36merge_oddeven_config_static_selectorELNS0_4arch9wavefront6targetE1EEEvSL_
	.p2align	8
	.type	_ZN7rocprim17ROCPRIM_400000_NS6detail17trampoline_kernelINS0_14default_configENS1_38merge_sort_block_merge_config_selectorIiNS0_10empty_typeEEEZZNS1_27merge_sort_block_merge_implIS3_N6thrust23THRUST_200600_302600_NS6detail15normal_iteratorINS9_10device_ptrIiEEEEPS5_jNS1_19radix_merge_compareILb0ELb1EiNS0_19identity_decomposerEEEEE10hipError_tT0_T1_T2_jT3_P12ihipStream_tbPNSt15iterator_traitsISK_E10value_typeEPNSQ_ISL_E10value_typeEPSM_NS1_7vsmem_tEENKUlT_SK_SL_SM_E_clIPiSE_SF_SF_EESJ_SZ_SK_SL_SM_EUlSZ_E1_NS1_11comp_targetILNS1_3genE8ELNS1_11target_archE1030ELNS1_3gpuE2ELNS1_3repE0EEENS1_36merge_oddeven_config_static_selectorELNS0_4arch9wavefront6targetE1EEEvSL_,@function
_ZN7rocprim17ROCPRIM_400000_NS6detail17trampoline_kernelINS0_14default_configENS1_38merge_sort_block_merge_config_selectorIiNS0_10empty_typeEEEZZNS1_27merge_sort_block_merge_implIS3_N6thrust23THRUST_200600_302600_NS6detail15normal_iteratorINS9_10device_ptrIiEEEEPS5_jNS1_19radix_merge_compareILb0ELb1EiNS0_19identity_decomposerEEEEE10hipError_tT0_T1_T2_jT3_P12ihipStream_tbPNSt15iterator_traitsISK_E10value_typeEPNSQ_ISL_E10value_typeEPSM_NS1_7vsmem_tEENKUlT_SK_SL_SM_E_clIPiSE_SF_SF_EESJ_SZ_SK_SL_SM_EUlSZ_E1_NS1_11comp_targetILNS1_3genE8ELNS1_11target_archE1030ELNS1_3gpuE2ELNS1_3repE0EEENS1_36merge_oddeven_config_static_selectorELNS0_4arch9wavefront6targetE1EEEvSL_: ; @_ZN7rocprim17ROCPRIM_400000_NS6detail17trampoline_kernelINS0_14default_configENS1_38merge_sort_block_merge_config_selectorIiNS0_10empty_typeEEEZZNS1_27merge_sort_block_merge_implIS3_N6thrust23THRUST_200600_302600_NS6detail15normal_iteratorINS9_10device_ptrIiEEEEPS5_jNS1_19radix_merge_compareILb0ELb1EiNS0_19identity_decomposerEEEEE10hipError_tT0_T1_T2_jT3_P12ihipStream_tbPNSt15iterator_traitsISK_E10value_typeEPNSQ_ISL_E10value_typeEPSM_NS1_7vsmem_tEENKUlT_SK_SL_SM_E_clIPiSE_SF_SF_EESJ_SZ_SK_SL_SM_EUlSZ_E1_NS1_11comp_targetILNS1_3genE8ELNS1_11target_archE1030ELNS1_3gpuE2ELNS1_3repE0EEENS1_36merge_oddeven_config_static_selectorELNS0_4arch9wavefront6targetE1EEEvSL_
; %bb.0:
	.section	.rodata,"a",@progbits
	.p2align	6, 0x0
	.amdhsa_kernel _ZN7rocprim17ROCPRIM_400000_NS6detail17trampoline_kernelINS0_14default_configENS1_38merge_sort_block_merge_config_selectorIiNS0_10empty_typeEEEZZNS1_27merge_sort_block_merge_implIS3_N6thrust23THRUST_200600_302600_NS6detail15normal_iteratorINS9_10device_ptrIiEEEEPS5_jNS1_19radix_merge_compareILb0ELb1EiNS0_19identity_decomposerEEEEE10hipError_tT0_T1_T2_jT3_P12ihipStream_tbPNSt15iterator_traitsISK_E10value_typeEPNSQ_ISL_E10value_typeEPSM_NS1_7vsmem_tEENKUlT_SK_SL_SM_E_clIPiSE_SF_SF_EESJ_SZ_SK_SL_SM_EUlSZ_E1_NS1_11comp_targetILNS1_3genE8ELNS1_11target_archE1030ELNS1_3gpuE2ELNS1_3repE0EEENS1_36merge_oddeven_config_static_selectorELNS0_4arch9wavefront6targetE1EEEvSL_
		.amdhsa_group_segment_fixed_size 0
		.amdhsa_private_segment_fixed_size 0
		.amdhsa_kernarg_size 48
		.amdhsa_user_sgpr_count 2
		.amdhsa_user_sgpr_dispatch_ptr 0
		.amdhsa_user_sgpr_queue_ptr 0
		.amdhsa_user_sgpr_kernarg_segment_ptr 1
		.amdhsa_user_sgpr_dispatch_id 0
		.amdhsa_user_sgpr_kernarg_preload_length 0
		.amdhsa_user_sgpr_kernarg_preload_offset 0
		.amdhsa_user_sgpr_private_segment_size 0
		.amdhsa_uses_dynamic_stack 0
		.amdhsa_enable_private_segment 0
		.amdhsa_system_sgpr_workgroup_id_x 1
		.amdhsa_system_sgpr_workgroup_id_y 0
		.amdhsa_system_sgpr_workgroup_id_z 0
		.amdhsa_system_sgpr_workgroup_info 0
		.amdhsa_system_vgpr_workitem_id 0
		.amdhsa_next_free_vgpr 1
		.amdhsa_next_free_sgpr 0
		.amdhsa_accum_offset 4
		.amdhsa_reserve_vcc 0
		.amdhsa_float_round_mode_32 0
		.amdhsa_float_round_mode_16_64 0
		.amdhsa_float_denorm_mode_32 3
		.amdhsa_float_denorm_mode_16_64 3
		.amdhsa_dx10_clamp 1
		.amdhsa_ieee_mode 1
		.amdhsa_fp16_overflow 0
		.amdhsa_tg_split 0
		.amdhsa_exception_fp_ieee_invalid_op 0
		.amdhsa_exception_fp_denorm_src 0
		.amdhsa_exception_fp_ieee_div_zero 0
		.amdhsa_exception_fp_ieee_overflow 0
		.amdhsa_exception_fp_ieee_underflow 0
		.amdhsa_exception_fp_ieee_inexact 0
		.amdhsa_exception_int_div_zero 0
	.end_amdhsa_kernel
	.section	.text._ZN7rocprim17ROCPRIM_400000_NS6detail17trampoline_kernelINS0_14default_configENS1_38merge_sort_block_merge_config_selectorIiNS0_10empty_typeEEEZZNS1_27merge_sort_block_merge_implIS3_N6thrust23THRUST_200600_302600_NS6detail15normal_iteratorINS9_10device_ptrIiEEEEPS5_jNS1_19radix_merge_compareILb0ELb1EiNS0_19identity_decomposerEEEEE10hipError_tT0_T1_T2_jT3_P12ihipStream_tbPNSt15iterator_traitsISK_E10value_typeEPNSQ_ISL_E10value_typeEPSM_NS1_7vsmem_tEENKUlT_SK_SL_SM_E_clIPiSE_SF_SF_EESJ_SZ_SK_SL_SM_EUlSZ_E1_NS1_11comp_targetILNS1_3genE8ELNS1_11target_archE1030ELNS1_3gpuE2ELNS1_3repE0EEENS1_36merge_oddeven_config_static_selectorELNS0_4arch9wavefront6targetE1EEEvSL_,"axG",@progbits,_ZN7rocprim17ROCPRIM_400000_NS6detail17trampoline_kernelINS0_14default_configENS1_38merge_sort_block_merge_config_selectorIiNS0_10empty_typeEEEZZNS1_27merge_sort_block_merge_implIS3_N6thrust23THRUST_200600_302600_NS6detail15normal_iteratorINS9_10device_ptrIiEEEEPS5_jNS1_19radix_merge_compareILb0ELb1EiNS0_19identity_decomposerEEEEE10hipError_tT0_T1_T2_jT3_P12ihipStream_tbPNSt15iterator_traitsISK_E10value_typeEPNSQ_ISL_E10value_typeEPSM_NS1_7vsmem_tEENKUlT_SK_SL_SM_E_clIPiSE_SF_SF_EESJ_SZ_SK_SL_SM_EUlSZ_E1_NS1_11comp_targetILNS1_3genE8ELNS1_11target_archE1030ELNS1_3gpuE2ELNS1_3repE0EEENS1_36merge_oddeven_config_static_selectorELNS0_4arch9wavefront6targetE1EEEvSL_,comdat
.Lfunc_end107:
	.size	_ZN7rocprim17ROCPRIM_400000_NS6detail17trampoline_kernelINS0_14default_configENS1_38merge_sort_block_merge_config_selectorIiNS0_10empty_typeEEEZZNS1_27merge_sort_block_merge_implIS3_N6thrust23THRUST_200600_302600_NS6detail15normal_iteratorINS9_10device_ptrIiEEEEPS5_jNS1_19radix_merge_compareILb0ELb1EiNS0_19identity_decomposerEEEEE10hipError_tT0_T1_T2_jT3_P12ihipStream_tbPNSt15iterator_traitsISK_E10value_typeEPNSQ_ISL_E10value_typeEPSM_NS1_7vsmem_tEENKUlT_SK_SL_SM_E_clIPiSE_SF_SF_EESJ_SZ_SK_SL_SM_EUlSZ_E1_NS1_11comp_targetILNS1_3genE8ELNS1_11target_archE1030ELNS1_3gpuE2ELNS1_3repE0EEENS1_36merge_oddeven_config_static_selectorELNS0_4arch9wavefront6targetE1EEEvSL_, .Lfunc_end107-_ZN7rocprim17ROCPRIM_400000_NS6detail17trampoline_kernelINS0_14default_configENS1_38merge_sort_block_merge_config_selectorIiNS0_10empty_typeEEEZZNS1_27merge_sort_block_merge_implIS3_N6thrust23THRUST_200600_302600_NS6detail15normal_iteratorINS9_10device_ptrIiEEEEPS5_jNS1_19radix_merge_compareILb0ELb1EiNS0_19identity_decomposerEEEEE10hipError_tT0_T1_T2_jT3_P12ihipStream_tbPNSt15iterator_traitsISK_E10value_typeEPNSQ_ISL_E10value_typeEPSM_NS1_7vsmem_tEENKUlT_SK_SL_SM_E_clIPiSE_SF_SF_EESJ_SZ_SK_SL_SM_EUlSZ_E1_NS1_11comp_targetILNS1_3genE8ELNS1_11target_archE1030ELNS1_3gpuE2ELNS1_3repE0EEENS1_36merge_oddeven_config_static_selectorELNS0_4arch9wavefront6targetE1EEEvSL_
                                        ; -- End function
	.set _ZN7rocprim17ROCPRIM_400000_NS6detail17trampoline_kernelINS0_14default_configENS1_38merge_sort_block_merge_config_selectorIiNS0_10empty_typeEEEZZNS1_27merge_sort_block_merge_implIS3_N6thrust23THRUST_200600_302600_NS6detail15normal_iteratorINS9_10device_ptrIiEEEEPS5_jNS1_19radix_merge_compareILb0ELb1EiNS0_19identity_decomposerEEEEE10hipError_tT0_T1_T2_jT3_P12ihipStream_tbPNSt15iterator_traitsISK_E10value_typeEPNSQ_ISL_E10value_typeEPSM_NS1_7vsmem_tEENKUlT_SK_SL_SM_E_clIPiSE_SF_SF_EESJ_SZ_SK_SL_SM_EUlSZ_E1_NS1_11comp_targetILNS1_3genE8ELNS1_11target_archE1030ELNS1_3gpuE2ELNS1_3repE0EEENS1_36merge_oddeven_config_static_selectorELNS0_4arch9wavefront6targetE1EEEvSL_.num_vgpr, 0
	.set _ZN7rocprim17ROCPRIM_400000_NS6detail17trampoline_kernelINS0_14default_configENS1_38merge_sort_block_merge_config_selectorIiNS0_10empty_typeEEEZZNS1_27merge_sort_block_merge_implIS3_N6thrust23THRUST_200600_302600_NS6detail15normal_iteratorINS9_10device_ptrIiEEEEPS5_jNS1_19radix_merge_compareILb0ELb1EiNS0_19identity_decomposerEEEEE10hipError_tT0_T1_T2_jT3_P12ihipStream_tbPNSt15iterator_traitsISK_E10value_typeEPNSQ_ISL_E10value_typeEPSM_NS1_7vsmem_tEENKUlT_SK_SL_SM_E_clIPiSE_SF_SF_EESJ_SZ_SK_SL_SM_EUlSZ_E1_NS1_11comp_targetILNS1_3genE8ELNS1_11target_archE1030ELNS1_3gpuE2ELNS1_3repE0EEENS1_36merge_oddeven_config_static_selectorELNS0_4arch9wavefront6targetE1EEEvSL_.num_agpr, 0
	.set _ZN7rocprim17ROCPRIM_400000_NS6detail17trampoline_kernelINS0_14default_configENS1_38merge_sort_block_merge_config_selectorIiNS0_10empty_typeEEEZZNS1_27merge_sort_block_merge_implIS3_N6thrust23THRUST_200600_302600_NS6detail15normal_iteratorINS9_10device_ptrIiEEEEPS5_jNS1_19radix_merge_compareILb0ELb1EiNS0_19identity_decomposerEEEEE10hipError_tT0_T1_T2_jT3_P12ihipStream_tbPNSt15iterator_traitsISK_E10value_typeEPNSQ_ISL_E10value_typeEPSM_NS1_7vsmem_tEENKUlT_SK_SL_SM_E_clIPiSE_SF_SF_EESJ_SZ_SK_SL_SM_EUlSZ_E1_NS1_11comp_targetILNS1_3genE8ELNS1_11target_archE1030ELNS1_3gpuE2ELNS1_3repE0EEENS1_36merge_oddeven_config_static_selectorELNS0_4arch9wavefront6targetE1EEEvSL_.numbered_sgpr, 0
	.set _ZN7rocprim17ROCPRIM_400000_NS6detail17trampoline_kernelINS0_14default_configENS1_38merge_sort_block_merge_config_selectorIiNS0_10empty_typeEEEZZNS1_27merge_sort_block_merge_implIS3_N6thrust23THRUST_200600_302600_NS6detail15normal_iteratorINS9_10device_ptrIiEEEEPS5_jNS1_19radix_merge_compareILb0ELb1EiNS0_19identity_decomposerEEEEE10hipError_tT0_T1_T2_jT3_P12ihipStream_tbPNSt15iterator_traitsISK_E10value_typeEPNSQ_ISL_E10value_typeEPSM_NS1_7vsmem_tEENKUlT_SK_SL_SM_E_clIPiSE_SF_SF_EESJ_SZ_SK_SL_SM_EUlSZ_E1_NS1_11comp_targetILNS1_3genE8ELNS1_11target_archE1030ELNS1_3gpuE2ELNS1_3repE0EEENS1_36merge_oddeven_config_static_selectorELNS0_4arch9wavefront6targetE1EEEvSL_.num_named_barrier, 0
	.set _ZN7rocprim17ROCPRIM_400000_NS6detail17trampoline_kernelINS0_14default_configENS1_38merge_sort_block_merge_config_selectorIiNS0_10empty_typeEEEZZNS1_27merge_sort_block_merge_implIS3_N6thrust23THRUST_200600_302600_NS6detail15normal_iteratorINS9_10device_ptrIiEEEEPS5_jNS1_19radix_merge_compareILb0ELb1EiNS0_19identity_decomposerEEEEE10hipError_tT0_T1_T2_jT3_P12ihipStream_tbPNSt15iterator_traitsISK_E10value_typeEPNSQ_ISL_E10value_typeEPSM_NS1_7vsmem_tEENKUlT_SK_SL_SM_E_clIPiSE_SF_SF_EESJ_SZ_SK_SL_SM_EUlSZ_E1_NS1_11comp_targetILNS1_3genE8ELNS1_11target_archE1030ELNS1_3gpuE2ELNS1_3repE0EEENS1_36merge_oddeven_config_static_selectorELNS0_4arch9wavefront6targetE1EEEvSL_.private_seg_size, 0
	.set _ZN7rocprim17ROCPRIM_400000_NS6detail17trampoline_kernelINS0_14default_configENS1_38merge_sort_block_merge_config_selectorIiNS0_10empty_typeEEEZZNS1_27merge_sort_block_merge_implIS3_N6thrust23THRUST_200600_302600_NS6detail15normal_iteratorINS9_10device_ptrIiEEEEPS5_jNS1_19radix_merge_compareILb0ELb1EiNS0_19identity_decomposerEEEEE10hipError_tT0_T1_T2_jT3_P12ihipStream_tbPNSt15iterator_traitsISK_E10value_typeEPNSQ_ISL_E10value_typeEPSM_NS1_7vsmem_tEENKUlT_SK_SL_SM_E_clIPiSE_SF_SF_EESJ_SZ_SK_SL_SM_EUlSZ_E1_NS1_11comp_targetILNS1_3genE8ELNS1_11target_archE1030ELNS1_3gpuE2ELNS1_3repE0EEENS1_36merge_oddeven_config_static_selectorELNS0_4arch9wavefront6targetE1EEEvSL_.uses_vcc, 0
	.set _ZN7rocprim17ROCPRIM_400000_NS6detail17trampoline_kernelINS0_14default_configENS1_38merge_sort_block_merge_config_selectorIiNS0_10empty_typeEEEZZNS1_27merge_sort_block_merge_implIS3_N6thrust23THRUST_200600_302600_NS6detail15normal_iteratorINS9_10device_ptrIiEEEEPS5_jNS1_19radix_merge_compareILb0ELb1EiNS0_19identity_decomposerEEEEE10hipError_tT0_T1_T2_jT3_P12ihipStream_tbPNSt15iterator_traitsISK_E10value_typeEPNSQ_ISL_E10value_typeEPSM_NS1_7vsmem_tEENKUlT_SK_SL_SM_E_clIPiSE_SF_SF_EESJ_SZ_SK_SL_SM_EUlSZ_E1_NS1_11comp_targetILNS1_3genE8ELNS1_11target_archE1030ELNS1_3gpuE2ELNS1_3repE0EEENS1_36merge_oddeven_config_static_selectorELNS0_4arch9wavefront6targetE1EEEvSL_.uses_flat_scratch, 0
	.set _ZN7rocprim17ROCPRIM_400000_NS6detail17trampoline_kernelINS0_14default_configENS1_38merge_sort_block_merge_config_selectorIiNS0_10empty_typeEEEZZNS1_27merge_sort_block_merge_implIS3_N6thrust23THRUST_200600_302600_NS6detail15normal_iteratorINS9_10device_ptrIiEEEEPS5_jNS1_19radix_merge_compareILb0ELb1EiNS0_19identity_decomposerEEEEE10hipError_tT0_T1_T2_jT3_P12ihipStream_tbPNSt15iterator_traitsISK_E10value_typeEPNSQ_ISL_E10value_typeEPSM_NS1_7vsmem_tEENKUlT_SK_SL_SM_E_clIPiSE_SF_SF_EESJ_SZ_SK_SL_SM_EUlSZ_E1_NS1_11comp_targetILNS1_3genE8ELNS1_11target_archE1030ELNS1_3gpuE2ELNS1_3repE0EEENS1_36merge_oddeven_config_static_selectorELNS0_4arch9wavefront6targetE1EEEvSL_.has_dyn_sized_stack, 0
	.set _ZN7rocprim17ROCPRIM_400000_NS6detail17trampoline_kernelINS0_14default_configENS1_38merge_sort_block_merge_config_selectorIiNS0_10empty_typeEEEZZNS1_27merge_sort_block_merge_implIS3_N6thrust23THRUST_200600_302600_NS6detail15normal_iteratorINS9_10device_ptrIiEEEEPS5_jNS1_19radix_merge_compareILb0ELb1EiNS0_19identity_decomposerEEEEE10hipError_tT0_T1_T2_jT3_P12ihipStream_tbPNSt15iterator_traitsISK_E10value_typeEPNSQ_ISL_E10value_typeEPSM_NS1_7vsmem_tEENKUlT_SK_SL_SM_E_clIPiSE_SF_SF_EESJ_SZ_SK_SL_SM_EUlSZ_E1_NS1_11comp_targetILNS1_3genE8ELNS1_11target_archE1030ELNS1_3gpuE2ELNS1_3repE0EEENS1_36merge_oddeven_config_static_selectorELNS0_4arch9wavefront6targetE1EEEvSL_.has_recursion, 0
	.set _ZN7rocprim17ROCPRIM_400000_NS6detail17trampoline_kernelINS0_14default_configENS1_38merge_sort_block_merge_config_selectorIiNS0_10empty_typeEEEZZNS1_27merge_sort_block_merge_implIS3_N6thrust23THRUST_200600_302600_NS6detail15normal_iteratorINS9_10device_ptrIiEEEEPS5_jNS1_19radix_merge_compareILb0ELb1EiNS0_19identity_decomposerEEEEE10hipError_tT0_T1_T2_jT3_P12ihipStream_tbPNSt15iterator_traitsISK_E10value_typeEPNSQ_ISL_E10value_typeEPSM_NS1_7vsmem_tEENKUlT_SK_SL_SM_E_clIPiSE_SF_SF_EESJ_SZ_SK_SL_SM_EUlSZ_E1_NS1_11comp_targetILNS1_3genE8ELNS1_11target_archE1030ELNS1_3gpuE2ELNS1_3repE0EEENS1_36merge_oddeven_config_static_selectorELNS0_4arch9wavefront6targetE1EEEvSL_.has_indirect_call, 0
	.section	.AMDGPU.csdata,"",@progbits
; Kernel info:
; codeLenInByte = 0
; TotalNumSgprs: 6
; NumVgprs: 0
; NumAgprs: 0
; TotalNumVgprs: 0
; ScratchSize: 0
; MemoryBound: 0
; FloatMode: 240
; IeeeMode: 1
; LDSByteSize: 0 bytes/workgroup (compile time only)
; SGPRBlocks: 0
; VGPRBlocks: 0
; NumSGPRsForWavesPerEU: 6
; NumVGPRsForWavesPerEU: 1
; AccumOffset: 4
; Occupancy: 8
; WaveLimiterHint : 0
; COMPUTE_PGM_RSRC2:SCRATCH_EN: 0
; COMPUTE_PGM_RSRC2:USER_SGPR: 2
; COMPUTE_PGM_RSRC2:TRAP_HANDLER: 0
; COMPUTE_PGM_RSRC2:TGID_X_EN: 1
; COMPUTE_PGM_RSRC2:TGID_Y_EN: 0
; COMPUTE_PGM_RSRC2:TGID_Z_EN: 0
; COMPUTE_PGM_RSRC2:TIDIG_COMP_CNT: 0
; COMPUTE_PGM_RSRC3_GFX90A:ACCUM_OFFSET: 0
; COMPUTE_PGM_RSRC3_GFX90A:TG_SPLIT: 0
	.section	.text._ZN7rocprim17ROCPRIM_400000_NS6detail17trampoline_kernelINS0_14default_configENS1_38merge_sort_block_merge_config_selectorIiNS0_10empty_typeEEEZZNS1_27merge_sort_block_merge_implIS3_N6thrust23THRUST_200600_302600_NS6detail15normal_iteratorINS9_10device_ptrIiEEEEPS5_jNS1_19radix_merge_compareILb0ELb1EiNS0_19identity_decomposerEEEEE10hipError_tT0_T1_T2_jT3_P12ihipStream_tbPNSt15iterator_traitsISK_E10value_typeEPNSQ_ISL_E10value_typeEPSM_NS1_7vsmem_tEENKUlT_SK_SL_SM_E_clISE_PiSF_SF_EESJ_SZ_SK_SL_SM_EUlSZ_E_NS1_11comp_targetILNS1_3genE0ELNS1_11target_archE4294967295ELNS1_3gpuE0ELNS1_3repE0EEENS1_48merge_mergepath_partition_config_static_selectorELNS0_4arch9wavefront6targetE1EEEvSL_,"axG",@progbits,_ZN7rocprim17ROCPRIM_400000_NS6detail17trampoline_kernelINS0_14default_configENS1_38merge_sort_block_merge_config_selectorIiNS0_10empty_typeEEEZZNS1_27merge_sort_block_merge_implIS3_N6thrust23THRUST_200600_302600_NS6detail15normal_iteratorINS9_10device_ptrIiEEEEPS5_jNS1_19radix_merge_compareILb0ELb1EiNS0_19identity_decomposerEEEEE10hipError_tT0_T1_T2_jT3_P12ihipStream_tbPNSt15iterator_traitsISK_E10value_typeEPNSQ_ISL_E10value_typeEPSM_NS1_7vsmem_tEENKUlT_SK_SL_SM_E_clISE_PiSF_SF_EESJ_SZ_SK_SL_SM_EUlSZ_E_NS1_11comp_targetILNS1_3genE0ELNS1_11target_archE4294967295ELNS1_3gpuE0ELNS1_3repE0EEENS1_48merge_mergepath_partition_config_static_selectorELNS0_4arch9wavefront6targetE1EEEvSL_,comdat
	.protected	_ZN7rocprim17ROCPRIM_400000_NS6detail17trampoline_kernelINS0_14default_configENS1_38merge_sort_block_merge_config_selectorIiNS0_10empty_typeEEEZZNS1_27merge_sort_block_merge_implIS3_N6thrust23THRUST_200600_302600_NS6detail15normal_iteratorINS9_10device_ptrIiEEEEPS5_jNS1_19radix_merge_compareILb0ELb1EiNS0_19identity_decomposerEEEEE10hipError_tT0_T1_T2_jT3_P12ihipStream_tbPNSt15iterator_traitsISK_E10value_typeEPNSQ_ISL_E10value_typeEPSM_NS1_7vsmem_tEENKUlT_SK_SL_SM_E_clISE_PiSF_SF_EESJ_SZ_SK_SL_SM_EUlSZ_E_NS1_11comp_targetILNS1_3genE0ELNS1_11target_archE4294967295ELNS1_3gpuE0ELNS1_3repE0EEENS1_48merge_mergepath_partition_config_static_selectorELNS0_4arch9wavefront6targetE1EEEvSL_ ; -- Begin function _ZN7rocprim17ROCPRIM_400000_NS6detail17trampoline_kernelINS0_14default_configENS1_38merge_sort_block_merge_config_selectorIiNS0_10empty_typeEEEZZNS1_27merge_sort_block_merge_implIS3_N6thrust23THRUST_200600_302600_NS6detail15normal_iteratorINS9_10device_ptrIiEEEEPS5_jNS1_19radix_merge_compareILb0ELb1EiNS0_19identity_decomposerEEEEE10hipError_tT0_T1_T2_jT3_P12ihipStream_tbPNSt15iterator_traitsISK_E10value_typeEPNSQ_ISL_E10value_typeEPSM_NS1_7vsmem_tEENKUlT_SK_SL_SM_E_clISE_PiSF_SF_EESJ_SZ_SK_SL_SM_EUlSZ_E_NS1_11comp_targetILNS1_3genE0ELNS1_11target_archE4294967295ELNS1_3gpuE0ELNS1_3repE0EEENS1_48merge_mergepath_partition_config_static_selectorELNS0_4arch9wavefront6targetE1EEEvSL_
	.globl	_ZN7rocprim17ROCPRIM_400000_NS6detail17trampoline_kernelINS0_14default_configENS1_38merge_sort_block_merge_config_selectorIiNS0_10empty_typeEEEZZNS1_27merge_sort_block_merge_implIS3_N6thrust23THRUST_200600_302600_NS6detail15normal_iteratorINS9_10device_ptrIiEEEEPS5_jNS1_19radix_merge_compareILb0ELb1EiNS0_19identity_decomposerEEEEE10hipError_tT0_T1_T2_jT3_P12ihipStream_tbPNSt15iterator_traitsISK_E10value_typeEPNSQ_ISL_E10value_typeEPSM_NS1_7vsmem_tEENKUlT_SK_SL_SM_E_clISE_PiSF_SF_EESJ_SZ_SK_SL_SM_EUlSZ_E_NS1_11comp_targetILNS1_3genE0ELNS1_11target_archE4294967295ELNS1_3gpuE0ELNS1_3repE0EEENS1_48merge_mergepath_partition_config_static_selectorELNS0_4arch9wavefront6targetE1EEEvSL_
	.p2align	8
	.type	_ZN7rocprim17ROCPRIM_400000_NS6detail17trampoline_kernelINS0_14default_configENS1_38merge_sort_block_merge_config_selectorIiNS0_10empty_typeEEEZZNS1_27merge_sort_block_merge_implIS3_N6thrust23THRUST_200600_302600_NS6detail15normal_iteratorINS9_10device_ptrIiEEEEPS5_jNS1_19radix_merge_compareILb0ELb1EiNS0_19identity_decomposerEEEEE10hipError_tT0_T1_T2_jT3_P12ihipStream_tbPNSt15iterator_traitsISK_E10value_typeEPNSQ_ISL_E10value_typeEPSM_NS1_7vsmem_tEENKUlT_SK_SL_SM_E_clISE_PiSF_SF_EESJ_SZ_SK_SL_SM_EUlSZ_E_NS1_11comp_targetILNS1_3genE0ELNS1_11target_archE4294967295ELNS1_3gpuE0ELNS1_3repE0EEENS1_48merge_mergepath_partition_config_static_selectorELNS0_4arch9wavefront6targetE1EEEvSL_,@function
_ZN7rocprim17ROCPRIM_400000_NS6detail17trampoline_kernelINS0_14default_configENS1_38merge_sort_block_merge_config_selectorIiNS0_10empty_typeEEEZZNS1_27merge_sort_block_merge_implIS3_N6thrust23THRUST_200600_302600_NS6detail15normal_iteratorINS9_10device_ptrIiEEEEPS5_jNS1_19radix_merge_compareILb0ELb1EiNS0_19identity_decomposerEEEEE10hipError_tT0_T1_T2_jT3_P12ihipStream_tbPNSt15iterator_traitsISK_E10value_typeEPNSQ_ISL_E10value_typeEPSM_NS1_7vsmem_tEENKUlT_SK_SL_SM_E_clISE_PiSF_SF_EESJ_SZ_SK_SL_SM_EUlSZ_E_NS1_11comp_targetILNS1_3genE0ELNS1_11target_archE4294967295ELNS1_3gpuE0ELNS1_3repE0EEENS1_48merge_mergepath_partition_config_static_selectorELNS0_4arch9wavefront6targetE1EEEvSL_: ; @_ZN7rocprim17ROCPRIM_400000_NS6detail17trampoline_kernelINS0_14default_configENS1_38merge_sort_block_merge_config_selectorIiNS0_10empty_typeEEEZZNS1_27merge_sort_block_merge_implIS3_N6thrust23THRUST_200600_302600_NS6detail15normal_iteratorINS9_10device_ptrIiEEEEPS5_jNS1_19radix_merge_compareILb0ELb1EiNS0_19identity_decomposerEEEEE10hipError_tT0_T1_T2_jT3_P12ihipStream_tbPNSt15iterator_traitsISK_E10value_typeEPNSQ_ISL_E10value_typeEPSM_NS1_7vsmem_tEENKUlT_SK_SL_SM_E_clISE_PiSF_SF_EESJ_SZ_SK_SL_SM_EUlSZ_E_NS1_11comp_targetILNS1_3genE0ELNS1_11target_archE4294967295ELNS1_3gpuE0ELNS1_3repE0EEENS1_48merge_mergepath_partition_config_static_selectorELNS0_4arch9wavefront6targetE1EEEvSL_
; %bb.0:
	s_load_dword s3, s[0:1], 0x0
	v_lshl_or_b32 v0, s2, 7, v0
	s_waitcnt lgkmcnt(0)
	v_cmp_gt_u32_e32 vcc, s3, v0
	s_and_saveexec_b64 s[2:3], vcc
	s_cbranch_execz .LBB108_6
; %bb.1:
	s_load_dwordx2 s[4:5], s[0:1], 0x4
	s_load_dwordx2 s[2:3], s[0:1], 0x20
	s_waitcnt lgkmcnt(0)
	s_lshr_b32 s6, s4, 9
	s_and_b32 s6, s6, 0x7ffffe
	s_add_i32 s7, s6, -1
	s_sub_i32 s6, 0, s6
	v_and_b32_e32 v1, s6, v0
	v_lshlrev_b32_e32 v1, 10, v1
	v_min_u32_e32 v2, s5, v1
	v_add_u32_e32 v1, s4, v1
	v_min_u32_e32 v4, s5, v1
	v_add_u32_e32 v1, s4, v4
	v_and_b32_e32 v3, s7, v0
	v_min_u32_e32 v1, s5, v1
	v_sub_u32_e32 v5, v1, v2
	v_lshlrev_b32_e32 v3, 10, v3
	v_min_u32_e32 v10, v5, v3
	v_sub_u32_e32 v3, v4, v2
	v_sub_u32_e32 v1, v1, v4
	v_sub_u32_e64 v1, v10, v1 clamp
	v_min_u32_e32 v11, v10, v3
	v_cmp_lt_u32_e32 vcc, v1, v11
	s_and_saveexec_b64 s[4:5], vcc
	s_cbranch_execz .LBB108_5
; %bb.2:
	s_load_dwordx2 s[8:9], s[0:1], 0x10
	s_load_dword s6, s[0:1], 0x18
	v_mov_b32_e32 v5, 0
	v_mov_b32_e32 v3, v5
	s_mov_b64 s[0:1], 0
	s_waitcnt lgkmcnt(0)
	v_lshl_add_u64 v[6:7], v[2:3], 2, s[8:9]
	v_lshl_add_u64 v[8:9], v[4:5], 2, s[8:9]
.LBB108_3:                              ; =>This Inner Loop Header: Depth=1
	v_add_u32_e32 v3, v11, v1
	v_lshrrev_b32_e32 v4, 1, v3
	v_mov_b32_e32 v13, v5
	v_xad_u32 v12, v4, -1, v10
	v_lshl_add_u64 v[14:15], v[4:5], 2, v[6:7]
	v_lshl_add_u64 v[12:13], v[12:13], 2, v[8:9]
	flat_load_dword v3, v[14:15]
	flat_load_dword v16, v[12:13]
	v_add_u32_e32 v12, 1, v4
	s_waitcnt vmcnt(0) lgkmcnt(0)
	v_and_b32_e32 v3, s6, v3
	v_and_b32_e32 v13, s6, v16
	v_cmp_gt_i32_e32 vcc, v3, v13
	s_nop 1
	v_cndmask_b32_e32 v11, v11, v4, vcc
	v_cndmask_b32_e32 v1, v12, v1, vcc
	v_cmp_ge_u32_e32 vcc, v1, v11
	s_or_b64 s[0:1], vcc, s[0:1]
	s_andn2_b64 exec, exec, s[0:1]
	s_cbranch_execnz .LBB108_3
; %bb.4:
	s_or_b64 exec, exec, s[0:1]
.LBB108_5:
	s_or_b64 exec, exec, s[4:5]
	v_add_u32_e32 v2, v1, v2
	v_mov_b32_e32 v1, 0
	v_lshl_add_u64 v[0:1], v[0:1], 2, s[2:3]
	global_store_dword v[0:1], v2, off
.LBB108_6:
	s_endpgm
	.section	.rodata,"a",@progbits
	.p2align	6, 0x0
	.amdhsa_kernel _ZN7rocprim17ROCPRIM_400000_NS6detail17trampoline_kernelINS0_14default_configENS1_38merge_sort_block_merge_config_selectorIiNS0_10empty_typeEEEZZNS1_27merge_sort_block_merge_implIS3_N6thrust23THRUST_200600_302600_NS6detail15normal_iteratorINS9_10device_ptrIiEEEEPS5_jNS1_19radix_merge_compareILb0ELb1EiNS0_19identity_decomposerEEEEE10hipError_tT0_T1_T2_jT3_P12ihipStream_tbPNSt15iterator_traitsISK_E10value_typeEPNSQ_ISL_E10value_typeEPSM_NS1_7vsmem_tEENKUlT_SK_SL_SM_E_clISE_PiSF_SF_EESJ_SZ_SK_SL_SM_EUlSZ_E_NS1_11comp_targetILNS1_3genE0ELNS1_11target_archE4294967295ELNS1_3gpuE0ELNS1_3repE0EEENS1_48merge_mergepath_partition_config_static_selectorELNS0_4arch9wavefront6targetE1EEEvSL_
		.amdhsa_group_segment_fixed_size 0
		.amdhsa_private_segment_fixed_size 0
		.amdhsa_kernarg_size 40
		.amdhsa_user_sgpr_count 2
		.amdhsa_user_sgpr_dispatch_ptr 0
		.amdhsa_user_sgpr_queue_ptr 0
		.amdhsa_user_sgpr_kernarg_segment_ptr 1
		.amdhsa_user_sgpr_dispatch_id 0
		.amdhsa_user_sgpr_kernarg_preload_length 0
		.amdhsa_user_sgpr_kernarg_preload_offset 0
		.amdhsa_user_sgpr_private_segment_size 0
		.amdhsa_uses_dynamic_stack 0
		.amdhsa_enable_private_segment 0
		.amdhsa_system_sgpr_workgroup_id_x 1
		.amdhsa_system_sgpr_workgroup_id_y 0
		.amdhsa_system_sgpr_workgroup_id_z 0
		.amdhsa_system_sgpr_workgroup_info 0
		.amdhsa_system_vgpr_workitem_id 0
		.amdhsa_next_free_vgpr 17
		.amdhsa_next_free_sgpr 10
		.amdhsa_accum_offset 20
		.amdhsa_reserve_vcc 1
		.amdhsa_float_round_mode_32 0
		.amdhsa_float_round_mode_16_64 0
		.amdhsa_float_denorm_mode_32 3
		.amdhsa_float_denorm_mode_16_64 3
		.amdhsa_dx10_clamp 1
		.amdhsa_ieee_mode 1
		.amdhsa_fp16_overflow 0
		.amdhsa_tg_split 0
		.amdhsa_exception_fp_ieee_invalid_op 0
		.amdhsa_exception_fp_denorm_src 0
		.amdhsa_exception_fp_ieee_div_zero 0
		.amdhsa_exception_fp_ieee_overflow 0
		.amdhsa_exception_fp_ieee_underflow 0
		.amdhsa_exception_fp_ieee_inexact 0
		.amdhsa_exception_int_div_zero 0
	.end_amdhsa_kernel
	.section	.text._ZN7rocprim17ROCPRIM_400000_NS6detail17trampoline_kernelINS0_14default_configENS1_38merge_sort_block_merge_config_selectorIiNS0_10empty_typeEEEZZNS1_27merge_sort_block_merge_implIS3_N6thrust23THRUST_200600_302600_NS6detail15normal_iteratorINS9_10device_ptrIiEEEEPS5_jNS1_19radix_merge_compareILb0ELb1EiNS0_19identity_decomposerEEEEE10hipError_tT0_T1_T2_jT3_P12ihipStream_tbPNSt15iterator_traitsISK_E10value_typeEPNSQ_ISL_E10value_typeEPSM_NS1_7vsmem_tEENKUlT_SK_SL_SM_E_clISE_PiSF_SF_EESJ_SZ_SK_SL_SM_EUlSZ_E_NS1_11comp_targetILNS1_3genE0ELNS1_11target_archE4294967295ELNS1_3gpuE0ELNS1_3repE0EEENS1_48merge_mergepath_partition_config_static_selectorELNS0_4arch9wavefront6targetE1EEEvSL_,"axG",@progbits,_ZN7rocprim17ROCPRIM_400000_NS6detail17trampoline_kernelINS0_14default_configENS1_38merge_sort_block_merge_config_selectorIiNS0_10empty_typeEEEZZNS1_27merge_sort_block_merge_implIS3_N6thrust23THRUST_200600_302600_NS6detail15normal_iteratorINS9_10device_ptrIiEEEEPS5_jNS1_19radix_merge_compareILb0ELb1EiNS0_19identity_decomposerEEEEE10hipError_tT0_T1_T2_jT3_P12ihipStream_tbPNSt15iterator_traitsISK_E10value_typeEPNSQ_ISL_E10value_typeEPSM_NS1_7vsmem_tEENKUlT_SK_SL_SM_E_clISE_PiSF_SF_EESJ_SZ_SK_SL_SM_EUlSZ_E_NS1_11comp_targetILNS1_3genE0ELNS1_11target_archE4294967295ELNS1_3gpuE0ELNS1_3repE0EEENS1_48merge_mergepath_partition_config_static_selectorELNS0_4arch9wavefront6targetE1EEEvSL_,comdat
.Lfunc_end108:
	.size	_ZN7rocprim17ROCPRIM_400000_NS6detail17trampoline_kernelINS0_14default_configENS1_38merge_sort_block_merge_config_selectorIiNS0_10empty_typeEEEZZNS1_27merge_sort_block_merge_implIS3_N6thrust23THRUST_200600_302600_NS6detail15normal_iteratorINS9_10device_ptrIiEEEEPS5_jNS1_19radix_merge_compareILb0ELb1EiNS0_19identity_decomposerEEEEE10hipError_tT0_T1_T2_jT3_P12ihipStream_tbPNSt15iterator_traitsISK_E10value_typeEPNSQ_ISL_E10value_typeEPSM_NS1_7vsmem_tEENKUlT_SK_SL_SM_E_clISE_PiSF_SF_EESJ_SZ_SK_SL_SM_EUlSZ_E_NS1_11comp_targetILNS1_3genE0ELNS1_11target_archE4294967295ELNS1_3gpuE0ELNS1_3repE0EEENS1_48merge_mergepath_partition_config_static_selectorELNS0_4arch9wavefront6targetE1EEEvSL_, .Lfunc_end108-_ZN7rocprim17ROCPRIM_400000_NS6detail17trampoline_kernelINS0_14default_configENS1_38merge_sort_block_merge_config_selectorIiNS0_10empty_typeEEEZZNS1_27merge_sort_block_merge_implIS3_N6thrust23THRUST_200600_302600_NS6detail15normal_iteratorINS9_10device_ptrIiEEEEPS5_jNS1_19radix_merge_compareILb0ELb1EiNS0_19identity_decomposerEEEEE10hipError_tT0_T1_T2_jT3_P12ihipStream_tbPNSt15iterator_traitsISK_E10value_typeEPNSQ_ISL_E10value_typeEPSM_NS1_7vsmem_tEENKUlT_SK_SL_SM_E_clISE_PiSF_SF_EESJ_SZ_SK_SL_SM_EUlSZ_E_NS1_11comp_targetILNS1_3genE0ELNS1_11target_archE4294967295ELNS1_3gpuE0ELNS1_3repE0EEENS1_48merge_mergepath_partition_config_static_selectorELNS0_4arch9wavefront6targetE1EEEvSL_
                                        ; -- End function
	.set _ZN7rocprim17ROCPRIM_400000_NS6detail17trampoline_kernelINS0_14default_configENS1_38merge_sort_block_merge_config_selectorIiNS0_10empty_typeEEEZZNS1_27merge_sort_block_merge_implIS3_N6thrust23THRUST_200600_302600_NS6detail15normal_iteratorINS9_10device_ptrIiEEEEPS5_jNS1_19radix_merge_compareILb0ELb1EiNS0_19identity_decomposerEEEEE10hipError_tT0_T1_T2_jT3_P12ihipStream_tbPNSt15iterator_traitsISK_E10value_typeEPNSQ_ISL_E10value_typeEPSM_NS1_7vsmem_tEENKUlT_SK_SL_SM_E_clISE_PiSF_SF_EESJ_SZ_SK_SL_SM_EUlSZ_E_NS1_11comp_targetILNS1_3genE0ELNS1_11target_archE4294967295ELNS1_3gpuE0ELNS1_3repE0EEENS1_48merge_mergepath_partition_config_static_selectorELNS0_4arch9wavefront6targetE1EEEvSL_.num_vgpr, 17
	.set _ZN7rocprim17ROCPRIM_400000_NS6detail17trampoline_kernelINS0_14default_configENS1_38merge_sort_block_merge_config_selectorIiNS0_10empty_typeEEEZZNS1_27merge_sort_block_merge_implIS3_N6thrust23THRUST_200600_302600_NS6detail15normal_iteratorINS9_10device_ptrIiEEEEPS5_jNS1_19radix_merge_compareILb0ELb1EiNS0_19identity_decomposerEEEEE10hipError_tT0_T1_T2_jT3_P12ihipStream_tbPNSt15iterator_traitsISK_E10value_typeEPNSQ_ISL_E10value_typeEPSM_NS1_7vsmem_tEENKUlT_SK_SL_SM_E_clISE_PiSF_SF_EESJ_SZ_SK_SL_SM_EUlSZ_E_NS1_11comp_targetILNS1_3genE0ELNS1_11target_archE4294967295ELNS1_3gpuE0ELNS1_3repE0EEENS1_48merge_mergepath_partition_config_static_selectorELNS0_4arch9wavefront6targetE1EEEvSL_.num_agpr, 0
	.set _ZN7rocprim17ROCPRIM_400000_NS6detail17trampoline_kernelINS0_14default_configENS1_38merge_sort_block_merge_config_selectorIiNS0_10empty_typeEEEZZNS1_27merge_sort_block_merge_implIS3_N6thrust23THRUST_200600_302600_NS6detail15normal_iteratorINS9_10device_ptrIiEEEEPS5_jNS1_19radix_merge_compareILb0ELb1EiNS0_19identity_decomposerEEEEE10hipError_tT0_T1_T2_jT3_P12ihipStream_tbPNSt15iterator_traitsISK_E10value_typeEPNSQ_ISL_E10value_typeEPSM_NS1_7vsmem_tEENKUlT_SK_SL_SM_E_clISE_PiSF_SF_EESJ_SZ_SK_SL_SM_EUlSZ_E_NS1_11comp_targetILNS1_3genE0ELNS1_11target_archE4294967295ELNS1_3gpuE0ELNS1_3repE0EEENS1_48merge_mergepath_partition_config_static_selectorELNS0_4arch9wavefront6targetE1EEEvSL_.numbered_sgpr, 10
	.set _ZN7rocprim17ROCPRIM_400000_NS6detail17trampoline_kernelINS0_14default_configENS1_38merge_sort_block_merge_config_selectorIiNS0_10empty_typeEEEZZNS1_27merge_sort_block_merge_implIS3_N6thrust23THRUST_200600_302600_NS6detail15normal_iteratorINS9_10device_ptrIiEEEEPS5_jNS1_19radix_merge_compareILb0ELb1EiNS0_19identity_decomposerEEEEE10hipError_tT0_T1_T2_jT3_P12ihipStream_tbPNSt15iterator_traitsISK_E10value_typeEPNSQ_ISL_E10value_typeEPSM_NS1_7vsmem_tEENKUlT_SK_SL_SM_E_clISE_PiSF_SF_EESJ_SZ_SK_SL_SM_EUlSZ_E_NS1_11comp_targetILNS1_3genE0ELNS1_11target_archE4294967295ELNS1_3gpuE0ELNS1_3repE0EEENS1_48merge_mergepath_partition_config_static_selectorELNS0_4arch9wavefront6targetE1EEEvSL_.num_named_barrier, 0
	.set _ZN7rocprim17ROCPRIM_400000_NS6detail17trampoline_kernelINS0_14default_configENS1_38merge_sort_block_merge_config_selectorIiNS0_10empty_typeEEEZZNS1_27merge_sort_block_merge_implIS3_N6thrust23THRUST_200600_302600_NS6detail15normal_iteratorINS9_10device_ptrIiEEEEPS5_jNS1_19radix_merge_compareILb0ELb1EiNS0_19identity_decomposerEEEEE10hipError_tT0_T1_T2_jT3_P12ihipStream_tbPNSt15iterator_traitsISK_E10value_typeEPNSQ_ISL_E10value_typeEPSM_NS1_7vsmem_tEENKUlT_SK_SL_SM_E_clISE_PiSF_SF_EESJ_SZ_SK_SL_SM_EUlSZ_E_NS1_11comp_targetILNS1_3genE0ELNS1_11target_archE4294967295ELNS1_3gpuE0ELNS1_3repE0EEENS1_48merge_mergepath_partition_config_static_selectorELNS0_4arch9wavefront6targetE1EEEvSL_.private_seg_size, 0
	.set _ZN7rocprim17ROCPRIM_400000_NS6detail17trampoline_kernelINS0_14default_configENS1_38merge_sort_block_merge_config_selectorIiNS0_10empty_typeEEEZZNS1_27merge_sort_block_merge_implIS3_N6thrust23THRUST_200600_302600_NS6detail15normal_iteratorINS9_10device_ptrIiEEEEPS5_jNS1_19radix_merge_compareILb0ELb1EiNS0_19identity_decomposerEEEEE10hipError_tT0_T1_T2_jT3_P12ihipStream_tbPNSt15iterator_traitsISK_E10value_typeEPNSQ_ISL_E10value_typeEPSM_NS1_7vsmem_tEENKUlT_SK_SL_SM_E_clISE_PiSF_SF_EESJ_SZ_SK_SL_SM_EUlSZ_E_NS1_11comp_targetILNS1_3genE0ELNS1_11target_archE4294967295ELNS1_3gpuE0ELNS1_3repE0EEENS1_48merge_mergepath_partition_config_static_selectorELNS0_4arch9wavefront6targetE1EEEvSL_.uses_vcc, 1
	.set _ZN7rocprim17ROCPRIM_400000_NS6detail17trampoline_kernelINS0_14default_configENS1_38merge_sort_block_merge_config_selectorIiNS0_10empty_typeEEEZZNS1_27merge_sort_block_merge_implIS3_N6thrust23THRUST_200600_302600_NS6detail15normal_iteratorINS9_10device_ptrIiEEEEPS5_jNS1_19radix_merge_compareILb0ELb1EiNS0_19identity_decomposerEEEEE10hipError_tT0_T1_T2_jT3_P12ihipStream_tbPNSt15iterator_traitsISK_E10value_typeEPNSQ_ISL_E10value_typeEPSM_NS1_7vsmem_tEENKUlT_SK_SL_SM_E_clISE_PiSF_SF_EESJ_SZ_SK_SL_SM_EUlSZ_E_NS1_11comp_targetILNS1_3genE0ELNS1_11target_archE4294967295ELNS1_3gpuE0ELNS1_3repE0EEENS1_48merge_mergepath_partition_config_static_selectorELNS0_4arch9wavefront6targetE1EEEvSL_.uses_flat_scratch, 0
	.set _ZN7rocprim17ROCPRIM_400000_NS6detail17trampoline_kernelINS0_14default_configENS1_38merge_sort_block_merge_config_selectorIiNS0_10empty_typeEEEZZNS1_27merge_sort_block_merge_implIS3_N6thrust23THRUST_200600_302600_NS6detail15normal_iteratorINS9_10device_ptrIiEEEEPS5_jNS1_19radix_merge_compareILb0ELb1EiNS0_19identity_decomposerEEEEE10hipError_tT0_T1_T2_jT3_P12ihipStream_tbPNSt15iterator_traitsISK_E10value_typeEPNSQ_ISL_E10value_typeEPSM_NS1_7vsmem_tEENKUlT_SK_SL_SM_E_clISE_PiSF_SF_EESJ_SZ_SK_SL_SM_EUlSZ_E_NS1_11comp_targetILNS1_3genE0ELNS1_11target_archE4294967295ELNS1_3gpuE0ELNS1_3repE0EEENS1_48merge_mergepath_partition_config_static_selectorELNS0_4arch9wavefront6targetE1EEEvSL_.has_dyn_sized_stack, 0
	.set _ZN7rocprim17ROCPRIM_400000_NS6detail17trampoline_kernelINS0_14default_configENS1_38merge_sort_block_merge_config_selectorIiNS0_10empty_typeEEEZZNS1_27merge_sort_block_merge_implIS3_N6thrust23THRUST_200600_302600_NS6detail15normal_iteratorINS9_10device_ptrIiEEEEPS5_jNS1_19radix_merge_compareILb0ELb1EiNS0_19identity_decomposerEEEEE10hipError_tT0_T1_T2_jT3_P12ihipStream_tbPNSt15iterator_traitsISK_E10value_typeEPNSQ_ISL_E10value_typeEPSM_NS1_7vsmem_tEENKUlT_SK_SL_SM_E_clISE_PiSF_SF_EESJ_SZ_SK_SL_SM_EUlSZ_E_NS1_11comp_targetILNS1_3genE0ELNS1_11target_archE4294967295ELNS1_3gpuE0ELNS1_3repE0EEENS1_48merge_mergepath_partition_config_static_selectorELNS0_4arch9wavefront6targetE1EEEvSL_.has_recursion, 0
	.set _ZN7rocprim17ROCPRIM_400000_NS6detail17trampoline_kernelINS0_14default_configENS1_38merge_sort_block_merge_config_selectorIiNS0_10empty_typeEEEZZNS1_27merge_sort_block_merge_implIS3_N6thrust23THRUST_200600_302600_NS6detail15normal_iteratorINS9_10device_ptrIiEEEEPS5_jNS1_19radix_merge_compareILb0ELb1EiNS0_19identity_decomposerEEEEE10hipError_tT0_T1_T2_jT3_P12ihipStream_tbPNSt15iterator_traitsISK_E10value_typeEPNSQ_ISL_E10value_typeEPSM_NS1_7vsmem_tEENKUlT_SK_SL_SM_E_clISE_PiSF_SF_EESJ_SZ_SK_SL_SM_EUlSZ_E_NS1_11comp_targetILNS1_3genE0ELNS1_11target_archE4294967295ELNS1_3gpuE0ELNS1_3repE0EEENS1_48merge_mergepath_partition_config_static_selectorELNS0_4arch9wavefront6targetE1EEEvSL_.has_indirect_call, 0
	.section	.AMDGPU.csdata,"",@progbits
; Kernel info:
; codeLenInByte = 332
; TotalNumSgprs: 16
; NumVgprs: 17
; NumAgprs: 0
; TotalNumVgprs: 17
; ScratchSize: 0
; MemoryBound: 0
; FloatMode: 240
; IeeeMode: 1
; LDSByteSize: 0 bytes/workgroup (compile time only)
; SGPRBlocks: 1
; VGPRBlocks: 2
; NumSGPRsForWavesPerEU: 16
; NumVGPRsForWavesPerEU: 17
; AccumOffset: 20
; Occupancy: 8
; WaveLimiterHint : 0
; COMPUTE_PGM_RSRC2:SCRATCH_EN: 0
; COMPUTE_PGM_RSRC2:USER_SGPR: 2
; COMPUTE_PGM_RSRC2:TRAP_HANDLER: 0
; COMPUTE_PGM_RSRC2:TGID_X_EN: 1
; COMPUTE_PGM_RSRC2:TGID_Y_EN: 0
; COMPUTE_PGM_RSRC2:TGID_Z_EN: 0
; COMPUTE_PGM_RSRC2:TIDIG_COMP_CNT: 0
; COMPUTE_PGM_RSRC3_GFX90A:ACCUM_OFFSET: 4
; COMPUTE_PGM_RSRC3_GFX90A:TG_SPLIT: 0
	.section	.text._ZN7rocprim17ROCPRIM_400000_NS6detail17trampoline_kernelINS0_14default_configENS1_38merge_sort_block_merge_config_selectorIiNS0_10empty_typeEEEZZNS1_27merge_sort_block_merge_implIS3_N6thrust23THRUST_200600_302600_NS6detail15normal_iteratorINS9_10device_ptrIiEEEEPS5_jNS1_19radix_merge_compareILb0ELb1EiNS0_19identity_decomposerEEEEE10hipError_tT0_T1_T2_jT3_P12ihipStream_tbPNSt15iterator_traitsISK_E10value_typeEPNSQ_ISL_E10value_typeEPSM_NS1_7vsmem_tEENKUlT_SK_SL_SM_E_clISE_PiSF_SF_EESJ_SZ_SK_SL_SM_EUlSZ_E_NS1_11comp_targetILNS1_3genE10ELNS1_11target_archE1201ELNS1_3gpuE5ELNS1_3repE0EEENS1_48merge_mergepath_partition_config_static_selectorELNS0_4arch9wavefront6targetE1EEEvSL_,"axG",@progbits,_ZN7rocprim17ROCPRIM_400000_NS6detail17trampoline_kernelINS0_14default_configENS1_38merge_sort_block_merge_config_selectorIiNS0_10empty_typeEEEZZNS1_27merge_sort_block_merge_implIS3_N6thrust23THRUST_200600_302600_NS6detail15normal_iteratorINS9_10device_ptrIiEEEEPS5_jNS1_19radix_merge_compareILb0ELb1EiNS0_19identity_decomposerEEEEE10hipError_tT0_T1_T2_jT3_P12ihipStream_tbPNSt15iterator_traitsISK_E10value_typeEPNSQ_ISL_E10value_typeEPSM_NS1_7vsmem_tEENKUlT_SK_SL_SM_E_clISE_PiSF_SF_EESJ_SZ_SK_SL_SM_EUlSZ_E_NS1_11comp_targetILNS1_3genE10ELNS1_11target_archE1201ELNS1_3gpuE5ELNS1_3repE0EEENS1_48merge_mergepath_partition_config_static_selectorELNS0_4arch9wavefront6targetE1EEEvSL_,comdat
	.protected	_ZN7rocprim17ROCPRIM_400000_NS6detail17trampoline_kernelINS0_14default_configENS1_38merge_sort_block_merge_config_selectorIiNS0_10empty_typeEEEZZNS1_27merge_sort_block_merge_implIS3_N6thrust23THRUST_200600_302600_NS6detail15normal_iteratorINS9_10device_ptrIiEEEEPS5_jNS1_19radix_merge_compareILb0ELb1EiNS0_19identity_decomposerEEEEE10hipError_tT0_T1_T2_jT3_P12ihipStream_tbPNSt15iterator_traitsISK_E10value_typeEPNSQ_ISL_E10value_typeEPSM_NS1_7vsmem_tEENKUlT_SK_SL_SM_E_clISE_PiSF_SF_EESJ_SZ_SK_SL_SM_EUlSZ_E_NS1_11comp_targetILNS1_3genE10ELNS1_11target_archE1201ELNS1_3gpuE5ELNS1_3repE0EEENS1_48merge_mergepath_partition_config_static_selectorELNS0_4arch9wavefront6targetE1EEEvSL_ ; -- Begin function _ZN7rocprim17ROCPRIM_400000_NS6detail17trampoline_kernelINS0_14default_configENS1_38merge_sort_block_merge_config_selectorIiNS0_10empty_typeEEEZZNS1_27merge_sort_block_merge_implIS3_N6thrust23THRUST_200600_302600_NS6detail15normal_iteratorINS9_10device_ptrIiEEEEPS5_jNS1_19radix_merge_compareILb0ELb1EiNS0_19identity_decomposerEEEEE10hipError_tT0_T1_T2_jT3_P12ihipStream_tbPNSt15iterator_traitsISK_E10value_typeEPNSQ_ISL_E10value_typeEPSM_NS1_7vsmem_tEENKUlT_SK_SL_SM_E_clISE_PiSF_SF_EESJ_SZ_SK_SL_SM_EUlSZ_E_NS1_11comp_targetILNS1_3genE10ELNS1_11target_archE1201ELNS1_3gpuE5ELNS1_3repE0EEENS1_48merge_mergepath_partition_config_static_selectorELNS0_4arch9wavefront6targetE1EEEvSL_
	.globl	_ZN7rocprim17ROCPRIM_400000_NS6detail17trampoline_kernelINS0_14default_configENS1_38merge_sort_block_merge_config_selectorIiNS0_10empty_typeEEEZZNS1_27merge_sort_block_merge_implIS3_N6thrust23THRUST_200600_302600_NS6detail15normal_iteratorINS9_10device_ptrIiEEEEPS5_jNS1_19radix_merge_compareILb0ELb1EiNS0_19identity_decomposerEEEEE10hipError_tT0_T1_T2_jT3_P12ihipStream_tbPNSt15iterator_traitsISK_E10value_typeEPNSQ_ISL_E10value_typeEPSM_NS1_7vsmem_tEENKUlT_SK_SL_SM_E_clISE_PiSF_SF_EESJ_SZ_SK_SL_SM_EUlSZ_E_NS1_11comp_targetILNS1_3genE10ELNS1_11target_archE1201ELNS1_3gpuE5ELNS1_3repE0EEENS1_48merge_mergepath_partition_config_static_selectorELNS0_4arch9wavefront6targetE1EEEvSL_
	.p2align	8
	.type	_ZN7rocprim17ROCPRIM_400000_NS6detail17trampoline_kernelINS0_14default_configENS1_38merge_sort_block_merge_config_selectorIiNS0_10empty_typeEEEZZNS1_27merge_sort_block_merge_implIS3_N6thrust23THRUST_200600_302600_NS6detail15normal_iteratorINS9_10device_ptrIiEEEEPS5_jNS1_19radix_merge_compareILb0ELb1EiNS0_19identity_decomposerEEEEE10hipError_tT0_T1_T2_jT3_P12ihipStream_tbPNSt15iterator_traitsISK_E10value_typeEPNSQ_ISL_E10value_typeEPSM_NS1_7vsmem_tEENKUlT_SK_SL_SM_E_clISE_PiSF_SF_EESJ_SZ_SK_SL_SM_EUlSZ_E_NS1_11comp_targetILNS1_3genE10ELNS1_11target_archE1201ELNS1_3gpuE5ELNS1_3repE0EEENS1_48merge_mergepath_partition_config_static_selectorELNS0_4arch9wavefront6targetE1EEEvSL_,@function
_ZN7rocprim17ROCPRIM_400000_NS6detail17trampoline_kernelINS0_14default_configENS1_38merge_sort_block_merge_config_selectorIiNS0_10empty_typeEEEZZNS1_27merge_sort_block_merge_implIS3_N6thrust23THRUST_200600_302600_NS6detail15normal_iteratorINS9_10device_ptrIiEEEEPS5_jNS1_19radix_merge_compareILb0ELb1EiNS0_19identity_decomposerEEEEE10hipError_tT0_T1_T2_jT3_P12ihipStream_tbPNSt15iterator_traitsISK_E10value_typeEPNSQ_ISL_E10value_typeEPSM_NS1_7vsmem_tEENKUlT_SK_SL_SM_E_clISE_PiSF_SF_EESJ_SZ_SK_SL_SM_EUlSZ_E_NS1_11comp_targetILNS1_3genE10ELNS1_11target_archE1201ELNS1_3gpuE5ELNS1_3repE0EEENS1_48merge_mergepath_partition_config_static_selectorELNS0_4arch9wavefront6targetE1EEEvSL_: ; @_ZN7rocprim17ROCPRIM_400000_NS6detail17trampoline_kernelINS0_14default_configENS1_38merge_sort_block_merge_config_selectorIiNS0_10empty_typeEEEZZNS1_27merge_sort_block_merge_implIS3_N6thrust23THRUST_200600_302600_NS6detail15normal_iteratorINS9_10device_ptrIiEEEEPS5_jNS1_19radix_merge_compareILb0ELb1EiNS0_19identity_decomposerEEEEE10hipError_tT0_T1_T2_jT3_P12ihipStream_tbPNSt15iterator_traitsISK_E10value_typeEPNSQ_ISL_E10value_typeEPSM_NS1_7vsmem_tEENKUlT_SK_SL_SM_E_clISE_PiSF_SF_EESJ_SZ_SK_SL_SM_EUlSZ_E_NS1_11comp_targetILNS1_3genE10ELNS1_11target_archE1201ELNS1_3gpuE5ELNS1_3repE0EEENS1_48merge_mergepath_partition_config_static_selectorELNS0_4arch9wavefront6targetE1EEEvSL_
; %bb.0:
	.section	.rodata,"a",@progbits
	.p2align	6, 0x0
	.amdhsa_kernel _ZN7rocprim17ROCPRIM_400000_NS6detail17trampoline_kernelINS0_14default_configENS1_38merge_sort_block_merge_config_selectorIiNS0_10empty_typeEEEZZNS1_27merge_sort_block_merge_implIS3_N6thrust23THRUST_200600_302600_NS6detail15normal_iteratorINS9_10device_ptrIiEEEEPS5_jNS1_19radix_merge_compareILb0ELb1EiNS0_19identity_decomposerEEEEE10hipError_tT0_T1_T2_jT3_P12ihipStream_tbPNSt15iterator_traitsISK_E10value_typeEPNSQ_ISL_E10value_typeEPSM_NS1_7vsmem_tEENKUlT_SK_SL_SM_E_clISE_PiSF_SF_EESJ_SZ_SK_SL_SM_EUlSZ_E_NS1_11comp_targetILNS1_3genE10ELNS1_11target_archE1201ELNS1_3gpuE5ELNS1_3repE0EEENS1_48merge_mergepath_partition_config_static_selectorELNS0_4arch9wavefront6targetE1EEEvSL_
		.amdhsa_group_segment_fixed_size 0
		.amdhsa_private_segment_fixed_size 0
		.amdhsa_kernarg_size 40
		.amdhsa_user_sgpr_count 2
		.amdhsa_user_sgpr_dispatch_ptr 0
		.amdhsa_user_sgpr_queue_ptr 0
		.amdhsa_user_sgpr_kernarg_segment_ptr 1
		.amdhsa_user_sgpr_dispatch_id 0
		.amdhsa_user_sgpr_kernarg_preload_length 0
		.amdhsa_user_sgpr_kernarg_preload_offset 0
		.amdhsa_user_sgpr_private_segment_size 0
		.amdhsa_uses_dynamic_stack 0
		.amdhsa_enable_private_segment 0
		.amdhsa_system_sgpr_workgroup_id_x 1
		.amdhsa_system_sgpr_workgroup_id_y 0
		.amdhsa_system_sgpr_workgroup_id_z 0
		.amdhsa_system_sgpr_workgroup_info 0
		.amdhsa_system_vgpr_workitem_id 0
		.amdhsa_next_free_vgpr 1
		.amdhsa_next_free_sgpr 0
		.amdhsa_accum_offset 4
		.amdhsa_reserve_vcc 0
		.amdhsa_float_round_mode_32 0
		.amdhsa_float_round_mode_16_64 0
		.amdhsa_float_denorm_mode_32 3
		.amdhsa_float_denorm_mode_16_64 3
		.amdhsa_dx10_clamp 1
		.amdhsa_ieee_mode 1
		.amdhsa_fp16_overflow 0
		.amdhsa_tg_split 0
		.amdhsa_exception_fp_ieee_invalid_op 0
		.amdhsa_exception_fp_denorm_src 0
		.amdhsa_exception_fp_ieee_div_zero 0
		.amdhsa_exception_fp_ieee_overflow 0
		.amdhsa_exception_fp_ieee_underflow 0
		.amdhsa_exception_fp_ieee_inexact 0
		.amdhsa_exception_int_div_zero 0
	.end_amdhsa_kernel
	.section	.text._ZN7rocprim17ROCPRIM_400000_NS6detail17trampoline_kernelINS0_14default_configENS1_38merge_sort_block_merge_config_selectorIiNS0_10empty_typeEEEZZNS1_27merge_sort_block_merge_implIS3_N6thrust23THRUST_200600_302600_NS6detail15normal_iteratorINS9_10device_ptrIiEEEEPS5_jNS1_19radix_merge_compareILb0ELb1EiNS0_19identity_decomposerEEEEE10hipError_tT0_T1_T2_jT3_P12ihipStream_tbPNSt15iterator_traitsISK_E10value_typeEPNSQ_ISL_E10value_typeEPSM_NS1_7vsmem_tEENKUlT_SK_SL_SM_E_clISE_PiSF_SF_EESJ_SZ_SK_SL_SM_EUlSZ_E_NS1_11comp_targetILNS1_3genE10ELNS1_11target_archE1201ELNS1_3gpuE5ELNS1_3repE0EEENS1_48merge_mergepath_partition_config_static_selectorELNS0_4arch9wavefront6targetE1EEEvSL_,"axG",@progbits,_ZN7rocprim17ROCPRIM_400000_NS6detail17trampoline_kernelINS0_14default_configENS1_38merge_sort_block_merge_config_selectorIiNS0_10empty_typeEEEZZNS1_27merge_sort_block_merge_implIS3_N6thrust23THRUST_200600_302600_NS6detail15normal_iteratorINS9_10device_ptrIiEEEEPS5_jNS1_19radix_merge_compareILb0ELb1EiNS0_19identity_decomposerEEEEE10hipError_tT0_T1_T2_jT3_P12ihipStream_tbPNSt15iterator_traitsISK_E10value_typeEPNSQ_ISL_E10value_typeEPSM_NS1_7vsmem_tEENKUlT_SK_SL_SM_E_clISE_PiSF_SF_EESJ_SZ_SK_SL_SM_EUlSZ_E_NS1_11comp_targetILNS1_3genE10ELNS1_11target_archE1201ELNS1_3gpuE5ELNS1_3repE0EEENS1_48merge_mergepath_partition_config_static_selectorELNS0_4arch9wavefront6targetE1EEEvSL_,comdat
.Lfunc_end109:
	.size	_ZN7rocprim17ROCPRIM_400000_NS6detail17trampoline_kernelINS0_14default_configENS1_38merge_sort_block_merge_config_selectorIiNS0_10empty_typeEEEZZNS1_27merge_sort_block_merge_implIS3_N6thrust23THRUST_200600_302600_NS6detail15normal_iteratorINS9_10device_ptrIiEEEEPS5_jNS1_19radix_merge_compareILb0ELb1EiNS0_19identity_decomposerEEEEE10hipError_tT0_T1_T2_jT3_P12ihipStream_tbPNSt15iterator_traitsISK_E10value_typeEPNSQ_ISL_E10value_typeEPSM_NS1_7vsmem_tEENKUlT_SK_SL_SM_E_clISE_PiSF_SF_EESJ_SZ_SK_SL_SM_EUlSZ_E_NS1_11comp_targetILNS1_3genE10ELNS1_11target_archE1201ELNS1_3gpuE5ELNS1_3repE0EEENS1_48merge_mergepath_partition_config_static_selectorELNS0_4arch9wavefront6targetE1EEEvSL_, .Lfunc_end109-_ZN7rocprim17ROCPRIM_400000_NS6detail17trampoline_kernelINS0_14default_configENS1_38merge_sort_block_merge_config_selectorIiNS0_10empty_typeEEEZZNS1_27merge_sort_block_merge_implIS3_N6thrust23THRUST_200600_302600_NS6detail15normal_iteratorINS9_10device_ptrIiEEEEPS5_jNS1_19radix_merge_compareILb0ELb1EiNS0_19identity_decomposerEEEEE10hipError_tT0_T1_T2_jT3_P12ihipStream_tbPNSt15iterator_traitsISK_E10value_typeEPNSQ_ISL_E10value_typeEPSM_NS1_7vsmem_tEENKUlT_SK_SL_SM_E_clISE_PiSF_SF_EESJ_SZ_SK_SL_SM_EUlSZ_E_NS1_11comp_targetILNS1_3genE10ELNS1_11target_archE1201ELNS1_3gpuE5ELNS1_3repE0EEENS1_48merge_mergepath_partition_config_static_selectorELNS0_4arch9wavefront6targetE1EEEvSL_
                                        ; -- End function
	.set _ZN7rocprim17ROCPRIM_400000_NS6detail17trampoline_kernelINS0_14default_configENS1_38merge_sort_block_merge_config_selectorIiNS0_10empty_typeEEEZZNS1_27merge_sort_block_merge_implIS3_N6thrust23THRUST_200600_302600_NS6detail15normal_iteratorINS9_10device_ptrIiEEEEPS5_jNS1_19radix_merge_compareILb0ELb1EiNS0_19identity_decomposerEEEEE10hipError_tT0_T1_T2_jT3_P12ihipStream_tbPNSt15iterator_traitsISK_E10value_typeEPNSQ_ISL_E10value_typeEPSM_NS1_7vsmem_tEENKUlT_SK_SL_SM_E_clISE_PiSF_SF_EESJ_SZ_SK_SL_SM_EUlSZ_E_NS1_11comp_targetILNS1_3genE10ELNS1_11target_archE1201ELNS1_3gpuE5ELNS1_3repE0EEENS1_48merge_mergepath_partition_config_static_selectorELNS0_4arch9wavefront6targetE1EEEvSL_.num_vgpr, 0
	.set _ZN7rocprim17ROCPRIM_400000_NS6detail17trampoline_kernelINS0_14default_configENS1_38merge_sort_block_merge_config_selectorIiNS0_10empty_typeEEEZZNS1_27merge_sort_block_merge_implIS3_N6thrust23THRUST_200600_302600_NS6detail15normal_iteratorINS9_10device_ptrIiEEEEPS5_jNS1_19radix_merge_compareILb0ELb1EiNS0_19identity_decomposerEEEEE10hipError_tT0_T1_T2_jT3_P12ihipStream_tbPNSt15iterator_traitsISK_E10value_typeEPNSQ_ISL_E10value_typeEPSM_NS1_7vsmem_tEENKUlT_SK_SL_SM_E_clISE_PiSF_SF_EESJ_SZ_SK_SL_SM_EUlSZ_E_NS1_11comp_targetILNS1_3genE10ELNS1_11target_archE1201ELNS1_3gpuE5ELNS1_3repE0EEENS1_48merge_mergepath_partition_config_static_selectorELNS0_4arch9wavefront6targetE1EEEvSL_.num_agpr, 0
	.set _ZN7rocprim17ROCPRIM_400000_NS6detail17trampoline_kernelINS0_14default_configENS1_38merge_sort_block_merge_config_selectorIiNS0_10empty_typeEEEZZNS1_27merge_sort_block_merge_implIS3_N6thrust23THRUST_200600_302600_NS6detail15normal_iteratorINS9_10device_ptrIiEEEEPS5_jNS1_19radix_merge_compareILb0ELb1EiNS0_19identity_decomposerEEEEE10hipError_tT0_T1_T2_jT3_P12ihipStream_tbPNSt15iterator_traitsISK_E10value_typeEPNSQ_ISL_E10value_typeEPSM_NS1_7vsmem_tEENKUlT_SK_SL_SM_E_clISE_PiSF_SF_EESJ_SZ_SK_SL_SM_EUlSZ_E_NS1_11comp_targetILNS1_3genE10ELNS1_11target_archE1201ELNS1_3gpuE5ELNS1_3repE0EEENS1_48merge_mergepath_partition_config_static_selectorELNS0_4arch9wavefront6targetE1EEEvSL_.numbered_sgpr, 0
	.set _ZN7rocprim17ROCPRIM_400000_NS6detail17trampoline_kernelINS0_14default_configENS1_38merge_sort_block_merge_config_selectorIiNS0_10empty_typeEEEZZNS1_27merge_sort_block_merge_implIS3_N6thrust23THRUST_200600_302600_NS6detail15normal_iteratorINS9_10device_ptrIiEEEEPS5_jNS1_19radix_merge_compareILb0ELb1EiNS0_19identity_decomposerEEEEE10hipError_tT0_T1_T2_jT3_P12ihipStream_tbPNSt15iterator_traitsISK_E10value_typeEPNSQ_ISL_E10value_typeEPSM_NS1_7vsmem_tEENKUlT_SK_SL_SM_E_clISE_PiSF_SF_EESJ_SZ_SK_SL_SM_EUlSZ_E_NS1_11comp_targetILNS1_3genE10ELNS1_11target_archE1201ELNS1_3gpuE5ELNS1_3repE0EEENS1_48merge_mergepath_partition_config_static_selectorELNS0_4arch9wavefront6targetE1EEEvSL_.num_named_barrier, 0
	.set _ZN7rocprim17ROCPRIM_400000_NS6detail17trampoline_kernelINS0_14default_configENS1_38merge_sort_block_merge_config_selectorIiNS0_10empty_typeEEEZZNS1_27merge_sort_block_merge_implIS3_N6thrust23THRUST_200600_302600_NS6detail15normal_iteratorINS9_10device_ptrIiEEEEPS5_jNS1_19radix_merge_compareILb0ELb1EiNS0_19identity_decomposerEEEEE10hipError_tT0_T1_T2_jT3_P12ihipStream_tbPNSt15iterator_traitsISK_E10value_typeEPNSQ_ISL_E10value_typeEPSM_NS1_7vsmem_tEENKUlT_SK_SL_SM_E_clISE_PiSF_SF_EESJ_SZ_SK_SL_SM_EUlSZ_E_NS1_11comp_targetILNS1_3genE10ELNS1_11target_archE1201ELNS1_3gpuE5ELNS1_3repE0EEENS1_48merge_mergepath_partition_config_static_selectorELNS0_4arch9wavefront6targetE1EEEvSL_.private_seg_size, 0
	.set _ZN7rocprim17ROCPRIM_400000_NS6detail17trampoline_kernelINS0_14default_configENS1_38merge_sort_block_merge_config_selectorIiNS0_10empty_typeEEEZZNS1_27merge_sort_block_merge_implIS3_N6thrust23THRUST_200600_302600_NS6detail15normal_iteratorINS9_10device_ptrIiEEEEPS5_jNS1_19radix_merge_compareILb0ELb1EiNS0_19identity_decomposerEEEEE10hipError_tT0_T1_T2_jT3_P12ihipStream_tbPNSt15iterator_traitsISK_E10value_typeEPNSQ_ISL_E10value_typeEPSM_NS1_7vsmem_tEENKUlT_SK_SL_SM_E_clISE_PiSF_SF_EESJ_SZ_SK_SL_SM_EUlSZ_E_NS1_11comp_targetILNS1_3genE10ELNS1_11target_archE1201ELNS1_3gpuE5ELNS1_3repE0EEENS1_48merge_mergepath_partition_config_static_selectorELNS0_4arch9wavefront6targetE1EEEvSL_.uses_vcc, 0
	.set _ZN7rocprim17ROCPRIM_400000_NS6detail17trampoline_kernelINS0_14default_configENS1_38merge_sort_block_merge_config_selectorIiNS0_10empty_typeEEEZZNS1_27merge_sort_block_merge_implIS3_N6thrust23THRUST_200600_302600_NS6detail15normal_iteratorINS9_10device_ptrIiEEEEPS5_jNS1_19radix_merge_compareILb0ELb1EiNS0_19identity_decomposerEEEEE10hipError_tT0_T1_T2_jT3_P12ihipStream_tbPNSt15iterator_traitsISK_E10value_typeEPNSQ_ISL_E10value_typeEPSM_NS1_7vsmem_tEENKUlT_SK_SL_SM_E_clISE_PiSF_SF_EESJ_SZ_SK_SL_SM_EUlSZ_E_NS1_11comp_targetILNS1_3genE10ELNS1_11target_archE1201ELNS1_3gpuE5ELNS1_3repE0EEENS1_48merge_mergepath_partition_config_static_selectorELNS0_4arch9wavefront6targetE1EEEvSL_.uses_flat_scratch, 0
	.set _ZN7rocprim17ROCPRIM_400000_NS6detail17trampoline_kernelINS0_14default_configENS1_38merge_sort_block_merge_config_selectorIiNS0_10empty_typeEEEZZNS1_27merge_sort_block_merge_implIS3_N6thrust23THRUST_200600_302600_NS6detail15normal_iteratorINS9_10device_ptrIiEEEEPS5_jNS1_19radix_merge_compareILb0ELb1EiNS0_19identity_decomposerEEEEE10hipError_tT0_T1_T2_jT3_P12ihipStream_tbPNSt15iterator_traitsISK_E10value_typeEPNSQ_ISL_E10value_typeEPSM_NS1_7vsmem_tEENKUlT_SK_SL_SM_E_clISE_PiSF_SF_EESJ_SZ_SK_SL_SM_EUlSZ_E_NS1_11comp_targetILNS1_3genE10ELNS1_11target_archE1201ELNS1_3gpuE5ELNS1_3repE0EEENS1_48merge_mergepath_partition_config_static_selectorELNS0_4arch9wavefront6targetE1EEEvSL_.has_dyn_sized_stack, 0
	.set _ZN7rocprim17ROCPRIM_400000_NS6detail17trampoline_kernelINS0_14default_configENS1_38merge_sort_block_merge_config_selectorIiNS0_10empty_typeEEEZZNS1_27merge_sort_block_merge_implIS3_N6thrust23THRUST_200600_302600_NS6detail15normal_iteratorINS9_10device_ptrIiEEEEPS5_jNS1_19radix_merge_compareILb0ELb1EiNS0_19identity_decomposerEEEEE10hipError_tT0_T1_T2_jT3_P12ihipStream_tbPNSt15iterator_traitsISK_E10value_typeEPNSQ_ISL_E10value_typeEPSM_NS1_7vsmem_tEENKUlT_SK_SL_SM_E_clISE_PiSF_SF_EESJ_SZ_SK_SL_SM_EUlSZ_E_NS1_11comp_targetILNS1_3genE10ELNS1_11target_archE1201ELNS1_3gpuE5ELNS1_3repE0EEENS1_48merge_mergepath_partition_config_static_selectorELNS0_4arch9wavefront6targetE1EEEvSL_.has_recursion, 0
	.set _ZN7rocprim17ROCPRIM_400000_NS6detail17trampoline_kernelINS0_14default_configENS1_38merge_sort_block_merge_config_selectorIiNS0_10empty_typeEEEZZNS1_27merge_sort_block_merge_implIS3_N6thrust23THRUST_200600_302600_NS6detail15normal_iteratorINS9_10device_ptrIiEEEEPS5_jNS1_19radix_merge_compareILb0ELb1EiNS0_19identity_decomposerEEEEE10hipError_tT0_T1_T2_jT3_P12ihipStream_tbPNSt15iterator_traitsISK_E10value_typeEPNSQ_ISL_E10value_typeEPSM_NS1_7vsmem_tEENKUlT_SK_SL_SM_E_clISE_PiSF_SF_EESJ_SZ_SK_SL_SM_EUlSZ_E_NS1_11comp_targetILNS1_3genE10ELNS1_11target_archE1201ELNS1_3gpuE5ELNS1_3repE0EEENS1_48merge_mergepath_partition_config_static_selectorELNS0_4arch9wavefront6targetE1EEEvSL_.has_indirect_call, 0
	.section	.AMDGPU.csdata,"",@progbits
; Kernel info:
; codeLenInByte = 0
; TotalNumSgprs: 6
; NumVgprs: 0
; NumAgprs: 0
; TotalNumVgprs: 0
; ScratchSize: 0
; MemoryBound: 0
; FloatMode: 240
; IeeeMode: 1
; LDSByteSize: 0 bytes/workgroup (compile time only)
; SGPRBlocks: 0
; VGPRBlocks: 0
; NumSGPRsForWavesPerEU: 6
; NumVGPRsForWavesPerEU: 1
; AccumOffset: 4
; Occupancy: 8
; WaveLimiterHint : 0
; COMPUTE_PGM_RSRC2:SCRATCH_EN: 0
; COMPUTE_PGM_RSRC2:USER_SGPR: 2
; COMPUTE_PGM_RSRC2:TRAP_HANDLER: 0
; COMPUTE_PGM_RSRC2:TGID_X_EN: 1
; COMPUTE_PGM_RSRC2:TGID_Y_EN: 0
; COMPUTE_PGM_RSRC2:TGID_Z_EN: 0
; COMPUTE_PGM_RSRC2:TIDIG_COMP_CNT: 0
; COMPUTE_PGM_RSRC3_GFX90A:ACCUM_OFFSET: 0
; COMPUTE_PGM_RSRC3_GFX90A:TG_SPLIT: 0
	.section	.text._ZN7rocprim17ROCPRIM_400000_NS6detail17trampoline_kernelINS0_14default_configENS1_38merge_sort_block_merge_config_selectorIiNS0_10empty_typeEEEZZNS1_27merge_sort_block_merge_implIS3_N6thrust23THRUST_200600_302600_NS6detail15normal_iteratorINS9_10device_ptrIiEEEEPS5_jNS1_19radix_merge_compareILb0ELb1EiNS0_19identity_decomposerEEEEE10hipError_tT0_T1_T2_jT3_P12ihipStream_tbPNSt15iterator_traitsISK_E10value_typeEPNSQ_ISL_E10value_typeEPSM_NS1_7vsmem_tEENKUlT_SK_SL_SM_E_clISE_PiSF_SF_EESJ_SZ_SK_SL_SM_EUlSZ_E_NS1_11comp_targetILNS1_3genE5ELNS1_11target_archE942ELNS1_3gpuE9ELNS1_3repE0EEENS1_48merge_mergepath_partition_config_static_selectorELNS0_4arch9wavefront6targetE1EEEvSL_,"axG",@progbits,_ZN7rocprim17ROCPRIM_400000_NS6detail17trampoline_kernelINS0_14default_configENS1_38merge_sort_block_merge_config_selectorIiNS0_10empty_typeEEEZZNS1_27merge_sort_block_merge_implIS3_N6thrust23THRUST_200600_302600_NS6detail15normal_iteratorINS9_10device_ptrIiEEEEPS5_jNS1_19radix_merge_compareILb0ELb1EiNS0_19identity_decomposerEEEEE10hipError_tT0_T1_T2_jT3_P12ihipStream_tbPNSt15iterator_traitsISK_E10value_typeEPNSQ_ISL_E10value_typeEPSM_NS1_7vsmem_tEENKUlT_SK_SL_SM_E_clISE_PiSF_SF_EESJ_SZ_SK_SL_SM_EUlSZ_E_NS1_11comp_targetILNS1_3genE5ELNS1_11target_archE942ELNS1_3gpuE9ELNS1_3repE0EEENS1_48merge_mergepath_partition_config_static_selectorELNS0_4arch9wavefront6targetE1EEEvSL_,comdat
	.protected	_ZN7rocprim17ROCPRIM_400000_NS6detail17trampoline_kernelINS0_14default_configENS1_38merge_sort_block_merge_config_selectorIiNS0_10empty_typeEEEZZNS1_27merge_sort_block_merge_implIS3_N6thrust23THRUST_200600_302600_NS6detail15normal_iteratorINS9_10device_ptrIiEEEEPS5_jNS1_19radix_merge_compareILb0ELb1EiNS0_19identity_decomposerEEEEE10hipError_tT0_T1_T2_jT3_P12ihipStream_tbPNSt15iterator_traitsISK_E10value_typeEPNSQ_ISL_E10value_typeEPSM_NS1_7vsmem_tEENKUlT_SK_SL_SM_E_clISE_PiSF_SF_EESJ_SZ_SK_SL_SM_EUlSZ_E_NS1_11comp_targetILNS1_3genE5ELNS1_11target_archE942ELNS1_3gpuE9ELNS1_3repE0EEENS1_48merge_mergepath_partition_config_static_selectorELNS0_4arch9wavefront6targetE1EEEvSL_ ; -- Begin function _ZN7rocprim17ROCPRIM_400000_NS6detail17trampoline_kernelINS0_14default_configENS1_38merge_sort_block_merge_config_selectorIiNS0_10empty_typeEEEZZNS1_27merge_sort_block_merge_implIS3_N6thrust23THRUST_200600_302600_NS6detail15normal_iteratorINS9_10device_ptrIiEEEEPS5_jNS1_19radix_merge_compareILb0ELb1EiNS0_19identity_decomposerEEEEE10hipError_tT0_T1_T2_jT3_P12ihipStream_tbPNSt15iterator_traitsISK_E10value_typeEPNSQ_ISL_E10value_typeEPSM_NS1_7vsmem_tEENKUlT_SK_SL_SM_E_clISE_PiSF_SF_EESJ_SZ_SK_SL_SM_EUlSZ_E_NS1_11comp_targetILNS1_3genE5ELNS1_11target_archE942ELNS1_3gpuE9ELNS1_3repE0EEENS1_48merge_mergepath_partition_config_static_selectorELNS0_4arch9wavefront6targetE1EEEvSL_
	.globl	_ZN7rocprim17ROCPRIM_400000_NS6detail17trampoline_kernelINS0_14default_configENS1_38merge_sort_block_merge_config_selectorIiNS0_10empty_typeEEEZZNS1_27merge_sort_block_merge_implIS3_N6thrust23THRUST_200600_302600_NS6detail15normal_iteratorINS9_10device_ptrIiEEEEPS5_jNS1_19radix_merge_compareILb0ELb1EiNS0_19identity_decomposerEEEEE10hipError_tT0_T1_T2_jT3_P12ihipStream_tbPNSt15iterator_traitsISK_E10value_typeEPNSQ_ISL_E10value_typeEPSM_NS1_7vsmem_tEENKUlT_SK_SL_SM_E_clISE_PiSF_SF_EESJ_SZ_SK_SL_SM_EUlSZ_E_NS1_11comp_targetILNS1_3genE5ELNS1_11target_archE942ELNS1_3gpuE9ELNS1_3repE0EEENS1_48merge_mergepath_partition_config_static_selectorELNS0_4arch9wavefront6targetE1EEEvSL_
	.p2align	8
	.type	_ZN7rocprim17ROCPRIM_400000_NS6detail17trampoline_kernelINS0_14default_configENS1_38merge_sort_block_merge_config_selectorIiNS0_10empty_typeEEEZZNS1_27merge_sort_block_merge_implIS3_N6thrust23THRUST_200600_302600_NS6detail15normal_iteratorINS9_10device_ptrIiEEEEPS5_jNS1_19radix_merge_compareILb0ELb1EiNS0_19identity_decomposerEEEEE10hipError_tT0_T1_T2_jT3_P12ihipStream_tbPNSt15iterator_traitsISK_E10value_typeEPNSQ_ISL_E10value_typeEPSM_NS1_7vsmem_tEENKUlT_SK_SL_SM_E_clISE_PiSF_SF_EESJ_SZ_SK_SL_SM_EUlSZ_E_NS1_11comp_targetILNS1_3genE5ELNS1_11target_archE942ELNS1_3gpuE9ELNS1_3repE0EEENS1_48merge_mergepath_partition_config_static_selectorELNS0_4arch9wavefront6targetE1EEEvSL_,@function
_ZN7rocprim17ROCPRIM_400000_NS6detail17trampoline_kernelINS0_14default_configENS1_38merge_sort_block_merge_config_selectorIiNS0_10empty_typeEEEZZNS1_27merge_sort_block_merge_implIS3_N6thrust23THRUST_200600_302600_NS6detail15normal_iteratorINS9_10device_ptrIiEEEEPS5_jNS1_19radix_merge_compareILb0ELb1EiNS0_19identity_decomposerEEEEE10hipError_tT0_T1_T2_jT3_P12ihipStream_tbPNSt15iterator_traitsISK_E10value_typeEPNSQ_ISL_E10value_typeEPSM_NS1_7vsmem_tEENKUlT_SK_SL_SM_E_clISE_PiSF_SF_EESJ_SZ_SK_SL_SM_EUlSZ_E_NS1_11comp_targetILNS1_3genE5ELNS1_11target_archE942ELNS1_3gpuE9ELNS1_3repE0EEENS1_48merge_mergepath_partition_config_static_selectorELNS0_4arch9wavefront6targetE1EEEvSL_: ; @_ZN7rocprim17ROCPRIM_400000_NS6detail17trampoline_kernelINS0_14default_configENS1_38merge_sort_block_merge_config_selectorIiNS0_10empty_typeEEEZZNS1_27merge_sort_block_merge_implIS3_N6thrust23THRUST_200600_302600_NS6detail15normal_iteratorINS9_10device_ptrIiEEEEPS5_jNS1_19radix_merge_compareILb0ELb1EiNS0_19identity_decomposerEEEEE10hipError_tT0_T1_T2_jT3_P12ihipStream_tbPNSt15iterator_traitsISK_E10value_typeEPNSQ_ISL_E10value_typeEPSM_NS1_7vsmem_tEENKUlT_SK_SL_SM_E_clISE_PiSF_SF_EESJ_SZ_SK_SL_SM_EUlSZ_E_NS1_11comp_targetILNS1_3genE5ELNS1_11target_archE942ELNS1_3gpuE9ELNS1_3repE0EEENS1_48merge_mergepath_partition_config_static_selectorELNS0_4arch9wavefront6targetE1EEEvSL_
; %bb.0:
	.section	.rodata,"a",@progbits
	.p2align	6, 0x0
	.amdhsa_kernel _ZN7rocprim17ROCPRIM_400000_NS6detail17trampoline_kernelINS0_14default_configENS1_38merge_sort_block_merge_config_selectorIiNS0_10empty_typeEEEZZNS1_27merge_sort_block_merge_implIS3_N6thrust23THRUST_200600_302600_NS6detail15normal_iteratorINS9_10device_ptrIiEEEEPS5_jNS1_19radix_merge_compareILb0ELb1EiNS0_19identity_decomposerEEEEE10hipError_tT0_T1_T2_jT3_P12ihipStream_tbPNSt15iterator_traitsISK_E10value_typeEPNSQ_ISL_E10value_typeEPSM_NS1_7vsmem_tEENKUlT_SK_SL_SM_E_clISE_PiSF_SF_EESJ_SZ_SK_SL_SM_EUlSZ_E_NS1_11comp_targetILNS1_3genE5ELNS1_11target_archE942ELNS1_3gpuE9ELNS1_3repE0EEENS1_48merge_mergepath_partition_config_static_selectorELNS0_4arch9wavefront6targetE1EEEvSL_
		.amdhsa_group_segment_fixed_size 0
		.amdhsa_private_segment_fixed_size 0
		.amdhsa_kernarg_size 40
		.amdhsa_user_sgpr_count 2
		.amdhsa_user_sgpr_dispatch_ptr 0
		.amdhsa_user_sgpr_queue_ptr 0
		.amdhsa_user_sgpr_kernarg_segment_ptr 1
		.amdhsa_user_sgpr_dispatch_id 0
		.amdhsa_user_sgpr_kernarg_preload_length 0
		.amdhsa_user_sgpr_kernarg_preload_offset 0
		.amdhsa_user_sgpr_private_segment_size 0
		.amdhsa_uses_dynamic_stack 0
		.amdhsa_enable_private_segment 0
		.amdhsa_system_sgpr_workgroup_id_x 1
		.amdhsa_system_sgpr_workgroup_id_y 0
		.amdhsa_system_sgpr_workgroup_id_z 0
		.amdhsa_system_sgpr_workgroup_info 0
		.amdhsa_system_vgpr_workitem_id 0
		.amdhsa_next_free_vgpr 1
		.amdhsa_next_free_sgpr 0
		.amdhsa_accum_offset 4
		.amdhsa_reserve_vcc 0
		.amdhsa_float_round_mode_32 0
		.amdhsa_float_round_mode_16_64 0
		.amdhsa_float_denorm_mode_32 3
		.amdhsa_float_denorm_mode_16_64 3
		.amdhsa_dx10_clamp 1
		.amdhsa_ieee_mode 1
		.amdhsa_fp16_overflow 0
		.amdhsa_tg_split 0
		.amdhsa_exception_fp_ieee_invalid_op 0
		.amdhsa_exception_fp_denorm_src 0
		.amdhsa_exception_fp_ieee_div_zero 0
		.amdhsa_exception_fp_ieee_overflow 0
		.amdhsa_exception_fp_ieee_underflow 0
		.amdhsa_exception_fp_ieee_inexact 0
		.amdhsa_exception_int_div_zero 0
	.end_amdhsa_kernel
	.section	.text._ZN7rocprim17ROCPRIM_400000_NS6detail17trampoline_kernelINS0_14default_configENS1_38merge_sort_block_merge_config_selectorIiNS0_10empty_typeEEEZZNS1_27merge_sort_block_merge_implIS3_N6thrust23THRUST_200600_302600_NS6detail15normal_iteratorINS9_10device_ptrIiEEEEPS5_jNS1_19radix_merge_compareILb0ELb1EiNS0_19identity_decomposerEEEEE10hipError_tT0_T1_T2_jT3_P12ihipStream_tbPNSt15iterator_traitsISK_E10value_typeEPNSQ_ISL_E10value_typeEPSM_NS1_7vsmem_tEENKUlT_SK_SL_SM_E_clISE_PiSF_SF_EESJ_SZ_SK_SL_SM_EUlSZ_E_NS1_11comp_targetILNS1_3genE5ELNS1_11target_archE942ELNS1_3gpuE9ELNS1_3repE0EEENS1_48merge_mergepath_partition_config_static_selectorELNS0_4arch9wavefront6targetE1EEEvSL_,"axG",@progbits,_ZN7rocprim17ROCPRIM_400000_NS6detail17trampoline_kernelINS0_14default_configENS1_38merge_sort_block_merge_config_selectorIiNS0_10empty_typeEEEZZNS1_27merge_sort_block_merge_implIS3_N6thrust23THRUST_200600_302600_NS6detail15normal_iteratorINS9_10device_ptrIiEEEEPS5_jNS1_19radix_merge_compareILb0ELb1EiNS0_19identity_decomposerEEEEE10hipError_tT0_T1_T2_jT3_P12ihipStream_tbPNSt15iterator_traitsISK_E10value_typeEPNSQ_ISL_E10value_typeEPSM_NS1_7vsmem_tEENKUlT_SK_SL_SM_E_clISE_PiSF_SF_EESJ_SZ_SK_SL_SM_EUlSZ_E_NS1_11comp_targetILNS1_3genE5ELNS1_11target_archE942ELNS1_3gpuE9ELNS1_3repE0EEENS1_48merge_mergepath_partition_config_static_selectorELNS0_4arch9wavefront6targetE1EEEvSL_,comdat
.Lfunc_end110:
	.size	_ZN7rocprim17ROCPRIM_400000_NS6detail17trampoline_kernelINS0_14default_configENS1_38merge_sort_block_merge_config_selectorIiNS0_10empty_typeEEEZZNS1_27merge_sort_block_merge_implIS3_N6thrust23THRUST_200600_302600_NS6detail15normal_iteratorINS9_10device_ptrIiEEEEPS5_jNS1_19radix_merge_compareILb0ELb1EiNS0_19identity_decomposerEEEEE10hipError_tT0_T1_T2_jT3_P12ihipStream_tbPNSt15iterator_traitsISK_E10value_typeEPNSQ_ISL_E10value_typeEPSM_NS1_7vsmem_tEENKUlT_SK_SL_SM_E_clISE_PiSF_SF_EESJ_SZ_SK_SL_SM_EUlSZ_E_NS1_11comp_targetILNS1_3genE5ELNS1_11target_archE942ELNS1_3gpuE9ELNS1_3repE0EEENS1_48merge_mergepath_partition_config_static_selectorELNS0_4arch9wavefront6targetE1EEEvSL_, .Lfunc_end110-_ZN7rocprim17ROCPRIM_400000_NS6detail17trampoline_kernelINS0_14default_configENS1_38merge_sort_block_merge_config_selectorIiNS0_10empty_typeEEEZZNS1_27merge_sort_block_merge_implIS3_N6thrust23THRUST_200600_302600_NS6detail15normal_iteratorINS9_10device_ptrIiEEEEPS5_jNS1_19radix_merge_compareILb0ELb1EiNS0_19identity_decomposerEEEEE10hipError_tT0_T1_T2_jT3_P12ihipStream_tbPNSt15iterator_traitsISK_E10value_typeEPNSQ_ISL_E10value_typeEPSM_NS1_7vsmem_tEENKUlT_SK_SL_SM_E_clISE_PiSF_SF_EESJ_SZ_SK_SL_SM_EUlSZ_E_NS1_11comp_targetILNS1_3genE5ELNS1_11target_archE942ELNS1_3gpuE9ELNS1_3repE0EEENS1_48merge_mergepath_partition_config_static_selectorELNS0_4arch9wavefront6targetE1EEEvSL_
                                        ; -- End function
	.set _ZN7rocprim17ROCPRIM_400000_NS6detail17trampoline_kernelINS0_14default_configENS1_38merge_sort_block_merge_config_selectorIiNS0_10empty_typeEEEZZNS1_27merge_sort_block_merge_implIS3_N6thrust23THRUST_200600_302600_NS6detail15normal_iteratorINS9_10device_ptrIiEEEEPS5_jNS1_19radix_merge_compareILb0ELb1EiNS0_19identity_decomposerEEEEE10hipError_tT0_T1_T2_jT3_P12ihipStream_tbPNSt15iterator_traitsISK_E10value_typeEPNSQ_ISL_E10value_typeEPSM_NS1_7vsmem_tEENKUlT_SK_SL_SM_E_clISE_PiSF_SF_EESJ_SZ_SK_SL_SM_EUlSZ_E_NS1_11comp_targetILNS1_3genE5ELNS1_11target_archE942ELNS1_3gpuE9ELNS1_3repE0EEENS1_48merge_mergepath_partition_config_static_selectorELNS0_4arch9wavefront6targetE1EEEvSL_.num_vgpr, 0
	.set _ZN7rocprim17ROCPRIM_400000_NS6detail17trampoline_kernelINS0_14default_configENS1_38merge_sort_block_merge_config_selectorIiNS0_10empty_typeEEEZZNS1_27merge_sort_block_merge_implIS3_N6thrust23THRUST_200600_302600_NS6detail15normal_iteratorINS9_10device_ptrIiEEEEPS5_jNS1_19radix_merge_compareILb0ELb1EiNS0_19identity_decomposerEEEEE10hipError_tT0_T1_T2_jT3_P12ihipStream_tbPNSt15iterator_traitsISK_E10value_typeEPNSQ_ISL_E10value_typeEPSM_NS1_7vsmem_tEENKUlT_SK_SL_SM_E_clISE_PiSF_SF_EESJ_SZ_SK_SL_SM_EUlSZ_E_NS1_11comp_targetILNS1_3genE5ELNS1_11target_archE942ELNS1_3gpuE9ELNS1_3repE0EEENS1_48merge_mergepath_partition_config_static_selectorELNS0_4arch9wavefront6targetE1EEEvSL_.num_agpr, 0
	.set _ZN7rocprim17ROCPRIM_400000_NS6detail17trampoline_kernelINS0_14default_configENS1_38merge_sort_block_merge_config_selectorIiNS0_10empty_typeEEEZZNS1_27merge_sort_block_merge_implIS3_N6thrust23THRUST_200600_302600_NS6detail15normal_iteratorINS9_10device_ptrIiEEEEPS5_jNS1_19radix_merge_compareILb0ELb1EiNS0_19identity_decomposerEEEEE10hipError_tT0_T1_T2_jT3_P12ihipStream_tbPNSt15iterator_traitsISK_E10value_typeEPNSQ_ISL_E10value_typeEPSM_NS1_7vsmem_tEENKUlT_SK_SL_SM_E_clISE_PiSF_SF_EESJ_SZ_SK_SL_SM_EUlSZ_E_NS1_11comp_targetILNS1_3genE5ELNS1_11target_archE942ELNS1_3gpuE9ELNS1_3repE0EEENS1_48merge_mergepath_partition_config_static_selectorELNS0_4arch9wavefront6targetE1EEEvSL_.numbered_sgpr, 0
	.set _ZN7rocprim17ROCPRIM_400000_NS6detail17trampoline_kernelINS0_14default_configENS1_38merge_sort_block_merge_config_selectorIiNS0_10empty_typeEEEZZNS1_27merge_sort_block_merge_implIS3_N6thrust23THRUST_200600_302600_NS6detail15normal_iteratorINS9_10device_ptrIiEEEEPS5_jNS1_19radix_merge_compareILb0ELb1EiNS0_19identity_decomposerEEEEE10hipError_tT0_T1_T2_jT3_P12ihipStream_tbPNSt15iterator_traitsISK_E10value_typeEPNSQ_ISL_E10value_typeEPSM_NS1_7vsmem_tEENKUlT_SK_SL_SM_E_clISE_PiSF_SF_EESJ_SZ_SK_SL_SM_EUlSZ_E_NS1_11comp_targetILNS1_3genE5ELNS1_11target_archE942ELNS1_3gpuE9ELNS1_3repE0EEENS1_48merge_mergepath_partition_config_static_selectorELNS0_4arch9wavefront6targetE1EEEvSL_.num_named_barrier, 0
	.set _ZN7rocprim17ROCPRIM_400000_NS6detail17trampoline_kernelINS0_14default_configENS1_38merge_sort_block_merge_config_selectorIiNS0_10empty_typeEEEZZNS1_27merge_sort_block_merge_implIS3_N6thrust23THRUST_200600_302600_NS6detail15normal_iteratorINS9_10device_ptrIiEEEEPS5_jNS1_19radix_merge_compareILb0ELb1EiNS0_19identity_decomposerEEEEE10hipError_tT0_T1_T2_jT3_P12ihipStream_tbPNSt15iterator_traitsISK_E10value_typeEPNSQ_ISL_E10value_typeEPSM_NS1_7vsmem_tEENKUlT_SK_SL_SM_E_clISE_PiSF_SF_EESJ_SZ_SK_SL_SM_EUlSZ_E_NS1_11comp_targetILNS1_3genE5ELNS1_11target_archE942ELNS1_3gpuE9ELNS1_3repE0EEENS1_48merge_mergepath_partition_config_static_selectorELNS0_4arch9wavefront6targetE1EEEvSL_.private_seg_size, 0
	.set _ZN7rocprim17ROCPRIM_400000_NS6detail17trampoline_kernelINS0_14default_configENS1_38merge_sort_block_merge_config_selectorIiNS0_10empty_typeEEEZZNS1_27merge_sort_block_merge_implIS3_N6thrust23THRUST_200600_302600_NS6detail15normal_iteratorINS9_10device_ptrIiEEEEPS5_jNS1_19radix_merge_compareILb0ELb1EiNS0_19identity_decomposerEEEEE10hipError_tT0_T1_T2_jT3_P12ihipStream_tbPNSt15iterator_traitsISK_E10value_typeEPNSQ_ISL_E10value_typeEPSM_NS1_7vsmem_tEENKUlT_SK_SL_SM_E_clISE_PiSF_SF_EESJ_SZ_SK_SL_SM_EUlSZ_E_NS1_11comp_targetILNS1_3genE5ELNS1_11target_archE942ELNS1_3gpuE9ELNS1_3repE0EEENS1_48merge_mergepath_partition_config_static_selectorELNS0_4arch9wavefront6targetE1EEEvSL_.uses_vcc, 0
	.set _ZN7rocprim17ROCPRIM_400000_NS6detail17trampoline_kernelINS0_14default_configENS1_38merge_sort_block_merge_config_selectorIiNS0_10empty_typeEEEZZNS1_27merge_sort_block_merge_implIS3_N6thrust23THRUST_200600_302600_NS6detail15normal_iteratorINS9_10device_ptrIiEEEEPS5_jNS1_19radix_merge_compareILb0ELb1EiNS0_19identity_decomposerEEEEE10hipError_tT0_T1_T2_jT3_P12ihipStream_tbPNSt15iterator_traitsISK_E10value_typeEPNSQ_ISL_E10value_typeEPSM_NS1_7vsmem_tEENKUlT_SK_SL_SM_E_clISE_PiSF_SF_EESJ_SZ_SK_SL_SM_EUlSZ_E_NS1_11comp_targetILNS1_3genE5ELNS1_11target_archE942ELNS1_3gpuE9ELNS1_3repE0EEENS1_48merge_mergepath_partition_config_static_selectorELNS0_4arch9wavefront6targetE1EEEvSL_.uses_flat_scratch, 0
	.set _ZN7rocprim17ROCPRIM_400000_NS6detail17trampoline_kernelINS0_14default_configENS1_38merge_sort_block_merge_config_selectorIiNS0_10empty_typeEEEZZNS1_27merge_sort_block_merge_implIS3_N6thrust23THRUST_200600_302600_NS6detail15normal_iteratorINS9_10device_ptrIiEEEEPS5_jNS1_19radix_merge_compareILb0ELb1EiNS0_19identity_decomposerEEEEE10hipError_tT0_T1_T2_jT3_P12ihipStream_tbPNSt15iterator_traitsISK_E10value_typeEPNSQ_ISL_E10value_typeEPSM_NS1_7vsmem_tEENKUlT_SK_SL_SM_E_clISE_PiSF_SF_EESJ_SZ_SK_SL_SM_EUlSZ_E_NS1_11comp_targetILNS1_3genE5ELNS1_11target_archE942ELNS1_3gpuE9ELNS1_3repE0EEENS1_48merge_mergepath_partition_config_static_selectorELNS0_4arch9wavefront6targetE1EEEvSL_.has_dyn_sized_stack, 0
	.set _ZN7rocprim17ROCPRIM_400000_NS6detail17trampoline_kernelINS0_14default_configENS1_38merge_sort_block_merge_config_selectorIiNS0_10empty_typeEEEZZNS1_27merge_sort_block_merge_implIS3_N6thrust23THRUST_200600_302600_NS6detail15normal_iteratorINS9_10device_ptrIiEEEEPS5_jNS1_19radix_merge_compareILb0ELb1EiNS0_19identity_decomposerEEEEE10hipError_tT0_T1_T2_jT3_P12ihipStream_tbPNSt15iterator_traitsISK_E10value_typeEPNSQ_ISL_E10value_typeEPSM_NS1_7vsmem_tEENKUlT_SK_SL_SM_E_clISE_PiSF_SF_EESJ_SZ_SK_SL_SM_EUlSZ_E_NS1_11comp_targetILNS1_3genE5ELNS1_11target_archE942ELNS1_3gpuE9ELNS1_3repE0EEENS1_48merge_mergepath_partition_config_static_selectorELNS0_4arch9wavefront6targetE1EEEvSL_.has_recursion, 0
	.set _ZN7rocprim17ROCPRIM_400000_NS6detail17trampoline_kernelINS0_14default_configENS1_38merge_sort_block_merge_config_selectorIiNS0_10empty_typeEEEZZNS1_27merge_sort_block_merge_implIS3_N6thrust23THRUST_200600_302600_NS6detail15normal_iteratorINS9_10device_ptrIiEEEEPS5_jNS1_19radix_merge_compareILb0ELb1EiNS0_19identity_decomposerEEEEE10hipError_tT0_T1_T2_jT3_P12ihipStream_tbPNSt15iterator_traitsISK_E10value_typeEPNSQ_ISL_E10value_typeEPSM_NS1_7vsmem_tEENKUlT_SK_SL_SM_E_clISE_PiSF_SF_EESJ_SZ_SK_SL_SM_EUlSZ_E_NS1_11comp_targetILNS1_3genE5ELNS1_11target_archE942ELNS1_3gpuE9ELNS1_3repE0EEENS1_48merge_mergepath_partition_config_static_selectorELNS0_4arch9wavefront6targetE1EEEvSL_.has_indirect_call, 0
	.section	.AMDGPU.csdata,"",@progbits
; Kernel info:
; codeLenInByte = 0
; TotalNumSgprs: 6
; NumVgprs: 0
; NumAgprs: 0
; TotalNumVgprs: 0
; ScratchSize: 0
; MemoryBound: 0
; FloatMode: 240
; IeeeMode: 1
; LDSByteSize: 0 bytes/workgroup (compile time only)
; SGPRBlocks: 0
; VGPRBlocks: 0
; NumSGPRsForWavesPerEU: 6
; NumVGPRsForWavesPerEU: 1
; AccumOffset: 4
; Occupancy: 8
; WaveLimiterHint : 0
; COMPUTE_PGM_RSRC2:SCRATCH_EN: 0
; COMPUTE_PGM_RSRC2:USER_SGPR: 2
; COMPUTE_PGM_RSRC2:TRAP_HANDLER: 0
; COMPUTE_PGM_RSRC2:TGID_X_EN: 1
; COMPUTE_PGM_RSRC2:TGID_Y_EN: 0
; COMPUTE_PGM_RSRC2:TGID_Z_EN: 0
; COMPUTE_PGM_RSRC2:TIDIG_COMP_CNT: 0
; COMPUTE_PGM_RSRC3_GFX90A:ACCUM_OFFSET: 0
; COMPUTE_PGM_RSRC3_GFX90A:TG_SPLIT: 0
	.section	.text._ZN7rocprim17ROCPRIM_400000_NS6detail17trampoline_kernelINS0_14default_configENS1_38merge_sort_block_merge_config_selectorIiNS0_10empty_typeEEEZZNS1_27merge_sort_block_merge_implIS3_N6thrust23THRUST_200600_302600_NS6detail15normal_iteratorINS9_10device_ptrIiEEEEPS5_jNS1_19radix_merge_compareILb0ELb1EiNS0_19identity_decomposerEEEEE10hipError_tT0_T1_T2_jT3_P12ihipStream_tbPNSt15iterator_traitsISK_E10value_typeEPNSQ_ISL_E10value_typeEPSM_NS1_7vsmem_tEENKUlT_SK_SL_SM_E_clISE_PiSF_SF_EESJ_SZ_SK_SL_SM_EUlSZ_E_NS1_11comp_targetILNS1_3genE4ELNS1_11target_archE910ELNS1_3gpuE8ELNS1_3repE0EEENS1_48merge_mergepath_partition_config_static_selectorELNS0_4arch9wavefront6targetE1EEEvSL_,"axG",@progbits,_ZN7rocprim17ROCPRIM_400000_NS6detail17trampoline_kernelINS0_14default_configENS1_38merge_sort_block_merge_config_selectorIiNS0_10empty_typeEEEZZNS1_27merge_sort_block_merge_implIS3_N6thrust23THRUST_200600_302600_NS6detail15normal_iteratorINS9_10device_ptrIiEEEEPS5_jNS1_19radix_merge_compareILb0ELb1EiNS0_19identity_decomposerEEEEE10hipError_tT0_T1_T2_jT3_P12ihipStream_tbPNSt15iterator_traitsISK_E10value_typeEPNSQ_ISL_E10value_typeEPSM_NS1_7vsmem_tEENKUlT_SK_SL_SM_E_clISE_PiSF_SF_EESJ_SZ_SK_SL_SM_EUlSZ_E_NS1_11comp_targetILNS1_3genE4ELNS1_11target_archE910ELNS1_3gpuE8ELNS1_3repE0EEENS1_48merge_mergepath_partition_config_static_selectorELNS0_4arch9wavefront6targetE1EEEvSL_,comdat
	.protected	_ZN7rocprim17ROCPRIM_400000_NS6detail17trampoline_kernelINS0_14default_configENS1_38merge_sort_block_merge_config_selectorIiNS0_10empty_typeEEEZZNS1_27merge_sort_block_merge_implIS3_N6thrust23THRUST_200600_302600_NS6detail15normal_iteratorINS9_10device_ptrIiEEEEPS5_jNS1_19radix_merge_compareILb0ELb1EiNS0_19identity_decomposerEEEEE10hipError_tT0_T1_T2_jT3_P12ihipStream_tbPNSt15iterator_traitsISK_E10value_typeEPNSQ_ISL_E10value_typeEPSM_NS1_7vsmem_tEENKUlT_SK_SL_SM_E_clISE_PiSF_SF_EESJ_SZ_SK_SL_SM_EUlSZ_E_NS1_11comp_targetILNS1_3genE4ELNS1_11target_archE910ELNS1_3gpuE8ELNS1_3repE0EEENS1_48merge_mergepath_partition_config_static_selectorELNS0_4arch9wavefront6targetE1EEEvSL_ ; -- Begin function _ZN7rocprim17ROCPRIM_400000_NS6detail17trampoline_kernelINS0_14default_configENS1_38merge_sort_block_merge_config_selectorIiNS0_10empty_typeEEEZZNS1_27merge_sort_block_merge_implIS3_N6thrust23THRUST_200600_302600_NS6detail15normal_iteratorINS9_10device_ptrIiEEEEPS5_jNS1_19radix_merge_compareILb0ELb1EiNS0_19identity_decomposerEEEEE10hipError_tT0_T1_T2_jT3_P12ihipStream_tbPNSt15iterator_traitsISK_E10value_typeEPNSQ_ISL_E10value_typeEPSM_NS1_7vsmem_tEENKUlT_SK_SL_SM_E_clISE_PiSF_SF_EESJ_SZ_SK_SL_SM_EUlSZ_E_NS1_11comp_targetILNS1_3genE4ELNS1_11target_archE910ELNS1_3gpuE8ELNS1_3repE0EEENS1_48merge_mergepath_partition_config_static_selectorELNS0_4arch9wavefront6targetE1EEEvSL_
	.globl	_ZN7rocprim17ROCPRIM_400000_NS6detail17trampoline_kernelINS0_14default_configENS1_38merge_sort_block_merge_config_selectorIiNS0_10empty_typeEEEZZNS1_27merge_sort_block_merge_implIS3_N6thrust23THRUST_200600_302600_NS6detail15normal_iteratorINS9_10device_ptrIiEEEEPS5_jNS1_19radix_merge_compareILb0ELb1EiNS0_19identity_decomposerEEEEE10hipError_tT0_T1_T2_jT3_P12ihipStream_tbPNSt15iterator_traitsISK_E10value_typeEPNSQ_ISL_E10value_typeEPSM_NS1_7vsmem_tEENKUlT_SK_SL_SM_E_clISE_PiSF_SF_EESJ_SZ_SK_SL_SM_EUlSZ_E_NS1_11comp_targetILNS1_3genE4ELNS1_11target_archE910ELNS1_3gpuE8ELNS1_3repE0EEENS1_48merge_mergepath_partition_config_static_selectorELNS0_4arch9wavefront6targetE1EEEvSL_
	.p2align	8
	.type	_ZN7rocprim17ROCPRIM_400000_NS6detail17trampoline_kernelINS0_14default_configENS1_38merge_sort_block_merge_config_selectorIiNS0_10empty_typeEEEZZNS1_27merge_sort_block_merge_implIS3_N6thrust23THRUST_200600_302600_NS6detail15normal_iteratorINS9_10device_ptrIiEEEEPS5_jNS1_19radix_merge_compareILb0ELb1EiNS0_19identity_decomposerEEEEE10hipError_tT0_T1_T2_jT3_P12ihipStream_tbPNSt15iterator_traitsISK_E10value_typeEPNSQ_ISL_E10value_typeEPSM_NS1_7vsmem_tEENKUlT_SK_SL_SM_E_clISE_PiSF_SF_EESJ_SZ_SK_SL_SM_EUlSZ_E_NS1_11comp_targetILNS1_3genE4ELNS1_11target_archE910ELNS1_3gpuE8ELNS1_3repE0EEENS1_48merge_mergepath_partition_config_static_selectorELNS0_4arch9wavefront6targetE1EEEvSL_,@function
_ZN7rocprim17ROCPRIM_400000_NS6detail17trampoline_kernelINS0_14default_configENS1_38merge_sort_block_merge_config_selectorIiNS0_10empty_typeEEEZZNS1_27merge_sort_block_merge_implIS3_N6thrust23THRUST_200600_302600_NS6detail15normal_iteratorINS9_10device_ptrIiEEEEPS5_jNS1_19radix_merge_compareILb0ELb1EiNS0_19identity_decomposerEEEEE10hipError_tT0_T1_T2_jT3_P12ihipStream_tbPNSt15iterator_traitsISK_E10value_typeEPNSQ_ISL_E10value_typeEPSM_NS1_7vsmem_tEENKUlT_SK_SL_SM_E_clISE_PiSF_SF_EESJ_SZ_SK_SL_SM_EUlSZ_E_NS1_11comp_targetILNS1_3genE4ELNS1_11target_archE910ELNS1_3gpuE8ELNS1_3repE0EEENS1_48merge_mergepath_partition_config_static_selectorELNS0_4arch9wavefront6targetE1EEEvSL_: ; @_ZN7rocprim17ROCPRIM_400000_NS6detail17trampoline_kernelINS0_14default_configENS1_38merge_sort_block_merge_config_selectorIiNS0_10empty_typeEEEZZNS1_27merge_sort_block_merge_implIS3_N6thrust23THRUST_200600_302600_NS6detail15normal_iteratorINS9_10device_ptrIiEEEEPS5_jNS1_19radix_merge_compareILb0ELb1EiNS0_19identity_decomposerEEEEE10hipError_tT0_T1_T2_jT3_P12ihipStream_tbPNSt15iterator_traitsISK_E10value_typeEPNSQ_ISL_E10value_typeEPSM_NS1_7vsmem_tEENKUlT_SK_SL_SM_E_clISE_PiSF_SF_EESJ_SZ_SK_SL_SM_EUlSZ_E_NS1_11comp_targetILNS1_3genE4ELNS1_11target_archE910ELNS1_3gpuE8ELNS1_3repE0EEENS1_48merge_mergepath_partition_config_static_selectorELNS0_4arch9wavefront6targetE1EEEvSL_
; %bb.0:
	.section	.rodata,"a",@progbits
	.p2align	6, 0x0
	.amdhsa_kernel _ZN7rocprim17ROCPRIM_400000_NS6detail17trampoline_kernelINS0_14default_configENS1_38merge_sort_block_merge_config_selectorIiNS0_10empty_typeEEEZZNS1_27merge_sort_block_merge_implIS3_N6thrust23THRUST_200600_302600_NS6detail15normal_iteratorINS9_10device_ptrIiEEEEPS5_jNS1_19radix_merge_compareILb0ELb1EiNS0_19identity_decomposerEEEEE10hipError_tT0_T1_T2_jT3_P12ihipStream_tbPNSt15iterator_traitsISK_E10value_typeEPNSQ_ISL_E10value_typeEPSM_NS1_7vsmem_tEENKUlT_SK_SL_SM_E_clISE_PiSF_SF_EESJ_SZ_SK_SL_SM_EUlSZ_E_NS1_11comp_targetILNS1_3genE4ELNS1_11target_archE910ELNS1_3gpuE8ELNS1_3repE0EEENS1_48merge_mergepath_partition_config_static_selectorELNS0_4arch9wavefront6targetE1EEEvSL_
		.amdhsa_group_segment_fixed_size 0
		.amdhsa_private_segment_fixed_size 0
		.amdhsa_kernarg_size 40
		.amdhsa_user_sgpr_count 2
		.amdhsa_user_sgpr_dispatch_ptr 0
		.amdhsa_user_sgpr_queue_ptr 0
		.amdhsa_user_sgpr_kernarg_segment_ptr 1
		.amdhsa_user_sgpr_dispatch_id 0
		.amdhsa_user_sgpr_kernarg_preload_length 0
		.amdhsa_user_sgpr_kernarg_preload_offset 0
		.amdhsa_user_sgpr_private_segment_size 0
		.amdhsa_uses_dynamic_stack 0
		.amdhsa_enable_private_segment 0
		.amdhsa_system_sgpr_workgroup_id_x 1
		.amdhsa_system_sgpr_workgroup_id_y 0
		.amdhsa_system_sgpr_workgroup_id_z 0
		.amdhsa_system_sgpr_workgroup_info 0
		.amdhsa_system_vgpr_workitem_id 0
		.amdhsa_next_free_vgpr 1
		.amdhsa_next_free_sgpr 0
		.amdhsa_accum_offset 4
		.amdhsa_reserve_vcc 0
		.amdhsa_float_round_mode_32 0
		.amdhsa_float_round_mode_16_64 0
		.amdhsa_float_denorm_mode_32 3
		.amdhsa_float_denorm_mode_16_64 3
		.amdhsa_dx10_clamp 1
		.amdhsa_ieee_mode 1
		.amdhsa_fp16_overflow 0
		.amdhsa_tg_split 0
		.amdhsa_exception_fp_ieee_invalid_op 0
		.amdhsa_exception_fp_denorm_src 0
		.amdhsa_exception_fp_ieee_div_zero 0
		.amdhsa_exception_fp_ieee_overflow 0
		.amdhsa_exception_fp_ieee_underflow 0
		.amdhsa_exception_fp_ieee_inexact 0
		.amdhsa_exception_int_div_zero 0
	.end_amdhsa_kernel
	.section	.text._ZN7rocprim17ROCPRIM_400000_NS6detail17trampoline_kernelINS0_14default_configENS1_38merge_sort_block_merge_config_selectorIiNS0_10empty_typeEEEZZNS1_27merge_sort_block_merge_implIS3_N6thrust23THRUST_200600_302600_NS6detail15normal_iteratorINS9_10device_ptrIiEEEEPS5_jNS1_19radix_merge_compareILb0ELb1EiNS0_19identity_decomposerEEEEE10hipError_tT0_T1_T2_jT3_P12ihipStream_tbPNSt15iterator_traitsISK_E10value_typeEPNSQ_ISL_E10value_typeEPSM_NS1_7vsmem_tEENKUlT_SK_SL_SM_E_clISE_PiSF_SF_EESJ_SZ_SK_SL_SM_EUlSZ_E_NS1_11comp_targetILNS1_3genE4ELNS1_11target_archE910ELNS1_3gpuE8ELNS1_3repE0EEENS1_48merge_mergepath_partition_config_static_selectorELNS0_4arch9wavefront6targetE1EEEvSL_,"axG",@progbits,_ZN7rocprim17ROCPRIM_400000_NS6detail17trampoline_kernelINS0_14default_configENS1_38merge_sort_block_merge_config_selectorIiNS0_10empty_typeEEEZZNS1_27merge_sort_block_merge_implIS3_N6thrust23THRUST_200600_302600_NS6detail15normal_iteratorINS9_10device_ptrIiEEEEPS5_jNS1_19radix_merge_compareILb0ELb1EiNS0_19identity_decomposerEEEEE10hipError_tT0_T1_T2_jT3_P12ihipStream_tbPNSt15iterator_traitsISK_E10value_typeEPNSQ_ISL_E10value_typeEPSM_NS1_7vsmem_tEENKUlT_SK_SL_SM_E_clISE_PiSF_SF_EESJ_SZ_SK_SL_SM_EUlSZ_E_NS1_11comp_targetILNS1_3genE4ELNS1_11target_archE910ELNS1_3gpuE8ELNS1_3repE0EEENS1_48merge_mergepath_partition_config_static_selectorELNS0_4arch9wavefront6targetE1EEEvSL_,comdat
.Lfunc_end111:
	.size	_ZN7rocprim17ROCPRIM_400000_NS6detail17trampoline_kernelINS0_14default_configENS1_38merge_sort_block_merge_config_selectorIiNS0_10empty_typeEEEZZNS1_27merge_sort_block_merge_implIS3_N6thrust23THRUST_200600_302600_NS6detail15normal_iteratorINS9_10device_ptrIiEEEEPS5_jNS1_19radix_merge_compareILb0ELb1EiNS0_19identity_decomposerEEEEE10hipError_tT0_T1_T2_jT3_P12ihipStream_tbPNSt15iterator_traitsISK_E10value_typeEPNSQ_ISL_E10value_typeEPSM_NS1_7vsmem_tEENKUlT_SK_SL_SM_E_clISE_PiSF_SF_EESJ_SZ_SK_SL_SM_EUlSZ_E_NS1_11comp_targetILNS1_3genE4ELNS1_11target_archE910ELNS1_3gpuE8ELNS1_3repE0EEENS1_48merge_mergepath_partition_config_static_selectorELNS0_4arch9wavefront6targetE1EEEvSL_, .Lfunc_end111-_ZN7rocprim17ROCPRIM_400000_NS6detail17trampoline_kernelINS0_14default_configENS1_38merge_sort_block_merge_config_selectorIiNS0_10empty_typeEEEZZNS1_27merge_sort_block_merge_implIS3_N6thrust23THRUST_200600_302600_NS6detail15normal_iteratorINS9_10device_ptrIiEEEEPS5_jNS1_19radix_merge_compareILb0ELb1EiNS0_19identity_decomposerEEEEE10hipError_tT0_T1_T2_jT3_P12ihipStream_tbPNSt15iterator_traitsISK_E10value_typeEPNSQ_ISL_E10value_typeEPSM_NS1_7vsmem_tEENKUlT_SK_SL_SM_E_clISE_PiSF_SF_EESJ_SZ_SK_SL_SM_EUlSZ_E_NS1_11comp_targetILNS1_3genE4ELNS1_11target_archE910ELNS1_3gpuE8ELNS1_3repE0EEENS1_48merge_mergepath_partition_config_static_selectorELNS0_4arch9wavefront6targetE1EEEvSL_
                                        ; -- End function
	.set _ZN7rocprim17ROCPRIM_400000_NS6detail17trampoline_kernelINS0_14default_configENS1_38merge_sort_block_merge_config_selectorIiNS0_10empty_typeEEEZZNS1_27merge_sort_block_merge_implIS3_N6thrust23THRUST_200600_302600_NS6detail15normal_iteratorINS9_10device_ptrIiEEEEPS5_jNS1_19radix_merge_compareILb0ELb1EiNS0_19identity_decomposerEEEEE10hipError_tT0_T1_T2_jT3_P12ihipStream_tbPNSt15iterator_traitsISK_E10value_typeEPNSQ_ISL_E10value_typeEPSM_NS1_7vsmem_tEENKUlT_SK_SL_SM_E_clISE_PiSF_SF_EESJ_SZ_SK_SL_SM_EUlSZ_E_NS1_11comp_targetILNS1_3genE4ELNS1_11target_archE910ELNS1_3gpuE8ELNS1_3repE0EEENS1_48merge_mergepath_partition_config_static_selectorELNS0_4arch9wavefront6targetE1EEEvSL_.num_vgpr, 0
	.set _ZN7rocprim17ROCPRIM_400000_NS6detail17trampoline_kernelINS0_14default_configENS1_38merge_sort_block_merge_config_selectorIiNS0_10empty_typeEEEZZNS1_27merge_sort_block_merge_implIS3_N6thrust23THRUST_200600_302600_NS6detail15normal_iteratorINS9_10device_ptrIiEEEEPS5_jNS1_19radix_merge_compareILb0ELb1EiNS0_19identity_decomposerEEEEE10hipError_tT0_T1_T2_jT3_P12ihipStream_tbPNSt15iterator_traitsISK_E10value_typeEPNSQ_ISL_E10value_typeEPSM_NS1_7vsmem_tEENKUlT_SK_SL_SM_E_clISE_PiSF_SF_EESJ_SZ_SK_SL_SM_EUlSZ_E_NS1_11comp_targetILNS1_3genE4ELNS1_11target_archE910ELNS1_3gpuE8ELNS1_3repE0EEENS1_48merge_mergepath_partition_config_static_selectorELNS0_4arch9wavefront6targetE1EEEvSL_.num_agpr, 0
	.set _ZN7rocprim17ROCPRIM_400000_NS6detail17trampoline_kernelINS0_14default_configENS1_38merge_sort_block_merge_config_selectorIiNS0_10empty_typeEEEZZNS1_27merge_sort_block_merge_implIS3_N6thrust23THRUST_200600_302600_NS6detail15normal_iteratorINS9_10device_ptrIiEEEEPS5_jNS1_19radix_merge_compareILb0ELb1EiNS0_19identity_decomposerEEEEE10hipError_tT0_T1_T2_jT3_P12ihipStream_tbPNSt15iterator_traitsISK_E10value_typeEPNSQ_ISL_E10value_typeEPSM_NS1_7vsmem_tEENKUlT_SK_SL_SM_E_clISE_PiSF_SF_EESJ_SZ_SK_SL_SM_EUlSZ_E_NS1_11comp_targetILNS1_3genE4ELNS1_11target_archE910ELNS1_3gpuE8ELNS1_3repE0EEENS1_48merge_mergepath_partition_config_static_selectorELNS0_4arch9wavefront6targetE1EEEvSL_.numbered_sgpr, 0
	.set _ZN7rocprim17ROCPRIM_400000_NS6detail17trampoline_kernelINS0_14default_configENS1_38merge_sort_block_merge_config_selectorIiNS0_10empty_typeEEEZZNS1_27merge_sort_block_merge_implIS3_N6thrust23THRUST_200600_302600_NS6detail15normal_iteratorINS9_10device_ptrIiEEEEPS5_jNS1_19radix_merge_compareILb0ELb1EiNS0_19identity_decomposerEEEEE10hipError_tT0_T1_T2_jT3_P12ihipStream_tbPNSt15iterator_traitsISK_E10value_typeEPNSQ_ISL_E10value_typeEPSM_NS1_7vsmem_tEENKUlT_SK_SL_SM_E_clISE_PiSF_SF_EESJ_SZ_SK_SL_SM_EUlSZ_E_NS1_11comp_targetILNS1_3genE4ELNS1_11target_archE910ELNS1_3gpuE8ELNS1_3repE0EEENS1_48merge_mergepath_partition_config_static_selectorELNS0_4arch9wavefront6targetE1EEEvSL_.num_named_barrier, 0
	.set _ZN7rocprim17ROCPRIM_400000_NS6detail17trampoline_kernelINS0_14default_configENS1_38merge_sort_block_merge_config_selectorIiNS0_10empty_typeEEEZZNS1_27merge_sort_block_merge_implIS3_N6thrust23THRUST_200600_302600_NS6detail15normal_iteratorINS9_10device_ptrIiEEEEPS5_jNS1_19radix_merge_compareILb0ELb1EiNS0_19identity_decomposerEEEEE10hipError_tT0_T1_T2_jT3_P12ihipStream_tbPNSt15iterator_traitsISK_E10value_typeEPNSQ_ISL_E10value_typeEPSM_NS1_7vsmem_tEENKUlT_SK_SL_SM_E_clISE_PiSF_SF_EESJ_SZ_SK_SL_SM_EUlSZ_E_NS1_11comp_targetILNS1_3genE4ELNS1_11target_archE910ELNS1_3gpuE8ELNS1_3repE0EEENS1_48merge_mergepath_partition_config_static_selectorELNS0_4arch9wavefront6targetE1EEEvSL_.private_seg_size, 0
	.set _ZN7rocprim17ROCPRIM_400000_NS6detail17trampoline_kernelINS0_14default_configENS1_38merge_sort_block_merge_config_selectorIiNS0_10empty_typeEEEZZNS1_27merge_sort_block_merge_implIS3_N6thrust23THRUST_200600_302600_NS6detail15normal_iteratorINS9_10device_ptrIiEEEEPS5_jNS1_19radix_merge_compareILb0ELb1EiNS0_19identity_decomposerEEEEE10hipError_tT0_T1_T2_jT3_P12ihipStream_tbPNSt15iterator_traitsISK_E10value_typeEPNSQ_ISL_E10value_typeEPSM_NS1_7vsmem_tEENKUlT_SK_SL_SM_E_clISE_PiSF_SF_EESJ_SZ_SK_SL_SM_EUlSZ_E_NS1_11comp_targetILNS1_3genE4ELNS1_11target_archE910ELNS1_3gpuE8ELNS1_3repE0EEENS1_48merge_mergepath_partition_config_static_selectorELNS0_4arch9wavefront6targetE1EEEvSL_.uses_vcc, 0
	.set _ZN7rocprim17ROCPRIM_400000_NS6detail17trampoline_kernelINS0_14default_configENS1_38merge_sort_block_merge_config_selectorIiNS0_10empty_typeEEEZZNS1_27merge_sort_block_merge_implIS3_N6thrust23THRUST_200600_302600_NS6detail15normal_iteratorINS9_10device_ptrIiEEEEPS5_jNS1_19radix_merge_compareILb0ELb1EiNS0_19identity_decomposerEEEEE10hipError_tT0_T1_T2_jT3_P12ihipStream_tbPNSt15iterator_traitsISK_E10value_typeEPNSQ_ISL_E10value_typeEPSM_NS1_7vsmem_tEENKUlT_SK_SL_SM_E_clISE_PiSF_SF_EESJ_SZ_SK_SL_SM_EUlSZ_E_NS1_11comp_targetILNS1_3genE4ELNS1_11target_archE910ELNS1_3gpuE8ELNS1_3repE0EEENS1_48merge_mergepath_partition_config_static_selectorELNS0_4arch9wavefront6targetE1EEEvSL_.uses_flat_scratch, 0
	.set _ZN7rocprim17ROCPRIM_400000_NS6detail17trampoline_kernelINS0_14default_configENS1_38merge_sort_block_merge_config_selectorIiNS0_10empty_typeEEEZZNS1_27merge_sort_block_merge_implIS3_N6thrust23THRUST_200600_302600_NS6detail15normal_iteratorINS9_10device_ptrIiEEEEPS5_jNS1_19radix_merge_compareILb0ELb1EiNS0_19identity_decomposerEEEEE10hipError_tT0_T1_T2_jT3_P12ihipStream_tbPNSt15iterator_traitsISK_E10value_typeEPNSQ_ISL_E10value_typeEPSM_NS1_7vsmem_tEENKUlT_SK_SL_SM_E_clISE_PiSF_SF_EESJ_SZ_SK_SL_SM_EUlSZ_E_NS1_11comp_targetILNS1_3genE4ELNS1_11target_archE910ELNS1_3gpuE8ELNS1_3repE0EEENS1_48merge_mergepath_partition_config_static_selectorELNS0_4arch9wavefront6targetE1EEEvSL_.has_dyn_sized_stack, 0
	.set _ZN7rocprim17ROCPRIM_400000_NS6detail17trampoline_kernelINS0_14default_configENS1_38merge_sort_block_merge_config_selectorIiNS0_10empty_typeEEEZZNS1_27merge_sort_block_merge_implIS3_N6thrust23THRUST_200600_302600_NS6detail15normal_iteratorINS9_10device_ptrIiEEEEPS5_jNS1_19radix_merge_compareILb0ELb1EiNS0_19identity_decomposerEEEEE10hipError_tT0_T1_T2_jT3_P12ihipStream_tbPNSt15iterator_traitsISK_E10value_typeEPNSQ_ISL_E10value_typeEPSM_NS1_7vsmem_tEENKUlT_SK_SL_SM_E_clISE_PiSF_SF_EESJ_SZ_SK_SL_SM_EUlSZ_E_NS1_11comp_targetILNS1_3genE4ELNS1_11target_archE910ELNS1_3gpuE8ELNS1_3repE0EEENS1_48merge_mergepath_partition_config_static_selectorELNS0_4arch9wavefront6targetE1EEEvSL_.has_recursion, 0
	.set _ZN7rocprim17ROCPRIM_400000_NS6detail17trampoline_kernelINS0_14default_configENS1_38merge_sort_block_merge_config_selectorIiNS0_10empty_typeEEEZZNS1_27merge_sort_block_merge_implIS3_N6thrust23THRUST_200600_302600_NS6detail15normal_iteratorINS9_10device_ptrIiEEEEPS5_jNS1_19radix_merge_compareILb0ELb1EiNS0_19identity_decomposerEEEEE10hipError_tT0_T1_T2_jT3_P12ihipStream_tbPNSt15iterator_traitsISK_E10value_typeEPNSQ_ISL_E10value_typeEPSM_NS1_7vsmem_tEENKUlT_SK_SL_SM_E_clISE_PiSF_SF_EESJ_SZ_SK_SL_SM_EUlSZ_E_NS1_11comp_targetILNS1_3genE4ELNS1_11target_archE910ELNS1_3gpuE8ELNS1_3repE0EEENS1_48merge_mergepath_partition_config_static_selectorELNS0_4arch9wavefront6targetE1EEEvSL_.has_indirect_call, 0
	.section	.AMDGPU.csdata,"",@progbits
; Kernel info:
; codeLenInByte = 0
; TotalNumSgprs: 6
; NumVgprs: 0
; NumAgprs: 0
; TotalNumVgprs: 0
; ScratchSize: 0
; MemoryBound: 0
; FloatMode: 240
; IeeeMode: 1
; LDSByteSize: 0 bytes/workgroup (compile time only)
; SGPRBlocks: 0
; VGPRBlocks: 0
; NumSGPRsForWavesPerEU: 6
; NumVGPRsForWavesPerEU: 1
; AccumOffset: 4
; Occupancy: 8
; WaveLimiterHint : 0
; COMPUTE_PGM_RSRC2:SCRATCH_EN: 0
; COMPUTE_PGM_RSRC2:USER_SGPR: 2
; COMPUTE_PGM_RSRC2:TRAP_HANDLER: 0
; COMPUTE_PGM_RSRC2:TGID_X_EN: 1
; COMPUTE_PGM_RSRC2:TGID_Y_EN: 0
; COMPUTE_PGM_RSRC2:TGID_Z_EN: 0
; COMPUTE_PGM_RSRC2:TIDIG_COMP_CNT: 0
; COMPUTE_PGM_RSRC3_GFX90A:ACCUM_OFFSET: 0
; COMPUTE_PGM_RSRC3_GFX90A:TG_SPLIT: 0
	.section	.text._ZN7rocprim17ROCPRIM_400000_NS6detail17trampoline_kernelINS0_14default_configENS1_38merge_sort_block_merge_config_selectorIiNS0_10empty_typeEEEZZNS1_27merge_sort_block_merge_implIS3_N6thrust23THRUST_200600_302600_NS6detail15normal_iteratorINS9_10device_ptrIiEEEEPS5_jNS1_19radix_merge_compareILb0ELb1EiNS0_19identity_decomposerEEEEE10hipError_tT0_T1_T2_jT3_P12ihipStream_tbPNSt15iterator_traitsISK_E10value_typeEPNSQ_ISL_E10value_typeEPSM_NS1_7vsmem_tEENKUlT_SK_SL_SM_E_clISE_PiSF_SF_EESJ_SZ_SK_SL_SM_EUlSZ_E_NS1_11comp_targetILNS1_3genE3ELNS1_11target_archE908ELNS1_3gpuE7ELNS1_3repE0EEENS1_48merge_mergepath_partition_config_static_selectorELNS0_4arch9wavefront6targetE1EEEvSL_,"axG",@progbits,_ZN7rocprim17ROCPRIM_400000_NS6detail17trampoline_kernelINS0_14default_configENS1_38merge_sort_block_merge_config_selectorIiNS0_10empty_typeEEEZZNS1_27merge_sort_block_merge_implIS3_N6thrust23THRUST_200600_302600_NS6detail15normal_iteratorINS9_10device_ptrIiEEEEPS5_jNS1_19radix_merge_compareILb0ELb1EiNS0_19identity_decomposerEEEEE10hipError_tT0_T1_T2_jT3_P12ihipStream_tbPNSt15iterator_traitsISK_E10value_typeEPNSQ_ISL_E10value_typeEPSM_NS1_7vsmem_tEENKUlT_SK_SL_SM_E_clISE_PiSF_SF_EESJ_SZ_SK_SL_SM_EUlSZ_E_NS1_11comp_targetILNS1_3genE3ELNS1_11target_archE908ELNS1_3gpuE7ELNS1_3repE0EEENS1_48merge_mergepath_partition_config_static_selectorELNS0_4arch9wavefront6targetE1EEEvSL_,comdat
	.protected	_ZN7rocprim17ROCPRIM_400000_NS6detail17trampoline_kernelINS0_14default_configENS1_38merge_sort_block_merge_config_selectorIiNS0_10empty_typeEEEZZNS1_27merge_sort_block_merge_implIS3_N6thrust23THRUST_200600_302600_NS6detail15normal_iteratorINS9_10device_ptrIiEEEEPS5_jNS1_19radix_merge_compareILb0ELb1EiNS0_19identity_decomposerEEEEE10hipError_tT0_T1_T2_jT3_P12ihipStream_tbPNSt15iterator_traitsISK_E10value_typeEPNSQ_ISL_E10value_typeEPSM_NS1_7vsmem_tEENKUlT_SK_SL_SM_E_clISE_PiSF_SF_EESJ_SZ_SK_SL_SM_EUlSZ_E_NS1_11comp_targetILNS1_3genE3ELNS1_11target_archE908ELNS1_3gpuE7ELNS1_3repE0EEENS1_48merge_mergepath_partition_config_static_selectorELNS0_4arch9wavefront6targetE1EEEvSL_ ; -- Begin function _ZN7rocprim17ROCPRIM_400000_NS6detail17trampoline_kernelINS0_14default_configENS1_38merge_sort_block_merge_config_selectorIiNS0_10empty_typeEEEZZNS1_27merge_sort_block_merge_implIS3_N6thrust23THRUST_200600_302600_NS6detail15normal_iteratorINS9_10device_ptrIiEEEEPS5_jNS1_19radix_merge_compareILb0ELb1EiNS0_19identity_decomposerEEEEE10hipError_tT0_T1_T2_jT3_P12ihipStream_tbPNSt15iterator_traitsISK_E10value_typeEPNSQ_ISL_E10value_typeEPSM_NS1_7vsmem_tEENKUlT_SK_SL_SM_E_clISE_PiSF_SF_EESJ_SZ_SK_SL_SM_EUlSZ_E_NS1_11comp_targetILNS1_3genE3ELNS1_11target_archE908ELNS1_3gpuE7ELNS1_3repE0EEENS1_48merge_mergepath_partition_config_static_selectorELNS0_4arch9wavefront6targetE1EEEvSL_
	.globl	_ZN7rocprim17ROCPRIM_400000_NS6detail17trampoline_kernelINS0_14default_configENS1_38merge_sort_block_merge_config_selectorIiNS0_10empty_typeEEEZZNS1_27merge_sort_block_merge_implIS3_N6thrust23THRUST_200600_302600_NS6detail15normal_iteratorINS9_10device_ptrIiEEEEPS5_jNS1_19radix_merge_compareILb0ELb1EiNS0_19identity_decomposerEEEEE10hipError_tT0_T1_T2_jT3_P12ihipStream_tbPNSt15iterator_traitsISK_E10value_typeEPNSQ_ISL_E10value_typeEPSM_NS1_7vsmem_tEENKUlT_SK_SL_SM_E_clISE_PiSF_SF_EESJ_SZ_SK_SL_SM_EUlSZ_E_NS1_11comp_targetILNS1_3genE3ELNS1_11target_archE908ELNS1_3gpuE7ELNS1_3repE0EEENS1_48merge_mergepath_partition_config_static_selectorELNS0_4arch9wavefront6targetE1EEEvSL_
	.p2align	8
	.type	_ZN7rocprim17ROCPRIM_400000_NS6detail17trampoline_kernelINS0_14default_configENS1_38merge_sort_block_merge_config_selectorIiNS0_10empty_typeEEEZZNS1_27merge_sort_block_merge_implIS3_N6thrust23THRUST_200600_302600_NS6detail15normal_iteratorINS9_10device_ptrIiEEEEPS5_jNS1_19radix_merge_compareILb0ELb1EiNS0_19identity_decomposerEEEEE10hipError_tT0_T1_T2_jT3_P12ihipStream_tbPNSt15iterator_traitsISK_E10value_typeEPNSQ_ISL_E10value_typeEPSM_NS1_7vsmem_tEENKUlT_SK_SL_SM_E_clISE_PiSF_SF_EESJ_SZ_SK_SL_SM_EUlSZ_E_NS1_11comp_targetILNS1_3genE3ELNS1_11target_archE908ELNS1_3gpuE7ELNS1_3repE0EEENS1_48merge_mergepath_partition_config_static_selectorELNS0_4arch9wavefront6targetE1EEEvSL_,@function
_ZN7rocprim17ROCPRIM_400000_NS6detail17trampoline_kernelINS0_14default_configENS1_38merge_sort_block_merge_config_selectorIiNS0_10empty_typeEEEZZNS1_27merge_sort_block_merge_implIS3_N6thrust23THRUST_200600_302600_NS6detail15normal_iteratorINS9_10device_ptrIiEEEEPS5_jNS1_19radix_merge_compareILb0ELb1EiNS0_19identity_decomposerEEEEE10hipError_tT0_T1_T2_jT3_P12ihipStream_tbPNSt15iterator_traitsISK_E10value_typeEPNSQ_ISL_E10value_typeEPSM_NS1_7vsmem_tEENKUlT_SK_SL_SM_E_clISE_PiSF_SF_EESJ_SZ_SK_SL_SM_EUlSZ_E_NS1_11comp_targetILNS1_3genE3ELNS1_11target_archE908ELNS1_3gpuE7ELNS1_3repE0EEENS1_48merge_mergepath_partition_config_static_selectorELNS0_4arch9wavefront6targetE1EEEvSL_: ; @_ZN7rocprim17ROCPRIM_400000_NS6detail17trampoline_kernelINS0_14default_configENS1_38merge_sort_block_merge_config_selectorIiNS0_10empty_typeEEEZZNS1_27merge_sort_block_merge_implIS3_N6thrust23THRUST_200600_302600_NS6detail15normal_iteratorINS9_10device_ptrIiEEEEPS5_jNS1_19radix_merge_compareILb0ELb1EiNS0_19identity_decomposerEEEEE10hipError_tT0_T1_T2_jT3_P12ihipStream_tbPNSt15iterator_traitsISK_E10value_typeEPNSQ_ISL_E10value_typeEPSM_NS1_7vsmem_tEENKUlT_SK_SL_SM_E_clISE_PiSF_SF_EESJ_SZ_SK_SL_SM_EUlSZ_E_NS1_11comp_targetILNS1_3genE3ELNS1_11target_archE908ELNS1_3gpuE7ELNS1_3repE0EEENS1_48merge_mergepath_partition_config_static_selectorELNS0_4arch9wavefront6targetE1EEEvSL_
; %bb.0:
	.section	.rodata,"a",@progbits
	.p2align	6, 0x0
	.amdhsa_kernel _ZN7rocprim17ROCPRIM_400000_NS6detail17trampoline_kernelINS0_14default_configENS1_38merge_sort_block_merge_config_selectorIiNS0_10empty_typeEEEZZNS1_27merge_sort_block_merge_implIS3_N6thrust23THRUST_200600_302600_NS6detail15normal_iteratorINS9_10device_ptrIiEEEEPS5_jNS1_19radix_merge_compareILb0ELb1EiNS0_19identity_decomposerEEEEE10hipError_tT0_T1_T2_jT3_P12ihipStream_tbPNSt15iterator_traitsISK_E10value_typeEPNSQ_ISL_E10value_typeEPSM_NS1_7vsmem_tEENKUlT_SK_SL_SM_E_clISE_PiSF_SF_EESJ_SZ_SK_SL_SM_EUlSZ_E_NS1_11comp_targetILNS1_3genE3ELNS1_11target_archE908ELNS1_3gpuE7ELNS1_3repE0EEENS1_48merge_mergepath_partition_config_static_selectorELNS0_4arch9wavefront6targetE1EEEvSL_
		.amdhsa_group_segment_fixed_size 0
		.amdhsa_private_segment_fixed_size 0
		.amdhsa_kernarg_size 40
		.amdhsa_user_sgpr_count 2
		.amdhsa_user_sgpr_dispatch_ptr 0
		.amdhsa_user_sgpr_queue_ptr 0
		.amdhsa_user_sgpr_kernarg_segment_ptr 1
		.amdhsa_user_sgpr_dispatch_id 0
		.amdhsa_user_sgpr_kernarg_preload_length 0
		.amdhsa_user_sgpr_kernarg_preload_offset 0
		.amdhsa_user_sgpr_private_segment_size 0
		.amdhsa_uses_dynamic_stack 0
		.amdhsa_enable_private_segment 0
		.amdhsa_system_sgpr_workgroup_id_x 1
		.amdhsa_system_sgpr_workgroup_id_y 0
		.amdhsa_system_sgpr_workgroup_id_z 0
		.amdhsa_system_sgpr_workgroup_info 0
		.amdhsa_system_vgpr_workitem_id 0
		.amdhsa_next_free_vgpr 1
		.amdhsa_next_free_sgpr 0
		.amdhsa_accum_offset 4
		.amdhsa_reserve_vcc 0
		.amdhsa_float_round_mode_32 0
		.amdhsa_float_round_mode_16_64 0
		.amdhsa_float_denorm_mode_32 3
		.amdhsa_float_denorm_mode_16_64 3
		.amdhsa_dx10_clamp 1
		.amdhsa_ieee_mode 1
		.amdhsa_fp16_overflow 0
		.amdhsa_tg_split 0
		.amdhsa_exception_fp_ieee_invalid_op 0
		.amdhsa_exception_fp_denorm_src 0
		.amdhsa_exception_fp_ieee_div_zero 0
		.amdhsa_exception_fp_ieee_overflow 0
		.amdhsa_exception_fp_ieee_underflow 0
		.amdhsa_exception_fp_ieee_inexact 0
		.amdhsa_exception_int_div_zero 0
	.end_amdhsa_kernel
	.section	.text._ZN7rocprim17ROCPRIM_400000_NS6detail17trampoline_kernelINS0_14default_configENS1_38merge_sort_block_merge_config_selectorIiNS0_10empty_typeEEEZZNS1_27merge_sort_block_merge_implIS3_N6thrust23THRUST_200600_302600_NS6detail15normal_iteratorINS9_10device_ptrIiEEEEPS5_jNS1_19radix_merge_compareILb0ELb1EiNS0_19identity_decomposerEEEEE10hipError_tT0_T1_T2_jT3_P12ihipStream_tbPNSt15iterator_traitsISK_E10value_typeEPNSQ_ISL_E10value_typeEPSM_NS1_7vsmem_tEENKUlT_SK_SL_SM_E_clISE_PiSF_SF_EESJ_SZ_SK_SL_SM_EUlSZ_E_NS1_11comp_targetILNS1_3genE3ELNS1_11target_archE908ELNS1_3gpuE7ELNS1_3repE0EEENS1_48merge_mergepath_partition_config_static_selectorELNS0_4arch9wavefront6targetE1EEEvSL_,"axG",@progbits,_ZN7rocprim17ROCPRIM_400000_NS6detail17trampoline_kernelINS0_14default_configENS1_38merge_sort_block_merge_config_selectorIiNS0_10empty_typeEEEZZNS1_27merge_sort_block_merge_implIS3_N6thrust23THRUST_200600_302600_NS6detail15normal_iteratorINS9_10device_ptrIiEEEEPS5_jNS1_19radix_merge_compareILb0ELb1EiNS0_19identity_decomposerEEEEE10hipError_tT0_T1_T2_jT3_P12ihipStream_tbPNSt15iterator_traitsISK_E10value_typeEPNSQ_ISL_E10value_typeEPSM_NS1_7vsmem_tEENKUlT_SK_SL_SM_E_clISE_PiSF_SF_EESJ_SZ_SK_SL_SM_EUlSZ_E_NS1_11comp_targetILNS1_3genE3ELNS1_11target_archE908ELNS1_3gpuE7ELNS1_3repE0EEENS1_48merge_mergepath_partition_config_static_selectorELNS0_4arch9wavefront6targetE1EEEvSL_,comdat
.Lfunc_end112:
	.size	_ZN7rocprim17ROCPRIM_400000_NS6detail17trampoline_kernelINS0_14default_configENS1_38merge_sort_block_merge_config_selectorIiNS0_10empty_typeEEEZZNS1_27merge_sort_block_merge_implIS3_N6thrust23THRUST_200600_302600_NS6detail15normal_iteratorINS9_10device_ptrIiEEEEPS5_jNS1_19radix_merge_compareILb0ELb1EiNS0_19identity_decomposerEEEEE10hipError_tT0_T1_T2_jT3_P12ihipStream_tbPNSt15iterator_traitsISK_E10value_typeEPNSQ_ISL_E10value_typeEPSM_NS1_7vsmem_tEENKUlT_SK_SL_SM_E_clISE_PiSF_SF_EESJ_SZ_SK_SL_SM_EUlSZ_E_NS1_11comp_targetILNS1_3genE3ELNS1_11target_archE908ELNS1_3gpuE7ELNS1_3repE0EEENS1_48merge_mergepath_partition_config_static_selectorELNS0_4arch9wavefront6targetE1EEEvSL_, .Lfunc_end112-_ZN7rocprim17ROCPRIM_400000_NS6detail17trampoline_kernelINS0_14default_configENS1_38merge_sort_block_merge_config_selectorIiNS0_10empty_typeEEEZZNS1_27merge_sort_block_merge_implIS3_N6thrust23THRUST_200600_302600_NS6detail15normal_iteratorINS9_10device_ptrIiEEEEPS5_jNS1_19radix_merge_compareILb0ELb1EiNS0_19identity_decomposerEEEEE10hipError_tT0_T1_T2_jT3_P12ihipStream_tbPNSt15iterator_traitsISK_E10value_typeEPNSQ_ISL_E10value_typeEPSM_NS1_7vsmem_tEENKUlT_SK_SL_SM_E_clISE_PiSF_SF_EESJ_SZ_SK_SL_SM_EUlSZ_E_NS1_11comp_targetILNS1_3genE3ELNS1_11target_archE908ELNS1_3gpuE7ELNS1_3repE0EEENS1_48merge_mergepath_partition_config_static_selectorELNS0_4arch9wavefront6targetE1EEEvSL_
                                        ; -- End function
	.set _ZN7rocprim17ROCPRIM_400000_NS6detail17trampoline_kernelINS0_14default_configENS1_38merge_sort_block_merge_config_selectorIiNS0_10empty_typeEEEZZNS1_27merge_sort_block_merge_implIS3_N6thrust23THRUST_200600_302600_NS6detail15normal_iteratorINS9_10device_ptrIiEEEEPS5_jNS1_19radix_merge_compareILb0ELb1EiNS0_19identity_decomposerEEEEE10hipError_tT0_T1_T2_jT3_P12ihipStream_tbPNSt15iterator_traitsISK_E10value_typeEPNSQ_ISL_E10value_typeEPSM_NS1_7vsmem_tEENKUlT_SK_SL_SM_E_clISE_PiSF_SF_EESJ_SZ_SK_SL_SM_EUlSZ_E_NS1_11comp_targetILNS1_3genE3ELNS1_11target_archE908ELNS1_3gpuE7ELNS1_3repE0EEENS1_48merge_mergepath_partition_config_static_selectorELNS0_4arch9wavefront6targetE1EEEvSL_.num_vgpr, 0
	.set _ZN7rocprim17ROCPRIM_400000_NS6detail17trampoline_kernelINS0_14default_configENS1_38merge_sort_block_merge_config_selectorIiNS0_10empty_typeEEEZZNS1_27merge_sort_block_merge_implIS3_N6thrust23THRUST_200600_302600_NS6detail15normal_iteratorINS9_10device_ptrIiEEEEPS5_jNS1_19radix_merge_compareILb0ELb1EiNS0_19identity_decomposerEEEEE10hipError_tT0_T1_T2_jT3_P12ihipStream_tbPNSt15iterator_traitsISK_E10value_typeEPNSQ_ISL_E10value_typeEPSM_NS1_7vsmem_tEENKUlT_SK_SL_SM_E_clISE_PiSF_SF_EESJ_SZ_SK_SL_SM_EUlSZ_E_NS1_11comp_targetILNS1_3genE3ELNS1_11target_archE908ELNS1_3gpuE7ELNS1_3repE0EEENS1_48merge_mergepath_partition_config_static_selectorELNS0_4arch9wavefront6targetE1EEEvSL_.num_agpr, 0
	.set _ZN7rocprim17ROCPRIM_400000_NS6detail17trampoline_kernelINS0_14default_configENS1_38merge_sort_block_merge_config_selectorIiNS0_10empty_typeEEEZZNS1_27merge_sort_block_merge_implIS3_N6thrust23THRUST_200600_302600_NS6detail15normal_iteratorINS9_10device_ptrIiEEEEPS5_jNS1_19radix_merge_compareILb0ELb1EiNS0_19identity_decomposerEEEEE10hipError_tT0_T1_T2_jT3_P12ihipStream_tbPNSt15iterator_traitsISK_E10value_typeEPNSQ_ISL_E10value_typeEPSM_NS1_7vsmem_tEENKUlT_SK_SL_SM_E_clISE_PiSF_SF_EESJ_SZ_SK_SL_SM_EUlSZ_E_NS1_11comp_targetILNS1_3genE3ELNS1_11target_archE908ELNS1_3gpuE7ELNS1_3repE0EEENS1_48merge_mergepath_partition_config_static_selectorELNS0_4arch9wavefront6targetE1EEEvSL_.numbered_sgpr, 0
	.set _ZN7rocprim17ROCPRIM_400000_NS6detail17trampoline_kernelINS0_14default_configENS1_38merge_sort_block_merge_config_selectorIiNS0_10empty_typeEEEZZNS1_27merge_sort_block_merge_implIS3_N6thrust23THRUST_200600_302600_NS6detail15normal_iteratorINS9_10device_ptrIiEEEEPS5_jNS1_19radix_merge_compareILb0ELb1EiNS0_19identity_decomposerEEEEE10hipError_tT0_T1_T2_jT3_P12ihipStream_tbPNSt15iterator_traitsISK_E10value_typeEPNSQ_ISL_E10value_typeEPSM_NS1_7vsmem_tEENKUlT_SK_SL_SM_E_clISE_PiSF_SF_EESJ_SZ_SK_SL_SM_EUlSZ_E_NS1_11comp_targetILNS1_3genE3ELNS1_11target_archE908ELNS1_3gpuE7ELNS1_3repE0EEENS1_48merge_mergepath_partition_config_static_selectorELNS0_4arch9wavefront6targetE1EEEvSL_.num_named_barrier, 0
	.set _ZN7rocprim17ROCPRIM_400000_NS6detail17trampoline_kernelINS0_14default_configENS1_38merge_sort_block_merge_config_selectorIiNS0_10empty_typeEEEZZNS1_27merge_sort_block_merge_implIS3_N6thrust23THRUST_200600_302600_NS6detail15normal_iteratorINS9_10device_ptrIiEEEEPS5_jNS1_19radix_merge_compareILb0ELb1EiNS0_19identity_decomposerEEEEE10hipError_tT0_T1_T2_jT3_P12ihipStream_tbPNSt15iterator_traitsISK_E10value_typeEPNSQ_ISL_E10value_typeEPSM_NS1_7vsmem_tEENKUlT_SK_SL_SM_E_clISE_PiSF_SF_EESJ_SZ_SK_SL_SM_EUlSZ_E_NS1_11comp_targetILNS1_3genE3ELNS1_11target_archE908ELNS1_3gpuE7ELNS1_3repE0EEENS1_48merge_mergepath_partition_config_static_selectorELNS0_4arch9wavefront6targetE1EEEvSL_.private_seg_size, 0
	.set _ZN7rocprim17ROCPRIM_400000_NS6detail17trampoline_kernelINS0_14default_configENS1_38merge_sort_block_merge_config_selectorIiNS0_10empty_typeEEEZZNS1_27merge_sort_block_merge_implIS3_N6thrust23THRUST_200600_302600_NS6detail15normal_iteratorINS9_10device_ptrIiEEEEPS5_jNS1_19radix_merge_compareILb0ELb1EiNS0_19identity_decomposerEEEEE10hipError_tT0_T1_T2_jT3_P12ihipStream_tbPNSt15iterator_traitsISK_E10value_typeEPNSQ_ISL_E10value_typeEPSM_NS1_7vsmem_tEENKUlT_SK_SL_SM_E_clISE_PiSF_SF_EESJ_SZ_SK_SL_SM_EUlSZ_E_NS1_11comp_targetILNS1_3genE3ELNS1_11target_archE908ELNS1_3gpuE7ELNS1_3repE0EEENS1_48merge_mergepath_partition_config_static_selectorELNS0_4arch9wavefront6targetE1EEEvSL_.uses_vcc, 0
	.set _ZN7rocprim17ROCPRIM_400000_NS6detail17trampoline_kernelINS0_14default_configENS1_38merge_sort_block_merge_config_selectorIiNS0_10empty_typeEEEZZNS1_27merge_sort_block_merge_implIS3_N6thrust23THRUST_200600_302600_NS6detail15normal_iteratorINS9_10device_ptrIiEEEEPS5_jNS1_19radix_merge_compareILb0ELb1EiNS0_19identity_decomposerEEEEE10hipError_tT0_T1_T2_jT3_P12ihipStream_tbPNSt15iterator_traitsISK_E10value_typeEPNSQ_ISL_E10value_typeEPSM_NS1_7vsmem_tEENKUlT_SK_SL_SM_E_clISE_PiSF_SF_EESJ_SZ_SK_SL_SM_EUlSZ_E_NS1_11comp_targetILNS1_3genE3ELNS1_11target_archE908ELNS1_3gpuE7ELNS1_3repE0EEENS1_48merge_mergepath_partition_config_static_selectorELNS0_4arch9wavefront6targetE1EEEvSL_.uses_flat_scratch, 0
	.set _ZN7rocprim17ROCPRIM_400000_NS6detail17trampoline_kernelINS0_14default_configENS1_38merge_sort_block_merge_config_selectorIiNS0_10empty_typeEEEZZNS1_27merge_sort_block_merge_implIS3_N6thrust23THRUST_200600_302600_NS6detail15normal_iteratorINS9_10device_ptrIiEEEEPS5_jNS1_19radix_merge_compareILb0ELb1EiNS0_19identity_decomposerEEEEE10hipError_tT0_T1_T2_jT3_P12ihipStream_tbPNSt15iterator_traitsISK_E10value_typeEPNSQ_ISL_E10value_typeEPSM_NS1_7vsmem_tEENKUlT_SK_SL_SM_E_clISE_PiSF_SF_EESJ_SZ_SK_SL_SM_EUlSZ_E_NS1_11comp_targetILNS1_3genE3ELNS1_11target_archE908ELNS1_3gpuE7ELNS1_3repE0EEENS1_48merge_mergepath_partition_config_static_selectorELNS0_4arch9wavefront6targetE1EEEvSL_.has_dyn_sized_stack, 0
	.set _ZN7rocprim17ROCPRIM_400000_NS6detail17trampoline_kernelINS0_14default_configENS1_38merge_sort_block_merge_config_selectorIiNS0_10empty_typeEEEZZNS1_27merge_sort_block_merge_implIS3_N6thrust23THRUST_200600_302600_NS6detail15normal_iteratorINS9_10device_ptrIiEEEEPS5_jNS1_19radix_merge_compareILb0ELb1EiNS0_19identity_decomposerEEEEE10hipError_tT0_T1_T2_jT3_P12ihipStream_tbPNSt15iterator_traitsISK_E10value_typeEPNSQ_ISL_E10value_typeEPSM_NS1_7vsmem_tEENKUlT_SK_SL_SM_E_clISE_PiSF_SF_EESJ_SZ_SK_SL_SM_EUlSZ_E_NS1_11comp_targetILNS1_3genE3ELNS1_11target_archE908ELNS1_3gpuE7ELNS1_3repE0EEENS1_48merge_mergepath_partition_config_static_selectorELNS0_4arch9wavefront6targetE1EEEvSL_.has_recursion, 0
	.set _ZN7rocprim17ROCPRIM_400000_NS6detail17trampoline_kernelINS0_14default_configENS1_38merge_sort_block_merge_config_selectorIiNS0_10empty_typeEEEZZNS1_27merge_sort_block_merge_implIS3_N6thrust23THRUST_200600_302600_NS6detail15normal_iteratorINS9_10device_ptrIiEEEEPS5_jNS1_19radix_merge_compareILb0ELb1EiNS0_19identity_decomposerEEEEE10hipError_tT0_T1_T2_jT3_P12ihipStream_tbPNSt15iterator_traitsISK_E10value_typeEPNSQ_ISL_E10value_typeEPSM_NS1_7vsmem_tEENKUlT_SK_SL_SM_E_clISE_PiSF_SF_EESJ_SZ_SK_SL_SM_EUlSZ_E_NS1_11comp_targetILNS1_3genE3ELNS1_11target_archE908ELNS1_3gpuE7ELNS1_3repE0EEENS1_48merge_mergepath_partition_config_static_selectorELNS0_4arch9wavefront6targetE1EEEvSL_.has_indirect_call, 0
	.section	.AMDGPU.csdata,"",@progbits
; Kernel info:
; codeLenInByte = 0
; TotalNumSgprs: 6
; NumVgprs: 0
; NumAgprs: 0
; TotalNumVgprs: 0
; ScratchSize: 0
; MemoryBound: 0
; FloatMode: 240
; IeeeMode: 1
; LDSByteSize: 0 bytes/workgroup (compile time only)
; SGPRBlocks: 0
; VGPRBlocks: 0
; NumSGPRsForWavesPerEU: 6
; NumVGPRsForWavesPerEU: 1
; AccumOffset: 4
; Occupancy: 8
; WaveLimiterHint : 0
; COMPUTE_PGM_RSRC2:SCRATCH_EN: 0
; COMPUTE_PGM_RSRC2:USER_SGPR: 2
; COMPUTE_PGM_RSRC2:TRAP_HANDLER: 0
; COMPUTE_PGM_RSRC2:TGID_X_EN: 1
; COMPUTE_PGM_RSRC2:TGID_Y_EN: 0
; COMPUTE_PGM_RSRC2:TGID_Z_EN: 0
; COMPUTE_PGM_RSRC2:TIDIG_COMP_CNT: 0
; COMPUTE_PGM_RSRC3_GFX90A:ACCUM_OFFSET: 0
; COMPUTE_PGM_RSRC3_GFX90A:TG_SPLIT: 0
	.section	.text._ZN7rocprim17ROCPRIM_400000_NS6detail17trampoline_kernelINS0_14default_configENS1_38merge_sort_block_merge_config_selectorIiNS0_10empty_typeEEEZZNS1_27merge_sort_block_merge_implIS3_N6thrust23THRUST_200600_302600_NS6detail15normal_iteratorINS9_10device_ptrIiEEEEPS5_jNS1_19radix_merge_compareILb0ELb1EiNS0_19identity_decomposerEEEEE10hipError_tT0_T1_T2_jT3_P12ihipStream_tbPNSt15iterator_traitsISK_E10value_typeEPNSQ_ISL_E10value_typeEPSM_NS1_7vsmem_tEENKUlT_SK_SL_SM_E_clISE_PiSF_SF_EESJ_SZ_SK_SL_SM_EUlSZ_E_NS1_11comp_targetILNS1_3genE2ELNS1_11target_archE906ELNS1_3gpuE6ELNS1_3repE0EEENS1_48merge_mergepath_partition_config_static_selectorELNS0_4arch9wavefront6targetE1EEEvSL_,"axG",@progbits,_ZN7rocprim17ROCPRIM_400000_NS6detail17trampoline_kernelINS0_14default_configENS1_38merge_sort_block_merge_config_selectorIiNS0_10empty_typeEEEZZNS1_27merge_sort_block_merge_implIS3_N6thrust23THRUST_200600_302600_NS6detail15normal_iteratorINS9_10device_ptrIiEEEEPS5_jNS1_19radix_merge_compareILb0ELb1EiNS0_19identity_decomposerEEEEE10hipError_tT0_T1_T2_jT3_P12ihipStream_tbPNSt15iterator_traitsISK_E10value_typeEPNSQ_ISL_E10value_typeEPSM_NS1_7vsmem_tEENKUlT_SK_SL_SM_E_clISE_PiSF_SF_EESJ_SZ_SK_SL_SM_EUlSZ_E_NS1_11comp_targetILNS1_3genE2ELNS1_11target_archE906ELNS1_3gpuE6ELNS1_3repE0EEENS1_48merge_mergepath_partition_config_static_selectorELNS0_4arch9wavefront6targetE1EEEvSL_,comdat
	.protected	_ZN7rocprim17ROCPRIM_400000_NS6detail17trampoline_kernelINS0_14default_configENS1_38merge_sort_block_merge_config_selectorIiNS0_10empty_typeEEEZZNS1_27merge_sort_block_merge_implIS3_N6thrust23THRUST_200600_302600_NS6detail15normal_iteratorINS9_10device_ptrIiEEEEPS5_jNS1_19radix_merge_compareILb0ELb1EiNS0_19identity_decomposerEEEEE10hipError_tT0_T1_T2_jT3_P12ihipStream_tbPNSt15iterator_traitsISK_E10value_typeEPNSQ_ISL_E10value_typeEPSM_NS1_7vsmem_tEENKUlT_SK_SL_SM_E_clISE_PiSF_SF_EESJ_SZ_SK_SL_SM_EUlSZ_E_NS1_11comp_targetILNS1_3genE2ELNS1_11target_archE906ELNS1_3gpuE6ELNS1_3repE0EEENS1_48merge_mergepath_partition_config_static_selectorELNS0_4arch9wavefront6targetE1EEEvSL_ ; -- Begin function _ZN7rocprim17ROCPRIM_400000_NS6detail17trampoline_kernelINS0_14default_configENS1_38merge_sort_block_merge_config_selectorIiNS0_10empty_typeEEEZZNS1_27merge_sort_block_merge_implIS3_N6thrust23THRUST_200600_302600_NS6detail15normal_iteratorINS9_10device_ptrIiEEEEPS5_jNS1_19radix_merge_compareILb0ELb1EiNS0_19identity_decomposerEEEEE10hipError_tT0_T1_T2_jT3_P12ihipStream_tbPNSt15iterator_traitsISK_E10value_typeEPNSQ_ISL_E10value_typeEPSM_NS1_7vsmem_tEENKUlT_SK_SL_SM_E_clISE_PiSF_SF_EESJ_SZ_SK_SL_SM_EUlSZ_E_NS1_11comp_targetILNS1_3genE2ELNS1_11target_archE906ELNS1_3gpuE6ELNS1_3repE0EEENS1_48merge_mergepath_partition_config_static_selectorELNS0_4arch9wavefront6targetE1EEEvSL_
	.globl	_ZN7rocprim17ROCPRIM_400000_NS6detail17trampoline_kernelINS0_14default_configENS1_38merge_sort_block_merge_config_selectorIiNS0_10empty_typeEEEZZNS1_27merge_sort_block_merge_implIS3_N6thrust23THRUST_200600_302600_NS6detail15normal_iteratorINS9_10device_ptrIiEEEEPS5_jNS1_19radix_merge_compareILb0ELb1EiNS0_19identity_decomposerEEEEE10hipError_tT0_T1_T2_jT3_P12ihipStream_tbPNSt15iterator_traitsISK_E10value_typeEPNSQ_ISL_E10value_typeEPSM_NS1_7vsmem_tEENKUlT_SK_SL_SM_E_clISE_PiSF_SF_EESJ_SZ_SK_SL_SM_EUlSZ_E_NS1_11comp_targetILNS1_3genE2ELNS1_11target_archE906ELNS1_3gpuE6ELNS1_3repE0EEENS1_48merge_mergepath_partition_config_static_selectorELNS0_4arch9wavefront6targetE1EEEvSL_
	.p2align	8
	.type	_ZN7rocprim17ROCPRIM_400000_NS6detail17trampoline_kernelINS0_14default_configENS1_38merge_sort_block_merge_config_selectorIiNS0_10empty_typeEEEZZNS1_27merge_sort_block_merge_implIS3_N6thrust23THRUST_200600_302600_NS6detail15normal_iteratorINS9_10device_ptrIiEEEEPS5_jNS1_19radix_merge_compareILb0ELb1EiNS0_19identity_decomposerEEEEE10hipError_tT0_T1_T2_jT3_P12ihipStream_tbPNSt15iterator_traitsISK_E10value_typeEPNSQ_ISL_E10value_typeEPSM_NS1_7vsmem_tEENKUlT_SK_SL_SM_E_clISE_PiSF_SF_EESJ_SZ_SK_SL_SM_EUlSZ_E_NS1_11comp_targetILNS1_3genE2ELNS1_11target_archE906ELNS1_3gpuE6ELNS1_3repE0EEENS1_48merge_mergepath_partition_config_static_selectorELNS0_4arch9wavefront6targetE1EEEvSL_,@function
_ZN7rocprim17ROCPRIM_400000_NS6detail17trampoline_kernelINS0_14default_configENS1_38merge_sort_block_merge_config_selectorIiNS0_10empty_typeEEEZZNS1_27merge_sort_block_merge_implIS3_N6thrust23THRUST_200600_302600_NS6detail15normal_iteratorINS9_10device_ptrIiEEEEPS5_jNS1_19radix_merge_compareILb0ELb1EiNS0_19identity_decomposerEEEEE10hipError_tT0_T1_T2_jT3_P12ihipStream_tbPNSt15iterator_traitsISK_E10value_typeEPNSQ_ISL_E10value_typeEPSM_NS1_7vsmem_tEENKUlT_SK_SL_SM_E_clISE_PiSF_SF_EESJ_SZ_SK_SL_SM_EUlSZ_E_NS1_11comp_targetILNS1_3genE2ELNS1_11target_archE906ELNS1_3gpuE6ELNS1_3repE0EEENS1_48merge_mergepath_partition_config_static_selectorELNS0_4arch9wavefront6targetE1EEEvSL_: ; @_ZN7rocprim17ROCPRIM_400000_NS6detail17trampoline_kernelINS0_14default_configENS1_38merge_sort_block_merge_config_selectorIiNS0_10empty_typeEEEZZNS1_27merge_sort_block_merge_implIS3_N6thrust23THRUST_200600_302600_NS6detail15normal_iteratorINS9_10device_ptrIiEEEEPS5_jNS1_19radix_merge_compareILb0ELb1EiNS0_19identity_decomposerEEEEE10hipError_tT0_T1_T2_jT3_P12ihipStream_tbPNSt15iterator_traitsISK_E10value_typeEPNSQ_ISL_E10value_typeEPSM_NS1_7vsmem_tEENKUlT_SK_SL_SM_E_clISE_PiSF_SF_EESJ_SZ_SK_SL_SM_EUlSZ_E_NS1_11comp_targetILNS1_3genE2ELNS1_11target_archE906ELNS1_3gpuE6ELNS1_3repE0EEENS1_48merge_mergepath_partition_config_static_selectorELNS0_4arch9wavefront6targetE1EEEvSL_
; %bb.0:
	.section	.rodata,"a",@progbits
	.p2align	6, 0x0
	.amdhsa_kernel _ZN7rocprim17ROCPRIM_400000_NS6detail17trampoline_kernelINS0_14default_configENS1_38merge_sort_block_merge_config_selectorIiNS0_10empty_typeEEEZZNS1_27merge_sort_block_merge_implIS3_N6thrust23THRUST_200600_302600_NS6detail15normal_iteratorINS9_10device_ptrIiEEEEPS5_jNS1_19radix_merge_compareILb0ELb1EiNS0_19identity_decomposerEEEEE10hipError_tT0_T1_T2_jT3_P12ihipStream_tbPNSt15iterator_traitsISK_E10value_typeEPNSQ_ISL_E10value_typeEPSM_NS1_7vsmem_tEENKUlT_SK_SL_SM_E_clISE_PiSF_SF_EESJ_SZ_SK_SL_SM_EUlSZ_E_NS1_11comp_targetILNS1_3genE2ELNS1_11target_archE906ELNS1_3gpuE6ELNS1_3repE0EEENS1_48merge_mergepath_partition_config_static_selectorELNS0_4arch9wavefront6targetE1EEEvSL_
		.amdhsa_group_segment_fixed_size 0
		.amdhsa_private_segment_fixed_size 0
		.amdhsa_kernarg_size 40
		.amdhsa_user_sgpr_count 2
		.amdhsa_user_sgpr_dispatch_ptr 0
		.amdhsa_user_sgpr_queue_ptr 0
		.amdhsa_user_sgpr_kernarg_segment_ptr 1
		.amdhsa_user_sgpr_dispatch_id 0
		.amdhsa_user_sgpr_kernarg_preload_length 0
		.amdhsa_user_sgpr_kernarg_preload_offset 0
		.amdhsa_user_sgpr_private_segment_size 0
		.amdhsa_uses_dynamic_stack 0
		.amdhsa_enable_private_segment 0
		.amdhsa_system_sgpr_workgroup_id_x 1
		.amdhsa_system_sgpr_workgroup_id_y 0
		.amdhsa_system_sgpr_workgroup_id_z 0
		.amdhsa_system_sgpr_workgroup_info 0
		.amdhsa_system_vgpr_workitem_id 0
		.amdhsa_next_free_vgpr 1
		.amdhsa_next_free_sgpr 0
		.amdhsa_accum_offset 4
		.amdhsa_reserve_vcc 0
		.amdhsa_float_round_mode_32 0
		.amdhsa_float_round_mode_16_64 0
		.amdhsa_float_denorm_mode_32 3
		.amdhsa_float_denorm_mode_16_64 3
		.amdhsa_dx10_clamp 1
		.amdhsa_ieee_mode 1
		.amdhsa_fp16_overflow 0
		.amdhsa_tg_split 0
		.amdhsa_exception_fp_ieee_invalid_op 0
		.amdhsa_exception_fp_denorm_src 0
		.amdhsa_exception_fp_ieee_div_zero 0
		.amdhsa_exception_fp_ieee_overflow 0
		.amdhsa_exception_fp_ieee_underflow 0
		.amdhsa_exception_fp_ieee_inexact 0
		.amdhsa_exception_int_div_zero 0
	.end_amdhsa_kernel
	.section	.text._ZN7rocprim17ROCPRIM_400000_NS6detail17trampoline_kernelINS0_14default_configENS1_38merge_sort_block_merge_config_selectorIiNS0_10empty_typeEEEZZNS1_27merge_sort_block_merge_implIS3_N6thrust23THRUST_200600_302600_NS6detail15normal_iteratorINS9_10device_ptrIiEEEEPS5_jNS1_19radix_merge_compareILb0ELb1EiNS0_19identity_decomposerEEEEE10hipError_tT0_T1_T2_jT3_P12ihipStream_tbPNSt15iterator_traitsISK_E10value_typeEPNSQ_ISL_E10value_typeEPSM_NS1_7vsmem_tEENKUlT_SK_SL_SM_E_clISE_PiSF_SF_EESJ_SZ_SK_SL_SM_EUlSZ_E_NS1_11comp_targetILNS1_3genE2ELNS1_11target_archE906ELNS1_3gpuE6ELNS1_3repE0EEENS1_48merge_mergepath_partition_config_static_selectorELNS0_4arch9wavefront6targetE1EEEvSL_,"axG",@progbits,_ZN7rocprim17ROCPRIM_400000_NS6detail17trampoline_kernelINS0_14default_configENS1_38merge_sort_block_merge_config_selectorIiNS0_10empty_typeEEEZZNS1_27merge_sort_block_merge_implIS3_N6thrust23THRUST_200600_302600_NS6detail15normal_iteratorINS9_10device_ptrIiEEEEPS5_jNS1_19radix_merge_compareILb0ELb1EiNS0_19identity_decomposerEEEEE10hipError_tT0_T1_T2_jT3_P12ihipStream_tbPNSt15iterator_traitsISK_E10value_typeEPNSQ_ISL_E10value_typeEPSM_NS1_7vsmem_tEENKUlT_SK_SL_SM_E_clISE_PiSF_SF_EESJ_SZ_SK_SL_SM_EUlSZ_E_NS1_11comp_targetILNS1_3genE2ELNS1_11target_archE906ELNS1_3gpuE6ELNS1_3repE0EEENS1_48merge_mergepath_partition_config_static_selectorELNS0_4arch9wavefront6targetE1EEEvSL_,comdat
.Lfunc_end113:
	.size	_ZN7rocprim17ROCPRIM_400000_NS6detail17trampoline_kernelINS0_14default_configENS1_38merge_sort_block_merge_config_selectorIiNS0_10empty_typeEEEZZNS1_27merge_sort_block_merge_implIS3_N6thrust23THRUST_200600_302600_NS6detail15normal_iteratorINS9_10device_ptrIiEEEEPS5_jNS1_19radix_merge_compareILb0ELb1EiNS0_19identity_decomposerEEEEE10hipError_tT0_T1_T2_jT3_P12ihipStream_tbPNSt15iterator_traitsISK_E10value_typeEPNSQ_ISL_E10value_typeEPSM_NS1_7vsmem_tEENKUlT_SK_SL_SM_E_clISE_PiSF_SF_EESJ_SZ_SK_SL_SM_EUlSZ_E_NS1_11comp_targetILNS1_3genE2ELNS1_11target_archE906ELNS1_3gpuE6ELNS1_3repE0EEENS1_48merge_mergepath_partition_config_static_selectorELNS0_4arch9wavefront6targetE1EEEvSL_, .Lfunc_end113-_ZN7rocprim17ROCPRIM_400000_NS6detail17trampoline_kernelINS0_14default_configENS1_38merge_sort_block_merge_config_selectorIiNS0_10empty_typeEEEZZNS1_27merge_sort_block_merge_implIS3_N6thrust23THRUST_200600_302600_NS6detail15normal_iteratorINS9_10device_ptrIiEEEEPS5_jNS1_19radix_merge_compareILb0ELb1EiNS0_19identity_decomposerEEEEE10hipError_tT0_T1_T2_jT3_P12ihipStream_tbPNSt15iterator_traitsISK_E10value_typeEPNSQ_ISL_E10value_typeEPSM_NS1_7vsmem_tEENKUlT_SK_SL_SM_E_clISE_PiSF_SF_EESJ_SZ_SK_SL_SM_EUlSZ_E_NS1_11comp_targetILNS1_3genE2ELNS1_11target_archE906ELNS1_3gpuE6ELNS1_3repE0EEENS1_48merge_mergepath_partition_config_static_selectorELNS0_4arch9wavefront6targetE1EEEvSL_
                                        ; -- End function
	.set _ZN7rocprim17ROCPRIM_400000_NS6detail17trampoline_kernelINS0_14default_configENS1_38merge_sort_block_merge_config_selectorIiNS0_10empty_typeEEEZZNS1_27merge_sort_block_merge_implIS3_N6thrust23THRUST_200600_302600_NS6detail15normal_iteratorINS9_10device_ptrIiEEEEPS5_jNS1_19radix_merge_compareILb0ELb1EiNS0_19identity_decomposerEEEEE10hipError_tT0_T1_T2_jT3_P12ihipStream_tbPNSt15iterator_traitsISK_E10value_typeEPNSQ_ISL_E10value_typeEPSM_NS1_7vsmem_tEENKUlT_SK_SL_SM_E_clISE_PiSF_SF_EESJ_SZ_SK_SL_SM_EUlSZ_E_NS1_11comp_targetILNS1_3genE2ELNS1_11target_archE906ELNS1_3gpuE6ELNS1_3repE0EEENS1_48merge_mergepath_partition_config_static_selectorELNS0_4arch9wavefront6targetE1EEEvSL_.num_vgpr, 0
	.set _ZN7rocprim17ROCPRIM_400000_NS6detail17trampoline_kernelINS0_14default_configENS1_38merge_sort_block_merge_config_selectorIiNS0_10empty_typeEEEZZNS1_27merge_sort_block_merge_implIS3_N6thrust23THRUST_200600_302600_NS6detail15normal_iteratorINS9_10device_ptrIiEEEEPS5_jNS1_19radix_merge_compareILb0ELb1EiNS0_19identity_decomposerEEEEE10hipError_tT0_T1_T2_jT3_P12ihipStream_tbPNSt15iterator_traitsISK_E10value_typeEPNSQ_ISL_E10value_typeEPSM_NS1_7vsmem_tEENKUlT_SK_SL_SM_E_clISE_PiSF_SF_EESJ_SZ_SK_SL_SM_EUlSZ_E_NS1_11comp_targetILNS1_3genE2ELNS1_11target_archE906ELNS1_3gpuE6ELNS1_3repE0EEENS1_48merge_mergepath_partition_config_static_selectorELNS0_4arch9wavefront6targetE1EEEvSL_.num_agpr, 0
	.set _ZN7rocprim17ROCPRIM_400000_NS6detail17trampoline_kernelINS0_14default_configENS1_38merge_sort_block_merge_config_selectorIiNS0_10empty_typeEEEZZNS1_27merge_sort_block_merge_implIS3_N6thrust23THRUST_200600_302600_NS6detail15normal_iteratorINS9_10device_ptrIiEEEEPS5_jNS1_19radix_merge_compareILb0ELb1EiNS0_19identity_decomposerEEEEE10hipError_tT0_T1_T2_jT3_P12ihipStream_tbPNSt15iterator_traitsISK_E10value_typeEPNSQ_ISL_E10value_typeEPSM_NS1_7vsmem_tEENKUlT_SK_SL_SM_E_clISE_PiSF_SF_EESJ_SZ_SK_SL_SM_EUlSZ_E_NS1_11comp_targetILNS1_3genE2ELNS1_11target_archE906ELNS1_3gpuE6ELNS1_3repE0EEENS1_48merge_mergepath_partition_config_static_selectorELNS0_4arch9wavefront6targetE1EEEvSL_.numbered_sgpr, 0
	.set _ZN7rocprim17ROCPRIM_400000_NS6detail17trampoline_kernelINS0_14default_configENS1_38merge_sort_block_merge_config_selectorIiNS0_10empty_typeEEEZZNS1_27merge_sort_block_merge_implIS3_N6thrust23THRUST_200600_302600_NS6detail15normal_iteratorINS9_10device_ptrIiEEEEPS5_jNS1_19radix_merge_compareILb0ELb1EiNS0_19identity_decomposerEEEEE10hipError_tT0_T1_T2_jT3_P12ihipStream_tbPNSt15iterator_traitsISK_E10value_typeEPNSQ_ISL_E10value_typeEPSM_NS1_7vsmem_tEENKUlT_SK_SL_SM_E_clISE_PiSF_SF_EESJ_SZ_SK_SL_SM_EUlSZ_E_NS1_11comp_targetILNS1_3genE2ELNS1_11target_archE906ELNS1_3gpuE6ELNS1_3repE0EEENS1_48merge_mergepath_partition_config_static_selectorELNS0_4arch9wavefront6targetE1EEEvSL_.num_named_barrier, 0
	.set _ZN7rocprim17ROCPRIM_400000_NS6detail17trampoline_kernelINS0_14default_configENS1_38merge_sort_block_merge_config_selectorIiNS0_10empty_typeEEEZZNS1_27merge_sort_block_merge_implIS3_N6thrust23THRUST_200600_302600_NS6detail15normal_iteratorINS9_10device_ptrIiEEEEPS5_jNS1_19radix_merge_compareILb0ELb1EiNS0_19identity_decomposerEEEEE10hipError_tT0_T1_T2_jT3_P12ihipStream_tbPNSt15iterator_traitsISK_E10value_typeEPNSQ_ISL_E10value_typeEPSM_NS1_7vsmem_tEENKUlT_SK_SL_SM_E_clISE_PiSF_SF_EESJ_SZ_SK_SL_SM_EUlSZ_E_NS1_11comp_targetILNS1_3genE2ELNS1_11target_archE906ELNS1_3gpuE6ELNS1_3repE0EEENS1_48merge_mergepath_partition_config_static_selectorELNS0_4arch9wavefront6targetE1EEEvSL_.private_seg_size, 0
	.set _ZN7rocprim17ROCPRIM_400000_NS6detail17trampoline_kernelINS0_14default_configENS1_38merge_sort_block_merge_config_selectorIiNS0_10empty_typeEEEZZNS1_27merge_sort_block_merge_implIS3_N6thrust23THRUST_200600_302600_NS6detail15normal_iteratorINS9_10device_ptrIiEEEEPS5_jNS1_19radix_merge_compareILb0ELb1EiNS0_19identity_decomposerEEEEE10hipError_tT0_T1_T2_jT3_P12ihipStream_tbPNSt15iterator_traitsISK_E10value_typeEPNSQ_ISL_E10value_typeEPSM_NS1_7vsmem_tEENKUlT_SK_SL_SM_E_clISE_PiSF_SF_EESJ_SZ_SK_SL_SM_EUlSZ_E_NS1_11comp_targetILNS1_3genE2ELNS1_11target_archE906ELNS1_3gpuE6ELNS1_3repE0EEENS1_48merge_mergepath_partition_config_static_selectorELNS0_4arch9wavefront6targetE1EEEvSL_.uses_vcc, 0
	.set _ZN7rocprim17ROCPRIM_400000_NS6detail17trampoline_kernelINS0_14default_configENS1_38merge_sort_block_merge_config_selectorIiNS0_10empty_typeEEEZZNS1_27merge_sort_block_merge_implIS3_N6thrust23THRUST_200600_302600_NS6detail15normal_iteratorINS9_10device_ptrIiEEEEPS5_jNS1_19radix_merge_compareILb0ELb1EiNS0_19identity_decomposerEEEEE10hipError_tT0_T1_T2_jT3_P12ihipStream_tbPNSt15iterator_traitsISK_E10value_typeEPNSQ_ISL_E10value_typeEPSM_NS1_7vsmem_tEENKUlT_SK_SL_SM_E_clISE_PiSF_SF_EESJ_SZ_SK_SL_SM_EUlSZ_E_NS1_11comp_targetILNS1_3genE2ELNS1_11target_archE906ELNS1_3gpuE6ELNS1_3repE0EEENS1_48merge_mergepath_partition_config_static_selectorELNS0_4arch9wavefront6targetE1EEEvSL_.uses_flat_scratch, 0
	.set _ZN7rocprim17ROCPRIM_400000_NS6detail17trampoline_kernelINS0_14default_configENS1_38merge_sort_block_merge_config_selectorIiNS0_10empty_typeEEEZZNS1_27merge_sort_block_merge_implIS3_N6thrust23THRUST_200600_302600_NS6detail15normal_iteratorINS9_10device_ptrIiEEEEPS5_jNS1_19radix_merge_compareILb0ELb1EiNS0_19identity_decomposerEEEEE10hipError_tT0_T1_T2_jT3_P12ihipStream_tbPNSt15iterator_traitsISK_E10value_typeEPNSQ_ISL_E10value_typeEPSM_NS1_7vsmem_tEENKUlT_SK_SL_SM_E_clISE_PiSF_SF_EESJ_SZ_SK_SL_SM_EUlSZ_E_NS1_11comp_targetILNS1_3genE2ELNS1_11target_archE906ELNS1_3gpuE6ELNS1_3repE0EEENS1_48merge_mergepath_partition_config_static_selectorELNS0_4arch9wavefront6targetE1EEEvSL_.has_dyn_sized_stack, 0
	.set _ZN7rocprim17ROCPRIM_400000_NS6detail17trampoline_kernelINS0_14default_configENS1_38merge_sort_block_merge_config_selectorIiNS0_10empty_typeEEEZZNS1_27merge_sort_block_merge_implIS3_N6thrust23THRUST_200600_302600_NS6detail15normal_iteratorINS9_10device_ptrIiEEEEPS5_jNS1_19radix_merge_compareILb0ELb1EiNS0_19identity_decomposerEEEEE10hipError_tT0_T1_T2_jT3_P12ihipStream_tbPNSt15iterator_traitsISK_E10value_typeEPNSQ_ISL_E10value_typeEPSM_NS1_7vsmem_tEENKUlT_SK_SL_SM_E_clISE_PiSF_SF_EESJ_SZ_SK_SL_SM_EUlSZ_E_NS1_11comp_targetILNS1_3genE2ELNS1_11target_archE906ELNS1_3gpuE6ELNS1_3repE0EEENS1_48merge_mergepath_partition_config_static_selectorELNS0_4arch9wavefront6targetE1EEEvSL_.has_recursion, 0
	.set _ZN7rocprim17ROCPRIM_400000_NS6detail17trampoline_kernelINS0_14default_configENS1_38merge_sort_block_merge_config_selectorIiNS0_10empty_typeEEEZZNS1_27merge_sort_block_merge_implIS3_N6thrust23THRUST_200600_302600_NS6detail15normal_iteratorINS9_10device_ptrIiEEEEPS5_jNS1_19radix_merge_compareILb0ELb1EiNS0_19identity_decomposerEEEEE10hipError_tT0_T1_T2_jT3_P12ihipStream_tbPNSt15iterator_traitsISK_E10value_typeEPNSQ_ISL_E10value_typeEPSM_NS1_7vsmem_tEENKUlT_SK_SL_SM_E_clISE_PiSF_SF_EESJ_SZ_SK_SL_SM_EUlSZ_E_NS1_11comp_targetILNS1_3genE2ELNS1_11target_archE906ELNS1_3gpuE6ELNS1_3repE0EEENS1_48merge_mergepath_partition_config_static_selectorELNS0_4arch9wavefront6targetE1EEEvSL_.has_indirect_call, 0
	.section	.AMDGPU.csdata,"",@progbits
; Kernel info:
; codeLenInByte = 0
; TotalNumSgprs: 6
; NumVgprs: 0
; NumAgprs: 0
; TotalNumVgprs: 0
; ScratchSize: 0
; MemoryBound: 0
; FloatMode: 240
; IeeeMode: 1
; LDSByteSize: 0 bytes/workgroup (compile time only)
; SGPRBlocks: 0
; VGPRBlocks: 0
; NumSGPRsForWavesPerEU: 6
; NumVGPRsForWavesPerEU: 1
; AccumOffset: 4
; Occupancy: 8
; WaveLimiterHint : 0
; COMPUTE_PGM_RSRC2:SCRATCH_EN: 0
; COMPUTE_PGM_RSRC2:USER_SGPR: 2
; COMPUTE_PGM_RSRC2:TRAP_HANDLER: 0
; COMPUTE_PGM_RSRC2:TGID_X_EN: 1
; COMPUTE_PGM_RSRC2:TGID_Y_EN: 0
; COMPUTE_PGM_RSRC2:TGID_Z_EN: 0
; COMPUTE_PGM_RSRC2:TIDIG_COMP_CNT: 0
; COMPUTE_PGM_RSRC3_GFX90A:ACCUM_OFFSET: 0
; COMPUTE_PGM_RSRC3_GFX90A:TG_SPLIT: 0
	.section	.text._ZN7rocprim17ROCPRIM_400000_NS6detail17trampoline_kernelINS0_14default_configENS1_38merge_sort_block_merge_config_selectorIiNS0_10empty_typeEEEZZNS1_27merge_sort_block_merge_implIS3_N6thrust23THRUST_200600_302600_NS6detail15normal_iteratorINS9_10device_ptrIiEEEEPS5_jNS1_19radix_merge_compareILb0ELb1EiNS0_19identity_decomposerEEEEE10hipError_tT0_T1_T2_jT3_P12ihipStream_tbPNSt15iterator_traitsISK_E10value_typeEPNSQ_ISL_E10value_typeEPSM_NS1_7vsmem_tEENKUlT_SK_SL_SM_E_clISE_PiSF_SF_EESJ_SZ_SK_SL_SM_EUlSZ_E_NS1_11comp_targetILNS1_3genE9ELNS1_11target_archE1100ELNS1_3gpuE3ELNS1_3repE0EEENS1_48merge_mergepath_partition_config_static_selectorELNS0_4arch9wavefront6targetE1EEEvSL_,"axG",@progbits,_ZN7rocprim17ROCPRIM_400000_NS6detail17trampoline_kernelINS0_14default_configENS1_38merge_sort_block_merge_config_selectorIiNS0_10empty_typeEEEZZNS1_27merge_sort_block_merge_implIS3_N6thrust23THRUST_200600_302600_NS6detail15normal_iteratorINS9_10device_ptrIiEEEEPS5_jNS1_19radix_merge_compareILb0ELb1EiNS0_19identity_decomposerEEEEE10hipError_tT0_T1_T2_jT3_P12ihipStream_tbPNSt15iterator_traitsISK_E10value_typeEPNSQ_ISL_E10value_typeEPSM_NS1_7vsmem_tEENKUlT_SK_SL_SM_E_clISE_PiSF_SF_EESJ_SZ_SK_SL_SM_EUlSZ_E_NS1_11comp_targetILNS1_3genE9ELNS1_11target_archE1100ELNS1_3gpuE3ELNS1_3repE0EEENS1_48merge_mergepath_partition_config_static_selectorELNS0_4arch9wavefront6targetE1EEEvSL_,comdat
	.protected	_ZN7rocprim17ROCPRIM_400000_NS6detail17trampoline_kernelINS0_14default_configENS1_38merge_sort_block_merge_config_selectorIiNS0_10empty_typeEEEZZNS1_27merge_sort_block_merge_implIS3_N6thrust23THRUST_200600_302600_NS6detail15normal_iteratorINS9_10device_ptrIiEEEEPS5_jNS1_19radix_merge_compareILb0ELb1EiNS0_19identity_decomposerEEEEE10hipError_tT0_T1_T2_jT3_P12ihipStream_tbPNSt15iterator_traitsISK_E10value_typeEPNSQ_ISL_E10value_typeEPSM_NS1_7vsmem_tEENKUlT_SK_SL_SM_E_clISE_PiSF_SF_EESJ_SZ_SK_SL_SM_EUlSZ_E_NS1_11comp_targetILNS1_3genE9ELNS1_11target_archE1100ELNS1_3gpuE3ELNS1_3repE0EEENS1_48merge_mergepath_partition_config_static_selectorELNS0_4arch9wavefront6targetE1EEEvSL_ ; -- Begin function _ZN7rocprim17ROCPRIM_400000_NS6detail17trampoline_kernelINS0_14default_configENS1_38merge_sort_block_merge_config_selectorIiNS0_10empty_typeEEEZZNS1_27merge_sort_block_merge_implIS3_N6thrust23THRUST_200600_302600_NS6detail15normal_iteratorINS9_10device_ptrIiEEEEPS5_jNS1_19radix_merge_compareILb0ELb1EiNS0_19identity_decomposerEEEEE10hipError_tT0_T1_T2_jT3_P12ihipStream_tbPNSt15iterator_traitsISK_E10value_typeEPNSQ_ISL_E10value_typeEPSM_NS1_7vsmem_tEENKUlT_SK_SL_SM_E_clISE_PiSF_SF_EESJ_SZ_SK_SL_SM_EUlSZ_E_NS1_11comp_targetILNS1_3genE9ELNS1_11target_archE1100ELNS1_3gpuE3ELNS1_3repE0EEENS1_48merge_mergepath_partition_config_static_selectorELNS0_4arch9wavefront6targetE1EEEvSL_
	.globl	_ZN7rocprim17ROCPRIM_400000_NS6detail17trampoline_kernelINS0_14default_configENS1_38merge_sort_block_merge_config_selectorIiNS0_10empty_typeEEEZZNS1_27merge_sort_block_merge_implIS3_N6thrust23THRUST_200600_302600_NS6detail15normal_iteratorINS9_10device_ptrIiEEEEPS5_jNS1_19radix_merge_compareILb0ELb1EiNS0_19identity_decomposerEEEEE10hipError_tT0_T1_T2_jT3_P12ihipStream_tbPNSt15iterator_traitsISK_E10value_typeEPNSQ_ISL_E10value_typeEPSM_NS1_7vsmem_tEENKUlT_SK_SL_SM_E_clISE_PiSF_SF_EESJ_SZ_SK_SL_SM_EUlSZ_E_NS1_11comp_targetILNS1_3genE9ELNS1_11target_archE1100ELNS1_3gpuE3ELNS1_3repE0EEENS1_48merge_mergepath_partition_config_static_selectorELNS0_4arch9wavefront6targetE1EEEvSL_
	.p2align	8
	.type	_ZN7rocprim17ROCPRIM_400000_NS6detail17trampoline_kernelINS0_14default_configENS1_38merge_sort_block_merge_config_selectorIiNS0_10empty_typeEEEZZNS1_27merge_sort_block_merge_implIS3_N6thrust23THRUST_200600_302600_NS6detail15normal_iteratorINS9_10device_ptrIiEEEEPS5_jNS1_19radix_merge_compareILb0ELb1EiNS0_19identity_decomposerEEEEE10hipError_tT0_T1_T2_jT3_P12ihipStream_tbPNSt15iterator_traitsISK_E10value_typeEPNSQ_ISL_E10value_typeEPSM_NS1_7vsmem_tEENKUlT_SK_SL_SM_E_clISE_PiSF_SF_EESJ_SZ_SK_SL_SM_EUlSZ_E_NS1_11comp_targetILNS1_3genE9ELNS1_11target_archE1100ELNS1_3gpuE3ELNS1_3repE0EEENS1_48merge_mergepath_partition_config_static_selectorELNS0_4arch9wavefront6targetE1EEEvSL_,@function
_ZN7rocprim17ROCPRIM_400000_NS6detail17trampoline_kernelINS0_14default_configENS1_38merge_sort_block_merge_config_selectorIiNS0_10empty_typeEEEZZNS1_27merge_sort_block_merge_implIS3_N6thrust23THRUST_200600_302600_NS6detail15normal_iteratorINS9_10device_ptrIiEEEEPS5_jNS1_19radix_merge_compareILb0ELb1EiNS0_19identity_decomposerEEEEE10hipError_tT0_T1_T2_jT3_P12ihipStream_tbPNSt15iterator_traitsISK_E10value_typeEPNSQ_ISL_E10value_typeEPSM_NS1_7vsmem_tEENKUlT_SK_SL_SM_E_clISE_PiSF_SF_EESJ_SZ_SK_SL_SM_EUlSZ_E_NS1_11comp_targetILNS1_3genE9ELNS1_11target_archE1100ELNS1_3gpuE3ELNS1_3repE0EEENS1_48merge_mergepath_partition_config_static_selectorELNS0_4arch9wavefront6targetE1EEEvSL_: ; @_ZN7rocprim17ROCPRIM_400000_NS6detail17trampoline_kernelINS0_14default_configENS1_38merge_sort_block_merge_config_selectorIiNS0_10empty_typeEEEZZNS1_27merge_sort_block_merge_implIS3_N6thrust23THRUST_200600_302600_NS6detail15normal_iteratorINS9_10device_ptrIiEEEEPS5_jNS1_19radix_merge_compareILb0ELb1EiNS0_19identity_decomposerEEEEE10hipError_tT0_T1_T2_jT3_P12ihipStream_tbPNSt15iterator_traitsISK_E10value_typeEPNSQ_ISL_E10value_typeEPSM_NS1_7vsmem_tEENKUlT_SK_SL_SM_E_clISE_PiSF_SF_EESJ_SZ_SK_SL_SM_EUlSZ_E_NS1_11comp_targetILNS1_3genE9ELNS1_11target_archE1100ELNS1_3gpuE3ELNS1_3repE0EEENS1_48merge_mergepath_partition_config_static_selectorELNS0_4arch9wavefront6targetE1EEEvSL_
; %bb.0:
	.section	.rodata,"a",@progbits
	.p2align	6, 0x0
	.amdhsa_kernel _ZN7rocprim17ROCPRIM_400000_NS6detail17trampoline_kernelINS0_14default_configENS1_38merge_sort_block_merge_config_selectorIiNS0_10empty_typeEEEZZNS1_27merge_sort_block_merge_implIS3_N6thrust23THRUST_200600_302600_NS6detail15normal_iteratorINS9_10device_ptrIiEEEEPS5_jNS1_19radix_merge_compareILb0ELb1EiNS0_19identity_decomposerEEEEE10hipError_tT0_T1_T2_jT3_P12ihipStream_tbPNSt15iterator_traitsISK_E10value_typeEPNSQ_ISL_E10value_typeEPSM_NS1_7vsmem_tEENKUlT_SK_SL_SM_E_clISE_PiSF_SF_EESJ_SZ_SK_SL_SM_EUlSZ_E_NS1_11comp_targetILNS1_3genE9ELNS1_11target_archE1100ELNS1_3gpuE3ELNS1_3repE0EEENS1_48merge_mergepath_partition_config_static_selectorELNS0_4arch9wavefront6targetE1EEEvSL_
		.amdhsa_group_segment_fixed_size 0
		.amdhsa_private_segment_fixed_size 0
		.amdhsa_kernarg_size 40
		.amdhsa_user_sgpr_count 2
		.amdhsa_user_sgpr_dispatch_ptr 0
		.amdhsa_user_sgpr_queue_ptr 0
		.amdhsa_user_sgpr_kernarg_segment_ptr 1
		.amdhsa_user_sgpr_dispatch_id 0
		.amdhsa_user_sgpr_kernarg_preload_length 0
		.amdhsa_user_sgpr_kernarg_preload_offset 0
		.amdhsa_user_sgpr_private_segment_size 0
		.amdhsa_uses_dynamic_stack 0
		.amdhsa_enable_private_segment 0
		.amdhsa_system_sgpr_workgroup_id_x 1
		.amdhsa_system_sgpr_workgroup_id_y 0
		.amdhsa_system_sgpr_workgroup_id_z 0
		.amdhsa_system_sgpr_workgroup_info 0
		.amdhsa_system_vgpr_workitem_id 0
		.amdhsa_next_free_vgpr 1
		.amdhsa_next_free_sgpr 0
		.amdhsa_accum_offset 4
		.amdhsa_reserve_vcc 0
		.amdhsa_float_round_mode_32 0
		.amdhsa_float_round_mode_16_64 0
		.amdhsa_float_denorm_mode_32 3
		.amdhsa_float_denorm_mode_16_64 3
		.amdhsa_dx10_clamp 1
		.amdhsa_ieee_mode 1
		.amdhsa_fp16_overflow 0
		.amdhsa_tg_split 0
		.amdhsa_exception_fp_ieee_invalid_op 0
		.amdhsa_exception_fp_denorm_src 0
		.amdhsa_exception_fp_ieee_div_zero 0
		.amdhsa_exception_fp_ieee_overflow 0
		.amdhsa_exception_fp_ieee_underflow 0
		.amdhsa_exception_fp_ieee_inexact 0
		.amdhsa_exception_int_div_zero 0
	.end_amdhsa_kernel
	.section	.text._ZN7rocprim17ROCPRIM_400000_NS6detail17trampoline_kernelINS0_14default_configENS1_38merge_sort_block_merge_config_selectorIiNS0_10empty_typeEEEZZNS1_27merge_sort_block_merge_implIS3_N6thrust23THRUST_200600_302600_NS6detail15normal_iteratorINS9_10device_ptrIiEEEEPS5_jNS1_19radix_merge_compareILb0ELb1EiNS0_19identity_decomposerEEEEE10hipError_tT0_T1_T2_jT3_P12ihipStream_tbPNSt15iterator_traitsISK_E10value_typeEPNSQ_ISL_E10value_typeEPSM_NS1_7vsmem_tEENKUlT_SK_SL_SM_E_clISE_PiSF_SF_EESJ_SZ_SK_SL_SM_EUlSZ_E_NS1_11comp_targetILNS1_3genE9ELNS1_11target_archE1100ELNS1_3gpuE3ELNS1_3repE0EEENS1_48merge_mergepath_partition_config_static_selectorELNS0_4arch9wavefront6targetE1EEEvSL_,"axG",@progbits,_ZN7rocprim17ROCPRIM_400000_NS6detail17trampoline_kernelINS0_14default_configENS1_38merge_sort_block_merge_config_selectorIiNS0_10empty_typeEEEZZNS1_27merge_sort_block_merge_implIS3_N6thrust23THRUST_200600_302600_NS6detail15normal_iteratorINS9_10device_ptrIiEEEEPS5_jNS1_19radix_merge_compareILb0ELb1EiNS0_19identity_decomposerEEEEE10hipError_tT0_T1_T2_jT3_P12ihipStream_tbPNSt15iterator_traitsISK_E10value_typeEPNSQ_ISL_E10value_typeEPSM_NS1_7vsmem_tEENKUlT_SK_SL_SM_E_clISE_PiSF_SF_EESJ_SZ_SK_SL_SM_EUlSZ_E_NS1_11comp_targetILNS1_3genE9ELNS1_11target_archE1100ELNS1_3gpuE3ELNS1_3repE0EEENS1_48merge_mergepath_partition_config_static_selectorELNS0_4arch9wavefront6targetE1EEEvSL_,comdat
.Lfunc_end114:
	.size	_ZN7rocprim17ROCPRIM_400000_NS6detail17trampoline_kernelINS0_14default_configENS1_38merge_sort_block_merge_config_selectorIiNS0_10empty_typeEEEZZNS1_27merge_sort_block_merge_implIS3_N6thrust23THRUST_200600_302600_NS6detail15normal_iteratorINS9_10device_ptrIiEEEEPS5_jNS1_19radix_merge_compareILb0ELb1EiNS0_19identity_decomposerEEEEE10hipError_tT0_T1_T2_jT3_P12ihipStream_tbPNSt15iterator_traitsISK_E10value_typeEPNSQ_ISL_E10value_typeEPSM_NS1_7vsmem_tEENKUlT_SK_SL_SM_E_clISE_PiSF_SF_EESJ_SZ_SK_SL_SM_EUlSZ_E_NS1_11comp_targetILNS1_3genE9ELNS1_11target_archE1100ELNS1_3gpuE3ELNS1_3repE0EEENS1_48merge_mergepath_partition_config_static_selectorELNS0_4arch9wavefront6targetE1EEEvSL_, .Lfunc_end114-_ZN7rocprim17ROCPRIM_400000_NS6detail17trampoline_kernelINS0_14default_configENS1_38merge_sort_block_merge_config_selectorIiNS0_10empty_typeEEEZZNS1_27merge_sort_block_merge_implIS3_N6thrust23THRUST_200600_302600_NS6detail15normal_iteratorINS9_10device_ptrIiEEEEPS5_jNS1_19radix_merge_compareILb0ELb1EiNS0_19identity_decomposerEEEEE10hipError_tT0_T1_T2_jT3_P12ihipStream_tbPNSt15iterator_traitsISK_E10value_typeEPNSQ_ISL_E10value_typeEPSM_NS1_7vsmem_tEENKUlT_SK_SL_SM_E_clISE_PiSF_SF_EESJ_SZ_SK_SL_SM_EUlSZ_E_NS1_11comp_targetILNS1_3genE9ELNS1_11target_archE1100ELNS1_3gpuE3ELNS1_3repE0EEENS1_48merge_mergepath_partition_config_static_selectorELNS0_4arch9wavefront6targetE1EEEvSL_
                                        ; -- End function
	.set _ZN7rocprim17ROCPRIM_400000_NS6detail17trampoline_kernelINS0_14default_configENS1_38merge_sort_block_merge_config_selectorIiNS0_10empty_typeEEEZZNS1_27merge_sort_block_merge_implIS3_N6thrust23THRUST_200600_302600_NS6detail15normal_iteratorINS9_10device_ptrIiEEEEPS5_jNS1_19radix_merge_compareILb0ELb1EiNS0_19identity_decomposerEEEEE10hipError_tT0_T1_T2_jT3_P12ihipStream_tbPNSt15iterator_traitsISK_E10value_typeEPNSQ_ISL_E10value_typeEPSM_NS1_7vsmem_tEENKUlT_SK_SL_SM_E_clISE_PiSF_SF_EESJ_SZ_SK_SL_SM_EUlSZ_E_NS1_11comp_targetILNS1_3genE9ELNS1_11target_archE1100ELNS1_3gpuE3ELNS1_3repE0EEENS1_48merge_mergepath_partition_config_static_selectorELNS0_4arch9wavefront6targetE1EEEvSL_.num_vgpr, 0
	.set _ZN7rocprim17ROCPRIM_400000_NS6detail17trampoline_kernelINS0_14default_configENS1_38merge_sort_block_merge_config_selectorIiNS0_10empty_typeEEEZZNS1_27merge_sort_block_merge_implIS3_N6thrust23THRUST_200600_302600_NS6detail15normal_iteratorINS9_10device_ptrIiEEEEPS5_jNS1_19radix_merge_compareILb0ELb1EiNS0_19identity_decomposerEEEEE10hipError_tT0_T1_T2_jT3_P12ihipStream_tbPNSt15iterator_traitsISK_E10value_typeEPNSQ_ISL_E10value_typeEPSM_NS1_7vsmem_tEENKUlT_SK_SL_SM_E_clISE_PiSF_SF_EESJ_SZ_SK_SL_SM_EUlSZ_E_NS1_11comp_targetILNS1_3genE9ELNS1_11target_archE1100ELNS1_3gpuE3ELNS1_3repE0EEENS1_48merge_mergepath_partition_config_static_selectorELNS0_4arch9wavefront6targetE1EEEvSL_.num_agpr, 0
	.set _ZN7rocprim17ROCPRIM_400000_NS6detail17trampoline_kernelINS0_14default_configENS1_38merge_sort_block_merge_config_selectorIiNS0_10empty_typeEEEZZNS1_27merge_sort_block_merge_implIS3_N6thrust23THRUST_200600_302600_NS6detail15normal_iteratorINS9_10device_ptrIiEEEEPS5_jNS1_19radix_merge_compareILb0ELb1EiNS0_19identity_decomposerEEEEE10hipError_tT0_T1_T2_jT3_P12ihipStream_tbPNSt15iterator_traitsISK_E10value_typeEPNSQ_ISL_E10value_typeEPSM_NS1_7vsmem_tEENKUlT_SK_SL_SM_E_clISE_PiSF_SF_EESJ_SZ_SK_SL_SM_EUlSZ_E_NS1_11comp_targetILNS1_3genE9ELNS1_11target_archE1100ELNS1_3gpuE3ELNS1_3repE0EEENS1_48merge_mergepath_partition_config_static_selectorELNS0_4arch9wavefront6targetE1EEEvSL_.numbered_sgpr, 0
	.set _ZN7rocprim17ROCPRIM_400000_NS6detail17trampoline_kernelINS0_14default_configENS1_38merge_sort_block_merge_config_selectorIiNS0_10empty_typeEEEZZNS1_27merge_sort_block_merge_implIS3_N6thrust23THRUST_200600_302600_NS6detail15normal_iteratorINS9_10device_ptrIiEEEEPS5_jNS1_19radix_merge_compareILb0ELb1EiNS0_19identity_decomposerEEEEE10hipError_tT0_T1_T2_jT3_P12ihipStream_tbPNSt15iterator_traitsISK_E10value_typeEPNSQ_ISL_E10value_typeEPSM_NS1_7vsmem_tEENKUlT_SK_SL_SM_E_clISE_PiSF_SF_EESJ_SZ_SK_SL_SM_EUlSZ_E_NS1_11comp_targetILNS1_3genE9ELNS1_11target_archE1100ELNS1_3gpuE3ELNS1_3repE0EEENS1_48merge_mergepath_partition_config_static_selectorELNS0_4arch9wavefront6targetE1EEEvSL_.num_named_barrier, 0
	.set _ZN7rocprim17ROCPRIM_400000_NS6detail17trampoline_kernelINS0_14default_configENS1_38merge_sort_block_merge_config_selectorIiNS0_10empty_typeEEEZZNS1_27merge_sort_block_merge_implIS3_N6thrust23THRUST_200600_302600_NS6detail15normal_iteratorINS9_10device_ptrIiEEEEPS5_jNS1_19radix_merge_compareILb0ELb1EiNS0_19identity_decomposerEEEEE10hipError_tT0_T1_T2_jT3_P12ihipStream_tbPNSt15iterator_traitsISK_E10value_typeEPNSQ_ISL_E10value_typeEPSM_NS1_7vsmem_tEENKUlT_SK_SL_SM_E_clISE_PiSF_SF_EESJ_SZ_SK_SL_SM_EUlSZ_E_NS1_11comp_targetILNS1_3genE9ELNS1_11target_archE1100ELNS1_3gpuE3ELNS1_3repE0EEENS1_48merge_mergepath_partition_config_static_selectorELNS0_4arch9wavefront6targetE1EEEvSL_.private_seg_size, 0
	.set _ZN7rocprim17ROCPRIM_400000_NS6detail17trampoline_kernelINS0_14default_configENS1_38merge_sort_block_merge_config_selectorIiNS0_10empty_typeEEEZZNS1_27merge_sort_block_merge_implIS3_N6thrust23THRUST_200600_302600_NS6detail15normal_iteratorINS9_10device_ptrIiEEEEPS5_jNS1_19radix_merge_compareILb0ELb1EiNS0_19identity_decomposerEEEEE10hipError_tT0_T1_T2_jT3_P12ihipStream_tbPNSt15iterator_traitsISK_E10value_typeEPNSQ_ISL_E10value_typeEPSM_NS1_7vsmem_tEENKUlT_SK_SL_SM_E_clISE_PiSF_SF_EESJ_SZ_SK_SL_SM_EUlSZ_E_NS1_11comp_targetILNS1_3genE9ELNS1_11target_archE1100ELNS1_3gpuE3ELNS1_3repE0EEENS1_48merge_mergepath_partition_config_static_selectorELNS0_4arch9wavefront6targetE1EEEvSL_.uses_vcc, 0
	.set _ZN7rocprim17ROCPRIM_400000_NS6detail17trampoline_kernelINS0_14default_configENS1_38merge_sort_block_merge_config_selectorIiNS0_10empty_typeEEEZZNS1_27merge_sort_block_merge_implIS3_N6thrust23THRUST_200600_302600_NS6detail15normal_iteratorINS9_10device_ptrIiEEEEPS5_jNS1_19radix_merge_compareILb0ELb1EiNS0_19identity_decomposerEEEEE10hipError_tT0_T1_T2_jT3_P12ihipStream_tbPNSt15iterator_traitsISK_E10value_typeEPNSQ_ISL_E10value_typeEPSM_NS1_7vsmem_tEENKUlT_SK_SL_SM_E_clISE_PiSF_SF_EESJ_SZ_SK_SL_SM_EUlSZ_E_NS1_11comp_targetILNS1_3genE9ELNS1_11target_archE1100ELNS1_3gpuE3ELNS1_3repE0EEENS1_48merge_mergepath_partition_config_static_selectorELNS0_4arch9wavefront6targetE1EEEvSL_.uses_flat_scratch, 0
	.set _ZN7rocprim17ROCPRIM_400000_NS6detail17trampoline_kernelINS0_14default_configENS1_38merge_sort_block_merge_config_selectorIiNS0_10empty_typeEEEZZNS1_27merge_sort_block_merge_implIS3_N6thrust23THRUST_200600_302600_NS6detail15normal_iteratorINS9_10device_ptrIiEEEEPS5_jNS1_19radix_merge_compareILb0ELb1EiNS0_19identity_decomposerEEEEE10hipError_tT0_T1_T2_jT3_P12ihipStream_tbPNSt15iterator_traitsISK_E10value_typeEPNSQ_ISL_E10value_typeEPSM_NS1_7vsmem_tEENKUlT_SK_SL_SM_E_clISE_PiSF_SF_EESJ_SZ_SK_SL_SM_EUlSZ_E_NS1_11comp_targetILNS1_3genE9ELNS1_11target_archE1100ELNS1_3gpuE3ELNS1_3repE0EEENS1_48merge_mergepath_partition_config_static_selectorELNS0_4arch9wavefront6targetE1EEEvSL_.has_dyn_sized_stack, 0
	.set _ZN7rocprim17ROCPRIM_400000_NS6detail17trampoline_kernelINS0_14default_configENS1_38merge_sort_block_merge_config_selectorIiNS0_10empty_typeEEEZZNS1_27merge_sort_block_merge_implIS3_N6thrust23THRUST_200600_302600_NS6detail15normal_iteratorINS9_10device_ptrIiEEEEPS5_jNS1_19radix_merge_compareILb0ELb1EiNS0_19identity_decomposerEEEEE10hipError_tT0_T1_T2_jT3_P12ihipStream_tbPNSt15iterator_traitsISK_E10value_typeEPNSQ_ISL_E10value_typeEPSM_NS1_7vsmem_tEENKUlT_SK_SL_SM_E_clISE_PiSF_SF_EESJ_SZ_SK_SL_SM_EUlSZ_E_NS1_11comp_targetILNS1_3genE9ELNS1_11target_archE1100ELNS1_3gpuE3ELNS1_3repE0EEENS1_48merge_mergepath_partition_config_static_selectorELNS0_4arch9wavefront6targetE1EEEvSL_.has_recursion, 0
	.set _ZN7rocprim17ROCPRIM_400000_NS6detail17trampoline_kernelINS0_14default_configENS1_38merge_sort_block_merge_config_selectorIiNS0_10empty_typeEEEZZNS1_27merge_sort_block_merge_implIS3_N6thrust23THRUST_200600_302600_NS6detail15normal_iteratorINS9_10device_ptrIiEEEEPS5_jNS1_19radix_merge_compareILb0ELb1EiNS0_19identity_decomposerEEEEE10hipError_tT0_T1_T2_jT3_P12ihipStream_tbPNSt15iterator_traitsISK_E10value_typeEPNSQ_ISL_E10value_typeEPSM_NS1_7vsmem_tEENKUlT_SK_SL_SM_E_clISE_PiSF_SF_EESJ_SZ_SK_SL_SM_EUlSZ_E_NS1_11comp_targetILNS1_3genE9ELNS1_11target_archE1100ELNS1_3gpuE3ELNS1_3repE0EEENS1_48merge_mergepath_partition_config_static_selectorELNS0_4arch9wavefront6targetE1EEEvSL_.has_indirect_call, 0
	.section	.AMDGPU.csdata,"",@progbits
; Kernel info:
; codeLenInByte = 0
; TotalNumSgprs: 6
; NumVgprs: 0
; NumAgprs: 0
; TotalNumVgprs: 0
; ScratchSize: 0
; MemoryBound: 0
; FloatMode: 240
; IeeeMode: 1
; LDSByteSize: 0 bytes/workgroup (compile time only)
; SGPRBlocks: 0
; VGPRBlocks: 0
; NumSGPRsForWavesPerEU: 6
; NumVGPRsForWavesPerEU: 1
; AccumOffset: 4
; Occupancy: 8
; WaveLimiterHint : 0
; COMPUTE_PGM_RSRC2:SCRATCH_EN: 0
; COMPUTE_PGM_RSRC2:USER_SGPR: 2
; COMPUTE_PGM_RSRC2:TRAP_HANDLER: 0
; COMPUTE_PGM_RSRC2:TGID_X_EN: 1
; COMPUTE_PGM_RSRC2:TGID_Y_EN: 0
; COMPUTE_PGM_RSRC2:TGID_Z_EN: 0
; COMPUTE_PGM_RSRC2:TIDIG_COMP_CNT: 0
; COMPUTE_PGM_RSRC3_GFX90A:ACCUM_OFFSET: 0
; COMPUTE_PGM_RSRC3_GFX90A:TG_SPLIT: 0
	.section	.text._ZN7rocprim17ROCPRIM_400000_NS6detail17trampoline_kernelINS0_14default_configENS1_38merge_sort_block_merge_config_selectorIiNS0_10empty_typeEEEZZNS1_27merge_sort_block_merge_implIS3_N6thrust23THRUST_200600_302600_NS6detail15normal_iteratorINS9_10device_ptrIiEEEEPS5_jNS1_19radix_merge_compareILb0ELb1EiNS0_19identity_decomposerEEEEE10hipError_tT0_T1_T2_jT3_P12ihipStream_tbPNSt15iterator_traitsISK_E10value_typeEPNSQ_ISL_E10value_typeEPSM_NS1_7vsmem_tEENKUlT_SK_SL_SM_E_clISE_PiSF_SF_EESJ_SZ_SK_SL_SM_EUlSZ_E_NS1_11comp_targetILNS1_3genE8ELNS1_11target_archE1030ELNS1_3gpuE2ELNS1_3repE0EEENS1_48merge_mergepath_partition_config_static_selectorELNS0_4arch9wavefront6targetE1EEEvSL_,"axG",@progbits,_ZN7rocprim17ROCPRIM_400000_NS6detail17trampoline_kernelINS0_14default_configENS1_38merge_sort_block_merge_config_selectorIiNS0_10empty_typeEEEZZNS1_27merge_sort_block_merge_implIS3_N6thrust23THRUST_200600_302600_NS6detail15normal_iteratorINS9_10device_ptrIiEEEEPS5_jNS1_19radix_merge_compareILb0ELb1EiNS0_19identity_decomposerEEEEE10hipError_tT0_T1_T2_jT3_P12ihipStream_tbPNSt15iterator_traitsISK_E10value_typeEPNSQ_ISL_E10value_typeEPSM_NS1_7vsmem_tEENKUlT_SK_SL_SM_E_clISE_PiSF_SF_EESJ_SZ_SK_SL_SM_EUlSZ_E_NS1_11comp_targetILNS1_3genE8ELNS1_11target_archE1030ELNS1_3gpuE2ELNS1_3repE0EEENS1_48merge_mergepath_partition_config_static_selectorELNS0_4arch9wavefront6targetE1EEEvSL_,comdat
	.protected	_ZN7rocprim17ROCPRIM_400000_NS6detail17trampoline_kernelINS0_14default_configENS1_38merge_sort_block_merge_config_selectorIiNS0_10empty_typeEEEZZNS1_27merge_sort_block_merge_implIS3_N6thrust23THRUST_200600_302600_NS6detail15normal_iteratorINS9_10device_ptrIiEEEEPS5_jNS1_19radix_merge_compareILb0ELb1EiNS0_19identity_decomposerEEEEE10hipError_tT0_T1_T2_jT3_P12ihipStream_tbPNSt15iterator_traitsISK_E10value_typeEPNSQ_ISL_E10value_typeEPSM_NS1_7vsmem_tEENKUlT_SK_SL_SM_E_clISE_PiSF_SF_EESJ_SZ_SK_SL_SM_EUlSZ_E_NS1_11comp_targetILNS1_3genE8ELNS1_11target_archE1030ELNS1_3gpuE2ELNS1_3repE0EEENS1_48merge_mergepath_partition_config_static_selectorELNS0_4arch9wavefront6targetE1EEEvSL_ ; -- Begin function _ZN7rocprim17ROCPRIM_400000_NS6detail17trampoline_kernelINS0_14default_configENS1_38merge_sort_block_merge_config_selectorIiNS0_10empty_typeEEEZZNS1_27merge_sort_block_merge_implIS3_N6thrust23THRUST_200600_302600_NS6detail15normal_iteratorINS9_10device_ptrIiEEEEPS5_jNS1_19radix_merge_compareILb0ELb1EiNS0_19identity_decomposerEEEEE10hipError_tT0_T1_T2_jT3_P12ihipStream_tbPNSt15iterator_traitsISK_E10value_typeEPNSQ_ISL_E10value_typeEPSM_NS1_7vsmem_tEENKUlT_SK_SL_SM_E_clISE_PiSF_SF_EESJ_SZ_SK_SL_SM_EUlSZ_E_NS1_11comp_targetILNS1_3genE8ELNS1_11target_archE1030ELNS1_3gpuE2ELNS1_3repE0EEENS1_48merge_mergepath_partition_config_static_selectorELNS0_4arch9wavefront6targetE1EEEvSL_
	.globl	_ZN7rocprim17ROCPRIM_400000_NS6detail17trampoline_kernelINS0_14default_configENS1_38merge_sort_block_merge_config_selectorIiNS0_10empty_typeEEEZZNS1_27merge_sort_block_merge_implIS3_N6thrust23THRUST_200600_302600_NS6detail15normal_iteratorINS9_10device_ptrIiEEEEPS5_jNS1_19radix_merge_compareILb0ELb1EiNS0_19identity_decomposerEEEEE10hipError_tT0_T1_T2_jT3_P12ihipStream_tbPNSt15iterator_traitsISK_E10value_typeEPNSQ_ISL_E10value_typeEPSM_NS1_7vsmem_tEENKUlT_SK_SL_SM_E_clISE_PiSF_SF_EESJ_SZ_SK_SL_SM_EUlSZ_E_NS1_11comp_targetILNS1_3genE8ELNS1_11target_archE1030ELNS1_3gpuE2ELNS1_3repE0EEENS1_48merge_mergepath_partition_config_static_selectorELNS0_4arch9wavefront6targetE1EEEvSL_
	.p2align	8
	.type	_ZN7rocprim17ROCPRIM_400000_NS6detail17trampoline_kernelINS0_14default_configENS1_38merge_sort_block_merge_config_selectorIiNS0_10empty_typeEEEZZNS1_27merge_sort_block_merge_implIS3_N6thrust23THRUST_200600_302600_NS6detail15normal_iteratorINS9_10device_ptrIiEEEEPS5_jNS1_19radix_merge_compareILb0ELb1EiNS0_19identity_decomposerEEEEE10hipError_tT0_T1_T2_jT3_P12ihipStream_tbPNSt15iterator_traitsISK_E10value_typeEPNSQ_ISL_E10value_typeEPSM_NS1_7vsmem_tEENKUlT_SK_SL_SM_E_clISE_PiSF_SF_EESJ_SZ_SK_SL_SM_EUlSZ_E_NS1_11comp_targetILNS1_3genE8ELNS1_11target_archE1030ELNS1_3gpuE2ELNS1_3repE0EEENS1_48merge_mergepath_partition_config_static_selectorELNS0_4arch9wavefront6targetE1EEEvSL_,@function
_ZN7rocprim17ROCPRIM_400000_NS6detail17trampoline_kernelINS0_14default_configENS1_38merge_sort_block_merge_config_selectorIiNS0_10empty_typeEEEZZNS1_27merge_sort_block_merge_implIS3_N6thrust23THRUST_200600_302600_NS6detail15normal_iteratorINS9_10device_ptrIiEEEEPS5_jNS1_19radix_merge_compareILb0ELb1EiNS0_19identity_decomposerEEEEE10hipError_tT0_T1_T2_jT3_P12ihipStream_tbPNSt15iterator_traitsISK_E10value_typeEPNSQ_ISL_E10value_typeEPSM_NS1_7vsmem_tEENKUlT_SK_SL_SM_E_clISE_PiSF_SF_EESJ_SZ_SK_SL_SM_EUlSZ_E_NS1_11comp_targetILNS1_3genE8ELNS1_11target_archE1030ELNS1_3gpuE2ELNS1_3repE0EEENS1_48merge_mergepath_partition_config_static_selectorELNS0_4arch9wavefront6targetE1EEEvSL_: ; @_ZN7rocprim17ROCPRIM_400000_NS6detail17trampoline_kernelINS0_14default_configENS1_38merge_sort_block_merge_config_selectorIiNS0_10empty_typeEEEZZNS1_27merge_sort_block_merge_implIS3_N6thrust23THRUST_200600_302600_NS6detail15normal_iteratorINS9_10device_ptrIiEEEEPS5_jNS1_19radix_merge_compareILb0ELb1EiNS0_19identity_decomposerEEEEE10hipError_tT0_T1_T2_jT3_P12ihipStream_tbPNSt15iterator_traitsISK_E10value_typeEPNSQ_ISL_E10value_typeEPSM_NS1_7vsmem_tEENKUlT_SK_SL_SM_E_clISE_PiSF_SF_EESJ_SZ_SK_SL_SM_EUlSZ_E_NS1_11comp_targetILNS1_3genE8ELNS1_11target_archE1030ELNS1_3gpuE2ELNS1_3repE0EEENS1_48merge_mergepath_partition_config_static_selectorELNS0_4arch9wavefront6targetE1EEEvSL_
; %bb.0:
	.section	.rodata,"a",@progbits
	.p2align	6, 0x0
	.amdhsa_kernel _ZN7rocprim17ROCPRIM_400000_NS6detail17trampoline_kernelINS0_14default_configENS1_38merge_sort_block_merge_config_selectorIiNS0_10empty_typeEEEZZNS1_27merge_sort_block_merge_implIS3_N6thrust23THRUST_200600_302600_NS6detail15normal_iteratorINS9_10device_ptrIiEEEEPS5_jNS1_19radix_merge_compareILb0ELb1EiNS0_19identity_decomposerEEEEE10hipError_tT0_T1_T2_jT3_P12ihipStream_tbPNSt15iterator_traitsISK_E10value_typeEPNSQ_ISL_E10value_typeEPSM_NS1_7vsmem_tEENKUlT_SK_SL_SM_E_clISE_PiSF_SF_EESJ_SZ_SK_SL_SM_EUlSZ_E_NS1_11comp_targetILNS1_3genE8ELNS1_11target_archE1030ELNS1_3gpuE2ELNS1_3repE0EEENS1_48merge_mergepath_partition_config_static_selectorELNS0_4arch9wavefront6targetE1EEEvSL_
		.amdhsa_group_segment_fixed_size 0
		.amdhsa_private_segment_fixed_size 0
		.amdhsa_kernarg_size 40
		.amdhsa_user_sgpr_count 2
		.amdhsa_user_sgpr_dispatch_ptr 0
		.amdhsa_user_sgpr_queue_ptr 0
		.amdhsa_user_sgpr_kernarg_segment_ptr 1
		.amdhsa_user_sgpr_dispatch_id 0
		.amdhsa_user_sgpr_kernarg_preload_length 0
		.amdhsa_user_sgpr_kernarg_preload_offset 0
		.amdhsa_user_sgpr_private_segment_size 0
		.amdhsa_uses_dynamic_stack 0
		.amdhsa_enable_private_segment 0
		.amdhsa_system_sgpr_workgroup_id_x 1
		.amdhsa_system_sgpr_workgroup_id_y 0
		.amdhsa_system_sgpr_workgroup_id_z 0
		.amdhsa_system_sgpr_workgroup_info 0
		.amdhsa_system_vgpr_workitem_id 0
		.amdhsa_next_free_vgpr 1
		.amdhsa_next_free_sgpr 0
		.amdhsa_accum_offset 4
		.amdhsa_reserve_vcc 0
		.amdhsa_float_round_mode_32 0
		.amdhsa_float_round_mode_16_64 0
		.amdhsa_float_denorm_mode_32 3
		.amdhsa_float_denorm_mode_16_64 3
		.amdhsa_dx10_clamp 1
		.amdhsa_ieee_mode 1
		.amdhsa_fp16_overflow 0
		.amdhsa_tg_split 0
		.amdhsa_exception_fp_ieee_invalid_op 0
		.amdhsa_exception_fp_denorm_src 0
		.amdhsa_exception_fp_ieee_div_zero 0
		.amdhsa_exception_fp_ieee_overflow 0
		.amdhsa_exception_fp_ieee_underflow 0
		.amdhsa_exception_fp_ieee_inexact 0
		.amdhsa_exception_int_div_zero 0
	.end_amdhsa_kernel
	.section	.text._ZN7rocprim17ROCPRIM_400000_NS6detail17trampoline_kernelINS0_14default_configENS1_38merge_sort_block_merge_config_selectorIiNS0_10empty_typeEEEZZNS1_27merge_sort_block_merge_implIS3_N6thrust23THRUST_200600_302600_NS6detail15normal_iteratorINS9_10device_ptrIiEEEEPS5_jNS1_19radix_merge_compareILb0ELb1EiNS0_19identity_decomposerEEEEE10hipError_tT0_T1_T2_jT3_P12ihipStream_tbPNSt15iterator_traitsISK_E10value_typeEPNSQ_ISL_E10value_typeEPSM_NS1_7vsmem_tEENKUlT_SK_SL_SM_E_clISE_PiSF_SF_EESJ_SZ_SK_SL_SM_EUlSZ_E_NS1_11comp_targetILNS1_3genE8ELNS1_11target_archE1030ELNS1_3gpuE2ELNS1_3repE0EEENS1_48merge_mergepath_partition_config_static_selectorELNS0_4arch9wavefront6targetE1EEEvSL_,"axG",@progbits,_ZN7rocprim17ROCPRIM_400000_NS6detail17trampoline_kernelINS0_14default_configENS1_38merge_sort_block_merge_config_selectorIiNS0_10empty_typeEEEZZNS1_27merge_sort_block_merge_implIS3_N6thrust23THRUST_200600_302600_NS6detail15normal_iteratorINS9_10device_ptrIiEEEEPS5_jNS1_19radix_merge_compareILb0ELb1EiNS0_19identity_decomposerEEEEE10hipError_tT0_T1_T2_jT3_P12ihipStream_tbPNSt15iterator_traitsISK_E10value_typeEPNSQ_ISL_E10value_typeEPSM_NS1_7vsmem_tEENKUlT_SK_SL_SM_E_clISE_PiSF_SF_EESJ_SZ_SK_SL_SM_EUlSZ_E_NS1_11comp_targetILNS1_3genE8ELNS1_11target_archE1030ELNS1_3gpuE2ELNS1_3repE0EEENS1_48merge_mergepath_partition_config_static_selectorELNS0_4arch9wavefront6targetE1EEEvSL_,comdat
.Lfunc_end115:
	.size	_ZN7rocprim17ROCPRIM_400000_NS6detail17trampoline_kernelINS0_14default_configENS1_38merge_sort_block_merge_config_selectorIiNS0_10empty_typeEEEZZNS1_27merge_sort_block_merge_implIS3_N6thrust23THRUST_200600_302600_NS6detail15normal_iteratorINS9_10device_ptrIiEEEEPS5_jNS1_19radix_merge_compareILb0ELb1EiNS0_19identity_decomposerEEEEE10hipError_tT0_T1_T2_jT3_P12ihipStream_tbPNSt15iterator_traitsISK_E10value_typeEPNSQ_ISL_E10value_typeEPSM_NS1_7vsmem_tEENKUlT_SK_SL_SM_E_clISE_PiSF_SF_EESJ_SZ_SK_SL_SM_EUlSZ_E_NS1_11comp_targetILNS1_3genE8ELNS1_11target_archE1030ELNS1_3gpuE2ELNS1_3repE0EEENS1_48merge_mergepath_partition_config_static_selectorELNS0_4arch9wavefront6targetE1EEEvSL_, .Lfunc_end115-_ZN7rocprim17ROCPRIM_400000_NS6detail17trampoline_kernelINS0_14default_configENS1_38merge_sort_block_merge_config_selectorIiNS0_10empty_typeEEEZZNS1_27merge_sort_block_merge_implIS3_N6thrust23THRUST_200600_302600_NS6detail15normal_iteratorINS9_10device_ptrIiEEEEPS5_jNS1_19radix_merge_compareILb0ELb1EiNS0_19identity_decomposerEEEEE10hipError_tT0_T1_T2_jT3_P12ihipStream_tbPNSt15iterator_traitsISK_E10value_typeEPNSQ_ISL_E10value_typeEPSM_NS1_7vsmem_tEENKUlT_SK_SL_SM_E_clISE_PiSF_SF_EESJ_SZ_SK_SL_SM_EUlSZ_E_NS1_11comp_targetILNS1_3genE8ELNS1_11target_archE1030ELNS1_3gpuE2ELNS1_3repE0EEENS1_48merge_mergepath_partition_config_static_selectorELNS0_4arch9wavefront6targetE1EEEvSL_
                                        ; -- End function
	.set _ZN7rocprim17ROCPRIM_400000_NS6detail17trampoline_kernelINS0_14default_configENS1_38merge_sort_block_merge_config_selectorIiNS0_10empty_typeEEEZZNS1_27merge_sort_block_merge_implIS3_N6thrust23THRUST_200600_302600_NS6detail15normal_iteratorINS9_10device_ptrIiEEEEPS5_jNS1_19radix_merge_compareILb0ELb1EiNS0_19identity_decomposerEEEEE10hipError_tT0_T1_T2_jT3_P12ihipStream_tbPNSt15iterator_traitsISK_E10value_typeEPNSQ_ISL_E10value_typeEPSM_NS1_7vsmem_tEENKUlT_SK_SL_SM_E_clISE_PiSF_SF_EESJ_SZ_SK_SL_SM_EUlSZ_E_NS1_11comp_targetILNS1_3genE8ELNS1_11target_archE1030ELNS1_3gpuE2ELNS1_3repE0EEENS1_48merge_mergepath_partition_config_static_selectorELNS0_4arch9wavefront6targetE1EEEvSL_.num_vgpr, 0
	.set _ZN7rocprim17ROCPRIM_400000_NS6detail17trampoline_kernelINS0_14default_configENS1_38merge_sort_block_merge_config_selectorIiNS0_10empty_typeEEEZZNS1_27merge_sort_block_merge_implIS3_N6thrust23THRUST_200600_302600_NS6detail15normal_iteratorINS9_10device_ptrIiEEEEPS5_jNS1_19radix_merge_compareILb0ELb1EiNS0_19identity_decomposerEEEEE10hipError_tT0_T1_T2_jT3_P12ihipStream_tbPNSt15iterator_traitsISK_E10value_typeEPNSQ_ISL_E10value_typeEPSM_NS1_7vsmem_tEENKUlT_SK_SL_SM_E_clISE_PiSF_SF_EESJ_SZ_SK_SL_SM_EUlSZ_E_NS1_11comp_targetILNS1_3genE8ELNS1_11target_archE1030ELNS1_3gpuE2ELNS1_3repE0EEENS1_48merge_mergepath_partition_config_static_selectorELNS0_4arch9wavefront6targetE1EEEvSL_.num_agpr, 0
	.set _ZN7rocprim17ROCPRIM_400000_NS6detail17trampoline_kernelINS0_14default_configENS1_38merge_sort_block_merge_config_selectorIiNS0_10empty_typeEEEZZNS1_27merge_sort_block_merge_implIS3_N6thrust23THRUST_200600_302600_NS6detail15normal_iteratorINS9_10device_ptrIiEEEEPS5_jNS1_19radix_merge_compareILb0ELb1EiNS0_19identity_decomposerEEEEE10hipError_tT0_T1_T2_jT3_P12ihipStream_tbPNSt15iterator_traitsISK_E10value_typeEPNSQ_ISL_E10value_typeEPSM_NS1_7vsmem_tEENKUlT_SK_SL_SM_E_clISE_PiSF_SF_EESJ_SZ_SK_SL_SM_EUlSZ_E_NS1_11comp_targetILNS1_3genE8ELNS1_11target_archE1030ELNS1_3gpuE2ELNS1_3repE0EEENS1_48merge_mergepath_partition_config_static_selectorELNS0_4arch9wavefront6targetE1EEEvSL_.numbered_sgpr, 0
	.set _ZN7rocprim17ROCPRIM_400000_NS6detail17trampoline_kernelINS0_14default_configENS1_38merge_sort_block_merge_config_selectorIiNS0_10empty_typeEEEZZNS1_27merge_sort_block_merge_implIS3_N6thrust23THRUST_200600_302600_NS6detail15normal_iteratorINS9_10device_ptrIiEEEEPS5_jNS1_19radix_merge_compareILb0ELb1EiNS0_19identity_decomposerEEEEE10hipError_tT0_T1_T2_jT3_P12ihipStream_tbPNSt15iterator_traitsISK_E10value_typeEPNSQ_ISL_E10value_typeEPSM_NS1_7vsmem_tEENKUlT_SK_SL_SM_E_clISE_PiSF_SF_EESJ_SZ_SK_SL_SM_EUlSZ_E_NS1_11comp_targetILNS1_3genE8ELNS1_11target_archE1030ELNS1_3gpuE2ELNS1_3repE0EEENS1_48merge_mergepath_partition_config_static_selectorELNS0_4arch9wavefront6targetE1EEEvSL_.num_named_barrier, 0
	.set _ZN7rocprim17ROCPRIM_400000_NS6detail17trampoline_kernelINS0_14default_configENS1_38merge_sort_block_merge_config_selectorIiNS0_10empty_typeEEEZZNS1_27merge_sort_block_merge_implIS3_N6thrust23THRUST_200600_302600_NS6detail15normal_iteratorINS9_10device_ptrIiEEEEPS5_jNS1_19radix_merge_compareILb0ELb1EiNS0_19identity_decomposerEEEEE10hipError_tT0_T1_T2_jT3_P12ihipStream_tbPNSt15iterator_traitsISK_E10value_typeEPNSQ_ISL_E10value_typeEPSM_NS1_7vsmem_tEENKUlT_SK_SL_SM_E_clISE_PiSF_SF_EESJ_SZ_SK_SL_SM_EUlSZ_E_NS1_11comp_targetILNS1_3genE8ELNS1_11target_archE1030ELNS1_3gpuE2ELNS1_3repE0EEENS1_48merge_mergepath_partition_config_static_selectorELNS0_4arch9wavefront6targetE1EEEvSL_.private_seg_size, 0
	.set _ZN7rocprim17ROCPRIM_400000_NS6detail17trampoline_kernelINS0_14default_configENS1_38merge_sort_block_merge_config_selectorIiNS0_10empty_typeEEEZZNS1_27merge_sort_block_merge_implIS3_N6thrust23THRUST_200600_302600_NS6detail15normal_iteratorINS9_10device_ptrIiEEEEPS5_jNS1_19radix_merge_compareILb0ELb1EiNS0_19identity_decomposerEEEEE10hipError_tT0_T1_T2_jT3_P12ihipStream_tbPNSt15iterator_traitsISK_E10value_typeEPNSQ_ISL_E10value_typeEPSM_NS1_7vsmem_tEENKUlT_SK_SL_SM_E_clISE_PiSF_SF_EESJ_SZ_SK_SL_SM_EUlSZ_E_NS1_11comp_targetILNS1_3genE8ELNS1_11target_archE1030ELNS1_3gpuE2ELNS1_3repE0EEENS1_48merge_mergepath_partition_config_static_selectorELNS0_4arch9wavefront6targetE1EEEvSL_.uses_vcc, 0
	.set _ZN7rocprim17ROCPRIM_400000_NS6detail17trampoline_kernelINS0_14default_configENS1_38merge_sort_block_merge_config_selectorIiNS0_10empty_typeEEEZZNS1_27merge_sort_block_merge_implIS3_N6thrust23THRUST_200600_302600_NS6detail15normal_iteratorINS9_10device_ptrIiEEEEPS5_jNS1_19radix_merge_compareILb0ELb1EiNS0_19identity_decomposerEEEEE10hipError_tT0_T1_T2_jT3_P12ihipStream_tbPNSt15iterator_traitsISK_E10value_typeEPNSQ_ISL_E10value_typeEPSM_NS1_7vsmem_tEENKUlT_SK_SL_SM_E_clISE_PiSF_SF_EESJ_SZ_SK_SL_SM_EUlSZ_E_NS1_11comp_targetILNS1_3genE8ELNS1_11target_archE1030ELNS1_3gpuE2ELNS1_3repE0EEENS1_48merge_mergepath_partition_config_static_selectorELNS0_4arch9wavefront6targetE1EEEvSL_.uses_flat_scratch, 0
	.set _ZN7rocprim17ROCPRIM_400000_NS6detail17trampoline_kernelINS0_14default_configENS1_38merge_sort_block_merge_config_selectorIiNS0_10empty_typeEEEZZNS1_27merge_sort_block_merge_implIS3_N6thrust23THRUST_200600_302600_NS6detail15normal_iteratorINS9_10device_ptrIiEEEEPS5_jNS1_19radix_merge_compareILb0ELb1EiNS0_19identity_decomposerEEEEE10hipError_tT0_T1_T2_jT3_P12ihipStream_tbPNSt15iterator_traitsISK_E10value_typeEPNSQ_ISL_E10value_typeEPSM_NS1_7vsmem_tEENKUlT_SK_SL_SM_E_clISE_PiSF_SF_EESJ_SZ_SK_SL_SM_EUlSZ_E_NS1_11comp_targetILNS1_3genE8ELNS1_11target_archE1030ELNS1_3gpuE2ELNS1_3repE0EEENS1_48merge_mergepath_partition_config_static_selectorELNS0_4arch9wavefront6targetE1EEEvSL_.has_dyn_sized_stack, 0
	.set _ZN7rocprim17ROCPRIM_400000_NS6detail17trampoline_kernelINS0_14default_configENS1_38merge_sort_block_merge_config_selectorIiNS0_10empty_typeEEEZZNS1_27merge_sort_block_merge_implIS3_N6thrust23THRUST_200600_302600_NS6detail15normal_iteratorINS9_10device_ptrIiEEEEPS5_jNS1_19radix_merge_compareILb0ELb1EiNS0_19identity_decomposerEEEEE10hipError_tT0_T1_T2_jT3_P12ihipStream_tbPNSt15iterator_traitsISK_E10value_typeEPNSQ_ISL_E10value_typeEPSM_NS1_7vsmem_tEENKUlT_SK_SL_SM_E_clISE_PiSF_SF_EESJ_SZ_SK_SL_SM_EUlSZ_E_NS1_11comp_targetILNS1_3genE8ELNS1_11target_archE1030ELNS1_3gpuE2ELNS1_3repE0EEENS1_48merge_mergepath_partition_config_static_selectorELNS0_4arch9wavefront6targetE1EEEvSL_.has_recursion, 0
	.set _ZN7rocprim17ROCPRIM_400000_NS6detail17trampoline_kernelINS0_14default_configENS1_38merge_sort_block_merge_config_selectorIiNS0_10empty_typeEEEZZNS1_27merge_sort_block_merge_implIS3_N6thrust23THRUST_200600_302600_NS6detail15normal_iteratorINS9_10device_ptrIiEEEEPS5_jNS1_19radix_merge_compareILb0ELb1EiNS0_19identity_decomposerEEEEE10hipError_tT0_T1_T2_jT3_P12ihipStream_tbPNSt15iterator_traitsISK_E10value_typeEPNSQ_ISL_E10value_typeEPSM_NS1_7vsmem_tEENKUlT_SK_SL_SM_E_clISE_PiSF_SF_EESJ_SZ_SK_SL_SM_EUlSZ_E_NS1_11comp_targetILNS1_3genE8ELNS1_11target_archE1030ELNS1_3gpuE2ELNS1_3repE0EEENS1_48merge_mergepath_partition_config_static_selectorELNS0_4arch9wavefront6targetE1EEEvSL_.has_indirect_call, 0
	.section	.AMDGPU.csdata,"",@progbits
; Kernel info:
; codeLenInByte = 0
; TotalNumSgprs: 6
; NumVgprs: 0
; NumAgprs: 0
; TotalNumVgprs: 0
; ScratchSize: 0
; MemoryBound: 0
; FloatMode: 240
; IeeeMode: 1
; LDSByteSize: 0 bytes/workgroup (compile time only)
; SGPRBlocks: 0
; VGPRBlocks: 0
; NumSGPRsForWavesPerEU: 6
; NumVGPRsForWavesPerEU: 1
; AccumOffset: 4
; Occupancy: 8
; WaveLimiterHint : 0
; COMPUTE_PGM_RSRC2:SCRATCH_EN: 0
; COMPUTE_PGM_RSRC2:USER_SGPR: 2
; COMPUTE_PGM_RSRC2:TRAP_HANDLER: 0
; COMPUTE_PGM_RSRC2:TGID_X_EN: 1
; COMPUTE_PGM_RSRC2:TGID_Y_EN: 0
; COMPUTE_PGM_RSRC2:TGID_Z_EN: 0
; COMPUTE_PGM_RSRC2:TIDIG_COMP_CNT: 0
; COMPUTE_PGM_RSRC3_GFX90A:ACCUM_OFFSET: 0
; COMPUTE_PGM_RSRC3_GFX90A:TG_SPLIT: 0
	.section	.text._ZN7rocprim17ROCPRIM_400000_NS6detail17trampoline_kernelINS0_14default_configENS1_38merge_sort_block_merge_config_selectorIiNS0_10empty_typeEEEZZNS1_27merge_sort_block_merge_implIS3_N6thrust23THRUST_200600_302600_NS6detail15normal_iteratorINS9_10device_ptrIiEEEEPS5_jNS1_19radix_merge_compareILb0ELb1EiNS0_19identity_decomposerEEEEE10hipError_tT0_T1_T2_jT3_P12ihipStream_tbPNSt15iterator_traitsISK_E10value_typeEPNSQ_ISL_E10value_typeEPSM_NS1_7vsmem_tEENKUlT_SK_SL_SM_E_clISE_PiSF_SF_EESJ_SZ_SK_SL_SM_EUlSZ_E0_NS1_11comp_targetILNS1_3genE0ELNS1_11target_archE4294967295ELNS1_3gpuE0ELNS1_3repE0EEENS1_38merge_mergepath_config_static_selectorELNS0_4arch9wavefront6targetE1EEEvSL_,"axG",@progbits,_ZN7rocprim17ROCPRIM_400000_NS6detail17trampoline_kernelINS0_14default_configENS1_38merge_sort_block_merge_config_selectorIiNS0_10empty_typeEEEZZNS1_27merge_sort_block_merge_implIS3_N6thrust23THRUST_200600_302600_NS6detail15normal_iteratorINS9_10device_ptrIiEEEEPS5_jNS1_19radix_merge_compareILb0ELb1EiNS0_19identity_decomposerEEEEE10hipError_tT0_T1_T2_jT3_P12ihipStream_tbPNSt15iterator_traitsISK_E10value_typeEPNSQ_ISL_E10value_typeEPSM_NS1_7vsmem_tEENKUlT_SK_SL_SM_E_clISE_PiSF_SF_EESJ_SZ_SK_SL_SM_EUlSZ_E0_NS1_11comp_targetILNS1_3genE0ELNS1_11target_archE4294967295ELNS1_3gpuE0ELNS1_3repE0EEENS1_38merge_mergepath_config_static_selectorELNS0_4arch9wavefront6targetE1EEEvSL_,comdat
	.protected	_ZN7rocprim17ROCPRIM_400000_NS6detail17trampoline_kernelINS0_14default_configENS1_38merge_sort_block_merge_config_selectorIiNS0_10empty_typeEEEZZNS1_27merge_sort_block_merge_implIS3_N6thrust23THRUST_200600_302600_NS6detail15normal_iteratorINS9_10device_ptrIiEEEEPS5_jNS1_19radix_merge_compareILb0ELb1EiNS0_19identity_decomposerEEEEE10hipError_tT0_T1_T2_jT3_P12ihipStream_tbPNSt15iterator_traitsISK_E10value_typeEPNSQ_ISL_E10value_typeEPSM_NS1_7vsmem_tEENKUlT_SK_SL_SM_E_clISE_PiSF_SF_EESJ_SZ_SK_SL_SM_EUlSZ_E0_NS1_11comp_targetILNS1_3genE0ELNS1_11target_archE4294967295ELNS1_3gpuE0ELNS1_3repE0EEENS1_38merge_mergepath_config_static_selectorELNS0_4arch9wavefront6targetE1EEEvSL_ ; -- Begin function _ZN7rocprim17ROCPRIM_400000_NS6detail17trampoline_kernelINS0_14default_configENS1_38merge_sort_block_merge_config_selectorIiNS0_10empty_typeEEEZZNS1_27merge_sort_block_merge_implIS3_N6thrust23THRUST_200600_302600_NS6detail15normal_iteratorINS9_10device_ptrIiEEEEPS5_jNS1_19radix_merge_compareILb0ELb1EiNS0_19identity_decomposerEEEEE10hipError_tT0_T1_T2_jT3_P12ihipStream_tbPNSt15iterator_traitsISK_E10value_typeEPNSQ_ISL_E10value_typeEPSM_NS1_7vsmem_tEENKUlT_SK_SL_SM_E_clISE_PiSF_SF_EESJ_SZ_SK_SL_SM_EUlSZ_E0_NS1_11comp_targetILNS1_3genE0ELNS1_11target_archE4294967295ELNS1_3gpuE0ELNS1_3repE0EEENS1_38merge_mergepath_config_static_selectorELNS0_4arch9wavefront6targetE1EEEvSL_
	.globl	_ZN7rocprim17ROCPRIM_400000_NS6detail17trampoline_kernelINS0_14default_configENS1_38merge_sort_block_merge_config_selectorIiNS0_10empty_typeEEEZZNS1_27merge_sort_block_merge_implIS3_N6thrust23THRUST_200600_302600_NS6detail15normal_iteratorINS9_10device_ptrIiEEEEPS5_jNS1_19radix_merge_compareILb0ELb1EiNS0_19identity_decomposerEEEEE10hipError_tT0_T1_T2_jT3_P12ihipStream_tbPNSt15iterator_traitsISK_E10value_typeEPNSQ_ISL_E10value_typeEPSM_NS1_7vsmem_tEENKUlT_SK_SL_SM_E_clISE_PiSF_SF_EESJ_SZ_SK_SL_SM_EUlSZ_E0_NS1_11comp_targetILNS1_3genE0ELNS1_11target_archE4294967295ELNS1_3gpuE0ELNS1_3repE0EEENS1_38merge_mergepath_config_static_selectorELNS0_4arch9wavefront6targetE1EEEvSL_
	.p2align	8
	.type	_ZN7rocprim17ROCPRIM_400000_NS6detail17trampoline_kernelINS0_14default_configENS1_38merge_sort_block_merge_config_selectorIiNS0_10empty_typeEEEZZNS1_27merge_sort_block_merge_implIS3_N6thrust23THRUST_200600_302600_NS6detail15normal_iteratorINS9_10device_ptrIiEEEEPS5_jNS1_19radix_merge_compareILb0ELb1EiNS0_19identity_decomposerEEEEE10hipError_tT0_T1_T2_jT3_P12ihipStream_tbPNSt15iterator_traitsISK_E10value_typeEPNSQ_ISL_E10value_typeEPSM_NS1_7vsmem_tEENKUlT_SK_SL_SM_E_clISE_PiSF_SF_EESJ_SZ_SK_SL_SM_EUlSZ_E0_NS1_11comp_targetILNS1_3genE0ELNS1_11target_archE4294967295ELNS1_3gpuE0ELNS1_3repE0EEENS1_38merge_mergepath_config_static_selectorELNS0_4arch9wavefront6targetE1EEEvSL_,@function
_ZN7rocprim17ROCPRIM_400000_NS6detail17trampoline_kernelINS0_14default_configENS1_38merge_sort_block_merge_config_selectorIiNS0_10empty_typeEEEZZNS1_27merge_sort_block_merge_implIS3_N6thrust23THRUST_200600_302600_NS6detail15normal_iteratorINS9_10device_ptrIiEEEEPS5_jNS1_19radix_merge_compareILb0ELb1EiNS0_19identity_decomposerEEEEE10hipError_tT0_T1_T2_jT3_P12ihipStream_tbPNSt15iterator_traitsISK_E10value_typeEPNSQ_ISL_E10value_typeEPSM_NS1_7vsmem_tEENKUlT_SK_SL_SM_E_clISE_PiSF_SF_EESJ_SZ_SK_SL_SM_EUlSZ_E0_NS1_11comp_targetILNS1_3genE0ELNS1_11target_archE4294967295ELNS1_3gpuE0ELNS1_3repE0EEENS1_38merge_mergepath_config_static_selectorELNS0_4arch9wavefront6targetE1EEEvSL_: ; @_ZN7rocprim17ROCPRIM_400000_NS6detail17trampoline_kernelINS0_14default_configENS1_38merge_sort_block_merge_config_selectorIiNS0_10empty_typeEEEZZNS1_27merge_sort_block_merge_implIS3_N6thrust23THRUST_200600_302600_NS6detail15normal_iteratorINS9_10device_ptrIiEEEEPS5_jNS1_19radix_merge_compareILb0ELb1EiNS0_19identity_decomposerEEEEE10hipError_tT0_T1_T2_jT3_P12ihipStream_tbPNSt15iterator_traitsISK_E10value_typeEPNSQ_ISL_E10value_typeEPSM_NS1_7vsmem_tEENKUlT_SK_SL_SM_E_clISE_PiSF_SF_EESJ_SZ_SK_SL_SM_EUlSZ_E0_NS1_11comp_targetILNS1_3genE0ELNS1_11target_archE4294967295ELNS1_3gpuE0ELNS1_3repE0EEENS1_38merge_mergepath_config_static_selectorELNS0_4arch9wavefront6targetE1EEEvSL_
; %bb.0:
	s_load_dwordx2 s[12:13], s[0:1], 0x40
	s_load_dwordx2 s[16:17], s[0:1], 0x30
	s_add_u32 s8, s0, 64
	s_addc_u32 s9, s1, 0
	s_waitcnt lgkmcnt(0)
	s_mul_i32 s4, s13, s4
	s_add_i32 s3, s4, s3
	s_mul_i32 s3, s3, s12
	s_add_i32 s10, s3, s2
	s_cmp_ge_u32 s10, s16
	s_cbranch_scc1 .LBB116_43
; %bb.1:
	s_load_dwordx2 s[14:15], s[0:1], 0x28
	s_load_dwordx2 s[4:5], s[0:1], 0x38
	;; [unrolled: 1-line block ×3, first 2 shown]
	s_mov_b32 s11, 0
	s_mov_b32 s23, s11
	s_waitcnt lgkmcnt(0)
	s_lshr_b32 s24, s14, 10
	s_cmp_lg_u32 s10, s24
	s_cselect_b64 s[18:19], -1, 0
	s_lshl_b64 s[20:21], s[10:11], 2
	s_add_u32 s4, s4, s20
	s_addc_u32 s5, s5, s21
	s_lshr_b32 s3, s15, 9
	s_and_b32 s3, s3, 0x7ffffe
	s_load_dwordx2 s[20:21], s[4:5], 0x0
	s_sub_i32 s3, 0, s3
	s_and_b32 s4, s10, s3
	s_lshl_b32 s5, s4, 10
	s_lshl_b32 s16, s10, 10
	;; [unrolled: 1-line block ×3, first 2 shown]
	s_sub_i32 s13, s16, s5
	s_add_i32 s4, s4, s15
	s_add_i32 s13, s4, s13
	s_waitcnt lgkmcnt(0)
	s_sub_i32 s22, s13, s20
	s_sub_i32 s13, s13, s21
	s_sub_i32 s4, s4, s5
	s_min_u32 s22, s14, s22
	s_addk_i32 s13, 0x400
	s_or_b32 s3, s10, s3
	s_min_u32 s5, s14, s4
	s_add_i32 s4, s4, s15
	s_cmp_eq_u32 s3, -1
	s_cselect_b32 s3, s4, s13
	s_cselect_b32 s4, s5, s21
	s_min_u32 s3, s3, s14
	s_mov_b32 s21, s11
	s_sub_i32 s15, s4, s20
	s_sub_i32 s13, s3, s22
	s_lshl_b64 s[4:5], s[20:21], 2
	s_add_u32 s4, s6, s4
	s_addc_u32 s5, s7, s5
	s_lshl_b64 s[20:21], s[22:23], 2
	s_add_u32 s6, s6, s20
	s_addc_u32 s7, s7, s21
	s_cmp_lt_u32 s2, s12
	v_mov_b32_e32 v9, 0
	s_cselect_b32 s2, 12, 18
	global_load_dword v1, v9, s[8:9] offset:14
	s_add_u32 s2, s8, s2
	s_addc_u32 s3, s9, 0
	global_load_ushort v2, v9, s[2:3]
	s_cmp_eq_u32 s10, s24
	v_lshlrev_b32_e32 v10, 2, v0
	s_waitcnt vmcnt(1)
	v_lshrrev_b32_e32 v3, 16, v1
	v_and_b32_e32 v1, 0xffff, v1
	v_mul_lo_u32 v1, v1, v3
	s_waitcnt vmcnt(0)
	v_mul_lo_u32 v1, v1, v2
	v_add_u32_e32 v14, v1, v0
	v_add_u32_e32 v12, v14, v1
	s_cbranch_scc1 .LBB116_3
; %bb.2:
	v_mov_b32_e32 v11, v9
	v_subrev_co_u32_e32 v8, vcc, s15, v0
	v_lshl_add_u64 v[2:3], s[4:5], 0, v[10:11]
	v_lshl_add_u64 v[4:5], v[8:9], 2, s[6:7]
	v_cndmask_b32_e32 v3, v5, v3, vcc
	v_cndmask_b32_e32 v2, v4, v2, vcc
	v_mov_b32_e32 v15, v9
	v_subrev_co_u32_e32 v8, vcc, s15, v14
	v_lshl_add_u64 v[4:5], v[14:15], 2, s[4:5]
	v_lshl_add_u64 v[6:7], v[8:9], 2, s[6:7]
	v_cndmask_b32_e32 v5, v7, v5, vcc
	v_cndmask_b32_e32 v4, v6, v4, vcc
	v_mov_b32_e32 v13, v9
	v_subrev_co_u32_e32 v8, vcc, s15, v12
	global_load_dword v2, v[2:3], off
	v_lshl_add_u64 v[6:7], v[8:9], 2, s[6:7]
	global_load_dword v3, v[4:5], off
	v_lshl_add_u64 v[4:5], v[12:13], 2, s[4:5]
	v_cndmask_b32_e32 v4, v6, v4, vcc
	v_add_u32_e32 v6, v12, v1
	v_cndmask_b32_e32 v5, v7, v5, vcc
	v_mov_b32_e32 v7, v9
	v_subrev_co_u32_e32 v8, vcc, s15, v6
	v_lshl_add_u64 v[16:17], v[6:7], 2, s[4:5]
	v_lshl_add_u64 v[18:19], v[8:9], 2, s[6:7]
	v_cndmask_b32_e32 v17, v19, v17, vcc
	v_cndmask_b32_e32 v16, v18, v16, vcc
	global_load_dword v4, v[4:5], off
	s_add_i32 s10, s13, s15
	global_load_dword v5, v[16:17], off
	v_add_u32_e32 v16, v6, v1
	v_mov_b32_e32 v17, v9
	v_subrev_co_u32_e32 v8, vcc, s15, v16
	v_lshl_add_u64 v[6:7], v[16:17], 2, s[4:5]
	v_lshl_add_u64 v[18:19], v[8:9], 2, s[6:7]
	v_add_u32_e32 v16, v16, v1
	v_cndmask_b32_e32 v7, v19, v7, vcc
	v_cndmask_b32_e32 v6, v18, v6, vcc
	v_subrev_co_u32_e32 v8, vcc, s15, v16
	v_lshl_add_u64 v[18:19], v[16:17], 2, s[4:5]
	v_lshl_add_u64 v[20:21], v[8:9], 2, s[6:7]
	v_add_u32_e32 v16, v16, v1
	v_cndmask_b32_e32 v19, v21, v19, vcc
	v_cndmask_b32_e32 v18, v20, v18, vcc
	v_subrev_co_u32_e32 v8, vcc, s15, v16
	global_load_dword v6, v[6:7], off
	v_lshl_add_u64 v[20:21], v[8:9], 2, s[6:7]
	global_load_dword v7, v[18:19], off
	v_lshl_add_u64 v[18:19], v[16:17], 2, s[4:5]
	v_cndmask_b32_e32 v19, v21, v19, vcc
	v_cndmask_b32_e32 v18, v20, v18, vcc
	global_load_dword v8, v[18:19], off
	v_add_u32_e32 v16, v16, v1
	s_mov_b64 s[2:3], -1
	v_mov_b32_e32 v11, s10
	s_cbranch_execz .LBB116_4
	s_branch .LBB116_17
.LBB116_3:
	s_mov_b64 s[2:3], 0
                                        ; implicit-def: $vgpr16
                                        ; implicit-def: $vgpr2_vgpr3_vgpr4_vgpr5_vgpr6_vgpr7_vgpr8_vgpr9
                                        ; implicit-def: $vgpr11
.LBB116_4:
	s_add_i32 s8, s13, s15
	s_waitcnt vmcnt(6)
	v_mov_b32_e32 v2, 0
	v_cmp_gt_u32_e32 vcc, s8, v0
	s_waitcnt vmcnt(5)
	v_mov_b32_e32 v3, v2
	s_waitcnt vmcnt(4)
	v_mov_b32_e32 v4, v2
	;; [unrolled: 2-line block ×6, first 2 shown]
	v_mov_b32_e32 v9, v2
	s_and_saveexec_b64 s[2:3], vcc
	s_cbranch_execnz .LBB116_44
; %bb.5:
	s_or_b64 exec, exec, s[2:3]
	v_cmp_gt_u32_e32 vcc, s8, v14
	s_and_saveexec_b64 s[2:3], vcc
	s_cbranch_execnz .LBB116_45
.LBB116_6:
	s_or_b64 exec, exec, s[2:3]
	v_cmp_gt_u32_e32 vcc, s8, v12
	s_and_saveexec_b64 s[2:3], vcc
	s_cbranch_execz .LBB116_8
.LBB116_7:
	v_mov_b32_e32 v13, 0
	v_subrev_co_u32_e32 v16, vcc, s15, v12
	v_mov_b32_e32 v17, v13
	v_lshl_add_u64 v[14:15], v[12:13], 2, s[4:5]
	v_lshl_add_u64 v[16:17], v[16:17], 2, s[6:7]
	v_cndmask_b32_e32 v15, v17, v15, vcc
	v_cndmask_b32_e32 v14, v16, v14, vcc
	global_load_dword v4, v[14:15], off
.LBB116_8:
	s_or_b64 exec, exec, s[2:3]
	v_add_u32_e32 v12, v12, v1
	v_cmp_gt_u32_e32 vcc, s8, v12
	s_and_saveexec_b64 s[2:3], vcc
	s_cbranch_execz .LBB116_10
; %bb.9:
	v_mov_b32_e32 v13, 0
	v_subrev_co_u32_e32 v16, vcc, s15, v12
	v_mov_b32_e32 v17, v13
	v_lshl_add_u64 v[14:15], v[12:13], 2, s[4:5]
	v_lshl_add_u64 v[16:17], v[16:17], 2, s[6:7]
	v_cndmask_b32_e32 v15, v17, v15, vcc
	v_cndmask_b32_e32 v14, v16, v14, vcc
	global_load_dword v5, v[14:15], off
.LBB116_10:
	s_or_b64 exec, exec, s[2:3]
	v_add_u32_e32 v12, v12, v1
	v_cmp_gt_u32_e32 vcc, s8, v12
	s_and_saveexec_b64 s[2:3], vcc
	s_cbranch_execz .LBB116_12
; %bb.11:
	v_mov_b32_e32 v13, 0
	v_subrev_co_u32_e32 v16, vcc, s15, v12
	v_mov_b32_e32 v17, v13
	v_lshl_add_u64 v[14:15], v[12:13], 2, s[4:5]
	v_lshl_add_u64 v[16:17], v[16:17], 2, s[6:7]
	v_cndmask_b32_e32 v15, v17, v15, vcc
	v_cndmask_b32_e32 v14, v16, v14, vcc
	global_load_dword v6, v[14:15], off
.LBB116_12:
	;; [unrolled: 15-line block ×4, first 2 shown]
	s_or_b64 exec, exec, s[2:3]
	v_add_u32_e32 v16, v12, v1
	v_cmp_gt_u32_e64 s[2:3], s8, v16
	v_mov_b32_e32 v11, s8
.LBB116_17:
	s_and_saveexec_b64 s[8:9], s[2:3]
	s_cbranch_execz .LBB116_19
; %bb.18:
	v_mov_b32_e32 v13, 0
	v_mov_b32_e32 v17, v13
	v_subrev_co_u32_e32 v12, vcc, s15, v16
	v_lshl_add_u64 v[14:15], v[16:17], 2, s[4:5]
	v_lshl_add_u64 v[12:13], v[12:13], 2, s[6:7]
	v_cndmask_b32_e32 v13, v13, v15, vcc
	v_cndmask_b32_e32 v12, v12, v14, vcc
	global_load_dword v9, v[12:13], off
.LBB116_19:
	s_or_b64 exec, exec, s[8:9]
	s_load_dwordx2 s[20:21], s[0:1], 0x10
	v_lshlrev_b32_e32 v1, 3, v0
	v_min_u32_e32 v13, v11, v1
	v_sub_u32_e64 v12, v13, s13 clamp
	v_min_u32_e32 v14, s15, v13
	v_cmp_lt_u32_e32 vcc, v12, v14
	s_waitcnt vmcnt(0)
	ds_write2st64_b32 v10, v2, v3 offset1:2
	ds_write2st64_b32 v10, v4, v5 offset0:4 offset1:6
	ds_write2st64_b32 v10, v6, v7 offset0:8 offset1:10
	;; [unrolled: 1-line block ×3, first 2 shown]
	s_waitcnt lgkmcnt(0)
	s_barrier
	s_and_saveexec_b64 s[0:1], vcc
	s_cbranch_execz .LBB116_23
; %bb.20:
	v_lshlrev_b32_e32 v15, 2, v13
	v_lshl_add_u32 v15, s15, 2, v15
	s_mov_b64 s[2:3], 0
.LBB116_21:                             ; =>This Inner Loop Header: Depth=1
	v_add_u32_e32 v16, v14, v12
	v_lshrrev_b32_e32 v16, 1, v16
	v_not_b32_e32 v17, v16
	v_lshlrev_b32_e32 v18, 2, v16
	v_lshl_add_u32 v17, v17, 2, v15
	ds_read_b32 v18, v18
	ds_read_b32 v17, v17
	v_add_u32_e32 v19, 1, v16
	s_waitcnt lgkmcnt(1)
	v_and_b32_e32 v18, s17, v18
	s_waitcnt lgkmcnt(0)
	v_and_b32_e32 v17, s17, v17
	v_cmp_gt_i32_e32 vcc, v18, v17
	s_nop 1
	v_cndmask_b32_e32 v14, v14, v16, vcc
	v_cndmask_b32_e32 v12, v19, v12, vcc
	v_cmp_ge_u32_e32 vcc, v12, v14
	s_or_b64 s[2:3], vcc, s[2:3]
	s_andn2_b64 exec, exec, s[2:3]
	s_cbranch_execnz .LBB116_21
; %bb.22:
	s_or_b64 exec, exec, s[2:3]
.LBB116_23:
	s_or_b64 exec, exec, s[0:1]
	v_sub_u32_e32 v13, v13, v12
	v_add_u32_e32 v13, s15, v13
	v_cmp_ge_u32_e32 vcc, s15, v12
	v_cmp_le_u32_e64 s[0:1], v13, v11
	s_or_b64 s[0:1], vcc, s[0:1]
	s_and_saveexec_b64 s[22:23], s[0:1]
	s_cbranch_execz .LBB116_29
; %bb.24:
	v_cmp_gt_u32_e32 vcc, s15, v12
                                        ; implicit-def: $vgpr2
	s_and_saveexec_b64 s[0:1], vcc
; %bb.25:
	v_lshlrev_b32_e32 v2, 2, v12
	ds_read_b32 v2, v2
; %bb.26:
	s_or_b64 exec, exec, s[0:1]
	v_cmp_ge_u32_e64 s[0:1], v13, v11
	v_cmp_lt_u32_e64 s[2:3], v13, v11
                                        ; implicit-def: $vgpr3
	s_and_saveexec_b64 s[4:5], s[2:3]
; %bb.27:
	v_lshlrev_b32_e32 v3, 2, v13
	ds_read_b32 v3, v3
; %bb.28:
	s_or_b64 exec, exec, s[4:5]
	s_waitcnt lgkmcnt(0)
	v_and_b32_e32 v4, s17, v3
	v_and_b32_e32 v5, s17, v2
	v_cmp_le_i32_e64 s[2:3], v5, v4
	s_and_b64 s[2:3], vcc, s[2:3]
	s_or_b64 vcc, s[0:1], s[2:3]
	v_mov_b32_e32 v5, s15
	v_cndmask_b32_e32 v4, v13, v12, vcc
	v_cndmask_b32_e32 v6, v11, v5, vcc
	v_add_u32_e32 v4, 1, v4
	v_add_u32_e32 v6, -1, v6
	v_min_u32_e32 v6, v4, v6
	v_lshlrev_b32_e32 v6, 2, v6
	ds_read_b32 v6, v6
	v_cndmask_b32_e32 v8, v4, v13, vcc
	v_cndmask_b32_e32 v4, v12, v4, vcc
	v_cmp_gt_u32_e64 s[2:3], s15, v4
	v_cmp_ge_u32_e64 s[0:1], v8, v11
	s_waitcnt lgkmcnt(0)
	v_cndmask_b32_e32 v7, v6, v3, vcc
	v_cndmask_b32_e32 v6, v2, v6, vcc
	v_and_b32_e32 v9, s17, v7
	v_and_b32_e32 v12, s17, v6
	v_cmp_le_i32_e64 s[4:5], v12, v9
	s_and_b64 s[2:3], s[2:3], s[4:5]
	s_or_b64 s[0:1], s[0:1], s[2:3]
	v_cndmask_b32_e64 v9, v8, v4, s[0:1]
	v_cndmask_b32_e64 v12, v11, v5, s[0:1]
	v_add_u32_e32 v9, 1, v9
	v_add_u32_e32 v12, -1, v12
	v_min_u32_e32 v12, v9, v12
	v_lshlrev_b32_e32 v12, 2, v12
	ds_read_b32 v12, v12
	v_cndmask_b32_e64 v8, v9, v8, s[0:1]
	v_cndmask_b32_e64 v4, v4, v9, s[0:1]
	v_cmp_gt_u32_e64 s[4:5], s15, v4
	v_cmp_ge_u32_e64 s[2:3], v8, v11
	s_waitcnt lgkmcnt(0)
	v_cndmask_b32_e64 v13, v12, v7, s[0:1]
	v_cndmask_b32_e64 v12, v6, v12, s[0:1]
	v_and_b32_e32 v9, s17, v13
	v_and_b32_e32 v14, s17, v12
	v_cmp_le_i32_e64 s[6:7], v14, v9
	s_and_b64 s[4:5], s[4:5], s[6:7]
	s_or_b64 s[2:3], s[2:3], s[4:5]
	v_cndmask_b32_e64 v9, v8, v4, s[2:3]
	v_cndmask_b32_e64 v14, v11, v5, s[2:3]
	v_add_u32_e32 v9, 1, v9
	v_add_u32_e32 v14, -1, v14
	v_min_u32_e32 v14, v9, v14
	v_lshlrev_b32_e32 v14, 2, v14
	ds_read_b32 v14, v14
	v_cndmask_b32_e64 v8, v9, v8, s[2:3]
	v_cndmask_b32_e64 v4, v4, v9, s[2:3]
	v_cmp_gt_u32_e64 s[6:7], s15, v4
	v_cmp_ge_u32_e64 s[4:5], v8, v11
	s_waitcnt lgkmcnt(0)
	v_cndmask_b32_e64 v15, v14, v13, s[2:3]
	v_cndmask_b32_e64 v14, v12, v14, s[2:3]
	;; [unrolled: 19-line block ×4, first 2 shown]
	v_and_b32_e32 v4, s17, v19
	v_and_b32_e32 v20, s17, v18
	v_cmp_le_i32_e64 s[12:13], v20, v4
	s_and_b64 s[10:11], s[10:11], s[12:13]
	s_or_b64 s[8:9], s[8:9], s[10:11]
	v_cndmask_b32_e64 v4, v8, v9, s[8:9]
	v_cndmask_b32_e64 v20, v11, v5, s[8:9]
	v_add_u32_e32 v21, 1, v4
	v_add_u32_e32 v4, -1, v20
	v_min_u32_e32 v4, v21, v4
	v_lshlrev_b32_e32 v4, 2, v4
	ds_read_b32 v20, v4
	v_cndmask_b32_e64 v4, v13, v12, s[2:3]
	v_cndmask_b32_e32 v2, v3, v2, vcc
	v_cndmask_b32_e64 v3, v7, v6, s[0:1]
	v_cndmask_b32_e64 v9, v9, v21, s[8:9]
	s_waitcnt lgkmcnt(0)
	v_cndmask_b32_e64 v12, v20, v19, s[8:9]
	v_cndmask_b32_e64 v13, v18, v20, s[8:9]
	v_and_b32_e32 v6, s17, v12
	v_and_b32_e32 v7, s17, v13
	v_cndmask_b32_e64 v20, v21, v8, s[8:9]
	v_cmp_gt_u32_e64 s[0:1], s15, v9
	v_cmp_le_i32_e64 s[2:3], v7, v6
	v_cmp_ge_u32_e32 vcc, v20, v11
	s_and_b64 s[0:1], s[0:1], s[2:3]
	s_or_b64 vcc, vcc, s[0:1]
	v_cndmask_b32_e32 v6, v20, v9, vcc
	v_cndmask_b32_e32 v5, v11, v5, vcc
	v_add_u32_e32 v21, 1, v6
	v_add_u32_e32 v5, -1, v5
	v_min_u32_e32 v5, v21, v5
	v_lshlrev_b32_e32 v5, 2, v5
	ds_read_b32 v22, v5
	v_cndmask_b32_e64 v5, v15, v14, s[4:5]
	v_cndmask_b32_e32 v8, v12, v13, vcc
	v_cndmask_b32_e32 v14, v21, v20, vcc
	;; [unrolled: 1-line block ×3, first 2 shown]
	s_waitcnt lgkmcnt(0)
	v_cndmask_b32_e32 v12, v22, v12, vcc
	v_cndmask_b32_e32 v13, v13, v22, vcc
	v_cmp_ge_u32_e32 vcc, v14, v11
	v_cmp_gt_u32_e64 s[0:1], s15, v9
	v_and_b32_e32 v9, s17, v12
	v_and_b32_e32 v11, s17, v13
	v_cmp_le_i32_e64 s[2:3], v11, v9
	s_and_b64 s[0:1], s[0:1], s[2:3]
	s_or_b64 vcc, vcc, s[0:1]
	v_cndmask_b32_e64 v6, v17, v16, s[6:7]
	v_cndmask_b32_e64 v7, v19, v18, s[8:9]
	v_cndmask_b32_e32 v9, v12, v13, vcc
.LBB116_29:
	s_or_b64 exec, exec, s[22:23]
	v_and_b32_e32 v11, 0x7c, v0
	v_lshl_add_u32 v1, v1, 2, v11
	s_barrier
	s_barrier
	ds_write2_b32 v1, v2, v3 offset1:1
	ds_write2_b32 v1, v4, v5 offset0:2 offset1:3
	ds_write2_b32 v1, v6, v7 offset0:4 offset1:5
	;; [unrolled: 1-line block ×3, first 2 shown]
	v_lshrrev_b32_e32 v1, 3, v0
	v_and_b32_e32 v1, 12, v1
	v_or_b32_e32 v9, 0x80, v0
	v_add_u32_e32 v12, v1, v10
	v_lshrrev_b32_e32 v1, 3, v9
	v_and_b32_e32 v1, 28, v1
	v_or_b32_e32 v8, 0x100, v0
	v_add_u32_e32 v13, v1, v10
	;; [unrolled: 4-line block ×6, first 2 shown]
	v_lshrrev_b32_e32 v1, 3, v4
	s_mov_b32 s17, 0
	v_and_b32_e32 v1, 0x6c, v1
	s_lshl_b64 s[0:1], s[16:17], 2
	v_add_u32_e32 v18, v1, v10
	v_or_b32_e32 v1, 0x380, v0
	s_add_u32 s0, s20, s0
	v_lshrrev_b32_e32 v2, 3, v1
	s_addc_u32 s1, s21, s1
	v_and_b32_e32 v2, 0x7c, v2
	v_mov_b32_e32 v11, 0
	v_add_u32_e32 v19, v2, v10
	v_lshl_add_u64 v[2:3], s[0:1], 0, v[10:11]
	s_and_b64 vcc, exec, s[18:19]
	s_waitcnt lgkmcnt(0)
	s_cbranch_vccz .LBB116_31
; %bb.30:
	s_barrier
	ds_read_b32 v10, v12
	ds_read_b32 v11, v13 offset:512
	ds_read_b32 v20, v14 offset:1024
	;; [unrolled: 1-line block ×7, first 2 shown]
	s_waitcnt lgkmcnt(7)
	global_store_dword v[2:3], v10, off
	s_waitcnt lgkmcnt(6)
	global_store_dword v[2:3], v11, off offset:512
	s_waitcnt lgkmcnt(5)
	global_store_dword v[2:3], v20, off offset:1024
	;; [unrolled: 2-line block ×6, first 2 shown]
	s_mov_b64 s[0:1], -1
	s_cbranch_execz .LBB116_32
	s_branch .LBB116_41
.LBB116_31:
	s_mov_b64 s[0:1], 0
                                        ; implicit-def: $vgpr22
.LBB116_32:
	s_barrier
	s_waitcnt lgkmcnt(0)
	ds_read_b32 v21, v13 offset:512
	ds_read_b32 v20, v14 offset:1024
	;; [unrolled: 1-line block ×7, first 2 shown]
	s_sub_i32 s2, s14, s16
	v_cmp_gt_u32_e32 vcc, s2, v0
	s_and_saveexec_b64 s[0:1], vcc
	s_cbranch_execnz .LBB116_46
; %bb.33:
	s_or_b64 exec, exec, s[0:1]
	v_cmp_gt_u32_e32 vcc, s2, v9
	s_and_saveexec_b64 s[0:1], vcc
	s_cbranch_execnz .LBB116_47
.LBB116_34:
	s_or_b64 exec, exec, s[0:1]
	v_cmp_gt_u32_e32 vcc, s2, v8
	s_and_saveexec_b64 s[0:1], vcc
	s_cbranch_execnz .LBB116_48
.LBB116_35:
	s_or_b64 exec, exec, s[0:1]
	v_cmp_gt_u32_e32 vcc, s2, v7
	s_and_saveexec_b64 s[0:1], vcc
	s_cbranch_execnz .LBB116_49
.LBB116_36:
	s_or_b64 exec, exec, s[0:1]
	v_cmp_gt_u32_e32 vcc, s2, v6
	s_and_saveexec_b64 s[0:1], vcc
	s_cbranch_execnz .LBB116_50
.LBB116_37:
	s_or_b64 exec, exec, s[0:1]
	v_cmp_gt_u32_e32 vcc, s2, v5
	s_and_saveexec_b64 s[0:1], vcc
	s_cbranch_execnz .LBB116_51
.LBB116_38:
	s_or_b64 exec, exec, s[0:1]
	v_cmp_gt_u32_e32 vcc, s2, v4
	s_and_saveexec_b64 s[0:1], vcc
	s_cbranch_execz .LBB116_40
.LBB116_39:
	s_waitcnt lgkmcnt(1)
	global_store_dword v[2:3], v10, off offset:3072
.LBB116_40:
	s_or_b64 exec, exec, s[0:1]
	v_cmp_gt_u32_e64 s[0:1], s2, v1
.LBB116_41:
	s_and_saveexec_b64 s[2:3], s[0:1]
	s_cbranch_execz .LBB116_43
; %bb.42:
	s_waitcnt lgkmcnt(0)
	global_store_dword v[2:3], v22, off offset:3584
.LBB116_43:
	s_endpgm
.LBB116_44:
	v_mov_b32_e32 v11, v2
	v_subrev_co_u32_e32 v6, vcc, s15, v0
	v_mov_b32_e32 v7, v2
	v_lshl_add_u64 v[4:5], s[4:5], 0, v[10:11]
	v_lshl_add_u64 v[6:7], v[6:7], 2, s[6:7]
	v_cndmask_b32_e32 v5, v7, v5, vcc
	v_cndmask_b32_e32 v4, v6, v4, vcc
	global_load_dword v16, v[4:5], off
	v_mov_b32_e32 v17, v2
	v_mov_b32_e32 v18, v2
	;; [unrolled: 1-line block ×7, first 2 shown]
	s_waitcnt vmcnt(0)
	v_mov_b64_e32 v[2:3], v[16:17]
	v_mov_b64_e32 v[4:5], v[18:19]
	;; [unrolled: 1-line block ×4, first 2 shown]
	s_or_b64 exec, exec, s[2:3]
	v_cmp_gt_u32_e32 vcc, s8, v14
	s_and_saveexec_b64 s[2:3], vcc
	s_cbranch_execz .LBB116_6
.LBB116_45:
	v_mov_b32_e32 v15, 0
	v_lshl_add_u64 v[16:17], v[14:15], 2, s[4:5]
	v_subrev_co_u32_e32 v14, vcc, s15, v14
	v_lshl_add_u64 v[14:15], v[14:15], 2, s[6:7]
	s_nop 0
	v_cndmask_b32_e32 v15, v15, v17, vcc
	v_cndmask_b32_e32 v14, v14, v16, vcc
	global_load_dword v3, v[14:15], off
	s_or_b64 exec, exec, s[2:3]
	v_cmp_gt_u32_e32 vcc, s8, v12
	s_and_saveexec_b64 s[2:3], vcc
	s_cbranch_execnz .LBB116_7
	s_branch .LBB116_8
.LBB116_46:
	ds_read_b32 v0, v12
	s_waitcnt lgkmcnt(0)
	global_store_dword v[2:3], v0, off
	s_or_b64 exec, exec, s[0:1]
	v_cmp_gt_u32_e32 vcc, s2, v9
	s_and_saveexec_b64 s[0:1], vcc
	s_cbranch_execz .LBB116_34
.LBB116_47:
	s_waitcnt lgkmcnt(6)
	global_store_dword v[2:3], v21, off offset:512
	s_or_b64 exec, exec, s[0:1]
	v_cmp_gt_u32_e32 vcc, s2, v8
	s_and_saveexec_b64 s[0:1], vcc
	s_cbranch_execz .LBB116_35
.LBB116_48:
	s_waitcnt lgkmcnt(5)
	global_store_dword v[2:3], v20, off offset:1024
	s_or_b64 exec, exec, s[0:1]
	v_cmp_gt_u32_e32 vcc, s2, v7
	s_and_saveexec_b64 s[0:1], vcc
	s_cbranch_execz .LBB116_36
.LBB116_49:
	s_waitcnt lgkmcnt(4)
	global_store_dword v[2:3], v14, off offset:1536
	s_or_b64 exec, exec, s[0:1]
	v_cmp_gt_u32_e32 vcc, s2, v6
	s_and_saveexec_b64 s[0:1], vcc
	s_cbranch_execz .LBB116_37
.LBB116_50:
	s_waitcnt lgkmcnt(3)
	global_store_dword v[2:3], v13, off offset:2048
	s_or_b64 exec, exec, s[0:1]
	v_cmp_gt_u32_e32 vcc, s2, v5
	s_and_saveexec_b64 s[0:1], vcc
	s_cbranch_execz .LBB116_38
.LBB116_51:
	s_waitcnt lgkmcnt(2)
	global_store_dword v[2:3], v11, off offset:2560
	s_or_b64 exec, exec, s[0:1]
	v_cmp_gt_u32_e32 vcc, s2, v4
	s_and_saveexec_b64 s[0:1], vcc
	s_cbranch_execnz .LBB116_39
	s_branch .LBB116_40
	.section	.rodata,"a",@progbits
	.p2align	6, 0x0
	.amdhsa_kernel _ZN7rocprim17ROCPRIM_400000_NS6detail17trampoline_kernelINS0_14default_configENS1_38merge_sort_block_merge_config_selectorIiNS0_10empty_typeEEEZZNS1_27merge_sort_block_merge_implIS3_N6thrust23THRUST_200600_302600_NS6detail15normal_iteratorINS9_10device_ptrIiEEEEPS5_jNS1_19radix_merge_compareILb0ELb1EiNS0_19identity_decomposerEEEEE10hipError_tT0_T1_T2_jT3_P12ihipStream_tbPNSt15iterator_traitsISK_E10value_typeEPNSQ_ISL_E10value_typeEPSM_NS1_7vsmem_tEENKUlT_SK_SL_SM_E_clISE_PiSF_SF_EESJ_SZ_SK_SL_SM_EUlSZ_E0_NS1_11comp_targetILNS1_3genE0ELNS1_11target_archE4294967295ELNS1_3gpuE0ELNS1_3repE0EEENS1_38merge_mergepath_config_static_selectorELNS0_4arch9wavefront6targetE1EEEvSL_
		.amdhsa_group_segment_fixed_size 4224
		.amdhsa_private_segment_fixed_size 0
		.amdhsa_kernarg_size 320
		.amdhsa_user_sgpr_count 2
		.amdhsa_user_sgpr_dispatch_ptr 0
		.amdhsa_user_sgpr_queue_ptr 0
		.amdhsa_user_sgpr_kernarg_segment_ptr 1
		.amdhsa_user_sgpr_dispatch_id 0
		.amdhsa_user_sgpr_kernarg_preload_length 0
		.amdhsa_user_sgpr_kernarg_preload_offset 0
		.amdhsa_user_sgpr_private_segment_size 0
		.amdhsa_uses_dynamic_stack 0
		.amdhsa_enable_private_segment 0
		.amdhsa_system_sgpr_workgroup_id_x 1
		.amdhsa_system_sgpr_workgroup_id_y 1
		.amdhsa_system_sgpr_workgroup_id_z 1
		.amdhsa_system_sgpr_workgroup_info 0
		.amdhsa_system_vgpr_workitem_id 0
		.amdhsa_next_free_vgpr 26
		.amdhsa_next_free_sgpr 25
		.amdhsa_accum_offset 28
		.amdhsa_reserve_vcc 1
		.amdhsa_float_round_mode_32 0
		.amdhsa_float_round_mode_16_64 0
		.amdhsa_float_denorm_mode_32 3
		.amdhsa_float_denorm_mode_16_64 3
		.amdhsa_dx10_clamp 1
		.amdhsa_ieee_mode 1
		.amdhsa_fp16_overflow 0
		.amdhsa_tg_split 0
		.amdhsa_exception_fp_ieee_invalid_op 0
		.amdhsa_exception_fp_denorm_src 0
		.amdhsa_exception_fp_ieee_div_zero 0
		.amdhsa_exception_fp_ieee_overflow 0
		.amdhsa_exception_fp_ieee_underflow 0
		.amdhsa_exception_fp_ieee_inexact 0
		.amdhsa_exception_int_div_zero 0
	.end_amdhsa_kernel
	.section	.text._ZN7rocprim17ROCPRIM_400000_NS6detail17trampoline_kernelINS0_14default_configENS1_38merge_sort_block_merge_config_selectorIiNS0_10empty_typeEEEZZNS1_27merge_sort_block_merge_implIS3_N6thrust23THRUST_200600_302600_NS6detail15normal_iteratorINS9_10device_ptrIiEEEEPS5_jNS1_19radix_merge_compareILb0ELb1EiNS0_19identity_decomposerEEEEE10hipError_tT0_T1_T2_jT3_P12ihipStream_tbPNSt15iterator_traitsISK_E10value_typeEPNSQ_ISL_E10value_typeEPSM_NS1_7vsmem_tEENKUlT_SK_SL_SM_E_clISE_PiSF_SF_EESJ_SZ_SK_SL_SM_EUlSZ_E0_NS1_11comp_targetILNS1_3genE0ELNS1_11target_archE4294967295ELNS1_3gpuE0ELNS1_3repE0EEENS1_38merge_mergepath_config_static_selectorELNS0_4arch9wavefront6targetE1EEEvSL_,"axG",@progbits,_ZN7rocprim17ROCPRIM_400000_NS6detail17trampoline_kernelINS0_14default_configENS1_38merge_sort_block_merge_config_selectorIiNS0_10empty_typeEEEZZNS1_27merge_sort_block_merge_implIS3_N6thrust23THRUST_200600_302600_NS6detail15normal_iteratorINS9_10device_ptrIiEEEEPS5_jNS1_19radix_merge_compareILb0ELb1EiNS0_19identity_decomposerEEEEE10hipError_tT0_T1_T2_jT3_P12ihipStream_tbPNSt15iterator_traitsISK_E10value_typeEPNSQ_ISL_E10value_typeEPSM_NS1_7vsmem_tEENKUlT_SK_SL_SM_E_clISE_PiSF_SF_EESJ_SZ_SK_SL_SM_EUlSZ_E0_NS1_11comp_targetILNS1_3genE0ELNS1_11target_archE4294967295ELNS1_3gpuE0ELNS1_3repE0EEENS1_38merge_mergepath_config_static_selectorELNS0_4arch9wavefront6targetE1EEEvSL_,comdat
.Lfunc_end116:
	.size	_ZN7rocprim17ROCPRIM_400000_NS6detail17trampoline_kernelINS0_14default_configENS1_38merge_sort_block_merge_config_selectorIiNS0_10empty_typeEEEZZNS1_27merge_sort_block_merge_implIS3_N6thrust23THRUST_200600_302600_NS6detail15normal_iteratorINS9_10device_ptrIiEEEEPS5_jNS1_19radix_merge_compareILb0ELb1EiNS0_19identity_decomposerEEEEE10hipError_tT0_T1_T2_jT3_P12ihipStream_tbPNSt15iterator_traitsISK_E10value_typeEPNSQ_ISL_E10value_typeEPSM_NS1_7vsmem_tEENKUlT_SK_SL_SM_E_clISE_PiSF_SF_EESJ_SZ_SK_SL_SM_EUlSZ_E0_NS1_11comp_targetILNS1_3genE0ELNS1_11target_archE4294967295ELNS1_3gpuE0ELNS1_3repE0EEENS1_38merge_mergepath_config_static_selectorELNS0_4arch9wavefront6targetE1EEEvSL_, .Lfunc_end116-_ZN7rocprim17ROCPRIM_400000_NS6detail17trampoline_kernelINS0_14default_configENS1_38merge_sort_block_merge_config_selectorIiNS0_10empty_typeEEEZZNS1_27merge_sort_block_merge_implIS3_N6thrust23THRUST_200600_302600_NS6detail15normal_iteratorINS9_10device_ptrIiEEEEPS5_jNS1_19radix_merge_compareILb0ELb1EiNS0_19identity_decomposerEEEEE10hipError_tT0_T1_T2_jT3_P12ihipStream_tbPNSt15iterator_traitsISK_E10value_typeEPNSQ_ISL_E10value_typeEPSM_NS1_7vsmem_tEENKUlT_SK_SL_SM_E_clISE_PiSF_SF_EESJ_SZ_SK_SL_SM_EUlSZ_E0_NS1_11comp_targetILNS1_3genE0ELNS1_11target_archE4294967295ELNS1_3gpuE0ELNS1_3repE0EEENS1_38merge_mergepath_config_static_selectorELNS0_4arch9wavefront6targetE1EEEvSL_
                                        ; -- End function
	.set _ZN7rocprim17ROCPRIM_400000_NS6detail17trampoline_kernelINS0_14default_configENS1_38merge_sort_block_merge_config_selectorIiNS0_10empty_typeEEEZZNS1_27merge_sort_block_merge_implIS3_N6thrust23THRUST_200600_302600_NS6detail15normal_iteratorINS9_10device_ptrIiEEEEPS5_jNS1_19radix_merge_compareILb0ELb1EiNS0_19identity_decomposerEEEEE10hipError_tT0_T1_T2_jT3_P12ihipStream_tbPNSt15iterator_traitsISK_E10value_typeEPNSQ_ISL_E10value_typeEPSM_NS1_7vsmem_tEENKUlT_SK_SL_SM_E_clISE_PiSF_SF_EESJ_SZ_SK_SL_SM_EUlSZ_E0_NS1_11comp_targetILNS1_3genE0ELNS1_11target_archE4294967295ELNS1_3gpuE0ELNS1_3repE0EEENS1_38merge_mergepath_config_static_selectorELNS0_4arch9wavefront6targetE1EEEvSL_.num_vgpr, 26
	.set _ZN7rocprim17ROCPRIM_400000_NS6detail17trampoline_kernelINS0_14default_configENS1_38merge_sort_block_merge_config_selectorIiNS0_10empty_typeEEEZZNS1_27merge_sort_block_merge_implIS3_N6thrust23THRUST_200600_302600_NS6detail15normal_iteratorINS9_10device_ptrIiEEEEPS5_jNS1_19radix_merge_compareILb0ELb1EiNS0_19identity_decomposerEEEEE10hipError_tT0_T1_T2_jT3_P12ihipStream_tbPNSt15iterator_traitsISK_E10value_typeEPNSQ_ISL_E10value_typeEPSM_NS1_7vsmem_tEENKUlT_SK_SL_SM_E_clISE_PiSF_SF_EESJ_SZ_SK_SL_SM_EUlSZ_E0_NS1_11comp_targetILNS1_3genE0ELNS1_11target_archE4294967295ELNS1_3gpuE0ELNS1_3repE0EEENS1_38merge_mergepath_config_static_selectorELNS0_4arch9wavefront6targetE1EEEvSL_.num_agpr, 0
	.set _ZN7rocprim17ROCPRIM_400000_NS6detail17trampoline_kernelINS0_14default_configENS1_38merge_sort_block_merge_config_selectorIiNS0_10empty_typeEEEZZNS1_27merge_sort_block_merge_implIS3_N6thrust23THRUST_200600_302600_NS6detail15normal_iteratorINS9_10device_ptrIiEEEEPS5_jNS1_19radix_merge_compareILb0ELb1EiNS0_19identity_decomposerEEEEE10hipError_tT0_T1_T2_jT3_P12ihipStream_tbPNSt15iterator_traitsISK_E10value_typeEPNSQ_ISL_E10value_typeEPSM_NS1_7vsmem_tEENKUlT_SK_SL_SM_E_clISE_PiSF_SF_EESJ_SZ_SK_SL_SM_EUlSZ_E0_NS1_11comp_targetILNS1_3genE0ELNS1_11target_archE4294967295ELNS1_3gpuE0ELNS1_3repE0EEENS1_38merge_mergepath_config_static_selectorELNS0_4arch9wavefront6targetE1EEEvSL_.numbered_sgpr, 25
	.set _ZN7rocprim17ROCPRIM_400000_NS6detail17trampoline_kernelINS0_14default_configENS1_38merge_sort_block_merge_config_selectorIiNS0_10empty_typeEEEZZNS1_27merge_sort_block_merge_implIS3_N6thrust23THRUST_200600_302600_NS6detail15normal_iteratorINS9_10device_ptrIiEEEEPS5_jNS1_19radix_merge_compareILb0ELb1EiNS0_19identity_decomposerEEEEE10hipError_tT0_T1_T2_jT3_P12ihipStream_tbPNSt15iterator_traitsISK_E10value_typeEPNSQ_ISL_E10value_typeEPSM_NS1_7vsmem_tEENKUlT_SK_SL_SM_E_clISE_PiSF_SF_EESJ_SZ_SK_SL_SM_EUlSZ_E0_NS1_11comp_targetILNS1_3genE0ELNS1_11target_archE4294967295ELNS1_3gpuE0ELNS1_3repE0EEENS1_38merge_mergepath_config_static_selectorELNS0_4arch9wavefront6targetE1EEEvSL_.num_named_barrier, 0
	.set _ZN7rocprim17ROCPRIM_400000_NS6detail17trampoline_kernelINS0_14default_configENS1_38merge_sort_block_merge_config_selectorIiNS0_10empty_typeEEEZZNS1_27merge_sort_block_merge_implIS3_N6thrust23THRUST_200600_302600_NS6detail15normal_iteratorINS9_10device_ptrIiEEEEPS5_jNS1_19radix_merge_compareILb0ELb1EiNS0_19identity_decomposerEEEEE10hipError_tT0_T1_T2_jT3_P12ihipStream_tbPNSt15iterator_traitsISK_E10value_typeEPNSQ_ISL_E10value_typeEPSM_NS1_7vsmem_tEENKUlT_SK_SL_SM_E_clISE_PiSF_SF_EESJ_SZ_SK_SL_SM_EUlSZ_E0_NS1_11comp_targetILNS1_3genE0ELNS1_11target_archE4294967295ELNS1_3gpuE0ELNS1_3repE0EEENS1_38merge_mergepath_config_static_selectorELNS0_4arch9wavefront6targetE1EEEvSL_.private_seg_size, 0
	.set _ZN7rocprim17ROCPRIM_400000_NS6detail17trampoline_kernelINS0_14default_configENS1_38merge_sort_block_merge_config_selectorIiNS0_10empty_typeEEEZZNS1_27merge_sort_block_merge_implIS3_N6thrust23THRUST_200600_302600_NS6detail15normal_iteratorINS9_10device_ptrIiEEEEPS5_jNS1_19radix_merge_compareILb0ELb1EiNS0_19identity_decomposerEEEEE10hipError_tT0_T1_T2_jT3_P12ihipStream_tbPNSt15iterator_traitsISK_E10value_typeEPNSQ_ISL_E10value_typeEPSM_NS1_7vsmem_tEENKUlT_SK_SL_SM_E_clISE_PiSF_SF_EESJ_SZ_SK_SL_SM_EUlSZ_E0_NS1_11comp_targetILNS1_3genE0ELNS1_11target_archE4294967295ELNS1_3gpuE0ELNS1_3repE0EEENS1_38merge_mergepath_config_static_selectorELNS0_4arch9wavefront6targetE1EEEvSL_.uses_vcc, 1
	.set _ZN7rocprim17ROCPRIM_400000_NS6detail17trampoline_kernelINS0_14default_configENS1_38merge_sort_block_merge_config_selectorIiNS0_10empty_typeEEEZZNS1_27merge_sort_block_merge_implIS3_N6thrust23THRUST_200600_302600_NS6detail15normal_iteratorINS9_10device_ptrIiEEEEPS5_jNS1_19radix_merge_compareILb0ELb1EiNS0_19identity_decomposerEEEEE10hipError_tT0_T1_T2_jT3_P12ihipStream_tbPNSt15iterator_traitsISK_E10value_typeEPNSQ_ISL_E10value_typeEPSM_NS1_7vsmem_tEENKUlT_SK_SL_SM_E_clISE_PiSF_SF_EESJ_SZ_SK_SL_SM_EUlSZ_E0_NS1_11comp_targetILNS1_3genE0ELNS1_11target_archE4294967295ELNS1_3gpuE0ELNS1_3repE0EEENS1_38merge_mergepath_config_static_selectorELNS0_4arch9wavefront6targetE1EEEvSL_.uses_flat_scratch, 0
	.set _ZN7rocprim17ROCPRIM_400000_NS6detail17trampoline_kernelINS0_14default_configENS1_38merge_sort_block_merge_config_selectorIiNS0_10empty_typeEEEZZNS1_27merge_sort_block_merge_implIS3_N6thrust23THRUST_200600_302600_NS6detail15normal_iteratorINS9_10device_ptrIiEEEEPS5_jNS1_19radix_merge_compareILb0ELb1EiNS0_19identity_decomposerEEEEE10hipError_tT0_T1_T2_jT3_P12ihipStream_tbPNSt15iterator_traitsISK_E10value_typeEPNSQ_ISL_E10value_typeEPSM_NS1_7vsmem_tEENKUlT_SK_SL_SM_E_clISE_PiSF_SF_EESJ_SZ_SK_SL_SM_EUlSZ_E0_NS1_11comp_targetILNS1_3genE0ELNS1_11target_archE4294967295ELNS1_3gpuE0ELNS1_3repE0EEENS1_38merge_mergepath_config_static_selectorELNS0_4arch9wavefront6targetE1EEEvSL_.has_dyn_sized_stack, 0
	.set _ZN7rocprim17ROCPRIM_400000_NS6detail17trampoline_kernelINS0_14default_configENS1_38merge_sort_block_merge_config_selectorIiNS0_10empty_typeEEEZZNS1_27merge_sort_block_merge_implIS3_N6thrust23THRUST_200600_302600_NS6detail15normal_iteratorINS9_10device_ptrIiEEEEPS5_jNS1_19radix_merge_compareILb0ELb1EiNS0_19identity_decomposerEEEEE10hipError_tT0_T1_T2_jT3_P12ihipStream_tbPNSt15iterator_traitsISK_E10value_typeEPNSQ_ISL_E10value_typeEPSM_NS1_7vsmem_tEENKUlT_SK_SL_SM_E_clISE_PiSF_SF_EESJ_SZ_SK_SL_SM_EUlSZ_E0_NS1_11comp_targetILNS1_3genE0ELNS1_11target_archE4294967295ELNS1_3gpuE0ELNS1_3repE0EEENS1_38merge_mergepath_config_static_selectorELNS0_4arch9wavefront6targetE1EEEvSL_.has_recursion, 0
	.set _ZN7rocprim17ROCPRIM_400000_NS6detail17trampoline_kernelINS0_14default_configENS1_38merge_sort_block_merge_config_selectorIiNS0_10empty_typeEEEZZNS1_27merge_sort_block_merge_implIS3_N6thrust23THRUST_200600_302600_NS6detail15normal_iteratorINS9_10device_ptrIiEEEEPS5_jNS1_19radix_merge_compareILb0ELb1EiNS0_19identity_decomposerEEEEE10hipError_tT0_T1_T2_jT3_P12ihipStream_tbPNSt15iterator_traitsISK_E10value_typeEPNSQ_ISL_E10value_typeEPSM_NS1_7vsmem_tEENKUlT_SK_SL_SM_E_clISE_PiSF_SF_EESJ_SZ_SK_SL_SM_EUlSZ_E0_NS1_11comp_targetILNS1_3genE0ELNS1_11target_archE4294967295ELNS1_3gpuE0ELNS1_3repE0EEENS1_38merge_mergepath_config_static_selectorELNS0_4arch9wavefront6targetE1EEEvSL_.has_indirect_call, 0
	.section	.AMDGPU.csdata,"",@progbits
; Kernel info:
; codeLenInByte = 3288
; TotalNumSgprs: 31
; NumVgprs: 26
; NumAgprs: 0
; TotalNumVgprs: 26
; ScratchSize: 0
; MemoryBound: 0
; FloatMode: 240
; IeeeMode: 1
; LDSByteSize: 4224 bytes/workgroup (compile time only)
; SGPRBlocks: 3
; VGPRBlocks: 3
; NumSGPRsForWavesPerEU: 31
; NumVGPRsForWavesPerEU: 26
; AccumOffset: 28
; Occupancy: 8
; WaveLimiterHint : 1
; COMPUTE_PGM_RSRC2:SCRATCH_EN: 0
; COMPUTE_PGM_RSRC2:USER_SGPR: 2
; COMPUTE_PGM_RSRC2:TRAP_HANDLER: 0
; COMPUTE_PGM_RSRC2:TGID_X_EN: 1
; COMPUTE_PGM_RSRC2:TGID_Y_EN: 1
; COMPUTE_PGM_RSRC2:TGID_Z_EN: 1
; COMPUTE_PGM_RSRC2:TIDIG_COMP_CNT: 0
; COMPUTE_PGM_RSRC3_GFX90A:ACCUM_OFFSET: 6
; COMPUTE_PGM_RSRC3_GFX90A:TG_SPLIT: 0
	.section	.text._ZN7rocprim17ROCPRIM_400000_NS6detail17trampoline_kernelINS0_14default_configENS1_38merge_sort_block_merge_config_selectorIiNS0_10empty_typeEEEZZNS1_27merge_sort_block_merge_implIS3_N6thrust23THRUST_200600_302600_NS6detail15normal_iteratorINS9_10device_ptrIiEEEEPS5_jNS1_19radix_merge_compareILb0ELb1EiNS0_19identity_decomposerEEEEE10hipError_tT0_T1_T2_jT3_P12ihipStream_tbPNSt15iterator_traitsISK_E10value_typeEPNSQ_ISL_E10value_typeEPSM_NS1_7vsmem_tEENKUlT_SK_SL_SM_E_clISE_PiSF_SF_EESJ_SZ_SK_SL_SM_EUlSZ_E0_NS1_11comp_targetILNS1_3genE10ELNS1_11target_archE1201ELNS1_3gpuE5ELNS1_3repE0EEENS1_38merge_mergepath_config_static_selectorELNS0_4arch9wavefront6targetE1EEEvSL_,"axG",@progbits,_ZN7rocprim17ROCPRIM_400000_NS6detail17trampoline_kernelINS0_14default_configENS1_38merge_sort_block_merge_config_selectorIiNS0_10empty_typeEEEZZNS1_27merge_sort_block_merge_implIS3_N6thrust23THRUST_200600_302600_NS6detail15normal_iteratorINS9_10device_ptrIiEEEEPS5_jNS1_19radix_merge_compareILb0ELb1EiNS0_19identity_decomposerEEEEE10hipError_tT0_T1_T2_jT3_P12ihipStream_tbPNSt15iterator_traitsISK_E10value_typeEPNSQ_ISL_E10value_typeEPSM_NS1_7vsmem_tEENKUlT_SK_SL_SM_E_clISE_PiSF_SF_EESJ_SZ_SK_SL_SM_EUlSZ_E0_NS1_11comp_targetILNS1_3genE10ELNS1_11target_archE1201ELNS1_3gpuE5ELNS1_3repE0EEENS1_38merge_mergepath_config_static_selectorELNS0_4arch9wavefront6targetE1EEEvSL_,comdat
	.protected	_ZN7rocprim17ROCPRIM_400000_NS6detail17trampoline_kernelINS0_14default_configENS1_38merge_sort_block_merge_config_selectorIiNS0_10empty_typeEEEZZNS1_27merge_sort_block_merge_implIS3_N6thrust23THRUST_200600_302600_NS6detail15normal_iteratorINS9_10device_ptrIiEEEEPS5_jNS1_19radix_merge_compareILb0ELb1EiNS0_19identity_decomposerEEEEE10hipError_tT0_T1_T2_jT3_P12ihipStream_tbPNSt15iterator_traitsISK_E10value_typeEPNSQ_ISL_E10value_typeEPSM_NS1_7vsmem_tEENKUlT_SK_SL_SM_E_clISE_PiSF_SF_EESJ_SZ_SK_SL_SM_EUlSZ_E0_NS1_11comp_targetILNS1_3genE10ELNS1_11target_archE1201ELNS1_3gpuE5ELNS1_3repE0EEENS1_38merge_mergepath_config_static_selectorELNS0_4arch9wavefront6targetE1EEEvSL_ ; -- Begin function _ZN7rocprim17ROCPRIM_400000_NS6detail17trampoline_kernelINS0_14default_configENS1_38merge_sort_block_merge_config_selectorIiNS0_10empty_typeEEEZZNS1_27merge_sort_block_merge_implIS3_N6thrust23THRUST_200600_302600_NS6detail15normal_iteratorINS9_10device_ptrIiEEEEPS5_jNS1_19radix_merge_compareILb0ELb1EiNS0_19identity_decomposerEEEEE10hipError_tT0_T1_T2_jT3_P12ihipStream_tbPNSt15iterator_traitsISK_E10value_typeEPNSQ_ISL_E10value_typeEPSM_NS1_7vsmem_tEENKUlT_SK_SL_SM_E_clISE_PiSF_SF_EESJ_SZ_SK_SL_SM_EUlSZ_E0_NS1_11comp_targetILNS1_3genE10ELNS1_11target_archE1201ELNS1_3gpuE5ELNS1_3repE0EEENS1_38merge_mergepath_config_static_selectorELNS0_4arch9wavefront6targetE1EEEvSL_
	.globl	_ZN7rocprim17ROCPRIM_400000_NS6detail17trampoline_kernelINS0_14default_configENS1_38merge_sort_block_merge_config_selectorIiNS0_10empty_typeEEEZZNS1_27merge_sort_block_merge_implIS3_N6thrust23THRUST_200600_302600_NS6detail15normal_iteratorINS9_10device_ptrIiEEEEPS5_jNS1_19radix_merge_compareILb0ELb1EiNS0_19identity_decomposerEEEEE10hipError_tT0_T1_T2_jT3_P12ihipStream_tbPNSt15iterator_traitsISK_E10value_typeEPNSQ_ISL_E10value_typeEPSM_NS1_7vsmem_tEENKUlT_SK_SL_SM_E_clISE_PiSF_SF_EESJ_SZ_SK_SL_SM_EUlSZ_E0_NS1_11comp_targetILNS1_3genE10ELNS1_11target_archE1201ELNS1_3gpuE5ELNS1_3repE0EEENS1_38merge_mergepath_config_static_selectorELNS0_4arch9wavefront6targetE1EEEvSL_
	.p2align	8
	.type	_ZN7rocprim17ROCPRIM_400000_NS6detail17trampoline_kernelINS0_14default_configENS1_38merge_sort_block_merge_config_selectorIiNS0_10empty_typeEEEZZNS1_27merge_sort_block_merge_implIS3_N6thrust23THRUST_200600_302600_NS6detail15normal_iteratorINS9_10device_ptrIiEEEEPS5_jNS1_19radix_merge_compareILb0ELb1EiNS0_19identity_decomposerEEEEE10hipError_tT0_T1_T2_jT3_P12ihipStream_tbPNSt15iterator_traitsISK_E10value_typeEPNSQ_ISL_E10value_typeEPSM_NS1_7vsmem_tEENKUlT_SK_SL_SM_E_clISE_PiSF_SF_EESJ_SZ_SK_SL_SM_EUlSZ_E0_NS1_11comp_targetILNS1_3genE10ELNS1_11target_archE1201ELNS1_3gpuE5ELNS1_3repE0EEENS1_38merge_mergepath_config_static_selectorELNS0_4arch9wavefront6targetE1EEEvSL_,@function
_ZN7rocprim17ROCPRIM_400000_NS6detail17trampoline_kernelINS0_14default_configENS1_38merge_sort_block_merge_config_selectorIiNS0_10empty_typeEEEZZNS1_27merge_sort_block_merge_implIS3_N6thrust23THRUST_200600_302600_NS6detail15normal_iteratorINS9_10device_ptrIiEEEEPS5_jNS1_19radix_merge_compareILb0ELb1EiNS0_19identity_decomposerEEEEE10hipError_tT0_T1_T2_jT3_P12ihipStream_tbPNSt15iterator_traitsISK_E10value_typeEPNSQ_ISL_E10value_typeEPSM_NS1_7vsmem_tEENKUlT_SK_SL_SM_E_clISE_PiSF_SF_EESJ_SZ_SK_SL_SM_EUlSZ_E0_NS1_11comp_targetILNS1_3genE10ELNS1_11target_archE1201ELNS1_3gpuE5ELNS1_3repE0EEENS1_38merge_mergepath_config_static_selectorELNS0_4arch9wavefront6targetE1EEEvSL_: ; @_ZN7rocprim17ROCPRIM_400000_NS6detail17trampoline_kernelINS0_14default_configENS1_38merge_sort_block_merge_config_selectorIiNS0_10empty_typeEEEZZNS1_27merge_sort_block_merge_implIS3_N6thrust23THRUST_200600_302600_NS6detail15normal_iteratorINS9_10device_ptrIiEEEEPS5_jNS1_19radix_merge_compareILb0ELb1EiNS0_19identity_decomposerEEEEE10hipError_tT0_T1_T2_jT3_P12ihipStream_tbPNSt15iterator_traitsISK_E10value_typeEPNSQ_ISL_E10value_typeEPSM_NS1_7vsmem_tEENKUlT_SK_SL_SM_E_clISE_PiSF_SF_EESJ_SZ_SK_SL_SM_EUlSZ_E0_NS1_11comp_targetILNS1_3genE10ELNS1_11target_archE1201ELNS1_3gpuE5ELNS1_3repE0EEENS1_38merge_mergepath_config_static_selectorELNS0_4arch9wavefront6targetE1EEEvSL_
; %bb.0:
	.section	.rodata,"a",@progbits
	.p2align	6, 0x0
	.amdhsa_kernel _ZN7rocprim17ROCPRIM_400000_NS6detail17trampoline_kernelINS0_14default_configENS1_38merge_sort_block_merge_config_selectorIiNS0_10empty_typeEEEZZNS1_27merge_sort_block_merge_implIS3_N6thrust23THRUST_200600_302600_NS6detail15normal_iteratorINS9_10device_ptrIiEEEEPS5_jNS1_19radix_merge_compareILb0ELb1EiNS0_19identity_decomposerEEEEE10hipError_tT0_T1_T2_jT3_P12ihipStream_tbPNSt15iterator_traitsISK_E10value_typeEPNSQ_ISL_E10value_typeEPSM_NS1_7vsmem_tEENKUlT_SK_SL_SM_E_clISE_PiSF_SF_EESJ_SZ_SK_SL_SM_EUlSZ_E0_NS1_11comp_targetILNS1_3genE10ELNS1_11target_archE1201ELNS1_3gpuE5ELNS1_3repE0EEENS1_38merge_mergepath_config_static_selectorELNS0_4arch9wavefront6targetE1EEEvSL_
		.amdhsa_group_segment_fixed_size 0
		.amdhsa_private_segment_fixed_size 0
		.amdhsa_kernarg_size 64
		.amdhsa_user_sgpr_count 2
		.amdhsa_user_sgpr_dispatch_ptr 0
		.amdhsa_user_sgpr_queue_ptr 0
		.amdhsa_user_sgpr_kernarg_segment_ptr 1
		.amdhsa_user_sgpr_dispatch_id 0
		.amdhsa_user_sgpr_kernarg_preload_length 0
		.amdhsa_user_sgpr_kernarg_preload_offset 0
		.amdhsa_user_sgpr_private_segment_size 0
		.amdhsa_uses_dynamic_stack 0
		.amdhsa_enable_private_segment 0
		.amdhsa_system_sgpr_workgroup_id_x 1
		.amdhsa_system_sgpr_workgroup_id_y 0
		.amdhsa_system_sgpr_workgroup_id_z 0
		.amdhsa_system_sgpr_workgroup_info 0
		.amdhsa_system_vgpr_workitem_id 0
		.amdhsa_next_free_vgpr 1
		.amdhsa_next_free_sgpr 0
		.amdhsa_accum_offset 4
		.amdhsa_reserve_vcc 0
		.amdhsa_float_round_mode_32 0
		.amdhsa_float_round_mode_16_64 0
		.amdhsa_float_denorm_mode_32 3
		.amdhsa_float_denorm_mode_16_64 3
		.amdhsa_dx10_clamp 1
		.amdhsa_ieee_mode 1
		.amdhsa_fp16_overflow 0
		.amdhsa_tg_split 0
		.amdhsa_exception_fp_ieee_invalid_op 0
		.amdhsa_exception_fp_denorm_src 0
		.amdhsa_exception_fp_ieee_div_zero 0
		.amdhsa_exception_fp_ieee_overflow 0
		.amdhsa_exception_fp_ieee_underflow 0
		.amdhsa_exception_fp_ieee_inexact 0
		.amdhsa_exception_int_div_zero 0
	.end_amdhsa_kernel
	.section	.text._ZN7rocprim17ROCPRIM_400000_NS6detail17trampoline_kernelINS0_14default_configENS1_38merge_sort_block_merge_config_selectorIiNS0_10empty_typeEEEZZNS1_27merge_sort_block_merge_implIS3_N6thrust23THRUST_200600_302600_NS6detail15normal_iteratorINS9_10device_ptrIiEEEEPS5_jNS1_19radix_merge_compareILb0ELb1EiNS0_19identity_decomposerEEEEE10hipError_tT0_T1_T2_jT3_P12ihipStream_tbPNSt15iterator_traitsISK_E10value_typeEPNSQ_ISL_E10value_typeEPSM_NS1_7vsmem_tEENKUlT_SK_SL_SM_E_clISE_PiSF_SF_EESJ_SZ_SK_SL_SM_EUlSZ_E0_NS1_11comp_targetILNS1_3genE10ELNS1_11target_archE1201ELNS1_3gpuE5ELNS1_3repE0EEENS1_38merge_mergepath_config_static_selectorELNS0_4arch9wavefront6targetE1EEEvSL_,"axG",@progbits,_ZN7rocprim17ROCPRIM_400000_NS6detail17trampoline_kernelINS0_14default_configENS1_38merge_sort_block_merge_config_selectorIiNS0_10empty_typeEEEZZNS1_27merge_sort_block_merge_implIS3_N6thrust23THRUST_200600_302600_NS6detail15normal_iteratorINS9_10device_ptrIiEEEEPS5_jNS1_19radix_merge_compareILb0ELb1EiNS0_19identity_decomposerEEEEE10hipError_tT0_T1_T2_jT3_P12ihipStream_tbPNSt15iterator_traitsISK_E10value_typeEPNSQ_ISL_E10value_typeEPSM_NS1_7vsmem_tEENKUlT_SK_SL_SM_E_clISE_PiSF_SF_EESJ_SZ_SK_SL_SM_EUlSZ_E0_NS1_11comp_targetILNS1_3genE10ELNS1_11target_archE1201ELNS1_3gpuE5ELNS1_3repE0EEENS1_38merge_mergepath_config_static_selectorELNS0_4arch9wavefront6targetE1EEEvSL_,comdat
.Lfunc_end117:
	.size	_ZN7rocprim17ROCPRIM_400000_NS6detail17trampoline_kernelINS0_14default_configENS1_38merge_sort_block_merge_config_selectorIiNS0_10empty_typeEEEZZNS1_27merge_sort_block_merge_implIS3_N6thrust23THRUST_200600_302600_NS6detail15normal_iteratorINS9_10device_ptrIiEEEEPS5_jNS1_19radix_merge_compareILb0ELb1EiNS0_19identity_decomposerEEEEE10hipError_tT0_T1_T2_jT3_P12ihipStream_tbPNSt15iterator_traitsISK_E10value_typeEPNSQ_ISL_E10value_typeEPSM_NS1_7vsmem_tEENKUlT_SK_SL_SM_E_clISE_PiSF_SF_EESJ_SZ_SK_SL_SM_EUlSZ_E0_NS1_11comp_targetILNS1_3genE10ELNS1_11target_archE1201ELNS1_3gpuE5ELNS1_3repE0EEENS1_38merge_mergepath_config_static_selectorELNS0_4arch9wavefront6targetE1EEEvSL_, .Lfunc_end117-_ZN7rocprim17ROCPRIM_400000_NS6detail17trampoline_kernelINS0_14default_configENS1_38merge_sort_block_merge_config_selectorIiNS0_10empty_typeEEEZZNS1_27merge_sort_block_merge_implIS3_N6thrust23THRUST_200600_302600_NS6detail15normal_iteratorINS9_10device_ptrIiEEEEPS5_jNS1_19radix_merge_compareILb0ELb1EiNS0_19identity_decomposerEEEEE10hipError_tT0_T1_T2_jT3_P12ihipStream_tbPNSt15iterator_traitsISK_E10value_typeEPNSQ_ISL_E10value_typeEPSM_NS1_7vsmem_tEENKUlT_SK_SL_SM_E_clISE_PiSF_SF_EESJ_SZ_SK_SL_SM_EUlSZ_E0_NS1_11comp_targetILNS1_3genE10ELNS1_11target_archE1201ELNS1_3gpuE5ELNS1_3repE0EEENS1_38merge_mergepath_config_static_selectorELNS0_4arch9wavefront6targetE1EEEvSL_
                                        ; -- End function
	.set _ZN7rocprim17ROCPRIM_400000_NS6detail17trampoline_kernelINS0_14default_configENS1_38merge_sort_block_merge_config_selectorIiNS0_10empty_typeEEEZZNS1_27merge_sort_block_merge_implIS3_N6thrust23THRUST_200600_302600_NS6detail15normal_iteratorINS9_10device_ptrIiEEEEPS5_jNS1_19radix_merge_compareILb0ELb1EiNS0_19identity_decomposerEEEEE10hipError_tT0_T1_T2_jT3_P12ihipStream_tbPNSt15iterator_traitsISK_E10value_typeEPNSQ_ISL_E10value_typeEPSM_NS1_7vsmem_tEENKUlT_SK_SL_SM_E_clISE_PiSF_SF_EESJ_SZ_SK_SL_SM_EUlSZ_E0_NS1_11comp_targetILNS1_3genE10ELNS1_11target_archE1201ELNS1_3gpuE5ELNS1_3repE0EEENS1_38merge_mergepath_config_static_selectorELNS0_4arch9wavefront6targetE1EEEvSL_.num_vgpr, 0
	.set _ZN7rocprim17ROCPRIM_400000_NS6detail17trampoline_kernelINS0_14default_configENS1_38merge_sort_block_merge_config_selectorIiNS0_10empty_typeEEEZZNS1_27merge_sort_block_merge_implIS3_N6thrust23THRUST_200600_302600_NS6detail15normal_iteratorINS9_10device_ptrIiEEEEPS5_jNS1_19radix_merge_compareILb0ELb1EiNS0_19identity_decomposerEEEEE10hipError_tT0_T1_T2_jT3_P12ihipStream_tbPNSt15iterator_traitsISK_E10value_typeEPNSQ_ISL_E10value_typeEPSM_NS1_7vsmem_tEENKUlT_SK_SL_SM_E_clISE_PiSF_SF_EESJ_SZ_SK_SL_SM_EUlSZ_E0_NS1_11comp_targetILNS1_3genE10ELNS1_11target_archE1201ELNS1_3gpuE5ELNS1_3repE0EEENS1_38merge_mergepath_config_static_selectorELNS0_4arch9wavefront6targetE1EEEvSL_.num_agpr, 0
	.set _ZN7rocprim17ROCPRIM_400000_NS6detail17trampoline_kernelINS0_14default_configENS1_38merge_sort_block_merge_config_selectorIiNS0_10empty_typeEEEZZNS1_27merge_sort_block_merge_implIS3_N6thrust23THRUST_200600_302600_NS6detail15normal_iteratorINS9_10device_ptrIiEEEEPS5_jNS1_19radix_merge_compareILb0ELb1EiNS0_19identity_decomposerEEEEE10hipError_tT0_T1_T2_jT3_P12ihipStream_tbPNSt15iterator_traitsISK_E10value_typeEPNSQ_ISL_E10value_typeEPSM_NS1_7vsmem_tEENKUlT_SK_SL_SM_E_clISE_PiSF_SF_EESJ_SZ_SK_SL_SM_EUlSZ_E0_NS1_11comp_targetILNS1_3genE10ELNS1_11target_archE1201ELNS1_3gpuE5ELNS1_3repE0EEENS1_38merge_mergepath_config_static_selectorELNS0_4arch9wavefront6targetE1EEEvSL_.numbered_sgpr, 0
	.set _ZN7rocprim17ROCPRIM_400000_NS6detail17trampoline_kernelINS0_14default_configENS1_38merge_sort_block_merge_config_selectorIiNS0_10empty_typeEEEZZNS1_27merge_sort_block_merge_implIS3_N6thrust23THRUST_200600_302600_NS6detail15normal_iteratorINS9_10device_ptrIiEEEEPS5_jNS1_19radix_merge_compareILb0ELb1EiNS0_19identity_decomposerEEEEE10hipError_tT0_T1_T2_jT3_P12ihipStream_tbPNSt15iterator_traitsISK_E10value_typeEPNSQ_ISL_E10value_typeEPSM_NS1_7vsmem_tEENKUlT_SK_SL_SM_E_clISE_PiSF_SF_EESJ_SZ_SK_SL_SM_EUlSZ_E0_NS1_11comp_targetILNS1_3genE10ELNS1_11target_archE1201ELNS1_3gpuE5ELNS1_3repE0EEENS1_38merge_mergepath_config_static_selectorELNS0_4arch9wavefront6targetE1EEEvSL_.num_named_barrier, 0
	.set _ZN7rocprim17ROCPRIM_400000_NS6detail17trampoline_kernelINS0_14default_configENS1_38merge_sort_block_merge_config_selectorIiNS0_10empty_typeEEEZZNS1_27merge_sort_block_merge_implIS3_N6thrust23THRUST_200600_302600_NS6detail15normal_iteratorINS9_10device_ptrIiEEEEPS5_jNS1_19radix_merge_compareILb0ELb1EiNS0_19identity_decomposerEEEEE10hipError_tT0_T1_T2_jT3_P12ihipStream_tbPNSt15iterator_traitsISK_E10value_typeEPNSQ_ISL_E10value_typeEPSM_NS1_7vsmem_tEENKUlT_SK_SL_SM_E_clISE_PiSF_SF_EESJ_SZ_SK_SL_SM_EUlSZ_E0_NS1_11comp_targetILNS1_3genE10ELNS1_11target_archE1201ELNS1_3gpuE5ELNS1_3repE0EEENS1_38merge_mergepath_config_static_selectorELNS0_4arch9wavefront6targetE1EEEvSL_.private_seg_size, 0
	.set _ZN7rocprim17ROCPRIM_400000_NS6detail17trampoline_kernelINS0_14default_configENS1_38merge_sort_block_merge_config_selectorIiNS0_10empty_typeEEEZZNS1_27merge_sort_block_merge_implIS3_N6thrust23THRUST_200600_302600_NS6detail15normal_iteratorINS9_10device_ptrIiEEEEPS5_jNS1_19radix_merge_compareILb0ELb1EiNS0_19identity_decomposerEEEEE10hipError_tT0_T1_T2_jT3_P12ihipStream_tbPNSt15iterator_traitsISK_E10value_typeEPNSQ_ISL_E10value_typeEPSM_NS1_7vsmem_tEENKUlT_SK_SL_SM_E_clISE_PiSF_SF_EESJ_SZ_SK_SL_SM_EUlSZ_E0_NS1_11comp_targetILNS1_3genE10ELNS1_11target_archE1201ELNS1_3gpuE5ELNS1_3repE0EEENS1_38merge_mergepath_config_static_selectorELNS0_4arch9wavefront6targetE1EEEvSL_.uses_vcc, 0
	.set _ZN7rocprim17ROCPRIM_400000_NS6detail17trampoline_kernelINS0_14default_configENS1_38merge_sort_block_merge_config_selectorIiNS0_10empty_typeEEEZZNS1_27merge_sort_block_merge_implIS3_N6thrust23THRUST_200600_302600_NS6detail15normal_iteratorINS9_10device_ptrIiEEEEPS5_jNS1_19radix_merge_compareILb0ELb1EiNS0_19identity_decomposerEEEEE10hipError_tT0_T1_T2_jT3_P12ihipStream_tbPNSt15iterator_traitsISK_E10value_typeEPNSQ_ISL_E10value_typeEPSM_NS1_7vsmem_tEENKUlT_SK_SL_SM_E_clISE_PiSF_SF_EESJ_SZ_SK_SL_SM_EUlSZ_E0_NS1_11comp_targetILNS1_3genE10ELNS1_11target_archE1201ELNS1_3gpuE5ELNS1_3repE0EEENS1_38merge_mergepath_config_static_selectorELNS0_4arch9wavefront6targetE1EEEvSL_.uses_flat_scratch, 0
	.set _ZN7rocprim17ROCPRIM_400000_NS6detail17trampoline_kernelINS0_14default_configENS1_38merge_sort_block_merge_config_selectorIiNS0_10empty_typeEEEZZNS1_27merge_sort_block_merge_implIS3_N6thrust23THRUST_200600_302600_NS6detail15normal_iteratorINS9_10device_ptrIiEEEEPS5_jNS1_19radix_merge_compareILb0ELb1EiNS0_19identity_decomposerEEEEE10hipError_tT0_T1_T2_jT3_P12ihipStream_tbPNSt15iterator_traitsISK_E10value_typeEPNSQ_ISL_E10value_typeEPSM_NS1_7vsmem_tEENKUlT_SK_SL_SM_E_clISE_PiSF_SF_EESJ_SZ_SK_SL_SM_EUlSZ_E0_NS1_11comp_targetILNS1_3genE10ELNS1_11target_archE1201ELNS1_3gpuE5ELNS1_3repE0EEENS1_38merge_mergepath_config_static_selectorELNS0_4arch9wavefront6targetE1EEEvSL_.has_dyn_sized_stack, 0
	.set _ZN7rocprim17ROCPRIM_400000_NS6detail17trampoline_kernelINS0_14default_configENS1_38merge_sort_block_merge_config_selectorIiNS0_10empty_typeEEEZZNS1_27merge_sort_block_merge_implIS3_N6thrust23THRUST_200600_302600_NS6detail15normal_iteratorINS9_10device_ptrIiEEEEPS5_jNS1_19radix_merge_compareILb0ELb1EiNS0_19identity_decomposerEEEEE10hipError_tT0_T1_T2_jT3_P12ihipStream_tbPNSt15iterator_traitsISK_E10value_typeEPNSQ_ISL_E10value_typeEPSM_NS1_7vsmem_tEENKUlT_SK_SL_SM_E_clISE_PiSF_SF_EESJ_SZ_SK_SL_SM_EUlSZ_E0_NS1_11comp_targetILNS1_3genE10ELNS1_11target_archE1201ELNS1_3gpuE5ELNS1_3repE0EEENS1_38merge_mergepath_config_static_selectorELNS0_4arch9wavefront6targetE1EEEvSL_.has_recursion, 0
	.set _ZN7rocprim17ROCPRIM_400000_NS6detail17trampoline_kernelINS0_14default_configENS1_38merge_sort_block_merge_config_selectorIiNS0_10empty_typeEEEZZNS1_27merge_sort_block_merge_implIS3_N6thrust23THRUST_200600_302600_NS6detail15normal_iteratorINS9_10device_ptrIiEEEEPS5_jNS1_19radix_merge_compareILb0ELb1EiNS0_19identity_decomposerEEEEE10hipError_tT0_T1_T2_jT3_P12ihipStream_tbPNSt15iterator_traitsISK_E10value_typeEPNSQ_ISL_E10value_typeEPSM_NS1_7vsmem_tEENKUlT_SK_SL_SM_E_clISE_PiSF_SF_EESJ_SZ_SK_SL_SM_EUlSZ_E0_NS1_11comp_targetILNS1_3genE10ELNS1_11target_archE1201ELNS1_3gpuE5ELNS1_3repE0EEENS1_38merge_mergepath_config_static_selectorELNS0_4arch9wavefront6targetE1EEEvSL_.has_indirect_call, 0
	.section	.AMDGPU.csdata,"",@progbits
; Kernel info:
; codeLenInByte = 0
; TotalNumSgprs: 6
; NumVgprs: 0
; NumAgprs: 0
; TotalNumVgprs: 0
; ScratchSize: 0
; MemoryBound: 0
; FloatMode: 240
; IeeeMode: 1
; LDSByteSize: 0 bytes/workgroup (compile time only)
; SGPRBlocks: 0
; VGPRBlocks: 0
; NumSGPRsForWavesPerEU: 6
; NumVGPRsForWavesPerEU: 1
; AccumOffset: 4
; Occupancy: 8
; WaveLimiterHint : 0
; COMPUTE_PGM_RSRC2:SCRATCH_EN: 0
; COMPUTE_PGM_RSRC2:USER_SGPR: 2
; COMPUTE_PGM_RSRC2:TRAP_HANDLER: 0
; COMPUTE_PGM_RSRC2:TGID_X_EN: 1
; COMPUTE_PGM_RSRC2:TGID_Y_EN: 0
; COMPUTE_PGM_RSRC2:TGID_Z_EN: 0
; COMPUTE_PGM_RSRC2:TIDIG_COMP_CNT: 0
; COMPUTE_PGM_RSRC3_GFX90A:ACCUM_OFFSET: 0
; COMPUTE_PGM_RSRC3_GFX90A:TG_SPLIT: 0
	.section	.text._ZN7rocprim17ROCPRIM_400000_NS6detail17trampoline_kernelINS0_14default_configENS1_38merge_sort_block_merge_config_selectorIiNS0_10empty_typeEEEZZNS1_27merge_sort_block_merge_implIS3_N6thrust23THRUST_200600_302600_NS6detail15normal_iteratorINS9_10device_ptrIiEEEEPS5_jNS1_19radix_merge_compareILb0ELb1EiNS0_19identity_decomposerEEEEE10hipError_tT0_T1_T2_jT3_P12ihipStream_tbPNSt15iterator_traitsISK_E10value_typeEPNSQ_ISL_E10value_typeEPSM_NS1_7vsmem_tEENKUlT_SK_SL_SM_E_clISE_PiSF_SF_EESJ_SZ_SK_SL_SM_EUlSZ_E0_NS1_11comp_targetILNS1_3genE5ELNS1_11target_archE942ELNS1_3gpuE9ELNS1_3repE0EEENS1_38merge_mergepath_config_static_selectorELNS0_4arch9wavefront6targetE1EEEvSL_,"axG",@progbits,_ZN7rocprim17ROCPRIM_400000_NS6detail17trampoline_kernelINS0_14default_configENS1_38merge_sort_block_merge_config_selectorIiNS0_10empty_typeEEEZZNS1_27merge_sort_block_merge_implIS3_N6thrust23THRUST_200600_302600_NS6detail15normal_iteratorINS9_10device_ptrIiEEEEPS5_jNS1_19radix_merge_compareILb0ELb1EiNS0_19identity_decomposerEEEEE10hipError_tT0_T1_T2_jT3_P12ihipStream_tbPNSt15iterator_traitsISK_E10value_typeEPNSQ_ISL_E10value_typeEPSM_NS1_7vsmem_tEENKUlT_SK_SL_SM_E_clISE_PiSF_SF_EESJ_SZ_SK_SL_SM_EUlSZ_E0_NS1_11comp_targetILNS1_3genE5ELNS1_11target_archE942ELNS1_3gpuE9ELNS1_3repE0EEENS1_38merge_mergepath_config_static_selectorELNS0_4arch9wavefront6targetE1EEEvSL_,comdat
	.protected	_ZN7rocprim17ROCPRIM_400000_NS6detail17trampoline_kernelINS0_14default_configENS1_38merge_sort_block_merge_config_selectorIiNS0_10empty_typeEEEZZNS1_27merge_sort_block_merge_implIS3_N6thrust23THRUST_200600_302600_NS6detail15normal_iteratorINS9_10device_ptrIiEEEEPS5_jNS1_19radix_merge_compareILb0ELb1EiNS0_19identity_decomposerEEEEE10hipError_tT0_T1_T2_jT3_P12ihipStream_tbPNSt15iterator_traitsISK_E10value_typeEPNSQ_ISL_E10value_typeEPSM_NS1_7vsmem_tEENKUlT_SK_SL_SM_E_clISE_PiSF_SF_EESJ_SZ_SK_SL_SM_EUlSZ_E0_NS1_11comp_targetILNS1_3genE5ELNS1_11target_archE942ELNS1_3gpuE9ELNS1_3repE0EEENS1_38merge_mergepath_config_static_selectorELNS0_4arch9wavefront6targetE1EEEvSL_ ; -- Begin function _ZN7rocprim17ROCPRIM_400000_NS6detail17trampoline_kernelINS0_14default_configENS1_38merge_sort_block_merge_config_selectorIiNS0_10empty_typeEEEZZNS1_27merge_sort_block_merge_implIS3_N6thrust23THRUST_200600_302600_NS6detail15normal_iteratorINS9_10device_ptrIiEEEEPS5_jNS1_19radix_merge_compareILb0ELb1EiNS0_19identity_decomposerEEEEE10hipError_tT0_T1_T2_jT3_P12ihipStream_tbPNSt15iterator_traitsISK_E10value_typeEPNSQ_ISL_E10value_typeEPSM_NS1_7vsmem_tEENKUlT_SK_SL_SM_E_clISE_PiSF_SF_EESJ_SZ_SK_SL_SM_EUlSZ_E0_NS1_11comp_targetILNS1_3genE5ELNS1_11target_archE942ELNS1_3gpuE9ELNS1_3repE0EEENS1_38merge_mergepath_config_static_selectorELNS0_4arch9wavefront6targetE1EEEvSL_
	.globl	_ZN7rocprim17ROCPRIM_400000_NS6detail17trampoline_kernelINS0_14default_configENS1_38merge_sort_block_merge_config_selectorIiNS0_10empty_typeEEEZZNS1_27merge_sort_block_merge_implIS3_N6thrust23THRUST_200600_302600_NS6detail15normal_iteratorINS9_10device_ptrIiEEEEPS5_jNS1_19radix_merge_compareILb0ELb1EiNS0_19identity_decomposerEEEEE10hipError_tT0_T1_T2_jT3_P12ihipStream_tbPNSt15iterator_traitsISK_E10value_typeEPNSQ_ISL_E10value_typeEPSM_NS1_7vsmem_tEENKUlT_SK_SL_SM_E_clISE_PiSF_SF_EESJ_SZ_SK_SL_SM_EUlSZ_E0_NS1_11comp_targetILNS1_3genE5ELNS1_11target_archE942ELNS1_3gpuE9ELNS1_3repE0EEENS1_38merge_mergepath_config_static_selectorELNS0_4arch9wavefront6targetE1EEEvSL_
	.p2align	8
	.type	_ZN7rocprim17ROCPRIM_400000_NS6detail17trampoline_kernelINS0_14default_configENS1_38merge_sort_block_merge_config_selectorIiNS0_10empty_typeEEEZZNS1_27merge_sort_block_merge_implIS3_N6thrust23THRUST_200600_302600_NS6detail15normal_iteratorINS9_10device_ptrIiEEEEPS5_jNS1_19radix_merge_compareILb0ELb1EiNS0_19identity_decomposerEEEEE10hipError_tT0_T1_T2_jT3_P12ihipStream_tbPNSt15iterator_traitsISK_E10value_typeEPNSQ_ISL_E10value_typeEPSM_NS1_7vsmem_tEENKUlT_SK_SL_SM_E_clISE_PiSF_SF_EESJ_SZ_SK_SL_SM_EUlSZ_E0_NS1_11comp_targetILNS1_3genE5ELNS1_11target_archE942ELNS1_3gpuE9ELNS1_3repE0EEENS1_38merge_mergepath_config_static_selectorELNS0_4arch9wavefront6targetE1EEEvSL_,@function
_ZN7rocprim17ROCPRIM_400000_NS6detail17trampoline_kernelINS0_14default_configENS1_38merge_sort_block_merge_config_selectorIiNS0_10empty_typeEEEZZNS1_27merge_sort_block_merge_implIS3_N6thrust23THRUST_200600_302600_NS6detail15normal_iteratorINS9_10device_ptrIiEEEEPS5_jNS1_19radix_merge_compareILb0ELb1EiNS0_19identity_decomposerEEEEE10hipError_tT0_T1_T2_jT3_P12ihipStream_tbPNSt15iterator_traitsISK_E10value_typeEPNSQ_ISL_E10value_typeEPSM_NS1_7vsmem_tEENKUlT_SK_SL_SM_E_clISE_PiSF_SF_EESJ_SZ_SK_SL_SM_EUlSZ_E0_NS1_11comp_targetILNS1_3genE5ELNS1_11target_archE942ELNS1_3gpuE9ELNS1_3repE0EEENS1_38merge_mergepath_config_static_selectorELNS0_4arch9wavefront6targetE1EEEvSL_: ; @_ZN7rocprim17ROCPRIM_400000_NS6detail17trampoline_kernelINS0_14default_configENS1_38merge_sort_block_merge_config_selectorIiNS0_10empty_typeEEEZZNS1_27merge_sort_block_merge_implIS3_N6thrust23THRUST_200600_302600_NS6detail15normal_iteratorINS9_10device_ptrIiEEEEPS5_jNS1_19radix_merge_compareILb0ELb1EiNS0_19identity_decomposerEEEEE10hipError_tT0_T1_T2_jT3_P12ihipStream_tbPNSt15iterator_traitsISK_E10value_typeEPNSQ_ISL_E10value_typeEPSM_NS1_7vsmem_tEENKUlT_SK_SL_SM_E_clISE_PiSF_SF_EESJ_SZ_SK_SL_SM_EUlSZ_E0_NS1_11comp_targetILNS1_3genE5ELNS1_11target_archE942ELNS1_3gpuE9ELNS1_3repE0EEENS1_38merge_mergepath_config_static_selectorELNS0_4arch9wavefront6targetE1EEEvSL_
; %bb.0:
	.section	.rodata,"a",@progbits
	.p2align	6, 0x0
	.amdhsa_kernel _ZN7rocprim17ROCPRIM_400000_NS6detail17trampoline_kernelINS0_14default_configENS1_38merge_sort_block_merge_config_selectorIiNS0_10empty_typeEEEZZNS1_27merge_sort_block_merge_implIS3_N6thrust23THRUST_200600_302600_NS6detail15normal_iteratorINS9_10device_ptrIiEEEEPS5_jNS1_19radix_merge_compareILb0ELb1EiNS0_19identity_decomposerEEEEE10hipError_tT0_T1_T2_jT3_P12ihipStream_tbPNSt15iterator_traitsISK_E10value_typeEPNSQ_ISL_E10value_typeEPSM_NS1_7vsmem_tEENKUlT_SK_SL_SM_E_clISE_PiSF_SF_EESJ_SZ_SK_SL_SM_EUlSZ_E0_NS1_11comp_targetILNS1_3genE5ELNS1_11target_archE942ELNS1_3gpuE9ELNS1_3repE0EEENS1_38merge_mergepath_config_static_selectorELNS0_4arch9wavefront6targetE1EEEvSL_
		.amdhsa_group_segment_fixed_size 0
		.amdhsa_private_segment_fixed_size 0
		.amdhsa_kernarg_size 64
		.amdhsa_user_sgpr_count 2
		.amdhsa_user_sgpr_dispatch_ptr 0
		.amdhsa_user_sgpr_queue_ptr 0
		.amdhsa_user_sgpr_kernarg_segment_ptr 1
		.amdhsa_user_sgpr_dispatch_id 0
		.amdhsa_user_sgpr_kernarg_preload_length 0
		.amdhsa_user_sgpr_kernarg_preload_offset 0
		.amdhsa_user_sgpr_private_segment_size 0
		.amdhsa_uses_dynamic_stack 0
		.amdhsa_enable_private_segment 0
		.amdhsa_system_sgpr_workgroup_id_x 1
		.amdhsa_system_sgpr_workgroup_id_y 0
		.amdhsa_system_sgpr_workgroup_id_z 0
		.amdhsa_system_sgpr_workgroup_info 0
		.amdhsa_system_vgpr_workitem_id 0
		.amdhsa_next_free_vgpr 1
		.amdhsa_next_free_sgpr 0
		.amdhsa_accum_offset 4
		.amdhsa_reserve_vcc 0
		.amdhsa_float_round_mode_32 0
		.amdhsa_float_round_mode_16_64 0
		.amdhsa_float_denorm_mode_32 3
		.amdhsa_float_denorm_mode_16_64 3
		.amdhsa_dx10_clamp 1
		.amdhsa_ieee_mode 1
		.amdhsa_fp16_overflow 0
		.amdhsa_tg_split 0
		.amdhsa_exception_fp_ieee_invalid_op 0
		.amdhsa_exception_fp_denorm_src 0
		.amdhsa_exception_fp_ieee_div_zero 0
		.amdhsa_exception_fp_ieee_overflow 0
		.amdhsa_exception_fp_ieee_underflow 0
		.amdhsa_exception_fp_ieee_inexact 0
		.amdhsa_exception_int_div_zero 0
	.end_amdhsa_kernel
	.section	.text._ZN7rocprim17ROCPRIM_400000_NS6detail17trampoline_kernelINS0_14default_configENS1_38merge_sort_block_merge_config_selectorIiNS0_10empty_typeEEEZZNS1_27merge_sort_block_merge_implIS3_N6thrust23THRUST_200600_302600_NS6detail15normal_iteratorINS9_10device_ptrIiEEEEPS5_jNS1_19radix_merge_compareILb0ELb1EiNS0_19identity_decomposerEEEEE10hipError_tT0_T1_T2_jT3_P12ihipStream_tbPNSt15iterator_traitsISK_E10value_typeEPNSQ_ISL_E10value_typeEPSM_NS1_7vsmem_tEENKUlT_SK_SL_SM_E_clISE_PiSF_SF_EESJ_SZ_SK_SL_SM_EUlSZ_E0_NS1_11comp_targetILNS1_3genE5ELNS1_11target_archE942ELNS1_3gpuE9ELNS1_3repE0EEENS1_38merge_mergepath_config_static_selectorELNS0_4arch9wavefront6targetE1EEEvSL_,"axG",@progbits,_ZN7rocprim17ROCPRIM_400000_NS6detail17trampoline_kernelINS0_14default_configENS1_38merge_sort_block_merge_config_selectorIiNS0_10empty_typeEEEZZNS1_27merge_sort_block_merge_implIS3_N6thrust23THRUST_200600_302600_NS6detail15normal_iteratorINS9_10device_ptrIiEEEEPS5_jNS1_19radix_merge_compareILb0ELb1EiNS0_19identity_decomposerEEEEE10hipError_tT0_T1_T2_jT3_P12ihipStream_tbPNSt15iterator_traitsISK_E10value_typeEPNSQ_ISL_E10value_typeEPSM_NS1_7vsmem_tEENKUlT_SK_SL_SM_E_clISE_PiSF_SF_EESJ_SZ_SK_SL_SM_EUlSZ_E0_NS1_11comp_targetILNS1_3genE5ELNS1_11target_archE942ELNS1_3gpuE9ELNS1_3repE0EEENS1_38merge_mergepath_config_static_selectorELNS0_4arch9wavefront6targetE1EEEvSL_,comdat
.Lfunc_end118:
	.size	_ZN7rocprim17ROCPRIM_400000_NS6detail17trampoline_kernelINS0_14default_configENS1_38merge_sort_block_merge_config_selectorIiNS0_10empty_typeEEEZZNS1_27merge_sort_block_merge_implIS3_N6thrust23THRUST_200600_302600_NS6detail15normal_iteratorINS9_10device_ptrIiEEEEPS5_jNS1_19radix_merge_compareILb0ELb1EiNS0_19identity_decomposerEEEEE10hipError_tT0_T1_T2_jT3_P12ihipStream_tbPNSt15iterator_traitsISK_E10value_typeEPNSQ_ISL_E10value_typeEPSM_NS1_7vsmem_tEENKUlT_SK_SL_SM_E_clISE_PiSF_SF_EESJ_SZ_SK_SL_SM_EUlSZ_E0_NS1_11comp_targetILNS1_3genE5ELNS1_11target_archE942ELNS1_3gpuE9ELNS1_3repE0EEENS1_38merge_mergepath_config_static_selectorELNS0_4arch9wavefront6targetE1EEEvSL_, .Lfunc_end118-_ZN7rocprim17ROCPRIM_400000_NS6detail17trampoline_kernelINS0_14default_configENS1_38merge_sort_block_merge_config_selectorIiNS0_10empty_typeEEEZZNS1_27merge_sort_block_merge_implIS3_N6thrust23THRUST_200600_302600_NS6detail15normal_iteratorINS9_10device_ptrIiEEEEPS5_jNS1_19radix_merge_compareILb0ELb1EiNS0_19identity_decomposerEEEEE10hipError_tT0_T1_T2_jT3_P12ihipStream_tbPNSt15iterator_traitsISK_E10value_typeEPNSQ_ISL_E10value_typeEPSM_NS1_7vsmem_tEENKUlT_SK_SL_SM_E_clISE_PiSF_SF_EESJ_SZ_SK_SL_SM_EUlSZ_E0_NS1_11comp_targetILNS1_3genE5ELNS1_11target_archE942ELNS1_3gpuE9ELNS1_3repE0EEENS1_38merge_mergepath_config_static_selectorELNS0_4arch9wavefront6targetE1EEEvSL_
                                        ; -- End function
	.set _ZN7rocprim17ROCPRIM_400000_NS6detail17trampoline_kernelINS0_14default_configENS1_38merge_sort_block_merge_config_selectorIiNS0_10empty_typeEEEZZNS1_27merge_sort_block_merge_implIS3_N6thrust23THRUST_200600_302600_NS6detail15normal_iteratorINS9_10device_ptrIiEEEEPS5_jNS1_19radix_merge_compareILb0ELb1EiNS0_19identity_decomposerEEEEE10hipError_tT0_T1_T2_jT3_P12ihipStream_tbPNSt15iterator_traitsISK_E10value_typeEPNSQ_ISL_E10value_typeEPSM_NS1_7vsmem_tEENKUlT_SK_SL_SM_E_clISE_PiSF_SF_EESJ_SZ_SK_SL_SM_EUlSZ_E0_NS1_11comp_targetILNS1_3genE5ELNS1_11target_archE942ELNS1_3gpuE9ELNS1_3repE0EEENS1_38merge_mergepath_config_static_selectorELNS0_4arch9wavefront6targetE1EEEvSL_.num_vgpr, 0
	.set _ZN7rocprim17ROCPRIM_400000_NS6detail17trampoline_kernelINS0_14default_configENS1_38merge_sort_block_merge_config_selectorIiNS0_10empty_typeEEEZZNS1_27merge_sort_block_merge_implIS3_N6thrust23THRUST_200600_302600_NS6detail15normal_iteratorINS9_10device_ptrIiEEEEPS5_jNS1_19radix_merge_compareILb0ELb1EiNS0_19identity_decomposerEEEEE10hipError_tT0_T1_T2_jT3_P12ihipStream_tbPNSt15iterator_traitsISK_E10value_typeEPNSQ_ISL_E10value_typeEPSM_NS1_7vsmem_tEENKUlT_SK_SL_SM_E_clISE_PiSF_SF_EESJ_SZ_SK_SL_SM_EUlSZ_E0_NS1_11comp_targetILNS1_3genE5ELNS1_11target_archE942ELNS1_3gpuE9ELNS1_3repE0EEENS1_38merge_mergepath_config_static_selectorELNS0_4arch9wavefront6targetE1EEEvSL_.num_agpr, 0
	.set _ZN7rocprim17ROCPRIM_400000_NS6detail17trampoline_kernelINS0_14default_configENS1_38merge_sort_block_merge_config_selectorIiNS0_10empty_typeEEEZZNS1_27merge_sort_block_merge_implIS3_N6thrust23THRUST_200600_302600_NS6detail15normal_iteratorINS9_10device_ptrIiEEEEPS5_jNS1_19radix_merge_compareILb0ELb1EiNS0_19identity_decomposerEEEEE10hipError_tT0_T1_T2_jT3_P12ihipStream_tbPNSt15iterator_traitsISK_E10value_typeEPNSQ_ISL_E10value_typeEPSM_NS1_7vsmem_tEENKUlT_SK_SL_SM_E_clISE_PiSF_SF_EESJ_SZ_SK_SL_SM_EUlSZ_E0_NS1_11comp_targetILNS1_3genE5ELNS1_11target_archE942ELNS1_3gpuE9ELNS1_3repE0EEENS1_38merge_mergepath_config_static_selectorELNS0_4arch9wavefront6targetE1EEEvSL_.numbered_sgpr, 0
	.set _ZN7rocprim17ROCPRIM_400000_NS6detail17trampoline_kernelINS0_14default_configENS1_38merge_sort_block_merge_config_selectorIiNS0_10empty_typeEEEZZNS1_27merge_sort_block_merge_implIS3_N6thrust23THRUST_200600_302600_NS6detail15normal_iteratorINS9_10device_ptrIiEEEEPS5_jNS1_19radix_merge_compareILb0ELb1EiNS0_19identity_decomposerEEEEE10hipError_tT0_T1_T2_jT3_P12ihipStream_tbPNSt15iterator_traitsISK_E10value_typeEPNSQ_ISL_E10value_typeEPSM_NS1_7vsmem_tEENKUlT_SK_SL_SM_E_clISE_PiSF_SF_EESJ_SZ_SK_SL_SM_EUlSZ_E0_NS1_11comp_targetILNS1_3genE5ELNS1_11target_archE942ELNS1_3gpuE9ELNS1_3repE0EEENS1_38merge_mergepath_config_static_selectorELNS0_4arch9wavefront6targetE1EEEvSL_.num_named_barrier, 0
	.set _ZN7rocprim17ROCPRIM_400000_NS6detail17trampoline_kernelINS0_14default_configENS1_38merge_sort_block_merge_config_selectorIiNS0_10empty_typeEEEZZNS1_27merge_sort_block_merge_implIS3_N6thrust23THRUST_200600_302600_NS6detail15normal_iteratorINS9_10device_ptrIiEEEEPS5_jNS1_19radix_merge_compareILb0ELb1EiNS0_19identity_decomposerEEEEE10hipError_tT0_T1_T2_jT3_P12ihipStream_tbPNSt15iterator_traitsISK_E10value_typeEPNSQ_ISL_E10value_typeEPSM_NS1_7vsmem_tEENKUlT_SK_SL_SM_E_clISE_PiSF_SF_EESJ_SZ_SK_SL_SM_EUlSZ_E0_NS1_11comp_targetILNS1_3genE5ELNS1_11target_archE942ELNS1_3gpuE9ELNS1_3repE0EEENS1_38merge_mergepath_config_static_selectorELNS0_4arch9wavefront6targetE1EEEvSL_.private_seg_size, 0
	.set _ZN7rocprim17ROCPRIM_400000_NS6detail17trampoline_kernelINS0_14default_configENS1_38merge_sort_block_merge_config_selectorIiNS0_10empty_typeEEEZZNS1_27merge_sort_block_merge_implIS3_N6thrust23THRUST_200600_302600_NS6detail15normal_iteratorINS9_10device_ptrIiEEEEPS5_jNS1_19radix_merge_compareILb0ELb1EiNS0_19identity_decomposerEEEEE10hipError_tT0_T1_T2_jT3_P12ihipStream_tbPNSt15iterator_traitsISK_E10value_typeEPNSQ_ISL_E10value_typeEPSM_NS1_7vsmem_tEENKUlT_SK_SL_SM_E_clISE_PiSF_SF_EESJ_SZ_SK_SL_SM_EUlSZ_E0_NS1_11comp_targetILNS1_3genE5ELNS1_11target_archE942ELNS1_3gpuE9ELNS1_3repE0EEENS1_38merge_mergepath_config_static_selectorELNS0_4arch9wavefront6targetE1EEEvSL_.uses_vcc, 0
	.set _ZN7rocprim17ROCPRIM_400000_NS6detail17trampoline_kernelINS0_14default_configENS1_38merge_sort_block_merge_config_selectorIiNS0_10empty_typeEEEZZNS1_27merge_sort_block_merge_implIS3_N6thrust23THRUST_200600_302600_NS6detail15normal_iteratorINS9_10device_ptrIiEEEEPS5_jNS1_19radix_merge_compareILb0ELb1EiNS0_19identity_decomposerEEEEE10hipError_tT0_T1_T2_jT3_P12ihipStream_tbPNSt15iterator_traitsISK_E10value_typeEPNSQ_ISL_E10value_typeEPSM_NS1_7vsmem_tEENKUlT_SK_SL_SM_E_clISE_PiSF_SF_EESJ_SZ_SK_SL_SM_EUlSZ_E0_NS1_11comp_targetILNS1_3genE5ELNS1_11target_archE942ELNS1_3gpuE9ELNS1_3repE0EEENS1_38merge_mergepath_config_static_selectorELNS0_4arch9wavefront6targetE1EEEvSL_.uses_flat_scratch, 0
	.set _ZN7rocprim17ROCPRIM_400000_NS6detail17trampoline_kernelINS0_14default_configENS1_38merge_sort_block_merge_config_selectorIiNS0_10empty_typeEEEZZNS1_27merge_sort_block_merge_implIS3_N6thrust23THRUST_200600_302600_NS6detail15normal_iteratorINS9_10device_ptrIiEEEEPS5_jNS1_19radix_merge_compareILb0ELb1EiNS0_19identity_decomposerEEEEE10hipError_tT0_T1_T2_jT3_P12ihipStream_tbPNSt15iterator_traitsISK_E10value_typeEPNSQ_ISL_E10value_typeEPSM_NS1_7vsmem_tEENKUlT_SK_SL_SM_E_clISE_PiSF_SF_EESJ_SZ_SK_SL_SM_EUlSZ_E0_NS1_11comp_targetILNS1_3genE5ELNS1_11target_archE942ELNS1_3gpuE9ELNS1_3repE0EEENS1_38merge_mergepath_config_static_selectorELNS0_4arch9wavefront6targetE1EEEvSL_.has_dyn_sized_stack, 0
	.set _ZN7rocprim17ROCPRIM_400000_NS6detail17trampoline_kernelINS0_14default_configENS1_38merge_sort_block_merge_config_selectorIiNS0_10empty_typeEEEZZNS1_27merge_sort_block_merge_implIS3_N6thrust23THRUST_200600_302600_NS6detail15normal_iteratorINS9_10device_ptrIiEEEEPS5_jNS1_19radix_merge_compareILb0ELb1EiNS0_19identity_decomposerEEEEE10hipError_tT0_T1_T2_jT3_P12ihipStream_tbPNSt15iterator_traitsISK_E10value_typeEPNSQ_ISL_E10value_typeEPSM_NS1_7vsmem_tEENKUlT_SK_SL_SM_E_clISE_PiSF_SF_EESJ_SZ_SK_SL_SM_EUlSZ_E0_NS1_11comp_targetILNS1_3genE5ELNS1_11target_archE942ELNS1_3gpuE9ELNS1_3repE0EEENS1_38merge_mergepath_config_static_selectorELNS0_4arch9wavefront6targetE1EEEvSL_.has_recursion, 0
	.set _ZN7rocprim17ROCPRIM_400000_NS6detail17trampoline_kernelINS0_14default_configENS1_38merge_sort_block_merge_config_selectorIiNS0_10empty_typeEEEZZNS1_27merge_sort_block_merge_implIS3_N6thrust23THRUST_200600_302600_NS6detail15normal_iteratorINS9_10device_ptrIiEEEEPS5_jNS1_19radix_merge_compareILb0ELb1EiNS0_19identity_decomposerEEEEE10hipError_tT0_T1_T2_jT3_P12ihipStream_tbPNSt15iterator_traitsISK_E10value_typeEPNSQ_ISL_E10value_typeEPSM_NS1_7vsmem_tEENKUlT_SK_SL_SM_E_clISE_PiSF_SF_EESJ_SZ_SK_SL_SM_EUlSZ_E0_NS1_11comp_targetILNS1_3genE5ELNS1_11target_archE942ELNS1_3gpuE9ELNS1_3repE0EEENS1_38merge_mergepath_config_static_selectorELNS0_4arch9wavefront6targetE1EEEvSL_.has_indirect_call, 0
	.section	.AMDGPU.csdata,"",@progbits
; Kernel info:
; codeLenInByte = 0
; TotalNumSgprs: 6
; NumVgprs: 0
; NumAgprs: 0
; TotalNumVgprs: 0
; ScratchSize: 0
; MemoryBound: 0
; FloatMode: 240
; IeeeMode: 1
; LDSByteSize: 0 bytes/workgroup (compile time only)
; SGPRBlocks: 0
; VGPRBlocks: 0
; NumSGPRsForWavesPerEU: 6
; NumVGPRsForWavesPerEU: 1
; AccumOffset: 4
; Occupancy: 8
; WaveLimiterHint : 0
; COMPUTE_PGM_RSRC2:SCRATCH_EN: 0
; COMPUTE_PGM_RSRC2:USER_SGPR: 2
; COMPUTE_PGM_RSRC2:TRAP_HANDLER: 0
; COMPUTE_PGM_RSRC2:TGID_X_EN: 1
; COMPUTE_PGM_RSRC2:TGID_Y_EN: 0
; COMPUTE_PGM_RSRC2:TGID_Z_EN: 0
; COMPUTE_PGM_RSRC2:TIDIG_COMP_CNT: 0
; COMPUTE_PGM_RSRC3_GFX90A:ACCUM_OFFSET: 0
; COMPUTE_PGM_RSRC3_GFX90A:TG_SPLIT: 0
	.section	.text._ZN7rocprim17ROCPRIM_400000_NS6detail17trampoline_kernelINS0_14default_configENS1_38merge_sort_block_merge_config_selectorIiNS0_10empty_typeEEEZZNS1_27merge_sort_block_merge_implIS3_N6thrust23THRUST_200600_302600_NS6detail15normal_iteratorINS9_10device_ptrIiEEEEPS5_jNS1_19radix_merge_compareILb0ELb1EiNS0_19identity_decomposerEEEEE10hipError_tT0_T1_T2_jT3_P12ihipStream_tbPNSt15iterator_traitsISK_E10value_typeEPNSQ_ISL_E10value_typeEPSM_NS1_7vsmem_tEENKUlT_SK_SL_SM_E_clISE_PiSF_SF_EESJ_SZ_SK_SL_SM_EUlSZ_E0_NS1_11comp_targetILNS1_3genE4ELNS1_11target_archE910ELNS1_3gpuE8ELNS1_3repE0EEENS1_38merge_mergepath_config_static_selectorELNS0_4arch9wavefront6targetE1EEEvSL_,"axG",@progbits,_ZN7rocprim17ROCPRIM_400000_NS6detail17trampoline_kernelINS0_14default_configENS1_38merge_sort_block_merge_config_selectorIiNS0_10empty_typeEEEZZNS1_27merge_sort_block_merge_implIS3_N6thrust23THRUST_200600_302600_NS6detail15normal_iteratorINS9_10device_ptrIiEEEEPS5_jNS1_19radix_merge_compareILb0ELb1EiNS0_19identity_decomposerEEEEE10hipError_tT0_T1_T2_jT3_P12ihipStream_tbPNSt15iterator_traitsISK_E10value_typeEPNSQ_ISL_E10value_typeEPSM_NS1_7vsmem_tEENKUlT_SK_SL_SM_E_clISE_PiSF_SF_EESJ_SZ_SK_SL_SM_EUlSZ_E0_NS1_11comp_targetILNS1_3genE4ELNS1_11target_archE910ELNS1_3gpuE8ELNS1_3repE0EEENS1_38merge_mergepath_config_static_selectorELNS0_4arch9wavefront6targetE1EEEvSL_,comdat
	.protected	_ZN7rocprim17ROCPRIM_400000_NS6detail17trampoline_kernelINS0_14default_configENS1_38merge_sort_block_merge_config_selectorIiNS0_10empty_typeEEEZZNS1_27merge_sort_block_merge_implIS3_N6thrust23THRUST_200600_302600_NS6detail15normal_iteratorINS9_10device_ptrIiEEEEPS5_jNS1_19radix_merge_compareILb0ELb1EiNS0_19identity_decomposerEEEEE10hipError_tT0_T1_T2_jT3_P12ihipStream_tbPNSt15iterator_traitsISK_E10value_typeEPNSQ_ISL_E10value_typeEPSM_NS1_7vsmem_tEENKUlT_SK_SL_SM_E_clISE_PiSF_SF_EESJ_SZ_SK_SL_SM_EUlSZ_E0_NS1_11comp_targetILNS1_3genE4ELNS1_11target_archE910ELNS1_3gpuE8ELNS1_3repE0EEENS1_38merge_mergepath_config_static_selectorELNS0_4arch9wavefront6targetE1EEEvSL_ ; -- Begin function _ZN7rocprim17ROCPRIM_400000_NS6detail17trampoline_kernelINS0_14default_configENS1_38merge_sort_block_merge_config_selectorIiNS0_10empty_typeEEEZZNS1_27merge_sort_block_merge_implIS3_N6thrust23THRUST_200600_302600_NS6detail15normal_iteratorINS9_10device_ptrIiEEEEPS5_jNS1_19radix_merge_compareILb0ELb1EiNS0_19identity_decomposerEEEEE10hipError_tT0_T1_T2_jT3_P12ihipStream_tbPNSt15iterator_traitsISK_E10value_typeEPNSQ_ISL_E10value_typeEPSM_NS1_7vsmem_tEENKUlT_SK_SL_SM_E_clISE_PiSF_SF_EESJ_SZ_SK_SL_SM_EUlSZ_E0_NS1_11comp_targetILNS1_3genE4ELNS1_11target_archE910ELNS1_3gpuE8ELNS1_3repE0EEENS1_38merge_mergepath_config_static_selectorELNS0_4arch9wavefront6targetE1EEEvSL_
	.globl	_ZN7rocprim17ROCPRIM_400000_NS6detail17trampoline_kernelINS0_14default_configENS1_38merge_sort_block_merge_config_selectorIiNS0_10empty_typeEEEZZNS1_27merge_sort_block_merge_implIS3_N6thrust23THRUST_200600_302600_NS6detail15normal_iteratorINS9_10device_ptrIiEEEEPS5_jNS1_19radix_merge_compareILb0ELb1EiNS0_19identity_decomposerEEEEE10hipError_tT0_T1_T2_jT3_P12ihipStream_tbPNSt15iterator_traitsISK_E10value_typeEPNSQ_ISL_E10value_typeEPSM_NS1_7vsmem_tEENKUlT_SK_SL_SM_E_clISE_PiSF_SF_EESJ_SZ_SK_SL_SM_EUlSZ_E0_NS1_11comp_targetILNS1_3genE4ELNS1_11target_archE910ELNS1_3gpuE8ELNS1_3repE0EEENS1_38merge_mergepath_config_static_selectorELNS0_4arch9wavefront6targetE1EEEvSL_
	.p2align	8
	.type	_ZN7rocprim17ROCPRIM_400000_NS6detail17trampoline_kernelINS0_14default_configENS1_38merge_sort_block_merge_config_selectorIiNS0_10empty_typeEEEZZNS1_27merge_sort_block_merge_implIS3_N6thrust23THRUST_200600_302600_NS6detail15normal_iteratorINS9_10device_ptrIiEEEEPS5_jNS1_19radix_merge_compareILb0ELb1EiNS0_19identity_decomposerEEEEE10hipError_tT0_T1_T2_jT3_P12ihipStream_tbPNSt15iterator_traitsISK_E10value_typeEPNSQ_ISL_E10value_typeEPSM_NS1_7vsmem_tEENKUlT_SK_SL_SM_E_clISE_PiSF_SF_EESJ_SZ_SK_SL_SM_EUlSZ_E0_NS1_11comp_targetILNS1_3genE4ELNS1_11target_archE910ELNS1_3gpuE8ELNS1_3repE0EEENS1_38merge_mergepath_config_static_selectorELNS0_4arch9wavefront6targetE1EEEvSL_,@function
_ZN7rocprim17ROCPRIM_400000_NS6detail17trampoline_kernelINS0_14default_configENS1_38merge_sort_block_merge_config_selectorIiNS0_10empty_typeEEEZZNS1_27merge_sort_block_merge_implIS3_N6thrust23THRUST_200600_302600_NS6detail15normal_iteratorINS9_10device_ptrIiEEEEPS5_jNS1_19radix_merge_compareILb0ELb1EiNS0_19identity_decomposerEEEEE10hipError_tT0_T1_T2_jT3_P12ihipStream_tbPNSt15iterator_traitsISK_E10value_typeEPNSQ_ISL_E10value_typeEPSM_NS1_7vsmem_tEENKUlT_SK_SL_SM_E_clISE_PiSF_SF_EESJ_SZ_SK_SL_SM_EUlSZ_E0_NS1_11comp_targetILNS1_3genE4ELNS1_11target_archE910ELNS1_3gpuE8ELNS1_3repE0EEENS1_38merge_mergepath_config_static_selectorELNS0_4arch9wavefront6targetE1EEEvSL_: ; @_ZN7rocprim17ROCPRIM_400000_NS6detail17trampoline_kernelINS0_14default_configENS1_38merge_sort_block_merge_config_selectorIiNS0_10empty_typeEEEZZNS1_27merge_sort_block_merge_implIS3_N6thrust23THRUST_200600_302600_NS6detail15normal_iteratorINS9_10device_ptrIiEEEEPS5_jNS1_19radix_merge_compareILb0ELb1EiNS0_19identity_decomposerEEEEE10hipError_tT0_T1_T2_jT3_P12ihipStream_tbPNSt15iterator_traitsISK_E10value_typeEPNSQ_ISL_E10value_typeEPSM_NS1_7vsmem_tEENKUlT_SK_SL_SM_E_clISE_PiSF_SF_EESJ_SZ_SK_SL_SM_EUlSZ_E0_NS1_11comp_targetILNS1_3genE4ELNS1_11target_archE910ELNS1_3gpuE8ELNS1_3repE0EEENS1_38merge_mergepath_config_static_selectorELNS0_4arch9wavefront6targetE1EEEvSL_
; %bb.0:
	.section	.rodata,"a",@progbits
	.p2align	6, 0x0
	.amdhsa_kernel _ZN7rocprim17ROCPRIM_400000_NS6detail17trampoline_kernelINS0_14default_configENS1_38merge_sort_block_merge_config_selectorIiNS0_10empty_typeEEEZZNS1_27merge_sort_block_merge_implIS3_N6thrust23THRUST_200600_302600_NS6detail15normal_iteratorINS9_10device_ptrIiEEEEPS5_jNS1_19radix_merge_compareILb0ELb1EiNS0_19identity_decomposerEEEEE10hipError_tT0_T1_T2_jT3_P12ihipStream_tbPNSt15iterator_traitsISK_E10value_typeEPNSQ_ISL_E10value_typeEPSM_NS1_7vsmem_tEENKUlT_SK_SL_SM_E_clISE_PiSF_SF_EESJ_SZ_SK_SL_SM_EUlSZ_E0_NS1_11comp_targetILNS1_3genE4ELNS1_11target_archE910ELNS1_3gpuE8ELNS1_3repE0EEENS1_38merge_mergepath_config_static_selectorELNS0_4arch9wavefront6targetE1EEEvSL_
		.amdhsa_group_segment_fixed_size 0
		.amdhsa_private_segment_fixed_size 0
		.amdhsa_kernarg_size 64
		.amdhsa_user_sgpr_count 2
		.amdhsa_user_sgpr_dispatch_ptr 0
		.amdhsa_user_sgpr_queue_ptr 0
		.amdhsa_user_sgpr_kernarg_segment_ptr 1
		.amdhsa_user_sgpr_dispatch_id 0
		.amdhsa_user_sgpr_kernarg_preload_length 0
		.amdhsa_user_sgpr_kernarg_preload_offset 0
		.amdhsa_user_sgpr_private_segment_size 0
		.amdhsa_uses_dynamic_stack 0
		.amdhsa_enable_private_segment 0
		.amdhsa_system_sgpr_workgroup_id_x 1
		.amdhsa_system_sgpr_workgroup_id_y 0
		.amdhsa_system_sgpr_workgroup_id_z 0
		.amdhsa_system_sgpr_workgroup_info 0
		.amdhsa_system_vgpr_workitem_id 0
		.amdhsa_next_free_vgpr 1
		.amdhsa_next_free_sgpr 0
		.amdhsa_accum_offset 4
		.amdhsa_reserve_vcc 0
		.amdhsa_float_round_mode_32 0
		.amdhsa_float_round_mode_16_64 0
		.amdhsa_float_denorm_mode_32 3
		.amdhsa_float_denorm_mode_16_64 3
		.amdhsa_dx10_clamp 1
		.amdhsa_ieee_mode 1
		.amdhsa_fp16_overflow 0
		.amdhsa_tg_split 0
		.amdhsa_exception_fp_ieee_invalid_op 0
		.amdhsa_exception_fp_denorm_src 0
		.amdhsa_exception_fp_ieee_div_zero 0
		.amdhsa_exception_fp_ieee_overflow 0
		.amdhsa_exception_fp_ieee_underflow 0
		.amdhsa_exception_fp_ieee_inexact 0
		.amdhsa_exception_int_div_zero 0
	.end_amdhsa_kernel
	.section	.text._ZN7rocprim17ROCPRIM_400000_NS6detail17trampoline_kernelINS0_14default_configENS1_38merge_sort_block_merge_config_selectorIiNS0_10empty_typeEEEZZNS1_27merge_sort_block_merge_implIS3_N6thrust23THRUST_200600_302600_NS6detail15normal_iteratorINS9_10device_ptrIiEEEEPS5_jNS1_19radix_merge_compareILb0ELb1EiNS0_19identity_decomposerEEEEE10hipError_tT0_T1_T2_jT3_P12ihipStream_tbPNSt15iterator_traitsISK_E10value_typeEPNSQ_ISL_E10value_typeEPSM_NS1_7vsmem_tEENKUlT_SK_SL_SM_E_clISE_PiSF_SF_EESJ_SZ_SK_SL_SM_EUlSZ_E0_NS1_11comp_targetILNS1_3genE4ELNS1_11target_archE910ELNS1_3gpuE8ELNS1_3repE0EEENS1_38merge_mergepath_config_static_selectorELNS0_4arch9wavefront6targetE1EEEvSL_,"axG",@progbits,_ZN7rocprim17ROCPRIM_400000_NS6detail17trampoline_kernelINS0_14default_configENS1_38merge_sort_block_merge_config_selectorIiNS0_10empty_typeEEEZZNS1_27merge_sort_block_merge_implIS3_N6thrust23THRUST_200600_302600_NS6detail15normal_iteratorINS9_10device_ptrIiEEEEPS5_jNS1_19radix_merge_compareILb0ELb1EiNS0_19identity_decomposerEEEEE10hipError_tT0_T1_T2_jT3_P12ihipStream_tbPNSt15iterator_traitsISK_E10value_typeEPNSQ_ISL_E10value_typeEPSM_NS1_7vsmem_tEENKUlT_SK_SL_SM_E_clISE_PiSF_SF_EESJ_SZ_SK_SL_SM_EUlSZ_E0_NS1_11comp_targetILNS1_3genE4ELNS1_11target_archE910ELNS1_3gpuE8ELNS1_3repE0EEENS1_38merge_mergepath_config_static_selectorELNS0_4arch9wavefront6targetE1EEEvSL_,comdat
.Lfunc_end119:
	.size	_ZN7rocprim17ROCPRIM_400000_NS6detail17trampoline_kernelINS0_14default_configENS1_38merge_sort_block_merge_config_selectorIiNS0_10empty_typeEEEZZNS1_27merge_sort_block_merge_implIS3_N6thrust23THRUST_200600_302600_NS6detail15normal_iteratorINS9_10device_ptrIiEEEEPS5_jNS1_19radix_merge_compareILb0ELb1EiNS0_19identity_decomposerEEEEE10hipError_tT0_T1_T2_jT3_P12ihipStream_tbPNSt15iterator_traitsISK_E10value_typeEPNSQ_ISL_E10value_typeEPSM_NS1_7vsmem_tEENKUlT_SK_SL_SM_E_clISE_PiSF_SF_EESJ_SZ_SK_SL_SM_EUlSZ_E0_NS1_11comp_targetILNS1_3genE4ELNS1_11target_archE910ELNS1_3gpuE8ELNS1_3repE0EEENS1_38merge_mergepath_config_static_selectorELNS0_4arch9wavefront6targetE1EEEvSL_, .Lfunc_end119-_ZN7rocprim17ROCPRIM_400000_NS6detail17trampoline_kernelINS0_14default_configENS1_38merge_sort_block_merge_config_selectorIiNS0_10empty_typeEEEZZNS1_27merge_sort_block_merge_implIS3_N6thrust23THRUST_200600_302600_NS6detail15normal_iteratorINS9_10device_ptrIiEEEEPS5_jNS1_19radix_merge_compareILb0ELb1EiNS0_19identity_decomposerEEEEE10hipError_tT0_T1_T2_jT3_P12ihipStream_tbPNSt15iterator_traitsISK_E10value_typeEPNSQ_ISL_E10value_typeEPSM_NS1_7vsmem_tEENKUlT_SK_SL_SM_E_clISE_PiSF_SF_EESJ_SZ_SK_SL_SM_EUlSZ_E0_NS1_11comp_targetILNS1_3genE4ELNS1_11target_archE910ELNS1_3gpuE8ELNS1_3repE0EEENS1_38merge_mergepath_config_static_selectorELNS0_4arch9wavefront6targetE1EEEvSL_
                                        ; -- End function
	.set _ZN7rocprim17ROCPRIM_400000_NS6detail17trampoline_kernelINS0_14default_configENS1_38merge_sort_block_merge_config_selectorIiNS0_10empty_typeEEEZZNS1_27merge_sort_block_merge_implIS3_N6thrust23THRUST_200600_302600_NS6detail15normal_iteratorINS9_10device_ptrIiEEEEPS5_jNS1_19radix_merge_compareILb0ELb1EiNS0_19identity_decomposerEEEEE10hipError_tT0_T1_T2_jT3_P12ihipStream_tbPNSt15iterator_traitsISK_E10value_typeEPNSQ_ISL_E10value_typeEPSM_NS1_7vsmem_tEENKUlT_SK_SL_SM_E_clISE_PiSF_SF_EESJ_SZ_SK_SL_SM_EUlSZ_E0_NS1_11comp_targetILNS1_3genE4ELNS1_11target_archE910ELNS1_3gpuE8ELNS1_3repE0EEENS1_38merge_mergepath_config_static_selectorELNS0_4arch9wavefront6targetE1EEEvSL_.num_vgpr, 0
	.set _ZN7rocprim17ROCPRIM_400000_NS6detail17trampoline_kernelINS0_14default_configENS1_38merge_sort_block_merge_config_selectorIiNS0_10empty_typeEEEZZNS1_27merge_sort_block_merge_implIS3_N6thrust23THRUST_200600_302600_NS6detail15normal_iteratorINS9_10device_ptrIiEEEEPS5_jNS1_19radix_merge_compareILb0ELb1EiNS0_19identity_decomposerEEEEE10hipError_tT0_T1_T2_jT3_P12ihipStream_tbPNSt15iterator_traitsISK_E10value_typeEPNSQ_ISL_E10value_typeEPSM_NS1_7vsmem_tEENKUlT_SK_SL_SM_E_clISE_PiSF_SF_EESJ_SZ_SK_SL_SM_EUlSZ_E0_NS1_11comp_targetILNS1_3genE4ELNS1_11target_archE910ELNS1_3gpuE8ELNS1_3repE0EEENS1_38merge_mergepath_config_static_selectorELNS0_4arch9wavefront6targetE1EEEvSL_.num_agpr, 0
	.set _ZN7rocprim17ROCPRIM_400000_NS6detail17trampoline_kernelINS0_14default_configENS1_38merge_sort_block_merge_config_selectorIiNS0_10empty_typeEEEZZNS1_27merge_sort_block_merge_implIS3_N6thrust23THRUST_200600_302600_NS6detail15normal_iteratorINS9_10device_ptrIiEEEEPS5_jNS1_19radix_merge_compareILb0ELb1EiNS0_19identity_decomposerEEEEE10hipError_tT0_T1_T2_jT3_P12ihipStream_tbPNSt15iterator_traitsISK_E10value_typeEPNSQ_ISL_E10value_typeEPSM_NS1_7vsmem_tEENKUlT_SK_SL_SM_E_clISE_PiSF_SF_EESJ_SZ_SK_SL_SM_EUlSZ_E0_NS1_11comp_targetILNS1_3genE4ELNS1_11target_archE910ELNS1_3gpuE8ELNS1_3repE0EEENS1_38merge_mergepath_config_static_selectorELNS0_4arch9wavefront6targetE1EEEvSL_.numbered_sgpr, 0
	.set _ZN7rocprim17ROCPRIM_400000_NS6detail17trampoline_kernelINS0_14default_configENS1_38merge_sort_block_merge_config_selectorIiNS0_10empty_typeEEEZZNS1_27merge_sort_block_merge_implIS3_N6thrust23THRUST_200600_302600_NS6detail15normal_iteratorINS9_10device_ptrIiEEEEPS5_jNS1_19radix_merge_compareILb0ELb1EiNS0_19identity_decomposerEEEEE10hipError_tT0_T1_T2_jT3_P12ihipStream_tbPNSt15iterator_traitsISK_E10value_typeEPNSQ_ISL_E10value_typeEPSM_NS1_7vsmem_tEENKUlT_SK_SL_SM_E_clISE_PiSF_SF_EESJ_SZ_SK_SL_SM_EUlSZ_E0_NS1_11comp_targetILNS1_3genE4ELNS1_11target_archE910ELNS1_3gpuE8ELNS1_3repE0EEENS1_38merge_mergepath_config_static_selectorELNS0_4arch9wavefront6targetE1EEEvSL_.num_named_barrier, 0
	.set _ZN7rocprim17ROCPRIM_400000_NS6detail17trampoline_kernelINS0_14default_configENS1_38merge_sort_block_merge_config_selectorIiNS0_10empty_typeEEEZZNS1_27merge_sort_block_merge_implIS3_N6thrust23THRUST_200600_302600_NS6detail15normal_iteratorINS9_10device_ptrIiEEEEPS5_jNS1_19radix_merge_compareILb0ELb1EiNS0_19identity_decomposerEEEEE10hipError_tT0_T1_T2_jT3_P12ihipStream_tbPNSt15iterator_traitsISK_E10value_typeEPNSQ_ISL_E10value_typeEPSM_NS1_7vsmem_tEENKUlT_SK_SL_SM_E_clISE_PiSF_SF_EESJ_SZ_SK_SL_SM_EUlSZ_E0_NS1_11comp_targetILNS1_3genE4ELNS1_11target_archE910ELNS1_3gpuE8ELNS1_3repE0EEENS1_38merge_mergepath_config_static_selectorELNS0_4arch9wavefront6targetE1EEEvSL_.private_seg_size, 0
	.set _ZN7rocprim17ROCPRIM_400000_NS6detail17trampoline_kernelINS0_14default_configENS1_38merge_sort_block_merge_config_selectorIiNS0_10empty_typeEEEZZNS1_27merge_sort_block_merge_implIS3_N6thrust23THRUST_200600_302600_NS6detail15normal_iteratorINS9_10device_ptrIiEEEEPS5_jNS1_19radix_merge_compareILb0ELb1EiNS0_19identity_decomposerEEEEE10hipError_tT0_T1_T2_jT3_P12ihipStream_tbPNSt15iterator_traitsISK_E10value_typeEPNSQ_ISL_E10value_typeEPSM_NS1_7vsmem_tEENKUlT_SK_SL_SM_E_clISE_PiSF_SF_EESJ_SZ_SK_SL_SM_EUlSZ_E0_NS1_11comp_targetILNS1_3genE4ELNS1_11target_archE910ELNS1_3gpuE8ELNS1_3repE0EEENS1_38merge_mergepath_config_static_selectorELNS0_4arch9wavefront6targetE1EEEvSL_.uses_vcc, 0
	.set _ZN7rocprim17ROCPRIM_400000_NS6detail17trampoline_kernelINS0_14default_configENS1_38merge_sort_block_merge_config_selectorIiNS0_10empty_typeEEEZZNS1_27merge_sort_block_merge_implIS3_N6thrust23THRUST_200600_302600_NS6detail15normal_iteratorINS9_10device_ptrIiEEEEPS5_jNS1_19radix_merge_compareILb0ELb1EiNS0_19identity_decomposerEEEEE10hipError_tT0_T1_T2_jT3_P12ihipStream_tbPNSt15iterator_traitsISK_E10value_typeEPNSQ_ISL_E10value_typeEPSM_NS1_7vsmem_tEENKUlT_SK_SL_SM_E_clISE_PiSF_SF_EESJ_SZ_SK_SL_SM_EUlSZ_E0_NS1_11comp_targetILNS1_3genE4ELNS1_11target_archE910ELNS1_3gpuE8ELNS1_3repE0EEENS1_38merge_mergepath_config_static_selectorELNS0_4arch9wavefront6targetE1EEEvSL_.uses_flat_scratch, 0
	.set _ZN7rocprim17ROCPRIM_400000_NS6detail17trampoline_kernelINS0_14default_configENS1_38merge_sort_block_merge_config_selectorIiNS0_10empty_typeEEEZZNS1_27merge_sort_block_merge_implIS3_N6thrust23THRUST_200600_302600_NS6detail15normal_iteratorINS9_10device_ptrIiEEEEPS5_jNS1_19radix_merge_compareILb0ELb1EiNS0_19identity_decomposerEEEEE10hipError_tT0_T1_T2_jT3_P12ihipStream_tbPNSt15iterator_traitsISK_E10value_typeEPNSQ_ISL_E10value_typeEPSM_NS1_7vsmem_tEENKUlT_SK_SL_SM_E_clISE_PiSF_SF_EESJ_SZ_SK_SL_SM_EUlSZ_E0_NS1_11comp_targetILNS1_3genE4ELNS1_11target_archE910ELNS1_3gpuE8ELNS1_3repE0EEENS1_38merge_mergepath_config_static_selectorELNS0_4arch9wavefront6targetE1EEEvSL_.has_dyn_sized_stack, 0
	.set _ZN7rocprim17ROCPRIM_400000_NS6detail17trampoline_kernelINS0_14default_configENS1_38merge_sort_block_merge_config_selectorIiNS0_10empty_typeEEEZZNS1_27merge_sort_block_merge_implIS3_N6thrust23THRUST_200600_302600_NS6detail15normal_iteratorINS9_10device_ptrIiEEEEPS5_jNS1_19radix_merge_compareILb0ELb1EiNS0_19identity_decomposerEEEEE10hipError_tT0_T1_T2_jT3_P12ihipStream_tbPNSt15iterator_traitsISK_E10value_typeEPNSQ_ISL_E10value_typeEPSM_NS1_7vsmem_tEENKUlT_SK_SL_SM_E_clISE_PiSF_SF_EESJ_SZ_SK_SL_SM_EUlSZ_E0_NS1_11comp_targetILNS1_3genE4ELNS1_11target_archE910ELNS1_3gpuE8ELNS1_3repE0EEENS1_38merge_mergepath_config_static_selectorELNS0_4arch9wavefront6targetE1EEEvSL_.has_recursion, 0
	.set _ZN7rocprim17ROCPRIM_400000_NS6detail17trampoline_kernelINS0_14default_configENS1_38merge_sort_block_merge_config_selectorIiNS0_10empty_typeEEEZZNS1_27merge_sort_block_merge_implIS3_N6thrust23THRUST_200600_302600_NS6detail15normal_iteratorINS9_10device_ptrIiEEEEPS5_jNS1_19radix_merge_compareILb0ELb1EiNS0_19identity_decomposerEEEEE10hipError_tT0_T1_T2_jT3_P12ihipStream_tbPNSt15iterator_traitsISK_E10value_typeEPNSQ_ISL_E10value_typeEPSM_NS1_7vsmem_tEENKUlT_SK_SL_SM_E_clISE_PiSF_SF_EESJ_SZ_SK_SL_SM_EUlSZ_E0_NS1_11comp_targetILNS1_3genE4ELNS1_11target_archE910ELNS1_3gpuE8ELNS1_3repE0EEENS1_38merge_mergepath_config_static_selectorELNS0_4arch9wavefront6targetE1EEEvSL_.has_indirect_call, 0
	.section	.AMDGPU.csdata,"",@progbits
; Kernel info:
; codeLenInByte = 0
; TotalNumSgprs: 6
; NumVgprs: 0
; NumAgprs: 0
; TotalNumVgprs: 0
; ScratchSize: 0
; MemoryBound: 0
; FloatMode: 240
; IeeeMode: 1
; LDSByteSize: 0 bytes/workgroup (compile time only)
; SGPRBlocks: 0
; VGPRBlocks: 0
; NumSGPRsForWavesPerEU: 6
; NumVGPRsForWavesPerEU: 1
; AccumOffset: 4
; Occupancy: 8
; WaveLimiterHint : 0
; COMPUTE_PGM_RSRC2:SCRATCH_EN: 0
; COMPUTE_PGM_RSRC2:USER_SGPR: 2
; COMPUTE_PGM_RSRC2:TRAP_HANDLER: 0
; COMPUTE_PGM_RSRC2:TGID_X_EN: 1
; COMPUTE_PGM_RSRC2:TGID_Y_EN: 0
; COMPUTE_PGM_RSRC2:TGID_Z_EN: 0
; COMPUTE_PGM_RSRC2:TIDIG_COMP_CNT: 0
; COMPUTE_PGM_RSRC3_GFX90A:ACCUM_OFFSET: 0
; COMPUTE_PGM_RSRC3_GFX90A:TG_SPLIT: 0
	.section	.text._ZN7rocprim17ROCPRIM_400000_NS6detail17trampoline_kernelINS0_14default_configENS1_38merge_sort_block_merge_config_selectorIiNS0_10empty_typeEEEZZNS1_27merge_sort_block_merge_implIS3_N6thrust23THRUST_200600_302600_NS6detail15normal_iteratorINS9_10device_ptrIiEEEEPS5_jNS1_19radix_merge_compareILb0ELb1EiNS0_19identity_decomposerEEEEE10hipError_tT0_T1_T2_jT3_P12ihipStream_tbPNSt15iterator_traitsISK_E10value_typeEPNSQ_ISL_E10value_typeEPSM_NS1_7vsmem_tEENKUlT_SK_SL_SM_E_clISE_PiSF_SF_EESJ_SZ_SK_SL_SM_EUlSZ_E0_NS1_11comp_targetILNS1_3genE3ELNS1_11target_archE908ELNS1_3gpuE7ELNS1_3repE0EEENS1_38merge_mergepath_config_static_selectorELNS0_4arch9wavefront6targetE1EEEvSL_,"axG",@progbits,_ZN7rocprim17ROCPRIM_400000_NS6detail17trampoline_kernelINS0_14default_configENS1_38merge_sort_block_merge_config_selectorIiNS0_10empty_typeEEEZZNS1_27merge_sort_block_merge_implIS3_N6thrust23THRUST_200600_302600_NS6detail15normal_iteratorINS9_10device_ptrIiEEEEPS5_jNS1_19radix_merge_compareILb0ELb1EiNS0_19identity_decomposerEEEEE10hipError_tT0_T1_T2_jT3_P12ihipStream_tbPNSt15iterator_traitsISK_E10value_typeEPNSQ_ISL_E10value_typeEPSM_NS1_7vsmem_tEENKUlT_SK_SL_SM_E_clISE_PiSF_SF_EESJ_SZ_SK_SL_SM_EUlSZ_E0_NS1_11comp_targetILNS1_3genE3ELNS1_11target_archE908ELNS1_3gpuE7ELNS1_3repE0EEENS1_38merge_mergepath_config_static_selectorELNS0_4arch9wavefront6targetE1EEEvSL_,comdat
	.protected	_ZN7rocprim17ROCPRIM_400000_NS6detail17trampoline_kernelINS0_14default_configENS1_38merge_sort_block_merge_config_selectorIiNS0_10empty_typeEEEZZNS1_27merge_sort_block_merge_implIS3_N6thrust23THRUST_200600_302600_NS6detail15normal_iteratorINS9_10device_ptrIiEEEEPS5_jNS1_19radix_merge_compareILb0ELb1EiNS0_19identity_decomposerEEEEE10hipError_tT0_T1_T2_jT3_P12ihipStream_tbPNSt15iterator_traitsISK_E10value_typeEPNSQ_ISL_E10value_typeEPSM_NS1_7vsmem_tEENKUlT_SK_SL_SM_E_clISE_PiSF_SF_EESJ_SZ_SK_SL_SM_EUlSZ_E0_NS1_11comp_targetILNS1_3genE3ELNS1_11target_archE908ELNS1_3gpuE7ELNS1_3repE0EEENS1_38merge_mergepath_config_static_selectorELNS0_4arch9wavefront6targetE1EEEvSL_ ; -- Begin function _ZN7rocprim17ROCPRIM_400000_NS6detail17trampoline_kernelINS0_14default_configENS1_38merge_sort_block_merge_config_selectorIiNS0_10empty_typeEEEZZNS1_27merge_sort_block_merge_implIS3_N6thrust23THRUST_200600_302600_NS6detail15normal_iteratorINS9_10device_ptrIiEEEEPS5_jNS1_19radix_merge_compareILb0ELb1EiNS0_19identity_decomposerEEEEE10hipError_tT0_T1_T2_jT3_P12ihipStream_tbPNSt15iterator_traitsISK_E10value_typeEPNSQ_ISL_E10value_typeEPSM_NS1_7vsmem_tEENKUlT_SK_SL_SM_E_clISE_PiSF_SF_EESJ_SZ_SK_SL_SM_EUlSZ_E0_NS1_11comp_targetILNS1_3genE3ELNS1_11target_archE908ELNS1_3gpuE7ELNS1_3repE0EEENS1_38merge_mergepath_config_static_selectorELNS0_4arch9wavefront6targetE1EEEvSL_
	.globl	_ZN7rocprim17ROCPRIM_400000_NS6detail17trampoline_kernelINS0_14default_configENS1_38merge_sort_block_merge_config_selectorIiNS0_10empty_typeEEEZZNS1_27merge_sort_block_merge_implIS3_N6thrust23THRUST_200600_302600_NS6detail15normal_iteratorINS9_10device_ptrIiEEEEPS5_jNS1_19radix_merge_compareILb0ELb1EiNS0_19identity_decomposerEEEEE10hipError_tT0_T1_T2_jT3_P12ihipStream_tbPNSt15iterator_traitsISK_E10value_typeEPNSQ_ISL_E10value_typeEPSM_NS1_7vsmem_tEENKUlT_SK_SL_SM_E_clISE_PiSF_SF_EESJ_SZ_SK_SL_SM_EUlSZ_E0_NS1_11comp_targetILNS1_3genE3ELNS1_11target_archE908ELNS1_3gpuE7ELNS1_3repE0EEENS1_38merge_mergepath_config_static_selectorELNS0_4arch9wavefront6targetE1EEEvSL_
	.p2align	8
	.type	_ZN7rocprim17ROCPRIM_400000_NS6detail17trampoline_kernelINS0_14default_configENS1_38merge_sort_block_merge_config_selectorIiNS0_10empty_typeEEEZZNS1_27merge_sort_block_merge_implIS3_N6thrust23THRUST_200600_302600_NS6detail15normal_iteratorINS9_10device_ptrIiEEEEPS5_jNS1_19radix_merge_compareILb0ELb1EiNS0_19identity_decomposerEEEEE10hipError_tT0_T1_T2_jT3_P12ihipStream_tbPNSt15iterator_traitsISK_E10value_typeEPNSQ_ISL_E10value_typeEPSM_NS1_7vsmem_tEENKUlT_SK_SL_SM_E_clISE_PiSF_SF_EESJ_SZ_SK_SL_SM_EUlSZ_E0_NS1_11comp_targetILNS1_3genE3ELNS1_11target_archE908ELNS1_3gpuE7ELNS1_3repE0EEENS1_38merge_mergepath_config_static_selectorELNS0_4arch9wavefront6targetE1EEEvSL_,@function
_ZN7rocprim17ROCPRIM_400000_NS6detail17trampoline_kernelINS0_14default_configENS1_38merge_sort_block_merge_config_selectorIiNS0_10empty_typeEEEZZNS1_27merge_sort_block_merge_implIS3_N6thrust23THRUST_200600_302600_NS6detail15normal_iteratorINS9_10device_ptrIiEEEEPS5_jNS1_19radix_merge_compareILb0ELb1EiNS0_19identity_decomposerEEEEE10hipError_tT0_T1_T2_jT3_P12ihipStream_tbPNSt15iterator_traitsISK_E10value_typeEPNSQ_ISL_E10value_typeEPSM_NS1_7vsmem_tEENKUlT_SK_SL_SM_E_clISE_PiSF_SF_EESJ_SZ_SK_SL_SM_EUlSZ_E0_NS1_11comp_targetILNS1_3genE3ELNS1_11target_archE908ELNS1_3gpuE7ELNS1_3repE0EEENS1_38merge_mergepath_config_static_selectorELNS0_4arch9wavefront6targetE1EEEvSL_: ; @_ZN7rocprim17ROCPRIM_400000_NS6detail17trampoline_kernelINS0_14default_configENS1_38merge_sort_block_merge_config_selectorIiNS0_10empty_typeEEEZZNS1_27merge_sort_block_merge_implIS3_N6thrust23THRUST_200600_302600_NS6detail15normal_iteratorINS9_10device_ptrIiEEEEPS5_jNS1_19radix_merge_compareILb0ELb1EiNS0_19identity_decomposerEEEEE10hipError_tT0_T1_T2_jT3_P12ihipStream_tbPNSt15iterator_traitsISK_E10value_typeEPNSQ_ISL_E10value_typeEPSM_NS1_7vsmem_tEENKUlT_SK_SL_SM_E_clISE_PiSF_SF_EESJ_SZ_SK_SL_SM_EUlSZ_E0_NS1_11comp_targetILNS1_3genE3ELNS1_11target_archE908ELNS1_3gpuE7ELNS1_3repE0EEENS1_38merge_mergepath_config_static_selectorELNS0_4arch9wavefront6targetE1EEEvSL_
; %bb.0:
	.section	.rodata,"a",@progbits
	.p2align	6, 0x0
	.amdhsa_kernel _ZN7rocprim17ROCPRIM_400000_NS6detail17trampoline_kernelINS0_14default_configENS1_38merge_sort_block_merge_config_selectorIiNS0_10empty_typeEEEZZNS1_27merge_sort_block_merge_implIS3_N6thrust23THRUST_200600_302600_NS6detail15normal_iteratorINS9_10device_ptrIiEEEEPS5_jNS1_19radix_merge_compareILb0ELb1EiNS0_19identity_decomposerEEEEE10hipError_tT0_T1_T2_jT3_P12ihipStream_tbPNSt15iterator_traitsISK_E10value_typeEPNSQ_ISL_E10value_typeEPSM_NS1_7vsmem_tEENKUlT_SK_SL_SM_E_clISE_PiSF_SF_EESJ_SZ_SK_SL_SM_EUlSZ_E0_NS1_11comp_targetILNS1_3genE3ELNS1_11target_archE908ELNS1_3gpuE7ELNS1_3repE0EEENS1_38merge_mergepath_config_static_selectorELNS0_4arch9wavefront6targetE1EEEvSL_
		.amdhsa_group_segment_fixed_size 0
		.amdhsa_private_segment_fixed_size 0
		.amdhsa_kernarg_size 64
		.amdhsa_user_sgpr_count 2
		.amdhsa_user_sgpr_dispatch_ptr 0
		.amdhsa_user_sgpr_queue_ptr 0
		.amdhsa_user_sgpr_kernarg_segment_ptr 1
		.amdhsa_user_sgpr_dispatch_id 0
		.amdhsa_user_sgpr_kernarg_preload_length 0
		.amdhsa_user_sgpr_kernarg_preload_offset 0
		.amdhsa_user_sgpr_private_segment_size 0
		.amdhsa_uses_dynamic_stack 0
		.amdhsa_enable_private_segment 0
		.amdhsa_system_sgpr_workgroup_id_x 1
		.amdhsa_system_sgpr_workgroup_id_y 0
		.amdhsa_system_sgpr_workgroup_id_z 0
		.amdhsa_system_sgpr_workgroup_info 0
		.amdhsa_system_vgpr_workitem_id 0
		.amdhsa_next_free_vgpr 1
		.amdhsa_next_free_sgpr 0
		.amdhsa_accum_offset 4
		.amdhsa_reserve_vcc 0
		.amdhsa_float_round_mode_32 0
		.amdhsa_float_round_mode_16_64 0
		.amdhsa_float_denorm_mode_32 3
		.amdhsa_float_denorm_mode_16_64 3
		.amdhsa_dx10_clamp 1
		.amdhsa_ieee_mode 1
		.amdhsa_fp16_overflow 0
		.amdhsa_tg_split 0
		.amdhsa_exception_fp_ieee_invalid_op 0
		.amdhsa_exception_fp_denorm_src 0
		.amdhsa_exception_fp_ieee_div_zero 0
		.amdhsa_exception_fp_ieee_overflow 0
		.amdhsa_exception_fp_ieee_underflow 0
		.amdhsa_exception_fp_ieee_inexact 0
		.amdhsa_exception_int_div_zero 0
	.end_amdhsa_kernel
	.section	.text._ZN7rocprim17ROCPRIM_400000_NS6detail17trampoline_kernelINS0_14default_configENS1_38merge_sort_block_merge_config_selectorIiNS0_10empty_typeEEEZZNS1_27merge_sort_block_merge_implIS3_N6thrust23THRUST_200600_302600_NS6detail15normal_iteratorINS9_10device_ptrIiEEEEPS5_jNS1_19radix_merge_compareILb0ELb1EiNS0_19identity_decomposerEEEEE10hipError_tT0_T1_T2_jT3_P12ihipStream_tbPNSt15iterator_traitsISK_E10value_typeEPNSQ_ISL_E10value_typeEPSM_NS1_7vsmem_tEENKUlT_SK_SL_SM_E_clISE_PiSF_SF_EESJ_SZ_SK_SL_SM_EUlSZ_E0_NS1_11comp_targetILNS1_3genE3ELNS1_11target_archE908ELNS1_3gpuE7ELNS1_3repE0EEENS1_38merge_mergepath_config_static_selectorELNS0_4arch9wavefront6targetE1EEEvSL_,"axG",@progbits,_ZN7rocprim17ROCPRIM_400000_NS6detail17trampoline_kernelINS0_14default_configENS1_38merge_sort_block_merge_config_selectorIiNS0_10empty_typeEEEZZNS1_27merge_sort_block_merge_implIS3_N6thrust23THRUST_200600_302600_NS6detail15normal_iteratorINS9_10device_ptrIiEEEEPS5_jNS1_19radix_merge_compareILb0ELb1EiNS0_19identity_decomposerEEEEE10hipError_tT0_T1_T2_jT3_P12ihipStream_tbPNSt15iterator_traitsISK_E10value_typeEPNSQ_ISL_E10value_typeEPSM_NS1_7vsmem_tEENKUlT_SK_SL_SM_E_clISE_PiSF_SF_EESJ_SZ_SK_SL_SM_EUlSZ_E0_NS1_11comp_targetILNS1_3genE3ELNS1_11target_archE908ELNS1_3gpuE7ELNS1_3repE0EEENS1_38merge_mergepath_config_static_selectorELNS0_4arch9wavefront6targetE1EEEvSL_,comdat
.Lfunc_end120:
	.size	_ZN7rocprim17ROCPRIM_400000_NS6detail17trampoline_kernelINS0_14default_configENS1_38merge_sort_block_merge_config_selectorIiNS0_10empty_typeEEEZZNS1_27merge_sort_block_merge_implIS3_N6thrust23THRUST_200600_302600_NS6detail15normal_iteratorINS9_10device_ptrIiEEEEPS5_jNS1_19radix_merge_compareILb0ELb1EiNS0_19identity_decomposerEEEEE10hipError_tT0_T1_T2_jT3_P12ihipStream_tbPNSt15iterator_traitsISK_E10value_typeEPNSQ_ISL_E10value_typeEPSM_NS1_7vsmem_tEENKUlT_SK_SL_SM_E_clISE_PiSF_SF_EESJ_SZ_SK_SL_SM_EUlSZ_E0_NS1_11comp_targetILNS1_3genE3ELNS1_11target_archE908ELNS1_3gpuE7ELNS1_3repE0EEENS1_38merge_mergepath_config_static_selectorELNS0_4arch9wavefront6targetE1EEEvSL_, .Lfunc_end120-_ZN7rocprim17ROCPRIM_400000_NS6detail17trampoline_kernelINS0_14default_configENS1_38merge_sort_block_merge_config_selectorIiNS0_10empty_typeEEEZZNS1_27merge_sort_block_merge_implIS3_N6thrust23THRUST_200600_302600_NS6detail15normal_iteratorINS9_10device_ptrIiEEEEPS5_jNS1_19radix_merge_compareILb0ELb1EiNS0_19identity_decomposerEEEEE10hipError_tT0_T1_T2_jT3_P12ihipStream_tbPNSt15iterator_traitsISK_E10value_typeEPNSQ_ISL_E10value_typeEPSM_NS1_7vsmem_tEENKUlT_SK_SL_SM_E_clISE_PiSF_SF_EESJ_SZ_SK_SL_SM_EUlSZ_E0_NS1_11comp_targetILNS1_3genE3ELNS1_11target_archE908ELNS1_3gpuE7ELNS1_3repE0EEENS1_38merge_mergepath_config_static_selectorELNS0_4arch9wavefront6targetE1EEEvSL_
                                        ; -- End function
	.set _ZN7rocprim17ROCPRIM_400000_NS6detail17trampoline_kernelINS0_14default_configENS1_38merge_sort_block_merge_config_selectorIiNS0_10empty_typeEEEZZNS1_27merge_sort_block_merge_implIS3_N6thrust23THRUST_200600_302600_NS6detail15normal_iteratorINS9_10device_ptrIiEEEEPS5_jNS1_19radix_merge_compareILb0ELb1EiNS0_19identity_decomposerEEEEE10hipError_tT0_T1_T2_jT3_P12ihipStream_tbPNSt15iterator_traitsISK_E10value_typeEPNSQ_ISL_E10value_typeEPSM_NS1_7vsmem_tEENKUlT_SK_SL_SM_E_clISE_PiSF_SF_EESJ_SZ_SK_SL_SM_EUlSZ_E0_NS1_11comp_targetILNS1_3genE3ELNS1_11target_archE908ELNS1_3gpuE7ELNS1_3repE0EEENS1_38merge_mergepath_config_static_selectorELNS0_4arch9wavefront6targetE1EEEvSL_.num_vgpr, 0
	.set _ZN7rocprim17ROCPRIM_400000_NS6detail17trampoline_kernelINS0_14default_configENS1_38merge_sort_block_merge_config_selectorIiNS0_10empty_typeEEEZZNS1_27merge_sort_block_merge_implIS3_N6thrust23THRUST_200600_302600_NS6detail15normal_iteratorINS9_10device_ptrIiEEEEPS5_jNS1_19radix_merge_compareILb0ELb1EiNS0_19identity_decomposerEEEEE10hipError_tT0_T1_T2_jT3_P12ihipStream_tbPNSt15iterator_traitsISK_E10value_typeEPNSQ_ISL_E10value_typeEPSM_NS1_7vsmem_tEENKUlT_SK_SL_SM_E_clISE_PiSF_SF_EESJ_SZ_SK_SL_SM_EUlSZ_E0_NS1_11comp_targetILNS1_3genE3ELNS1_11target_archE908ELNS1_3gpuE7ELNS1_3repE0EEENS1_38merge_mergepath_config_static_selectorELNS0_4arch9wavefront6targetE1EEEvSL_.num_agpr, 0
	.set _ZN7rocprim17ROCPRIM_400000_NS6detail17trampoline_kernelINS0_14default_configENS1_38merge_sort_block_merge_config_selectorIiNS0_10empty_typeEEEZZNS1_27merge_sort_block_merge_implIS3_N6thrust23THRUST_200600_302600_NS6detail15normal_iteratorINS9_10device_ptrIiEEEEPS5_jNS1_19radix_merge_compareILb0ELb1EiNS0_19identity_decomposerEEEEE10hipError_tT0_T1_T2_jT3_P12ihipStream_tbPNSt15iterator_traitsISK_E10value_typeEPNSQ_ISL_E10value_typeEPSM_NS1_7vsmem_tEENKUlT_SK_SL_SM_E_clISE_PiSF_SF_EESJ_SZ_SK_SL_SM_EUlSZ_E0_NS1_11comp_targetILNS1_3genE3ELNS1_11target_archE908ELNS1_3gpuE7ELNS1_3repE0EEENS1_38merge_mergepath_config_static_selectorELNS0_4arch9wavefront6targetE1EEEvSL_.numbered_sgpr, 0
	.set _ZN7rocprim17ROCPRIM_400000_NS6detail17trampoline_kernelINS0_14default_configENS1_38merge_sort_block_merge_config_selectorIiNS0_10empty_typeEEEZZNS1_27merge_sort_block_merge_implIS3_N6thrust23THRUST_200600_302600_NS6detail15normal_iteratorINS9_10device_ptrIiEEEEPS5_jNS1_19radix_merge_compareILb0ELb1EiNS0_19identity_decomposerEEEEE10hipError_tT0_T1_T2_jT3_P12ihipStream_tbPNSt15iterator_traitsISK_E10value_typeEPNSQ_ISL_E10value_typeEPSM_NS1_7vsmem_tEENKUlT_SK_SL_SM_E_clISE_PiSF_SF_EESJ_SZ_SK_SL_SM_EUlSZ_E0_NS1_11comp_targetILNS1_3genE3ELNS1_11target_archE908ELNS1_3gpuE7ELNS1_3repE0EEENS1_38merge_mergepath_config_static_selectorELNS0_4arch9wavefront6targetE1EEEvSL_.num_named_barrier, 0
	.set _ZN7rocprim17ROCPRIM_400000_NS6detail17trampoline_kernelINS0_14default_configENS1_38merge_sort_block_merge_config_selectorIiNS0_10empty_typeEEEZZNS1_27merge_sort_block_merge_implIS3_N6thrust23THRUST_200600_302600_NS6detail15normal_iteratorINS9_10device_ptrIiEEEEPS5_jNS1_19radix_merge_compareILb0ELb1EiNS0_19identity_decomposerEEEEE10hipError_tT0_T1_T2_jT3_P12ihipStream_tbPNSt15iterator_traitsISK_E10value_typeEPNSQ_ISL_E10value_typeEPSM_NS1_7vsmem_tEENKUlT_SK_SL_SM_E_clISE_PiSF_SF_EESJ_SZ_SK_SL_SM_EUlSZ_E0_NS1_11comp_targetILNS1_3genE3ELNS1_11target_archE908ELNS1_3gpuE7ELNS1_3repE0EEENS1_38merge_mergepath_config_static_selectorELNS0_4arch9wavefront6targetE1EEEvSL_.private_seg_size, 0
	.set _ZN7rocprim17ROCPRIM_400000_NS6detail17trampoline_kernelINS0_14default_configENS1_38merge_sort_block_merge_config_selectorIiNS0_10empty_typeEEEZZNS1_27merge_sort_block_merge_implIS3_N6thrust23THRUST_200600_302600_NS6detail15normal_iteratorINS9_10device_ptrIiEEEEPS5_jNS1_19radix_merge_compareILb0ELb1EiNS0_19identity_decomposerEEEEE10hipError_tT0_T1_T2_jT3_P12ihipStream_tbPNSt15iterator_traitsISK_E10value_typeEPNSQ_ISL_E10value_typeEPSM_NS1_7vsmem_tEENKUlT_SK_SL_SM_E_clISE_PiSF_SF_EESJ_SZ_SK_SL_SM_EUlSZ_E0_NS1_11comp_targetILNS1_3genE3ELNS1_11target_archE908ELNS1_3gpuE7ELNS1_3repE0EEENS1_38merge_mergepath_config_static_selectorELNS0_4arch9wavefront6targetE1EEEvSL_.uses_vcc, 0
	.set _ZN7rocprim17ROCPRIM_400000_NS6detail17trampoline_kernelINS0_14default_configENS1_38merge_sort_block_merge_config_selectorIiNS0_10empty_typeEEEZZNS1_27merge_sort_block_merge_implIS3_N6thrust23THRUST_200600_302600_NS6detail15normal_iteratorINS9_10device_ptrIiEEEEPS5_jNS1_19radix_merge_compareILb0ELb1EiNS0_19identity_decomposerEEEEE10hipError_tT0_T1_T2_jT3_P12ihipStream_tbPNSt15iterator_traitsISK_E10value_typeEPNSQ_ISL_E10value_typeEPSM_NS1_7vsmem_tEENKUlT_SK_SL_SM_E_clISE_PiSF_SF_EESJ_SZ_SK_SL_SM_EUlSZ_E0_NS1_11comp_targetILNS1_3genE3ELNS1_11target_archE908ELNS1_3gpuE7ELNS1_3repE0EEENS1_38merge_mergepath_config_static_selectorELNS0_4arch9wavefront6targetE1EEEvSL_.uses_flat_scratch, 0
	.set _ZN7rocprim17ROCPRIM_400000_NS6detail17trampoline_kernelINS0_14default_configENS1_38merge_sort_block_merge_config_selectorIiNS0_10empty_typeEEEZZNS1_27merge_sort_block_merge_implIS3_N6thrust23THRUST_200600_302600_NS6detail15normal_iteratorINS9_10device_ptrIiEEEEPS5_jNS1_19radix_merge_compareILb0ELb1EiNS0_19identity_decomposerEEEEE10hipError_tT0_T1_T2_jT3_P12ihipStream_tbPNSt15iterator_traitsISK_E10value_typeEPNSQ_ISL_E10value_typeEPSM_NS1_7vsmem_tEENKUlT_SK_SL_SM_E_clISE_PiSF_SF_EESJ_SZ_SK_SL_SM_EUlSZ_E0_NS1_11comp_targetILNS1_3genE3ELNS1_11target_archE908ELNS1_3gpuE7ELNS1_3repE0EEENS1_38merge_mergepath_config_static_selectorELNS0_4arch9wavefront6targetE1EEEvSL_.has_dyn_sized_stack, 0
	.set _ZN7rocprim17ROCPRIM_400000_NS6detail17trampoline_kernelINS0_14default_configENS1_38merge_sort_block_merge_config_selectorIiNS0_10empty_typeEEEZZNS1_27merge_sort_block_merge_implIS3_N6thrust23THRUST_200600_302600_NS6detail15normal_iteratorINS9_10device_ptrIiEEEEPS5_jNS1_19radix_merge_compareILb0ELb1EiNS0_19identity_decomposerEEEEE10hipError_tT0_T1_T2_jT3_P12ihipStream_tbPNSt15iterator_traitsISK_E10value_typeEPNSQ_ISL_E10value_typeEPSM_NS1_7vsmem_tEENKUlT_SK_SL_SM_E_clISE_PiSF_SF_EESJ_SZ_SK_SL_SM_EUlSZ_E0_NS1_11comp_targetILNS1_3genE3ELNS1_11target_archE908ELNS1_3gpuE7ELNS1_3repE0EEENS1_38merge_mergepath_config_static_selectorELNS0_4arch9wavefront6targetE1EEEvSL_.has_recursion, 0
	.set _ZN7rocprim17ROCPRIM_400000_NS6detail17trampoline_kernelINS0_14default_configENS1_38merge_sort_block_merge_config_selectorIiNS0_10empty_typeEEEZZNS1_27merge_sort_block_merge_implIS3_N6thrust23THRUST_200600_302600_NS6detail15normal_iteratorINS9_10device_ptrIiEEEEPS5_jNS1_19radix_merge_compareILb0ELb1EiNS0_19identity_decomposerEEEEE10hipError_tT0_T1_T2_jT3_P12ihipStream_tbPNSt15iterator_traitsISK_E10value_typeEPNSQ_ISL_E10value_typeEPSM_NS1_7vsmem_tEENKUlT_SK_SL_SM_E_clISE_PiSF_SF_EESJ_SZ_SK_SL_SM_EUlSZ_E0_NS1_11comp_targetILNS1_3genE3ELNS1_11target_archE908ELNS1_3gpuE7ELNS1_3repE0EEENS1_38merge_mergepath_config_static_selectorELNS0_4arch9wavefront6targetE1EEEvSL_.has_indirect_call, 0
	.section	.AMDGPU.csdata,"",@progbits
; Kernel info:
; codeLenInByte = 0
; TotalNumSgprs: 6
; NumVgprs: 0
; NumAgprs: 0
; TotalNumVgprs: 0
; ScratchSize: 0
; MemoryBound: 0
; FloatMode: 240
; IeeeMode: 1
; LDSByteSize: 0 bytes/workgroup (compile time only)
; SGPRBlocks: 0
; VGPRBlocks: 0
; NumSGPRsForWavesPerEU: 6
; NumVGPRsForWavesPerEU: 1
; AccumOffset: 4
; Occupancy: 8
; WaveLimiterHint : 0
; COMPUTE_PGM_RSRC2:SCRATCH_EN: 0
; COMPUTE_PGM_RSRC2:USER_SGPR: 2
; COMPUTE_PGM_RSRC2:TRAP_HANDLER: 0
; COMPUTE_PGM_RSRC2:TGID_X_EN: 1
; COMPUTE_PGM_RSRC2:TGID_Y_EN: 0
; COMPUTE_PGM_RSRC2:TGID_Z_EN: 0
; COMPUTE_PGM_RSRC2:TIDIG_COMP_CNT: 0
; COMPUTE_PGM_RSRC3_GFX90A:ACCUM_OFFSET: 0
; COMPUTE_PGM_RSRC3_GFX90A:TG_SPLIT: 0
	.section	.text._ZN7rocprim17ROCPRIM_400000_NS6detail17trampoline_kernelINS0_14default_configENS1_38merge_sort_block_merge_config_selectorIiNS0_10empty_typeEEEZZNS1_27merge_sort_block_merge_implIS3_N6thrust23THRUST_200600_302600_NS6detail15normal_iteratorINS9_10device_ptrIiEEEEPS5_jNS1_19radix_merge_compareILb0ELb1EiNS0_19identity_decomposerEEEEE10hipError_tT0_T1_T2_jT3_P12ihipStream_tbPNSt15iterator_traitsISK_E10value_typeEPNSQ_ISL_E10value_typeEPSM_NS1_7vsmem_tEENKUlT_SK_SL_SM_E_clISE_PiSF_SF_EESJ_SZ_SK_SL_SM_EUlSZ_E0_NS1_11comp_targetILNS1_3genE2ELNS1_11target_archE906ELNS1_3gpuE6ELNS1_3repE0EEENS1_38merge_mergepath_config_static_selectorELNS0_4arch9wavefront6targetE1EEEvSL_,"axG",@progbits,_ZN7rocprim17ROCPRIM_400000_NS6detail17trampoline_kernelINS0_14default_configENS1_38merge_sort_block_merge_config_selectorIiNS0_10empty_typeEEEZZNS1_27merge_sort_block_merge_implIS3_N6thrust23THRUST_200600_302600_NS6detail15normal_iteratorINS9_10device_ptrIiEEEEPS5_jNS1_19radix_merge_compareILb0ELb1EiNS0_19identity_decomposerEEEEE10hipError_tT0_T1_T2_jT3_P12ihipStream_tbPNSt15iterator_traitsISK_E10value_typeEPNSQ_ISL_E10value_typeEPSM_NS1_7vsmem_tEENKUlT_SK_SL_SM_E_clISE_PiSF_SF_EESJ_SZ_SK_SL_SM_EUlSZ_E0_NS1_11comp_targetILNS1_3genE2ELNS1_11target_archE906ELNS1_3gpuE6ELNS1_3repE0EEENS1_38merge_mergepath_config_static_selectorELNS0_4arch9wavefront6targetE1EEEvSL_,comdat
	.protected	_ZN7rocprim17ROCPRIM_400000_NS6detail17trampoline_kernelINS0_14default_configENS1_38merge_sort_block_merge_config_selectorIiNS0_10empty_typeEEEZZNS1_27merge_sort_block_merge_implIS3_N6thrust23THRUST_200600_302600_NS6detail15normal_iteratorINS9_10device_ptrIiEEEEPS5_jNS1_19radix_merge_compareILb0ELb1EiNS0_19identity_decomposerEEEEE10hipError_tT0_T1_T2_jT3_P12ihipStream_tbPNSt15iterator_traitsISK_E10value_typeEPNSQ_ISL_E10value_typeEPSM_NS1_7vsmem_tEENKUlT_SK_SL_SM_E_clISE_PiSF_SF_EESJ_SZ_SK_SL_SM_EUlSZ_E0_NS1_11comp_targetILNS1_3genE2ELNS1_11target_archE906ELNS1_3gpuE6ELNS1_3repE0EEENS1_38merge_mergepath_config_static_selectorELNS0_4arch9wavefront6targetE1EEEvSL_ ; -- Begin function _ZN7rocprim17ROCPRIM_400000_NS6detail17trampoline_kernelINS0_14default_configENS1_38merge_sort_block_merge_config_selectorIiNS0_10empty_typeEEEZZNS1_27merge_sort_block_merge_implIS3_N6thrust23THRUST_200600_302600_NS6detail15normal_iteratorINS9_10device_ptrIiEEEEPS5_jNS1_19radix_merge_compareILb0ELb1EiNS0_19identity_decomposerEEEEE10hipError_tT0_T1_T2_jT3_P12ihipStream_tbPNSt15iterator_traitsISK_E10value_typeEPNSQ_ISL_E10value_typeEPSM_NS1_7vsmem_tEENKUlT_SK_SL_SM_E_clISE_PiSF_SF_EESJ_SZ_SK_SL_SM_EUlSZ_E0_NS1_11comp_targetILNS1_3genE2ELNS1_11target_archE906ELNS1_3gpuE6ELNS1_3repE0EEENS1_38merge_mergepath_config_static_selectorELNS0_4arch9wavefront6targetE1EEEvSL_
	.globl	_ZN7rocprim17ROCPRIM_400000_NS6detail17trampoline_kernelINS0_14default_configENS1_38merge_sort_block_merge_config_selectorIiNS0_10empty_typeEEEZZNS1_27merge_sort_block_merge_implIS3_N6thrust23THRUST_200600_302600_NS6detail15normal_iteratorINS9_10device_ptrIiEEEEPS5_jNS1_19radix_merge_compareILb0ELb1EiNS0_19identity_decomposerEEEEE10hipError_tT0_T1_T2_jT3_P12ihipStream_tbPNSt15iterator_traitsISK_E10value_typeEPNSQ_ISL_E10value_typeEPSM_NS1_7vsmem_tEENKUlT_SK_SL_SM_E_clISE_PiSF_SF_EESJ_SZ_SK_SL_SM_EUlSZ_E0_NS1_11comp_targetILNS1_3genE2ELNS1_11target_archE906ELNS1_3gpuE6ELNS1_3repE0EEENS1_38merge_mergepath_config_static_selectorELNS0_4arch9wavefront6targetE1EEEvSL_
	.p2align	8
	.type	_ZN7rocprim17ROCPRIM_400000_NS6detail17trampoline_kernelINS0_14default_configENS1_38merge_sort_block_merge_config_selectorIiNS0_10empty_typeEEEZZNS1_27merge_sort_block_merge_implIS3_N6thrust23THRUST_200600_302600_NS6detail15normal_iteratorINS9_10device_ptrIiEEEEPS5_jNS1_19radix_merge_compareILb0ELb1EiNS0_19identity_decomposerEEEEE10hipError_tT0_T1_T2_jT3_P12ihipStream_tbPNSt15iterator_traitsISK_E10value_typeEPNSQ_ISL_E10value_typeEPSM_NS1_7vsmem_tEENKUlT_SK_SL_SM_E_clISE_PiSF_SF_EESJ_SZ_SK_SL_SM_EUlSZ_E0_NS1_11comp_targetILNS1_3genE2ELNS1_11target_archE906ELNS1_3gpuE6ELNS1_3repE0EEENS1_38merge_mergepath_config_static_selectorELNS0_4arch9wavefront6targetE1EEEvSL_,@function
_ZN7rocprim17ROCPRIM_400000_NS6detail17trampoline_kernelINS0_14default_configENS1_38merge_sort_block_merge_config_selectorIiNS0_10empty_typeEEEZZNS1_27merge_sort_block_merge_implIS3_N6thrust23THRUST_200600_302600_NS6detail15normal_iteratorINS9_10device_ptrIiEEEEPS5_jNS1_19radix_merge_compareILb0ELb1EiNS0_19identity_decomposerEEEEE10hipError_tT0_T1_T2_jT3_P12ihipStream_tbPNSt15iterator_traitsISK_E10value_typeEPNSQ_ISL_E10value_typeEPSM_NS1_7vsmem_tEENKUlT_SK_SL_SM_E_clISE_PiSF_SF_EESJ_SZ_SK_SL_SM_EUlSZ_E0_NS1_11comp_targetILNS1_3genE2ELNS1_11target_archE906ELNS1_3gpuE6ELNS1_3repE0EEENS1_38merge_mergepath_config_static_selectorELNS0_4arch9wavefront6targetE1EEEvSL_: ; @_ZN7rocprim17ROCPRIM_400000_NS6detail17trampoline_kernelINS0_14default_configENS1_38merge_sort_block_merge_config_selectorIiNS0_10empty_typeEEEZZNS1_27merge_sort_block_merge_implIS3_N6thrust23THRUST_200600_302600_NS6detail15normal_iteratorINS9_10device_ptrIiEEEEPS5_jNS1_19radix_merge_compareILb0ELb1EiNS0_19identity_decomposerEEEEE10hipError_tT0_T1_T2_jT3_P12ihipStream_tbPNSt15iterator_traitsISK_E10value_typeEPNSQ_ISL_E10value_typeEPSM_NS1_7vsmem_tEENKUlT_SK_SL_SM_E_clISE_PiSF_SF_EESJ_SZ_SK_SL_SM_EUlSZ_E0_NS1_11comp_targetILNS1_3genE2ELNS1_11target_archE906ELNS1_3gpuE6ELNS1_3repE0EEENS1_38merge_mergepath_config_static_selectorELNS0_4arch9wavefront6targetE1EEEvSL_
; %bb.0:
	.section	.rodata,"a",@progbits
	.p2align	6, 0x0
	.amdhsa_kernel _ZN7rocprim17ROCPRIM_400000_NS6detail17trampoline_kernelINS0_14default_configENS1_38merge_sort_block_merge_config_selectorIiNS0_10empty_typeEEEZZNS1_27merge_sort_block_merge_implIS3_N6thrust23THRUST_200600_302600_NS6detail15normal_iteratorINS9_10device_ptrIiEEEEPS5_jNS1_19radix_merge_compareILb0ELb1EiNS0_19identity_decomposerEEEEE10hipError_tT0_T1_T2_jT3_P12ihipStream_tbPNSt15iterator_traitsISK_E10value_typeEPNSQ_ISL_E10value_typeEPSM_NS1_7vsmem_tEENKUlT_SK_SL_SM_E_clISE_PiSF_SF_EESJ_SZ_SK_SL_SM_EUlSZ_E0_NS1_11comp_targetILNS1_3genE2ELNS1_11target_archE906ELNS1_3gpuE6ELNS1_3repE0EEENS1_38merge_mergepath_config_static_selectorELNS0_4arch9wavefront6targetE1EEEvSL_
		.amdhsa_group_segment_fixed_size 0
		.amdhsa_private_segment_fixed_size 0
		.amdhsa_kernarg_size 64
		.amdhsa_user_sgpr_count 2
		.amdhsa_user_sgpr_dispatch_ptr 0
		.amdhsa_user_sgpr_queue_ptr 0
		.amdhsa_user_sgpr_kernarg_segment_ptr 1
		.amdhsa_user_sgpr_dispatch_id 0
		.amdhsa_user_sgpr_kernarg_preload_length 0
		.amdhsa_user_sgpr_kernarg_preload_offset 0
		.amdhsa_user_sgpr_private_segment_size 0
		.amdhsa_uses_dynamic_stack 0
		.amdhsa_enable_private_segment 0
		.amdhsa_system_sgpr_workgroup_id_x 1
		.amdhsa_system_sgpr_workgroup_id_y 0
		.amdhsa_system_sgpr_workgroup_id_z 0
		.amdhsa_system_sgpr_workgroup_info 0
		.amdhsa_system_vgpr_workitem_id 0
		.amdhsa_next_free_vgpr 1
		.amdhsa_next_free_sgpr 0
		.amdhsa_accum_offset 4
		.amdhsa_reserve_vcc 0
		.amdhsa_float_round_mode_32 0
		.amdhsa_float_round_mode_16_64 0
		.amdhsa_float_denorm_mode_32 3
		.amdhsa_float_denorm_mode_16_64 3
		.amdhsa_dx10_clamp 1
		.amdhsa_ieee_mode 1
		.amdhsa_fp16_overflow 0
		.amdhsa_tg_split 0
		.amdhsa_exception_fp_ieee_invalid_op 0
		.amdhsa_exception_fp_denorm_src 0
		.amdhsa_exception_fp_ieee_div_zero 0
		.amdhsa_exception_fp_ieee_overflow 0
		.amdhsa_exception_fp_ieee_underflow 0
		.amdhsa_exception_fp_ieee_inexact 0
		.amdhsa_exception_int_div_zero 0
	.end_amdhsa_kernel
	.section	.text._ZN7rocprim17ROCPRIM_400000_NS6detail17trampoline_kernelINS0_14default_configENS1_38merge_sort_block_merge_config_selectorIiNS0_10empty_typeEEEZZNS1_27merge_sort_block_merge_implIS3_N6thrust23THRUST_200600_302600_NS6detail15normal_iteratorINS9_10device_ptrIiEEEEPS5_jNS1_19radix_merge_compareILb0ELb1EiNS0_19identity_decomposerEEEEE10hipError_tT0_T1_T2_jT3_P12ihipStream_tbPNSt15iterator_traitsISK_E10value_typeEPNSQ_ISL_E10value_typeEPSM_NS1_7vsmem_tEENKUlT_SK_SL_SM_E_clISE_PiSF_SF_EESJ_SZ_SK_SL_SM_EUlSZ_E0_NS1_11comp_targetILNS1_3genE2ELNS1_11target_archE906ELNS1_3gpuE6ELNS1_3repE0EEENS1_38merge_mergepath_config_static_selectorELNS0_4arch9wavefront6targetE1EEEvSL_,"axG",@progbits,_ZN7rocprim17ROCPRIM_400000_NS6detail17trampoline_kernelINS0_14default_configENS1_38merge_sort_block_merge_config_selectorIiNS0_10empty_typeEEEZZNS1_27merge_sort_block_merge_implIS3_N6thrust23THRUST_200600_302600_NS6detail15normal_iteratorINS9_10device_ptrIiEEEEPS5_jNS1_19radix_merge_compareILb0ELb1EiNS0_19identity_decomposerEEEEE10hipError_tT0_T1_T2_jT3_P12ihipStream_tbPNSt15iterator_traitsISK_E10value_typeEPNSQ_ISL_E10value_typeEPSM_NS1_7vsmem_tEENKUlT_SK_SL_SM_E_clISE_PiSF_SF_EESJ_SZ_SK_SL_SM_EUlSZ_E0_NS1_11comp_targetILNS1_3genE2ELNS1_11target_archE906ELNS1_3gpuE6ELNS1_3repE0EEENS1_38merge_mergepath_config_static_selectorELNS0_4arch9wavefront6targetE1EEEvSL_,comdat
.Lfunc_end121:
	.size	_ZN7rocprim17ROCPRIM_400000_NS6detail17trampoline_kernelINS0_14default_configENS1_38merge_sort_block_merge_config_selectorIiNS0_10empty_typeEEEZZNS1_27merge_sort_block_merge_implIS3_N6thrust23THRUST_200600_302600_NS6detail15normal_iteratorINS9_10device_ptrIiEEEEPS5_jNS1_19radix_merge_compareILb0ELb1EiNS0_19identity_decomposerEEEEE10hipError_tT0_T1_T2_jT3_P12ihipStream_tbPNSt15iterator_traitsISK_E10value_typeEPNSQ_ISL_E10value_typeEPSM_NS1_7vsmem_tEENKUlT_SK_SL_SM_E_clISE_PiSF_SF_EESJ_SZ_SK_SL_SM_EUlSZ_E0_NS1_11comp_targetILNS1_3genE2ELNS1_11target_archE906ELNS1_3gpuE6ELNS1_3repE0EEENS1_38merge_mergepath_config_static_selectorELNS0_4arch9wavefront6targetE1EEEvSL_, .Lfunc_end121-_ZN7rocprim17ROCPRIM_400000_NS6detail17trampoline_kernelINS0_14default_configENS1_38merge_sort_block_merge_config_selectorIiNS0_10empty_typeEEEZZNS1_27merge_sort_block_merge_implIS3_N6thrust23THRUST_200600_302600_NS6detail15normal_iteratorINS9_10device_ptrIiEEEEPS5_jNS1_19radix_merge_compareILb0ELb1EiNS0_19identity_decomposerEEEEE10hipError_tT0_T1_T2_jT3_P12ihipStream_tbPNSt15iterator_traitsISK_E10value_typeEPNSQ_ISL_E10value_typeEPSM_NS1_7vsmem_tEENKUlT_SK_SL_SM_E_clISE_PiSF_SF_EESJ_SZ_SK_SL_SM_EUlSZ_E0_NS1_11comp_targetILNS1_3genE2ELNS1_11target_archE906ELNS1_3gpuE6ELNS1_3repE0EEENS1_38merge_mergepath_config_static_selectorELNS0_4arch9wavefront6targetE1EEEvSL_
                                        ; -- End function
	.set _ZN7rocprim17ROCPRIM_400000_NS6detail17trampoline_kernelINS0_14default_configENS1_38merge_sort_block_merge_config_selectorIiNS0_10empty_typeEEEZZNS1_27merge_sort_block_merge_implIS3_N6thrust23THRUST_200600_302600_NS6detail15normal_iteratorINS9_10device_ptrIiEEEEPS5_jNS1_19radix_merge_compareILb0ELb1EiNS0_19identity_decomposerEEEEE10hipError_tT0_T1_T2_jT3_P12ihipStream_tbPNSt15iterator_traitsISK_E10value_typeEPNSQ_ISL_E10value_typeEPSM_NS1_7vsmem_tEENKUlT_SK_SL_SM_E_clISE_PiSF_SF_EESJ_SZ_SK_SL_SM_EUlSZ_E0_NS1_11comp_targetILNS1_3genE2ELNS1_11target_archE906ELNS1_3gpuE6ELNS1_3repE0EEENS1_38merge_mergepath_config_static_selectorELNS0_4arch9wavefront6targetE1EEEvSL_.num_vgpr, 0
	.set _ZN7rocprim17ROCPRIM_400000_NS6detail17trampoline_kernelINS0_14default_configENS1_38merge_sort_block_merge_config_selectorIiNS0_10empty_typeEEEZZNS1_27merge_sort_block_merge_implIS3_N6thrust23THRUST_200600_302600_NS6detail15normal_iteratorINS9_10device_ptrIiEEEEPS5_jNS1_19radix_merge_compareILb0ELb1EiNS0_19identity_decomposerEEEEE10hipError_tT0_T1_T2_jT3_P12ihipStream_tbPNSt15iterator_traitsISK_E10value_typeEPNSQ_ISL_E10value_typeEPSM_NS1_7vsmem_tEENKUlT_SK_SL_SM_E_clISE_PiSF_SF_EESJ_SZ_SK_SL_SM_EUlSZ_E0_NS1_11comp_targetILNS1_3genE2ELNS1_11target_archE906ELNS1_3gpuE6ELNS1_3repE0EEENS1_38merge_mergepath_config_static_selectorELNS0_4arch9wavefront6targetE1EEEvSL_.num_agpr, 0
	.set _ZN7rocprim17ROCPRIM_400000_NS6detail17trampoline_kernelINS0_14default_configENS1_38merge_sort_block_merge_config_selectorIiNS0_10empty_typeEEEZZNS1_27merge_sort_block_merge_implIS3_N6thrust23THRUST_200600_302600_NS6detail15normal_iteratorINS9_10device_ptrIiEEEEPS5_jNS1_19radix_merge_compareILb0ELb1EiNS0_19identity_decomposerEEEEE10hipError_tT0_T1_T2_jT3_P12ihipStream_tbPNSt15iterator_traitsISK_E10value_typeEPNSQ_ISL_E10value_typeEPSM_NS1_7vsmem_tEENKUlT_SK_SL_SM_E_clISE_PiSF_SF_EESJ_SZ_SK_SL_SM_EUlSZ_E0_NS1_11comp_targetILNS1_3genE2ELNS1_11target_archE906ELNS1_3gpuE6ELNS1_3repE0EEENS1_38merge_mergepath_config_static_selectorELNS0_4arch9wavefront6targetE1EEEvSL_.numbered_sgpr, 0
	.set _ZN7rocprim17ROCPRIM_400000_NS6detail17trampoline_kernelINS0_14default_configENS1_38merge_sort_block_merge_config_selectorIiNS0_10empty_typeEEEZZNS1_27merge_sort_block_merge_implIS3_N6thrust23THRUST_200600_302600_NS6detail15normal_iteratorINS9_10device_ptrIiEEEEPS5_jNS1_19radix_merge_compareILb0ELb1EiNS0_19identity_decomposerEEEEE10hipError_tT0_T1_T2_jT3_P12ihipStream_tbPNSt15iterator_traitsISK_E10value_typeEPNSQ_ISL_E10value_typeEPSM_NS1_7vsmem_tEENKUlT_SK_SL_SM_E_clISE_PiSF_SF_EESJ_SZ_SK_SL_SM_EUlSZ_E0_NS1_11comp_targetILNS1_3genE2ELNS1_11target_archE906ELNS1_3gpuE6ELNS1_3repE0EEENS1_38merge_mergepath_config_static_selectorELNS0_4arch9wavefront6targetE1EEEvSL_.num_named_barrier, 0
	.set _ZN7rocprim17ROCPRIM_400000_NS6detail17trampoline_kernelINS0_14default_configENS1_38merge_sort_block_merge_config_selectorIiNS0_10empty_typeEEEZZNS1_27merge_sort_block_merge_implIS3_N6thrust23THRUST_200600_302600_NS6detail15normal_iteratorINS9_10device_ptrIiEEEEPS5_jNS1_19radix_merge_compareILb0ELb1EiNS0_19identity_decomposerEEEEE10hipError_tT0_T1_T2_jT3_P12ihipStream_tbPNSt15iterator_traitsISK_E10value_typeEPNSQ_ISL_E10value_typeEPSM_NS1_7vsmem_tEENKUlT_SK_SL_SM_E_clISE_PiSF_SF_EESJ_SZ_SK_SL_SM_EUlSZ_E0_NS1_11comp_targetILNS1_3genE2ELNS1_11target_archE906ELNS1_3gpuE6ELNS1_3repE0EEENS1_38merge_mergepath_config_static_selectorELNS0_4arch9wavefront6targetE1EEEvSL_.private_seg_size, 0
	.set _ZN7rocprim17ROCPRIM_400000_NS6detail17trampoline_kernelINS0_14default_configENS1_38merge_sort_block_merge_config_selectorIiNS0_10empty_typeEEEZZNS1_27merge_sort_block_merge_implIS3_N6thrust23THRUST_200600_302600_NS6detail15normal_iteratorINS9_10device_ptrIiEEEEPS5_jNS1_19radix_merge_compareILb0ELb1EiNS0_19identity_decomposerEEEEE10hipError_tT0_T1_T2_jT3_P12ihipStream_tbPNSt15iterator_traitsISK_E10value_typeEPNSQ_ISL_E10value_typeEPSM_NS1_7vsmem_tEENKUlT_SK_SL_SM_E_clISE_PiSF_SF_EESJ_SZ_SK_SL_SM_EUlSZ_E0_NS1_11comp_targetILNS1_3genE2ELNS1_11target_archE906ELNS1_3gpuE6ELNS1_3repE0EEENS1_38merge_mergepath_config_static_selectorELNS0_4arch9wavefront6targetE1EEEvSL_.uses_vcc, 0
	.set _ZN7rocprim17ROCPRIM_400000_NS6detail17trampoline_kernelINS0_14default_configENS1_38merge_sort_block_merge_config_selectorIiNS0_10empty_typeEEEZZNS1_27merge_sort_block_merge_implIS3_N6thrust23THRUST_200600_302600_NS6detail15normal_iteratorINS9_10device_ptrIiEEEEPS5_jNS1_19radix_merge_compareILb0ELb1EiNS0_19identity_decomposerEEEEE10hipError_tT0_T1_T2_jT3_P12ihipStream_tbPNSt15iterator_traitsISK_E10value_typeEPNSQ_ISL_E10value_typeEPSM_NS1_7vsmem_tEENKUlT_SK_SL_SM_E_clISE_PiSF_SF_EESJ_SZ_SK_SL_SM_EUlSZ_E0_NS1_11comp_targetILNS1_3genE2ELNS1_11target_archE906ELNS1_3gpuE6ELNS1_3repE0EEENS1_38merge_mergepath_config_static_selectorELNS0_4arch9wavefront6targetE1EEEvSL_.uses_flat_scratch, 0
	.set _ZN7rocprim17ROCPRIM_400000_NS6detail17trampoline_kernelINS0_14default_configENS1_38merge_sort_block_merge_config_selectorIiNS0_10empty_typeEEEZZNS1_27merge_sort_block_merge_implIS3_N6thrust23THRUST_200600_302600_NS6detail15normal_iteratorINS9_10device_ptrIiEEEEPS5_jNS1_19radix_merge_compareILb0ELb1EiNS0_19identity_decomposerEEEEE10hipError_tT0_T1_T2_jT3_P12ihipStream_tbPNSt15iterator_traitsISK_E10value_typeEPNSQ_ISL_E10value_typeEPSM_NS1_7vsmem_tEENKUlT_SK_SL_SM_E_clISE_PiSF_SF_EESJ_SZ_SK_SL_SM_EUlSZ_E0_NS1_11comp_targetILNS1_3genE2ELNS1_11target_archE906ELNS1_3gpuE6ELNS1_3repE0EEENS1_38merge_mergepath_config_static_selectorELNS0_4arch9wavefront6targetE1EEEvSL_.has_dyn_sized_stack, 0
	.set _ZN7rocprim17ROCPRIM_400000_NS6detail17trampoline_kernelINS0_14default_configENS1_38merge_sort_block_merge_config_selectorIiNS0_10empty_typeEEEZZNS1_27merge_sort_block_merge_implIS3_N6thrust23THRUST_200600_302600_NS6detail15normal_iteratorINS9_10device_ptrIiEEEEPS5_jNS1_19radix_merge_compareILb0ELb1EiNS0_19identity_decomposerEEEEE10hipError_tT0_T1_T2_jT3_P12ihipStream_tbPNSt15iterator_traitsISK_E10value_typeEPNSQ_ISL_E10value_typeEPSM_NS1_7vsmem_tEENKUlT_SK_SL_SM_E_clISE_PiSF_SF_EESJ_SZ_SK_SL_SM_EUlSZ_E0_NS1_11comp_targetILNS1_3genE2ELNS1_11target_archE906ELNS1_3gpuE6ELNS1_3repE0EEENS1_38merge_mergepath_config_static_selectorELNS0_4arch9wavefront6targetE1EEEvSL_.has_recursion, 0
	.set _ZN7rocprim17ROCPRIM_400000_NS6detail17trampoline_kernelINS0_14default_configENS1_38merge_sort_block_merge_config_selectorIiNS0_10empty_typeEEEZZNS1_27merge_sort_block_merge_implIS3_N6thrust23THRUST_200600_302600_NS6detail15normal_iteratorINS9_10device_ptrIiEEEEPS5_jNS1_19radix_merge_compareILb0ELb1EiNS0_19identity_decomposerEEEEE10hipError_tT0_T1_T2_jT3_P12ihipStream_tbPNSt15iterator_traitsISK_E10value_typeEPNSQ_ISL_E10value_typeEPSM_NS1_7vsmem_tEENKUlT_SK_SL_SM_E_clISE_PiSF_SF_EESJ_SZ_SK_SL_SM_EUlSZ_E0_NS1_11comp_targetILNS1_3genE2ELNS1_11target_archE906ELNS1_3gpuE6ELNS1_3repE0EEENS1_38merge_mergepath_config_static_selectorELNS0_4arch9wavefront6targetE1EEEvSL_.has_indirect_call, 0
	.section	.AMDGPU.csdata,"",@progbits
; Kernel info:
; codeLenInByte = 0
; TotalNumSgprs: 6
; NumVgprs: 0
; NumAgprs: 0
; TotalNumVgprs: 0
; ScratchSize: 0
; MemoryBound: 0
; FloatMode: 240
; IeeeMode: 1
; LDSByteSize: 0 bytes/workgroup (compile time only)
; SGPRBlocks: 0
; VGPRBlocks: 0
; NumSGPRsForWavesPerEU: 6
; NumVGPRsForWavesPerEU: 1
; AccumOffset: 4
; Occupancy: 8
; WaveLimiterHint : 0
; COMPUTE_PGM_RSRC2:SCRATCH_EN: 0
; COMPUTE_PGM_RSRC2:USER_SGPR: 2
; COMPUTE_PGM_RSRC2:TRAP_HANDLER: 0
; COMPUTE_PGM_RSRC2:TGID_X_EN: 1
; COMPUTE_PGM_RSRC2:TGID_Y_EN: 0
; COMPUTE_PGM_RSRC2:TGID_Z_EN: 0
; COMPUTE_PGM_RSRC2:TIDIG_COMP_CNT: 0
; COMPUTE_PGM_RSRC3_GFX90A:ACCUM_OFFSET: 0
; COMPUTE_PGM_RSRC3_GFX90A:TG_SPLIT: 0
	.section	.text._ZN7rocprim17ROCPRIM_400000_NS6detail17trampoline_kernelINS0_14default_configENS1_38merge_sort_block_merge_config_selectorIiNS0_10empty_typeEEEZZNS1_27merge_sort_block_merge_implIS3_N6thrust23THRUST_200600_302600_NS6detail15normal_iteratorINS9_10device_ptrIiEEEEPS5_jNS1_19radix_merge_compareILb0ELb1EiNS0_19identity_decomposerEEEEE10hipError_tT0_T1_T2_jT3_P12ihipStream_tbPNSt15iterator_traitsISK_E10value_typeEPNSQ_ISL_E10value_typeEPSM_NS1_7vsmem_tEENKUlT_SK_SL_SM_E_clISE_PiSF_SF_EESJ_SZ_SK_SL_SM_EUlSZ_E0_NS1_11comp_targetILNS1_3genE9ELNS1_11target_archE1100ELNS1_3gpuE3ELNS1_3repE0EEENS1_38merge_mergepath_config_static_selectorELNS0_4arch9wavefront6targetE1EEEvSL_,"axG",@progbits,_ZN7rocprim17ROCPRIM_400000_NS6detail17trampoline_kernelINS0_14default_configENS1_38merge_sort_block_merge_config_selectorIiNS0_10empty_typeEEEZZNS1_27merge_sort_block_merge_implIS3_N6thrust23THRUST_200600_302600_NS6detail15normal_iteratorINS9_10device_ptrIiEEEEPS5_jNS1_19radix_merge_compareILb0ELb1EiNS0_19identity_decomposerEEEEE10hipError_tT0_T1_T2_jT3_P12ihipStream_tbPNSt15iterator_traitsISK_E10value_typeEPNSQ_ISL_E10value_typeEPSM_NS1_7vsmem_tEENKUlT_SK_SL_SM_E_clISE_PiSF_SF_EESJ_SZ_SK_SL_SM_EUlSZ_E0_NS1_11comp_targetILNS1_3genE9ELNS1_11target_archE1100ELNS1_3gpuE3ELNS1_3repE0EEENS1_38merge_mergepath_config_static_selectorELNS0_4arch9wavefront6targetE1EEEvSL_,comdat
	.protected	_ZN7rocprim17ROCPRIM_400000_NS6detail17trampoline_kernelINS0_14default_configENS1_38merge_sort_block_merge_config_selectorIiNS0_10empty_typeEEEZZNS1_27merge_sort_block_merge_implIS3_N6thrust23THRUST_200600_302600_NS6detail15normal_iteratorINS9_10device_ptrIiEEEEPS5_jNS1_19radix_merge_compareILb0ELb1EiNS0_19identity_decomposerEEEEE10hipError_tT0_T1_T2_jT3_P12ihipStream_tbPNSt15iterator_traitsISK_E10value_typeEPNSQ_ISL_E10value_typeEPSM_NS1_7vsmem_tEENKUlT_SK_SL_SM_E_clISE_PiSF_SF_EESJ_SZ_SK_SL_SM_EUlSZ_E0_NS1_11comp_targetILNS1_3genE9ELNS1_11target_archE1100ELNS1_3gpuE3ELNS1_3repE0EEENS1_38merge_mergepath_config_static_selectorELNS0_4arch9wavefront6targetE1EEEvSL_ ; -- Begin function _ZN7rocprim17ROCPRIM_400000_NS6detail17trampoline_kernelINS0_14default_configENS1_38merge_sort_block_merge_config_selectorIiNS0_10empty_typeEEEZZNS1_27merge_sort_block_merge_implIS3_N6thrust23THRUST_200600_302600_NS6detail15normal_iteratorINS9_10device_ptrIiEEEEPS5_jNS1_19radix_merge_compareILb0ELb1EiNS0_19identity_decomposerEEEEE10hipError_tT0_T1_T2_jT3_P12ihipStream_tbPNSt15iterator_traitsISK_E10value_typeEPNSQ_ISL_E10value_typeEPSM_NS1_7vsmem_tEENKUlT_SK_SL_SM_E_clISE_PiSF_SF_EESJ_SZ_SK_SL_SM_EUlSZ_E0_NS1_11comp_targetILNS1_3genE9ELNS1_11target_archE1100ELNS1_3gpuE3ELNS1_3repE0EEENS1_38merge_mergepath_config_static_selectorELNS0_4arch9wavefront6targetE1EEEvSL_
	.globl	_ZN7rocprim17ROCPRIM_400000_NS6detail17trampoline_kernelINS0_14default_configENS1_38merge_sort_block_merge_config_selectorIiNS0_10empty_typeEEEZZNS1_27merge_sort_block_merge_implIS3_N6thrust23THRUST_200600_302600_NS6detail15normal_iteratorINS9_10device_ptrIiEEEEPS5_jNS1_19radix_merge_compareILb0ELb1EiNS0_19identity_decomposerEEEEE10hipError_tT0_T1_T2_jT3_P12ihipStream_tbPNSt15iterator_traitsISK_E10value_typeEPNSQ_ISL_E10value_typeEPSM_NS1_7vsmem_tEENKUlT_SK_SL_SM_E_clISE_PiSF_SF_EESJ_SZ_SK_SL_SM_EUlSZ_E0_NS1_11comp_targetILNS1_3genE9ELNS1_11target_archE1100ELNS1_3gpuE3ELNS1_3repE0EEENS1_38merge_mergepath_config_static_selectorELNS0_4arch9wavefront6targetE1EEEvSL_
	.p2align	8
	.type	_ZN7rocprim17ROCPRIM_400000_NS6detail17trampoline_kernelINS0_14default_configENS1_38merge_sort_block_merge_config_selectorIiNS0_10empty_typeEEEZZNS1_27merge_sort_block_merge_implIS3_N6thrust23THRUST_200600_302600_NS6detail15normal_iteratorINS9_10device_ptrIiEEEEPS5_jNS1_19radix_merge_compareILb0ELb1EiNS0_19identity_decomposerEEEEE10hipError_tT0_T1_T2_jT3_P12ihipStream_tbPNSt15iterator_traitsISK_E10value_typeEPNSQ_ISL_E10value_typeEPSM_NS1_7vsmem_tEENKUlT_SK_SL_SM_E_clISE_PiSF_SF_EESJ_SZ_SK_SL_SM_EUlSZ_E0_NS1_11comp_targetILNS1_3genE9ELNS1_11target_archE1100ELNS1_3gpuE3ELNS1_3repE0EEENS1_38merge_mergepath_config_static_selectorELNS0_4arch9wavefront6targetE1EEEvSL_,@function
_ZN7rocprim17ROCPRIM_400000_NS6detail17trampoline_kernelINS0_14default_configENS1_38merge_sort_block_merge_config_selectorIiNS0_10empty_typeEEEZZNS1_27merge_sort_block_merge_implIS3_N6thrust23THRUST_200600_302600_NS6detail15normal_iteratorINS9_10device_ptrIiEEEEPS5_jNS1_19radix_merge_compareILb0ELb1EiNS0_19identity_decomposerEEEEE10hipError_tT0_T1_T2_jT3_P12ihipStream_tbPNSt15iterator_traitsISK_E10value_typeEPNSQ_ISL_E10value_typeEPSM_NS1_7vsmem_tEENKUlT_SK_SL_SM_E_clISE_PiSF_SF_EESJ_SZ_SK_SL_SM_EUlSZ_E0_NS1_11comp_targetILNS1_3genE9ELNS1_11target_archE1100ELNS1_3gpuE3ELNS1_3repE0EEENS1_38merge_mergepath_config_static_selectorELNS0_4arch9wavefront6targetE1EEEvSL_: ; @_ZN7rocprim17ROCPRIM_400000_NS6detail17trampoline_kernelINS0_14default_configENS1_38merge_sort_block_merge_config_selectorIiNS0_10empty_typeEEEZZNS1_27merge_sort_block_merge_implIS3_N6thrust23THRUST_200600_302600_NS6detail15normal_iteratorINS9_10device_ptrIiEEEEPS5_jNS1_19radix_merge_compareILb0ELb1EiNS0_19identity_decomposerEEEEE10hipError_tT0_T1_T2_jT3_P12ihipStream_tbPNSt15iterator_traitsISK_E10value_typeEPNSQ_ISL_E10value_typeEPSM_NS1_7vsmem_tEENKUlT_SK_SL_SM_E_clISE_PiSF_SF_EESJ_SZ_SK_SL_SM_EUlSZ_E0_NS1_11comp_targetILNS1_3genE9ELNS1_11target_archE1100ELNS1_3gpuE3ELNS1_3repE0EEENS1_38merge_mergepath_config_static_selectorELNS0_4arch9wavefront6targetE1EEEvSL_
; %bb.0:
	.section	.rodata,"a",@progbits
	.p2align	6, 0x0
	.amdhsa_kernel _ZN7rocprim17ROCPRIM_400000_NS6detail17trampoline_kernelINS0_14default_configENS1_38merge_sort_block_merge_config_selectorIiNS0_10empty_typeEEEZZNS1_27merge_sort_block_merge_implIS3_N6thrust23THRUST_200600_302600_NS6detail15normal_iteratorINS9_10device_ptrIiEEEEPS5_jNS1_19radix_merge_compareILb0ELb1EiNS0_19identity_decomposerEEEEE10hipError_tT0_T1_T2_jT3_P12ihipStream_tbPNSt15iterator_traitsISK_E10value_typeEPNSQ_ISL_E10value_typeEPSM_NS1_7vsmem_tEENKUlT_SK_SL_SM_E_clISE_PiSF_SF_EESJ_SZ_SK_SL_SM_EUlSZ_E0_NS1_11comp_targetILNS1_3genE9ELNS1_11target_archE1100ELNS1_3gpuE3ELNS1_3repE0EEENS1_38merge_mergepath_config_static_selectorELNS0_4arch9wavefront6targetE1EEEvSL_
		.amdhsa_group_segment_fixed_size 0
		.amdhsa_private_segment_fixed_size 0
		.amdhsa_kernarg_size 64
		.amdhsa_user_sgpr_count 2
		.amdhsa_user_sgpr_dispatch_ptr 0
		.amdhsa_user_sgpr_queue_ptr 0
		.amdhsa_user_sgpr_kernarg_segment_ptr 1
		.amdhsa_user_sgpr_dispatch_id 0
		.amdhsa_user_sgpr_kernarg_preload_length 0
		.amdhsa_user_sgpr_kernarg_preload_offset 0
		.amdhsa_user_sgpr_private_segment_size 0
		.amdhsa_uses_dynamic_stack 0
		.amdhsa_enable_private_segment 0
		.amdhsa_system_sgpr_workgroup_id_x 1
		.amdhsa_system_sgpr_workgroup_id_y 0
		.amdhsa_system_sgpr_workgroup_id_z 0
		.amdhsa_system_sgpr_workgroup_info 0
		.amdhsa_system_vgpr_workitem_id 0
		.amdhsa_next_free_vgpr 1
		.amdhsa_next_free_sgpr 0
		.amdhsa_accum_offset 4
		.amdhsa_reserve_vcc 0
		.amdhsa_float_round_mode_32 0
		.amdhsa_float_round_mode_16_64 0
		.amdhsa_float_denorm_mode_32 3
		.amdhsa_float_denorm_mode_16_64 3
		.amdhsa_dx10_clamp 1
		.amdhsa_ieee_mode 1
		.amdhsa_fp16_overflow 0
		.amdhsa_tg_split 0
		.amdhsa_exception_fp_ieee_invalid_op 0
		.amdhsa_exception_fp_denorm_src 0
		.amdhsa_exception_fp_ieee_div_zero 0
		.amdhsa_exception_fp_ieee_overflow 0
		.amdhsa_exception_fp_ieee_underflow 0
		.amdhsa_exception_fp_ieee_inexact 0
		.amdhsa_exception_int_div_zero 0
	.end_amdhsa_kernel
	.section	.text._ZN7rocprim17ROCPRIM_400000_NS6detail17trampoline_kernelINS0_14default_configENS1_38merge_sort_block_merge_config_selectorIiNS0_10empty_typeEEEZZNS1_27merge_sort_block_merge_implIS3_N6thrust23THRUST_200600_302600_NS6detail15normal_iteratorINS9_10device_ptrIiEEEEPS5_jNS1_19radix_merge_compareILb0ELb1EiNS0_19identity_decomposerEEEEE10hipError_tT0_T1_T2_jT3_P12ihipStream_tbPNSt15iterator_traitsISK_E10value_typeEPNSQ_ISL_E10value_typeEPSM_NS1_7vsmem_tEENKUlT_SK_SL_SM_E_clISE_PiSF_SF_EESJ_SZ_SK_SL_SM_EUlSZ_E0_NS1_11comp_targetILNS1_3genE9ELNS1_11target_archE1100ELNS1_3gpuE3ELNS1_3repE0EEENS1_38merge_mergepath_config_static_selectorELNS0_4arch9wavefront6targetE1EEEvSL_,"axG",@progbits,_ZN7rocprim17ROCPRIM_400000_NS6detail17trampoline_kernelINS0_14default_configENS1_38merge_sort_block_merge_config_selectorIiNS0_10empty_typeEEEZZNS1_27merge_sort_block_merge_implIS3_N6thrust23THRUST_200600_302600_NS6detail15normal_iteratorINS9_10device_ptrIiEEEEPS5_jNS1_19radix_merge_compareILb0ELb1EiNS0_19identity_decomposerEEEEE10hipError_tT0_T1_T2_jT3_P12ihipStream_tbPNSt15iterator_traitsISK_E10value_typeEPNSQ_ISL_E10value_typeEPSM_NS1_7vsmem_tEENKUlT_SK_SL_SM_E_clISE_PiSF_SF_EESJ_SZ_SK_SL_SM_EUlSZ_E0_NS1_11comp_targetILNS1_3genE9ELNS1_11target_archE1100ELNS1_3gpuE3ELNS1_3repE0EEENS1_38merge_mergepath_config_static_selectorELNS0_4arch9wavefront6targetE1EEEvSL_,comdat
.Lfunc_end122:
	.size	_ZN7rocprim17ROCPRIM_400000_NS6detail17trampoline_kernelINS0_14default_configENS1_38merge_sort_block_merge_config_selectorIiNS0_10empty_typeEEEZZNS1_27merge_sort_block_merge_implIS3_N6thrust23THRUST_200600_302600_NS6detail15normal_iteratorINS9_10device_ptrIiEEEEPS5_jNS1_19radix_merge_compareILb0ELb1EiNS0_19identity_decomposerEEEEE10hipError_tT0_T1_T2_jT3_P12ihipStream_tbPNSt15iterator_traitsISK_E10value_typeEPNSQ_ISL_E10value_typeEPSM_NS1_7vsmem_tEENKUlT_SK_SL_SM_E_clISE_PiSF_SF_EESJ_SZ_SK_SL_SM_EUlSZ_E0_NS1_11comp_targetILNS1_3genE9ELNS1_11target_archE1100ELNS1_3gpuE3ELNS1_3repE0EEENS1_38merge_mergepath_config_static_selectorELNS0_4arch9wavefront6targetE1EEEvSL_, .Lfunc_end122-_ZN7rocprim17ROCPRIM_400000_NS6detail17trampoline_kernelINS0_14default_configENS1_38merge_sort_block_merge_config_selectorIiNS0_10empty_typeEEEZZNS1_27merge_sort_block_merge_implIS3_N6thrust23THRUST_200600_302600_NS6detail15normal_iteratorINS9_10device_ptrIiEEEEPS5_jNS1_19radix_merge_compareILb0ELb1EiNS0_19identity_decomposerEEEEE10hipError_tT0_T1_T2_jT3_P12ihipStream_tbPNSt15iterator_traitsISK_E10value_typeEPNSQ_ISL_E10value_typeEPSM_NS1_7vsmem_tEENKUlT_SK_SL_SM_E_clISE_PiSF_SF_EESJ_SZ_SK_SL_SM_EUlSZ_E0_NS1_11comp_targetILNS1_3genE9ELNS1_11target_archE1100ELNS1_3gpuE3ELNS1_3repE0EEENS1_38merge_mergepath_config_static_selectorELNS0_4arch9wavefront6targetE1EEEvSL_
                                        ; -- End function
	.set _ZN7rocprim17ROCPRIM_400000_NS6detail17trampoline_kernelINS0_14default_configENS1_38merge_sort_block_merge_config_selectorIiNS0_10empty_typeEEEZZNS1_27merge_sort_block_merge_implIS3_N6thrust23THRUST_200600_302600_NS6detail15normal_iteratorINS9_10device_ptrIiEEEEPS5_jNS1_19radix_merge_compareILb0ELb1EiNS0_19identity_decomposerEEEEE10hipError_tT0_T1_T2_jT3_P12ihipStream_tbPNSt15iterator_traitsISK_E10value_typeEPNSQ_ISL_E10value_typeEPSM_NS1_7vsmem_tEENKUlT_SK_SL_SM_E_clISE_PiSF_SF_EESJ_SZ_SK_SL_SM_EUlSZ_E0_NS1_11comp_targetILNS1_3genE9ELNS1_11target_archE1100ELNS1_3gpuE3ELNS1_3repE0EEENS1_38merge_mergepath_config_static_selectorELNS0_4arch9wavefront6targetE1EEEvSL_.num_vgpr, 0
	.set _ZN7rocprim17ROCPRIM_400000_NS6detail17trampoline_kernelINS0_14default_configENS1_38merge_sort_block_merge_config_selectorIiNS0_10empty_typeEEEZZNS1_27merge_sort_block_merge_implIS3_N6thrust23THRUST_200600_302600_NS6detail15normal_iteratorINS9_10device_ptrIiEEEEPS5_jNS1_19radix_merge_compareILb0ELb1EiNS0_19identity_decomposerEEEEE10hipError_tT0_T1_T2_jT3_P12ihipStream_tbPNSt15iterator_traitsISK_E10value_typeEPNSQ_ISL_E10value_typeEPSM_NS1_7vsmem_tEENKUlT_SK_SL_SM_E_clISE_PiSF_SF_EESJ_SZ_SK_SL_SM_EUlSZ_E0_NS1_11comp_targetILNS1_3genE9ELNS1_11target_archE1100ELNS1_3gpuE3ELNS1_3repE0EEENS1_38merge_mergepath_config_static_selectorELNS0_4arch9wavefront6targetE1EEEvSL_.num_agpr, 0
	.set _ZN7rocprim17ROCPRIM_400000_NS6detail17trampoline_kernelINS0_14default_configENS1_38merge_sort_block_merge_config_selectorIiNS0_10empty_typeEEEZZNS1_27merge_sort_block_merge_implIS3_N6thrust23THRUST_200600_302600_NS6detail15normal_iteratorINS9_10device_ptrIiEEEEPS5_jNS1_19radix_merge_compareILb0ELb1EiNS0_19identity_decomposerEEEEE10hipError_tT0_T1_T2_jT3_P12ihipStream_tbPNSt15iterator_traitsISK_E10value_typeEPNSQ_ISL_E10value_typeEPSM_NS1_7vsmem_tEENKUlT_SK_SL_SM_E_clISE_PiSF_SF_EESJ_SZ_SK_SL_SM_EUlSZ_E0_NS1_11comp_targetILNS1_3genE9ELNS1_11target_archE1100ELNS1_3gpuE3ELNS1_3repE0EEENS1_38merge_mergepath_config_static_selectorELNS0_4arch9wavefront6targetE1EEEvSL_.numbered_sgpr, 0
	.set _ZN7rocprim17ROCPRIM_400000_NS6detail17trampoline_kernelINS0_14default_configENS1_38merge_sort_block_merge_config_selectorIiNS0_10empty_typeEEEZZNS1_27merge_sort_block_merge_implIS3_N6thrust23THRUST_200600_302600_NS6detail15normal_iteratorINS9_10device_ptrIiEEEEPS5_jNS1_19radix_merge_compareILb0ELb1EiNS0_19identity_decomposerEEEEE10hipError_tT0_T1_T2_jT3_P12ihipStream_tbPNSt15iterator_traitsISK_E10value_typeEPNSQ_ISL_E10value_typeEPSM_NS1_7vsmem_tEENKUlT_SK_SL_SM_E_clISE_PiSF_SF_EESJ_SZ_SK_SL_SM_EUlSZ_E0_NS1_11comp_targetILNS1_3genE9ELNS1_11target_archE1100ELNS1_3gpuE3ELNS1_3repE0EEENS1_38merge_mergepath_config_static_selectorELNS0_4arch9wavefront6targetE1EEEvSL_.num_named_barrier, 0
	.set _ZN7rocprim17ROCPRIM_400000_NS6detail17trampoline_kernelINS0_14default_configENS1_38merge_sort_block_merge_config_selectorIiNS0_10empty_typeEEEZZNS1_27merge_sort_block_merge_implIS3_N6thrust23THRUST_200600_302600_NS6detail15normal_iteratorINS9_10device_ptrIiEEEEPS5_jNS1_19radix_merge_compareILb0ELb1EiNS0_19identity_decomposerEEEEE10hipError_tT0_T1_T2_jT3_P12ihipStream_tbPNSt15iterator_traitsISK_E10value_typeEPNSQ_ISL_E10value_typeEPSM_NS1_7vsmem_tEENKUlT_SK_SL_SM_E_clISE_PiSF_SF_EESJ_SZ_SK_SL_SM_EUlSZ_E0_NS1_11comp_targetILNS1_3genE9ELNS1_11target_archE1100ELNS1_3gpuE3ELNS1_3repE0EEENS1_38merge_mergepath_config_static_selectorELNS0_4arch9wavefront6targetE1EEEvSL_.private_seg_size, 0
	.set _ZN7rocprim17ROCPRIM_400000_NS6detail17trampoline_kernelINS0_14default_configENS1_38merge_sort_block_merge_config_selectorIiNS0_10empty_typeEEEZZNS1_27merge_sort_block_merge_implIS3_N6thrust23THRUST_200600_302600_NS6detail15normal_iteratorINS9_10device_ptrIiEEEEPS5_jNS1_19radix_merge_compareILb0ELb1EiNS0_19identity_decomposerEEEEE10hipError_tT0_T1_T2_jT3_P12ihipStream_tbPNSt15iterator_traitsISK_E10value_typeEPNSQ_ISL_E10value_typeEPSM_NS1_7vsmem_tEENKUlT_SK_SL_SM_E_clISE_PiSF_SF_EESJ_SZ_SK_SL_SM_EUlSZ_E0_NS1_11comp_targetILNS1_3genE9ELNS1_11target_archE1100ELNS1_3gpuE3ELNS1_3repE0EEENS1_38merge_mergepath_config_static_selectorELNS0_4arch9wavefront6targetE1EEEvSL_.uses_vcc, 0
	.set _ZN7rocprim17ROCPRIM_400000_NS6detail17trampoline_kernelINS0_14default_configENS1_38merge_sort_block_merge_config_selectorIiNS0_10empty_typeEEEZZNS1_27merge_sort_block_merge_implIS3_N6thrust23THRUST_200600_302600_NS6detail15normal_iteratorINS9_10device_ptrIiEEEEPS5_jNS1_19radix_merge_compareILb0ELb1EiNS0_19identity_decomposerEEEEE10hipError_tT0_T1_T2_jT3_P12ihipStream_tbPNSt15iterator_traitsISK_E10value_typeEPNSQ_ISL_E10value_typeEPSM_NS1_7vsmem_tEENKUlT_SK_SL_SM_E_clISE_PiSF_SF_EESJ_SZ_SK_SL_SM_EUlSZ_E0_NS1_11comp_targetILNS1_3genE9ELNS1_11target_archE1100ELNS1_3gpuE3ELNS1_3repE0EEENS1_38merge_mergepath_config_static_selectorELNS0_4arch9wavefront6targetE1EEEvSL_.uses_flat_scratch, 0
	.set _ZN7rocprim17ROCPRIM_400000_NS6detail17trampoline_kernelINS0_14default_configENS1_38merge_sort_block_merge_config_selectorIiNS0_10empty_typeEEEZZNS1_27merge_sort_block_merge_implIS3_N6thrust23THRUST_200600_302600_NS6detail15normal_iteratorINS9_10device_ptrIiEEEEPS5_jNS1_19radix_merge_compareILb0ELb1EiNS0_19identity_decomposerEEEEE10hipError_tT0_T1_T2_jT3_P12ihipStream_tbPNSt15iterator_traitsISK_E10value_typeEPNSQ_ISL_E10value_typeEPSM_NS1_7vsmem_tEENKUlT_SK_SL_SM_E_clISE_PiSF_SF_EESJ_SZ_SK_SL_SM_EUlSZ_E0_NS1_11comp_targetILNS1_3genE9ELNS1_11target_archE1100ELNS1_3gpuE3ELNS1_3repE0EEENS1_38merge_mergepath_config_static_selectorELNS0_4arch9wavefront6targetE1EEEvSL_.has_dyn_sized_stack, 0
	.set _ZN7rocprim17ROCPRIM_400000_NS6detail17trampoline_kernelINS0_14default_configENS1_38merge_sort_block_merge_config_selectorIiNS0_10empty_typeEEEZZNS1_27merge_sort_block_merge_implIS3_N6thrust23THRUST_200600_302600_NS6detail15normal_iteratorINS9_10device_ptrIiEEEEPS5_jNS1_19radix_merge_compareILb0ELb1EiNS0_19identity_decomposerEEEEE10hipError_tT0_T1_T2_jT3_P12ihipStream_tbPNSt15iterator_traitsISK_E10value_typeEPNSQ_ISL_E10value_typeEPSM_NS1_7vsmem_tEENKUlT_SK_SL_SM_E_clISE_PiSF_SF_EESJ_SZ_SK_SL_SM_EUlSZ_E0_NS1_11comp_targetILNS1_3genE9ELNS1_11target_archE1100ELNS1_3gpuE3ELNS1_3repE0EEENS1_38merge_mergepath_config_static_selectorELNS0_4arch9wavefront6targetE1EEEvSL_.has_recursion, 0
	.set _ZN7rocprim17ROCPRIM_400000_NS6detail17trampoline_kernelINS0_14default_configENS1_38merge_sort_block_merge_config_selectorIiNS0_10empty_typeEEEZZNS1_27merge_sort_block_merge_implIS3_N6thrust23THRUST_200600_302600_NS6detail15normal_iteratorINS9_10device_ptrIiEEEEPS5_jNS1_19radix_merge_compareILb0ELb1EiNS0_19identity_decomposerEEEEE10hipError_tT0_T1_T2_jT3_P12ihipStream_tbPNSt15iterator_traitsISK_E10value_typeEPNSQ_ISL_E10value_typeEPSM_NS1_7vsmem_tEENKUlT_SK_SL_SM_E_clISE_PiSF_SF_EESJ_SZ_SK_SL_SM_EUlSZ_E0_NS1_11comp_targetILNS1_3genE9ELNS1_11target_archE1100ELNS1_3gpuE3ELNS1_3repE0EEENS1_38merge_mergepath_config_static_selectorELNS0_4arch9wavefront6targetE1EEEvSL_.has_indirect_call, 0
	.section	.AMDGPU.csdata,"",@progbits
; Kernel info:
; codeLenInByte = 0
; TotalNumSgprs: 6
; NumVgprs: 0
; NumAgprs: 0
; TotalNumVgprs: 0
; ScratchSize: 0
; MemoryBound: 0
; FloatMode: 240
; IeeeMode: 1
; LDSByteSize: 0 bytes/workgroup (compile time only)
; SGPRBlocks: 0
; VGPRBlocks: 0
; NumSGPRsForWavesPerEU: 6
; NumVGPRsForWavesPerEU: 1
; AccumOffset: 4
; Occupancy: 8
; WaveLimiterHint : 0
; COMPUTE_PGM_RSRC2:SCRATCH_EN: 0
; COMPUTE_PGM_RSRC2:USER_SGPR: 2
; COMPUTE_PGM_RSRC2:TRAP_HANDLER: 0
; COMPUTE_PGM_RSRC2:TGID_X_EN: 1
; COMPUTE_PGM_RSRC2:TGID_Y_EN: 0
; COMPUTE_PGM_RSRC2:TGID_Z_EN: 0
; COMPUTE_PGM_RSRC2:TIDIG_COMP_CNT: 0
; COMPUTE_PGM_RSRC3_GFX90A:ACCUM_OFFSET: 0
; COMPUTE_PGM_RSRC3_GFX90A:TG_SPLIT: 0
	.section	.text._ZN7rocprim17ROCPRIM_400000_NS6detail17trampoline_kernelINS0_14default_configENS1_38merge_sort_block_merge_config_selectorIiNS0_10empty_typeEEEZZNS1_27merge_sort_block_merge_implIS3_N6thrust23THRUST_200600_302600_NS6detail15normal_iteratorINS9_10device_ptrIiEEEEPS5_jNS1_19radix_merge_compareILb0ELb1EiNS0_19identity_decomposerEEEEE10hipError_tT0_T1_T2_jT3_P12ihipStream_tbPNSt15iterator_traitsISK_E10value_typeEPNSQ_ISL_E10value_typeEPSM_NS1_7vsmem_tEENKUlT_SK_SL_SM_E_clISE_PiSF_SF_EESJ_SZ_SK_SL_SM_EUlSZ_E0_NS1_11comp_targetILNS1_3genE8ELNS1_11target_archE1030ELNS1_3gpuE2ELNS1_3repE0EEENS1_38merge_mergepath_config_static_selectorELNS0_4arch9wavefront6targetE1EEEvSL_,"axG",@progbits,_ZN7rocprim17ROCPRIM_400000_NS6detail17trampoline_kernelINS0_14default_configENS1_38merge_sort_block_merge_config_selectorIiNS0_10empty_typeEEEZZNS1_27merge_sort_block_merge_implIS3_N6thrust23THRUST_200600_302600_NS6detail15normal_iteratorINS9_10device_ptrIiEEEEPS5_jNS1_19radix_merge_compareILb0ELb1EiNS0_19identity_decomposerEEEEE10hipError_tT0_T1_T2_jT3_P12ihipStream_tbPNSt15iterator_traitsISK_E10value_typeEPNSQ_ISL_E10value_typeEPSM_NS1_7vsmem_tEENKUlT_SK_SL_SM_E_clISE_PiSF_SF_EESJ_SZ_SK_SL_SM_EUlSZ_E0_NS1_11comp_targetILNS1_3genE8ELNS1_11target_archE1030ELNS1_3gpuE2ELNS1_3repE0EEENS1_38merge_mergepath_config_static_selectorELNS0_4arch9wavefront6targetE1EEEvSL_,comdat
	.protected	_ZN7rocprim17ROCPRIM_400000_NS6detail17trampoline_kernelINS0_14default_configENS1_38merge_sort_block_merge_config_selectorIiNS0_10empty_typeEEEZZNS1_27merge_sort_block_merge_implIS3_N6thrust23THRUST_200600_302600_NS6detail15normal_iteratorINS9_10device_ptrIiEEEEPS5_jNS1_19radix_merge_compareILb0ELb1EiNS0_19identity_decomposerEEEEE10hipError_tT0_T1_T2_jT3_P12ihipStream_tbPNSt15iterator_traitsISK_E10value_typeEPNSQ_ISL_E10value_typeEPSM_NS1_7vsmem_tEENKUlT_SK_SL_SM_E_clISE_PiSF_SF_EESJ_SZ_SK_SL_SM_EUlSZ_E0_NS1_11comp_targetILNS1_3genE8ELNS1_11target_archE1030ELNS1_3gpuE2ELNS1_3repE0EEENS1_38merge_mergepath_config_static_selectorELNS0_4arch9wavefront6targetE1EEEvSL_ ; -- Begin function _ZN7rocprim17ROCPRIM_400000_NS6detail17trampoline_kernelINS0_14default_configENS1_38merge_sort_block_merge_config_selectorIiNS0_10empty_typeEEEZZNS1_27merge_sort_block_merge_implIS3_N6thrust23THRUST_200600_302600_NS6detail15normal_iteratorINS9_10device_ptrIiEEEEPS5_jNS1_19radix_merge_compareILb0ELb1EiNS0_19identity_decomposerEEEEE10hipError_tT0_T1_T2_jT3_P12ihipStream_tbPNSt15iterator_traitsISK_E10value_typeEPNSQ_ISL_E10value_typeEPSM_NS1_7vsmem_tEENKUlT_SK_SL_SM_E_clISE_PiSF_SF_EESJ_SZ_SK_SL_SM_EUlSZ_E0_NS1_11comp_targetILNS1_3genE8ELNS1_11target_archE1030ELNS1_3gpuE2ELNS1_3repE0EEENS1_38merge_mergepath_config_static_selectorELNS0_4arch9wavefront6targetE1EEEvSL_
	.globl	_ZN7rocprim17ROCPRIM_400000_NS6detail17trampoline_kernelINS0_14default_configENS1_38merge_sort_block_merge_config_selectorIiNS0_10empty_typeEEEZZNS1_27merge_sort_block_merge_implIS3_N6thrust23THRUST_200600_302600_NS6detail15normal_iteratorINS9_10device_ptrIiEEEEPS5_jNS1_19radix_merge_compareILb0ELb1EiNS0_19identity_decomposerEEEEE10hipError_tT0_T1_T2_jT3_P12ihipStream_tbPNSt15iterator_traitsISK_E10value_typeEPNSQ_ISL_E10value_typeEPSM_NS1_7vsmem_tEENKUlT_SK_SL_SM_E_clISE_PiSF_SF_EESJ_SZ_SK_SL_SM_EUlSZ_E0_NS1_11comp_targetILNS1_3genE8ELNS1_11target_archE1030ELNS1_3gpuE2ELNS1_3repE0EEENS1_38merge_mergepath_config_static_selectorELNS0_4arch9wavefront6targetE1EEEvSL_
	.p2align	8
	.type	_ZN7rocprim17ROCPRIM_400000_NS6detail17trampoline_kernelINS0_14default_configENS1_38merge_sort_block_merge_config_selectorIiNS0_10empty_typeEEEZZNS1_27merge_sort_block_merge_implIS3_N6thrust23THRUST_200600_302600_NS6detail15normal_iteratorINS9_10device_ptrIiEEEEPS5_jNS1_19radix_merge_compareILb0ELb1EiNS0_19identity_decomposerEEEEE10hipError_tT0_T1_T2_jT3_P12ihipStream_tbPNSt15iterator_traitsISK_E10value_typeEPNSQ_ISL_E10value_typeEPSM_NS1_7vsmem_tEENKUlT_SK_SL_SM_E_clISE_PiSF_SF_EESJ_SZ_SK_SL_SM_EUlSZ_E0_NS1_11comp_targetILNS1_3genE8ELNS1_11target_archE1030ELNS1_3gpuE2ELNS1_3repE0EEENS1_38merge_mergepath_config_static_selectorELNS0_4arch9wavefront6targetE1EEEvSL_,@function
_ZN7rocprim17ROCPRIM_400000_NS6detail17trampoline_kernelINS0_14default_configENS1_38merge_sort_block_merge_config_selectorIiNS0_10empty_typeEEEZZNS1_27merge_sort_block_merge_implIS3_N6thrust23THRUST_200600_302600_NS6detail15normal_iteratorINS9_10device_ptrIiEEEEPS5_jNS1_19radix_merge_compareILb0ELb1EiNS0_19identity_decomposerEEEEE10hipError_tT0_T1_T2_jT3_P12ihipStream_tbPNSt15iterator_traitsISK_E10value_typeEPNSQ_ISL_E10value_typeEPSM_NS1_7vsmem_tEENKUlT_SK_SL_SM_E_clISE_PiSF_SF_EESJ_SZ_SK_SL_SM_EUlSZ_E0_NS1_11comp_targetILNS1_3genE8ELNS1_11target_archE1030ELNS1_3gpuE2ELNS1_3repE0EEENS1_38merge_mergepath_config_static_selectorELNS0_4arch9wavefront6targetE1EEEvSL_: ; @_ZN7rocprim17ROCPRIM_400000_NS6detail17trampoline_kernelINS0_14default_configENS1_38merge_sort_block_merge_config_selectorIiNS0_10empty_typeEEEZZNS1_27merge_sort_block_merge_implIS3_N6thrust23THRUST_200600_302600_NS6detail15normal_iteratorINS9_10device_ptrIiEEEEPS5_jNS1_19radix_merge_compareILb0ELb1EiNS0_19identity_decomposerEEEEE10hipError_tT0_T1_T2_jT3_P12ihipStream_tbPNSt15iterator_traitsISK_E10value_typeEPNSQ_ISL_E10value_typeEPSM_NS1_7vsmem_tEENKUlT_SK_SL_SM_E_clISE_PiSF_SF_EESJ_SZ_SK_SL_SM_EUlSZ_E0_NS1_11comp_targetILNS1_3genE8ELNS1_11target_archE1030ELNS1_3gpuE2ELNS1_3repE0EEENS1_38merge_mergepath_config_static_selectorELNS0_4arch9wavefront6targetE1EEEvSL_
; %bb.0:
	.section	.rodata,"a",@progbits
	.p2align	6, 0x0
	.amdhsa_kernel _ZN7rocprim17ROCPRIM_400000_NS6detail17trampoline_kernelINS0_14default_configENS1_38merge_sort_block_merge_config_selectorIiNS0_10empty_typeEEEZZNS1_27merge_sort_block_merge_implIS3_N6thrust23THRUST_200600_302600_NS6detail15normal_iteratorINS9_10device_ptrIiEEEEPS5_jNS1_19radix_merge_compareILb0ELb1EiNS0_19identity_decomposerEEEEE10hipError_tT0_T1_T2_jT3_P12ihipStream_tbPNSt15iterator_traitsISK_E10value_typeEPNSQ_ISL_E10value_typeEPSM_NS1_7vsmem_tEENKUlT_SK_SL_SM_E_clISE_PiSF_SF_EESJ_SZ_SK_SL_SM_EUlSZ_E0_NS1_11comp_targetILNS1_3genE8ELNS1_11target_archE1030ELNS1_3gpuE2ELNS1_3repE0EEENS1_38merge_mergepath_config_static_selectorELNS0_4arch9wavefront6targetE1EEEvSL_
		.amdhsa_group_segment_fixed_size 0
		.amdhsa_private_segment_fixed_size 0
		.amdhsa_kernarg_size 64
		.amdhsa_user_sgpr_count 2
		.amdhsa_user_sgpr_dispatch_ptr 0
		.amdhsa_user_sgpr_queue_ptr 0
		.amdhsa_user_sgpr_kernarg_segment_ptr 1
		.amdhsa_user_sgpr_dispatch_id 0
		.amdhsa_user_sgpr_kernarg_preload_length 0
		.amdhsa_user_sgpr_kernarg_preload_offset 0
		.amdhsa_user_sgpr_private_segment_size 0
		.amdhsa_uses_dynamic_stack 0
		.amdhsa_enable_private_segment 0
		.amdhsa_system_sgpr_workgroup_id_x 1
		.amdhsa_system_sgpr_workgroup_id_y 0
		.amdhsa_system_sgpr_workgroup_id_z 0
		.amdhsa_system_sgpr_workgroup_info 0
		.amdhsa_system_vgpr_workitem_id 0
		.amdhsa_next_free_vgpr 1
		.amdhsa_next_free_sgpr 0
		.amdhsa_accum_offset 4
		.amdhsa_reserve_vcc 0
		.amdhsa_float_round_mode_32 0
		.amdhsa_float_round_mode_16_64 0
		.amdhsa_float_denorm_mode_32 3
		.amdhsa_float_denorm_mode_16_64 3
		.amdhsa_dx10_clamp 1
		.amdhsa_ieee_mode 1
		.amdhsa_fp16_overflow 0
		.amdhsa_tg_split 0
		.amdhsa_exception_fp_ieee_invalid_op 0
		.amdhsa_exception_fp_denorm_src 0
		.amdhsa_exception_fp_ieee_div_zero 0
		.amdhsa_exception_fp_ieee_overflow 0
		.amdhsa_exception_fp_ieee_underflow 0
		.amdhsa_exception_fp_ieee_inexact 0
		.amdhsa_exception_int_div_zero 0
	.end_amdhsa_kernel
	.section	.text._ZN7rocprim17ROCPRIM_400000_NS6detail17trampoline_kernelINS0_14default_configENS1_38merge_sort_block_merge_config_selectorIiNS0_10empty_typeEEEZZNS1_27merge_sort_block_merge_implIS3_N6thrust23THRUST_200600_302600_NS6detail15normal_iteratorINS9_10device_ptrIiEEEEPS5_jNS1_19radix_merge_compareILb0ELb1EiNS0_19identity_decomposerEEEEE10hipError_tT0_T1_T2_jT3_P12ihipStream_tbPNSt15iterator_traitsISK_E10value_typeEPNSQ_ISL_E10value_typeEPSM_NS1_7vsmem_tEENKUlT_SK_SL_SM_E_clISE_PiSF_SF_EESJ_SZ_SK_SL_SM_EUlSZ_E0_NS1_11comp_targetILNS1_3genE8ELNS1_11target_archE1030ELNS1_3gpuE2ELNS1_3repE0EEENS1_38merge_mergepath_config_static_selectorELNS0_4arch9wavefront6targetE1EEEvSL_,"axG",@progbits,_ZN7rocprim17ROCPRIM_400000_NS6detail17trampoline_kernelINS0_14default_configENS1_38merge_sort_block_merge_config_selectorIiNS0_10empty_typeEEEZZNS1_27merge_sort_block_merge_implIS3_N6thrust23THRUST_200600_302600_NS6detail15normal_iteratorINS9_10device_ptrIiEEEEPS5_jNS1_19radix_merge_compareILb0ELb1EiNS0_19identity_decomposerEEEEE10hipError_tT0_T1_T2_jT3_P12ihipStream_tbPNSt15iterator_traitsISK_E10value_typeEPNSQ_ISL_E10value_typeEPSM_NS1_7vsmem_tEENKUlT_SK_SL_SM_E_clISE_PiSF_SF_EESJ_SZ_SK_SL_SM_EUlSZ_E0_NS1_11comp_targetILNS1_3genE8ELNS1_11target_archE1030ELNS1_3gpuE2ELNS1_3repE0EEENS1_38merge_mergepath_config_static_selectorELNS0_4arch9wavefront6targetE1EEEvSL_,comdat
.Lfunc_end123:
	.size	_ZN7rocprim17ROCPRIM_400000_NS6detail17trampoline_kernelINS0_14default_configENS1_38merge_sort_block_merge_config_selectorIiNS0_10empty_typeEEEZZNS1_27merge_sort_block_merge_implIS3_N6thrust23THRUST_200600_302600_NS6detail15normal_iteratorINS9_10device_ptrIiEEEEPS5_jNS1_19radix_merge_compareILb0ELb1EiNS0_19identity_decomposerEEEEE10hipError_tT0_T1_T2_jT3_P12ihipStream_tbPNSt15iterator_traitsISK_E10value_typeEPNSQ_ISL_E10value_typeEPSM_NS1_7vsmem_tEENKUlT_SK_SL_SM_E_clISE_PiSF_SF_EESJ_SZ_SK_SL_SM_EUlSZ_E0_NS1_11comp_targetILNS1_3genE8ELNS1_11target_archE1030ELNS1_3gpuE2ELNS1_3repE0EEENS1_38merge_mergepath_config_static_selectorELNS0_4arch9wavefront6targetE1EEEvSL_, .Lfunc_end123-_ZN7rocprim17ROCPRIM_400000_NS6detail17trampoline_kernelINS0_14default_configENS1_38merge_sort_block_merge_config_selectorIiNS0_10empty_typeEEEZZNS1_27merge_sort_block_merge_implIS3_N6thrust23THRUST_200600_302600_NS6detail15normal_iteratorINS9_10device_ptrIiEEEEPS5_jNS1_19radix_merge_compareILb0ELb1EiNS0_19identity_decomposerEEEEE10hipError_tT0_T1_T2_jT3_P12ihipStream_tbPNSt15iterator_traitsISK_E10value_typeEPNSQ_ISL_E10value_typeEPSM_NS1_7vsmem_tEENKUlT_SK_SL_SM_E_clISE_PiSF_SF_EESJ_SZ_SK_SL_SM_EUlSZ_E0_NS1_11comp_targetILNS1_3genE8ELNS1_11target_archE1030ELNS1_3gpuE2ELNS1_3repE0EEENS1_38merge_mergepath_config_static_selectorELNS0_4arch9wavefront6targetE1EEEvSL_
                                        ; -- End function
	.set _ZN7rocprim17ROCPRIM_400000_NS6detail17trampoline_kernelINS0_14default_configENS1_38merge_sort_block_merge_config_selectorIiNS0_10empty_typeEEEZZNS1_27merge_sort_block_merge_implIS3_N6thrust23THRUST_200600_302600_NS6detail15normal_iteratorINS9_10device_ptrIiEEEEPS5_jNS1_19radix_merge_compareILb0ELb1EiNS0_19identity_decomposerEEEEE10hipError_tT0_T1_T2_jT3_P12ihipStream_tbPNSt15iterator_traitsISK_E10value_typeEPNSQ_ISL_E10value_typeEPSM_NS1_7vsmem_tEENKUlT_SK_SL_SM_E_clISE_PiSF_SF_EESJ_SZ_SK_SL_SM_EUlSZ_E0_NS1_11comp_targetILNS1_3genE8ELNS1_11target_archE1030ELNS1_3gpuE2ELNS1_3repE0EEENS1_38merge_mergepath_config_static_selectorELNS0_4arch9wavefront6targetE1EEEvSL_.num_vgpr, 0
	.set _ZN7rocprim17ROCPRIM_400000_NS6detail17trampoline_kernelINS0_14default_configENS1_38merge_sort_block_merge_config_selectorIiNS0_10empty_typeEEEZZNS1_27merge_sort_block_merge_implIS3_N6thrust23THRUST_200600_302600_NS6detail15normal_iteratorINS9_10device_ptrIiEEEEPS5_jNS1_19radix_merge_compareILb0ELb1EiNS0_19identity_decomposerEEEEE10hipError_tT0_T1_T2_jT3_P12ihipStream_tbPNSt15iterator_traitsISK_E10value_typeEPNSQ_ISL_E10value_typeEPSM_NS1_7vsmem_tEENKUlT_SK_SL_SM_E_clISE_PiSF_SF_EESJ_SZ_SK_SL_SM_EUlSZ_E0_NS1_11comp_targetILNS1_3genE8ELNS1_11target_archE1030ELNS1_3gpuE2ELNS1_3repE0EEENS1_38merge_mergepath_config_static_selectorELNS0_4arch9wavefront6targetE1EEEvSL_.num_agpr, 0
	.set _ZN7rocprim17ROCPRIM_400000_NS6detail17trampoline_kernelINS0_14default_configENS1_38merge_sort_block_merge_config_selectorIiNS0_10empty_typeEEEZZNS1_27merge_sort_block_merge_implIS3_N6thrust23THRUST_200600_302600_NS6detail15normal_iteratorINS9_10device_ptrIiEEEEPS5_jNS1_19radix_merge_compareILb0ELb1EiNS0_19identity_decomposerEEEEE10hipError_tT0_T1_T2_jT3_P12ihipStream_tbPNSt15iterator_traitsISK_E10value_typeEPNSQ_ISL_E10value_typeEPSM_NS1_7vsmem_tEENKUlT_SK_SL_SM_E_clISE_PiSF_SF_EESJ_SZ_SK_SL_SM_EUlSZ_E0_NS1_11comp_targetILNS1_3genE8ELNS1_11target_archE1030ELNS1_3gpuE2ELNS1_3repE0EEENS1_38merge_mergepath_config_static_selectorELNS0_4arch9wavefront6targetE1EEEvSL_.numbered_sgpr, 0
	.set _ZN7rocprim17ROCPRIM_400000_NS6detail17trampoline_kernelINS0_14default_configENS1_38merge_sort_block_merge_config_selectorIiNS0_10empty_typeEEEZZNS1_27merge_sort_block_merge_implIS3_N6thrust23THRUST_200600_302600_NS6detail15normal_iteratorINS9_10device_ptrIiEEEEPS5_jNS1_19radix_merge_compareILb0ELb1EiNS0_19identity_decomposerEEEEE10hipError_tT0_T1_T2_jT3_P12ihipStream_tbPNSt15iterator_traitsISK_E10value_typeEPNSQ_ISL_E10value_typeEPSM_NS1_7vsmem_tEENKUlT_SK_SL_SM_E_clISE_PiSF_SF_EESJ_SZ_SK_SL_SM_EUlSZ_E0_NS1_11comp_targetILNS1_3genE8ELNS1_11target_archE1030ELNS1_3gpuE2ELNS1_3repE0EEENS1_38merge_mergepath_config_static_selectorELNS0_4arch9wavefront6targetE1EEEvSL_.num_named_barrier, 0
	.set _ZN7rocprim17ROCPRIM_400000_NS6detail17trampoline_kernelINS0_14default_configENS1_38merge_sort_block_merge_config_selectorIiNS0_10empty_typeEEEZZNS1_27merge_sort_block_merge_implIS3_N6thrust23THRUST_200600_302600_NS6detail15normal_iteratorINS9_10device_ptrIiEEEEPS5_jNS1_19radix_merge_compareILb0ELb1EiNS0_19identity_decomposerEEEEE10hipError_tT0_T1_T2_jT3_P12ihipStream_tbPNSt15iterator_traitsISK_E10value_typeEPNSQ_ISL_E10value_typeEPSM_NS1_7vsmem_tEENKUlT_SK_SL_SM_E_clISE_PiSF_SF_EESJ_SZ_SK_SL_SM_EUlSZ_E0_NS1_11comp_targetILNS1_3genE8ELNS1_11target_archE1030ELNS1_3gpuE2ELNS1_3repE0EEENS1_38merge_mergepath_config_static_selectorELNS0_4arch9wavefront6targetE1EEEvSL_.private_seg_size, 0
	.set _ZN7rocprim17ROCPRIM_400000_NS6detail17trampoline_kernelINS0_14default_configENS1_38merge_sort_block_merge_config_selectorIiNS0_10empty_typeEEEZZNS1_27merge_sort_block_merge_implIS3_N6thrust23THRUST_200600_302600_NS6detail15normal_iteratorINS9_10device_ptrIiEEEEPS5_jNS1_19radix_merge_compareILb0ELb1EiNS0_19identity_decomposerEEEEE10hipError_tT0_T1_T2_jT3_P12ihipStream_tbPNSt15iterator_traitsISK_E10value_typeEPNSQ_ISL_E10value_typeEPSM_NS1_7vsmem_tEENKUlT_SK_SL_SM_E_clISE_PiSF_SF_EESJ_SZ_SK_SL_SM_EUlSZ_E0_NS1_11comp_targetILNS1_3genE8ELNS1_11target_archE1030ELNS1_3gpuE2ELNS1_3repE0EEENS1_38merge_mergepath_config_static_selectorELNS0_4arch9wavefront6targetE1EEEvSL_.uses_vcc, 0
	.set _ZN7rocprim17ROCPRIM_400000_NS6detail17trampoline_kernelINS0_14default_configENS1_38merge_sort_block_merge_config_selectorIiNS0_10empty_typeEEEZZNS1_27merge_sort_block_merge_implIS3_N6thrust23THRUST_200600_302600_NS6detail15normal_iteratorINS9_10device_ptrIiEEEEPS5_jNS1_19radix_merge_compareILb0ELb1EiNS0_19identity_decomposerEEEEE10hipError_tT0_T1_T2_jT3_P12ihipStream_tbPNSt15iterator_traitsISK_E10value_typeEPNSQ_ISL_E10value_typeEPSM_NS1_7vsmem_tEENKUlT_SK_SL_SM_E_clISE_PiSF_SF_EESJ_SZ_SK_SL_SM_EUlSZ_E0_NS1_11comp_targetILNS1_3genE8ELNS1_11target_archE1030ELNS1_3gpuE2ELNS1_3repE0EEENS1_38merge_mergepath_config_static_selectorELNS0_4arch9wavefront6targetE1EEEvSL_.uses_flat_scratch, 0
	.set _ZN7rocprim17ROCPRIM_400000_NS6detail17trampoline_kernelINS0_14default_configENS1_38merge_sort_block_merge_config_selectorIiNS0_10empty_typeEEEZZNS1_27merge_sort_block_merge_implIS3_N6thrust23THRUST_200600_302600_NS6detail15normal_iteratorINS9_10device_ptrIiEEEEPS5_jNS1_19radix_merge_compareILb0ELb1EiNS0_19identity_decomposerEEEEE10hipError_tT0_T1_T2_jT3_P12ihipStream_tbPNSt15iterator_traitsISK_E10value_typeEPNSQ_ISL_E10value_typeEPSM_NS1_7vsmem_tEENKUlT_SK_SL_SM_E_clISE_PiSF_SF_EESJ_SZ_SK_SL_SM_EUlSZ_E0_NS1_11comp_targetILNS1_3genE8ELNS1_11target_archE1030ELNS1_3gpuE2ELNS1_3repE0EEENS1_38merge_mergepath_config_static_selectorELNS0_4arch9wavefront6targetE1EEEvSL_.has_dyn_sized_stack, 0
	.set _ZN7rocprim17ROCPRIM_400000_NS6detail17trampoline_kernelINS0_14default_configENS1_38merge_sort_block_merge_config_selectorIiNS0_10empty_typeEEEZZNS1_27merge_sort_block_merge_implIS3_N6thrust23THRUST_200600_302600_NS6detail15normal_iteratorINS9_10device_ptrIiEEEEPS5_jNS1_19radix_merge_compareILb0ELb1EiNS0_19identity_decomposerEEEEE10hipError_tT0_T1_T2_jT3_P12ihipStream_tbPNSt15iterator_traitsISK_E10value_typeEPNSQ_ISL_E10value_typeEPSM_NS1_7vsmem_tEENKUlT_SK_SL_SM_E_clISE_PiSF_SF_EESJ_SZ_SK_SL_SM_EUlSZ_E0_NS1_11comp_targetILNS1_3genE8ELNS1_11target_archE1030ELNS1_3gpuE2ELNS1_3repE0EEENS1_38merge_mergepath_config_static_selectorELNS0_4arch9wavefront6targetE1EEEvSL_.has_recursion, 0
	.set _ZN7rocprim17ROCPRIM_400000_NS6detail17trampoline_kernelINS0_14default_configENS1_38merge_sort_block_merge_config_selectorIiNS0_10empty_typeEEEZZNS1_27merge_sort_block_merge_implIS3_N6thrust23THRUST_200600_302600_NS6detail15normal_iteratorINS9_10device_ptrIiEEEEPS5_jNS1_19radix_merge_compareILb0ELb1EiNS0_19identity_decomposerEEEEE10hipError_tT0_T1_T2_jT3_P12ihipStream_tbPNSt15iterator_traitsISK_E10value_typeEPNSQ_ISL_E10value_typeEPSM_NS1_7vsmem_tEENKUlT_SK_SL_SM_E_clISE_PiSF_SF_EESJ_SZ_SK_SL_SM_EUlSZ_E0_NS1_11comp_targetILNS1_3genE8ELNS1_11target_archE1030ELNS1_3gpuE2ELNS1_3repE0EEENS1_38merge_mergepath_config_static_selectorELNS0_4arch9wavefront6targetE1EEEvSL_.has_indirect_call, 0
	.section	.AMDGPU.csdata,"",@progbits
; Kernel info:
; codeLenInByte = 0
; TotalNumSgprs: 6
; NumVgprs: 0
; NumAgprs: 0
; TotalNumVgprs: 0
; ScratchSize: 0
; MemoryBound: 0
; FloatMode: 240
; IeeeMode: 1
; LDSByteSize: 0 bytes/workgroup (compile time only)
; SGPRBlocks: 0
; VGPRBlocks: 0
; NumSGPRsForWavesPerEU: 6
; NumVGPRsForWavesPerEU: 1
; AccumOffset: 4
; Occupancy: 8
; WaveLimiterHint : 0
; COMPUTE_PGM_RSRC2:SCRATCH_EN: 0
; COMPUTE_PGM_RSRC2:USER_SGPR: 2
; COMPUTE_PGM_RSRC2:TRAP_HANDLER: 0
; COMPUTE_PGM_RSRC2:TGID_X_EN: 1
; COMPUTE_PGM_RSRC2:TGID_Y_EN: 0
; COMPUTE_PGM_RSRC2:TGID_Z_EN: 0
; COMPUTE_PGM_RSRC2:TIDIG_COMP_CNT: 0
; COMPUTE_PGM_RSRC3_GFX90A:ACCUM_OFFSET: 0
; COMPUTE_PGM_RSRC3_GFX90A:TG_SPLIT: 0
	.section	.text._ZN7rocprim17ROCPRIM_400000_NS6detail17trampoline_kernelINS0_14default_configENS1_38merge_sort_block_merge_config_selectorIiNS0_10empty_typeEEEZZNS1_27merge_sort_block_merge_implIS3_N6thrust23THRUST_200600_302600_NS6detail15normal_iteratorINS9_10device_ptrIiEEEEPS5_jNS1_19radix_merge_compareILb0ELb1EiNS0_19identity_decomposerEEEEE10hipError_tT0_T1_T2_jT3_P12ihipStream_tbPNSt15iterator_traitsISK_E10value_typeEPNSQ_ISL_E10value_typeEPSM_NS1_7vsmem_tEENKUlT_SK_SL_SM_E_clISE_PiSF_SF_EESJ_SZ_SK_SL_SM_EUlSZ_E1_NS1_11comp_targetILNS1_3genE0ELNS1_11target_archE4294967295ELNS1_3gpuE0ELNS1_3repE0EEENS1_36merge_oddeven_config_static_selectorELNS0_4arch9wavefront6targetE1EEEvSL_,"axG",@progbits,_ZN7rocprim17ROCPRIM_400000_NS6detail17trampoline_kernelINS0_14default_configENS1_38merge_sort_block_merge_config_selectorIiNS0_10empty_typeEEEZZNS1_27merge_sort_block_merge_implIS3_N6thrust23THRUST_200600_302600_NS6detail15normal_iteratorINS9_10device_ptrIiEEEEPS5_jNS1_19radix_merge_compareILb0ELb1EiNS0_19identity_decomposerEEEEE10hipError_tT0_T1_T2_jT3_P12ihipStream_tbPNSt15iterator_traitsISK_E10value_typeEPNSQ_ISL_E10value_typeEPSM_NS1_7vsmem_tEENKUlT_SK_SL_SM_E_clISE_PiSF_SF_EESJ_SZ_SK_SL_SM_EUlSZ_E1_NS1_11comp_targetILNS1_3genE0ELNS1_11target_archE4294967295ELNS1_3gpuE0ELNS1_3repE0EEENS1_36merge_oddeven_config_static_selectorELNS0_4arch9wavefront6targetE1EEEvSL_,comdat
	.protected	_ZN7rocprim17ROCPRIM_400000_NS6detail17trampoline_kernelINS0_14default_configENS1_38merge_sort_block_merge_config_selectorIiNS0_10empty_typeEEEZZNS1_27merge_sort_block_merge_implIS3_N6thrust23THRUST_200600_302600_NS6detail15normal_iteratorINS9_10device_ptrIiEEEEPS5_jNS1_19radix_merge_compareILb0ELb1EiNS0_19identity_decomposerEEEEE10hipError_tT0_T1_T2_jT3_P12ihipStream_tbPNSt15iterator_traitsISK_E10value_typeEPNSQ_ISL_E10value_typeEPSM_NS1_7vsmem_tEENKUlT_SK_SL_SM_E_clISE_PiSF_SF_EESJ_SZ_SK_SL_SM_EUlSZ_E1_NS1_11comp_targetILNS1_3genE0ELNS1_11target_archE4294967295ELNS1_3gpuE0ELNS1_3repE0EEENS1_36merge_oddeven_config_static_selectorELNS0_4arch9wavefront6targetE1EEEvSL_ ; -- Begin function _ZN7rocprim17ROCPRIM_400000_NS6detail17trampoline_kernelINS0_14default_configENS1_38merge_sort_block_merge_config_selectorIiNS0_10empty_typeEEEZZNS1_27merge_sort_block_merge_implIS3_N6thrust23THRUST_200600_302600_NS6detail15normal_iteratorINS9_10device_ptrIiEEEEPS5_jNS1_19radix_merge_compareILb0ELb1EiNS0_19identity_decomposerEEEEE10hipError_tT0_T1_T2_jT3_P12ihipStream_tbPNSt15iterator_traitsISK_E10value_typeEPNSQ_ISL_E10value_typeEPSM_NS1_7vsmem_tEENKUlT_SK_SL_SM_E_clISE_PiSF_SF_EESJ_SZ_SK_SL_SM_EUlSZ_E1_NS1_11comp_targetILNS1_3genE0ELNS1_11target_archE4294967295ELNS1_3gpuE0ELNS1_3repE0EEENS1_36merge_oddeven_config_static_selectorELNS0_4arch9wavefront6targetE1EEEvSL_
	.globl	_ZN7rocprim17ROCPRIM_400000_NS6detail17trampoline_kernelINS0_14default_configENS1_38merge_sort_block_merge_config_selectorIiNS0_10empty_typeEEEZZNS1_27merge_sort_block_merge_implIS3_N6thrust23THRUST_200600_302600_NS6detail15normal_iteratorINS9_10device_ptrIiEEEEPS5_jNS1_19radix_merge_compareILb0ELb1EiNS0_19identity_decomposerEEEEE10hipError_tT0_T1_T2_jT3_P12ihipStream_tbPNSt15iterator_traitsISK_E10value_typeEPNSQ_ISL_E10value_typeEPSM_NS1_7vsmem_tEENKUlT_SK_SL_SM_E_clISE_PiSF_SF_EESJ_SZ_SK_SL_SM_EUlSZ_E1_NS1_11comp_targetILNS1_3genE0ELNS1_11target_archE4294967295ELNS1_3gpuE0ELNS1_3repE0EEENS1_36merge_oddeven_config_static_selectorELNS0_4arch9wavefront6targetE1EEEvSL_
	.p2align	8
	.type	_ZN7rocprim17ROCPRIM_400000_NS6detail17trampoline_kernelINS0_14default_configENS1_38merge_sort_block_merge_config_selectorIiNS0_10empty_typeEEEZZNS1_27merge_sort_block_merge_implIS3_N6thrust23THRUST_200600_302600_NS6detail15normal_iteratorINS9_10device_ptrIiEEEEPS5_jNS1_19radix_merge_compareILb0ELb1EiNS0_19identity_decomposerEEEEE10hipError_tT0_T1_T2_jT3_P12ihipStream_tbPNSt15iterator_traitsISK_E10value_typeEPNSQ_ISL_E10value_typeEPSM_NS1_7vsmem_tEENKUlT_SK_SL_SM_E_clISE_PiSF_SF_EESJ_SZ_SK_SL_SM_EUlSZ_E1_NS1_11comp_targetILNS1_3genE0ELNS1_11target_archE4294967295ELNS1_3gpuE0ELNS1_3repE0EEENS1_36merge_oddeven_config_static_selectorELNS0_4arch9wavefront6targetE1EEEvSL_,@function
_ZN7rocprim17ROCPRIM_400000_NS6detail17trampoline_kernelINS0_14default_configENS1_38merge_sort_block_merge_config_selectorIiNS0_10empty_typeEEEZZNS1_27merge_sort_block_merge_implIS3_N6thrust23THRUST_200600_302600_NS6detail15normal_iteratorINS9_10device_ptrIiEEEEPS5_jNS1_19radix_merge_compareILb0ELb1EiNS0_19identity_decomposerEEEEE10hipError_tT0_T1_T2_jT3_P12ihipStream_tbPNSt15iterator_traitsISK_E10value_typeEPNSQ_ISL_E10value_typeEPSM_NS1_7vsmem_tEENKUlT_SK_SL_SM_E_clISE_PiSF_SF_EESJ_SZ_SK_SL_SM_EUlSZ_E1_NS1_11comp_targetILNS1_3genE0ELNS1_11target_archE4294967295ELNS1_3gpuE0ELNS1_3repE0EEENS1_36merge_oddeven_config_static_selectorELNS0_4arch9wavefront6targetE1EEEvSL_: ; @_ZN7rocprim17ROCPRIM_400000_NS6detail17trampoline_kernelINS0_14default_configENS1_38merge_sort_block_merge_config_selectorIiNS0_10empty_typeEEEZZNS1_27merge_sort_block_merge_implIS3_N6thrust23THRUST_200600_302600_NS6detail15normal_iteratorINS9_10device_ptrIiEEEEPS5_jNS1_19radix_merge_compareILb0ELb1EiNS0_19identity_decomposerEEEEE10hipError_tT0_T1_T2_jT3_P12ihipStream_tbPNSt15iterator_traitsISK_E10value_typeEPNSQ_ISL_E10value_typeEPSM_NS1_7vsmem_tEENKUlT_SK_SL_SM_E_clISE_PiSF_SF_EESJ_SZ_SK_SL_SM_EUlSZ_E1_NS1_11comp_targetILNS1_3genE0ELNS1_11target_archE4294967295ELNS1_3gpuE0ELNS1_3repE0EEENS1_36merge_oddeven_config_static_selectorELNS0_4arch9wavefront6targetE1EEEvSL_
; %bb.0:
	s_load_dword s18, s[0:1], 0x20
	s_waitcnt lgkmcnt(0)
	s_lshr_b32 s3, s18, 8
	s_cmp_lg_u32 s2, s3
	s_cselect_b64 s[14:15], -1, 0
	s_cmp_eq_u32 s2, s3
	s_cselect_b64 s[12:13], -1, 0
	s_lshl_b32 s16, s2, 8
	s_sub_i32 s3, s18, s16
	v_cmp_gt_u32_e64 s[6:7], s3, v0
	s_or_b64 s[4:5], s[14:15], s[6:7]
	s_and_saveexec_b64 s[8:9], s[4:5]
	s_cbranch_execz .LBB124_20
; %bb.1:
	s_load_dwordx4 s[8:11], s[0:1], 0x0
	s_load_dword s19, s[0:1], 0x24
	s_mov_b32 s17, 0
	s_lshl_b64 s[4:5], s[16:17], 2
	v_lshlrev_b32_e32 v1, 2, v0
	s_waitcnt lgkmcnt(0)
	s_add_u32 s4, s8, s4
	s_addc_u32 s5, s9, s5
	global_load_dword v2, v1, s[4:5]
	s_lshr_b32 s3, s19, 8
	s_sub_i32 s4, 0, s3
	s_and_b32 s2, s2, s4
	s_and_b32 s3, s2, s3
	s_lshl_b32 s20, s2, 8
	s_sub_i32 s17, 0, s19
	s_cmp_eq_u32 s3, 0
	s_cselect_b64 s[4:5], -1, 0
	s_and_b64 s[2:3], s[4:5], exec
	s_cselect_b32 s17, s19, s17
	s_add_i32 s17, s17, s20
	s_cmp_gt_u32 s18, s17
	v_add_u32_e32 v0, s16, v0
	s_cbranch_scc1 .LBB124_3
; %bb.2:
	v_cmp_gt_u32_e32 vcc, s18, v0
	s_or_b64 s[2:3], vcc, s[14:15]
	s_and_b64 s[2:3], s[2:3], exec
	s_cbranch_execz .LBB124_4
	s_branch .LBB124_18
.LBB124_3:
	s_mov_b64 s[2:3], 0
.LBB124_4:
	s_load_dword s14, s[0:1], 0x28
	s_min_u32 s15, s17, s18
	s_add_i32 s0, s15, s19
	s_min_u32 s16, s0, s18
	s_min_u32 s0, s20, s15
	s_add_i32 s20, s20, s15
	v_subrev_u32_e32 v0, s20, v0
	v_add_u32_e32 v3, s0, v0
	s_waitcnt vmcnt(0) lgkmcnt(0)
	v_and_b32_e32 v4, s14, v2
	s_and_b64 vcc, exec, s[12:13]
	s_cbranch_vccz .LBB124_12
; %bb.5:
                                        ; implicit-def: $vgpr0
	s_and_saveexec_b64 s[0:1], s[6:7]
	s_cbranch_execz .LBB124_11
; %bb.6:
	s_cmp_ge_u32 s17, s16
	v_mov_b32_e32 v5, s15
	s_cbranch_scc1 .LBB124_10
; %bb.7:
	s_mov_b64 s[6:7], 0
	v_mov_b32_e32 v6, s16
	v_mov_b32_e32 v5, s15
	;; [unrolled: 1-line block ×3, first 2 shown]
.LBB124_8:                              ; =>This Inner Loop Header: Depth=1
	v_add_u32_e32 v0, v5, v6
	v_lshrrev_b32_e32 v0, 1, v0
	v_lshl_add_u64 v[8:9], v[0:1], 2, s[8:9]
	global_load_dword v7, v[8:9], off
	v_add_u32_e32 v8, 1, v0
	s_waitcnt vmcnt(0)
	v_and_b32_e32 v7, s14, v7
	v_cmp_gt_i32_e32 vcc, v4, v7
	s_nop 1
	v_cndmask_b32_e64 v9, 0, 1, vcc
	v_cmp_le_i32_e32 vcc, v7, v4
	s_nop 1
	v_cndmask_b32_e64 v7, 0, 1, vcc
	v_cndmask_b32_e64 v7, v7, v9, s[4:5]
	v_and_b32_e32 v7, 1, v7
	v_cmp_eq_u32_e32 vcc, 1, v7
	s_nop 1
	v_cndmask_b32_e32 v6, v0, v6, vcc
	v_cndmask_b32_e32 v5, v5, v8, vcc
	v_cmp_ge_u32_e32 vcc, v5, v6
	s_or_b64 s[6:7], vcc, s[6:7]
	s_andn2_b64 exec, exec, s[6:7]
	s_cbranch_execnz .LBB124_8
; %bb.9:
	s_or_b64 exec, exec, s[6:7]
.LBB124_10:
	v_add_u32_e32 v0, v5, v3
	s_or_b64 s[2:3], s[2:3], exec
.LBB124_11:
	s_or_b64 exec, exec, s[0:1]
	s_branch .LBB124_18
.LBB124_12:
                                        ; implicit-def: $vgpr0
	s_cbranch_execz .LBB124_18
; %bb.13:
	s_cmp_ge_u32 s17, s16
	v_mov_b32_e32 v5, s15
	s_cbranch_scc1 .LBB124_17
; %bb.14:
	s_mov_b64 s[0:1], 0
	v_mov_b32_e32 v6, s16
	v_mov_b32_e32 v5, s15
	;; [unrolled: 1-line block ×3, first 2 shown]
.LBB124_15:                             ; =>This Inner Loop Header: Depth=1
	v_add_u32_e32 v0, v5, v6
	v_lshrrev_b32_e32 v0, 1, v0
	v_lshl_add_u64 v[8:9], v[0:1], 2, s[8:9]
	global_load_dword v7, v[8:9], off
	v_add_u32_e32 v8, 1, v0
	s_waitcnt vmcnt(0)
	v_and_b32_e32 v7, s14, v7
	v_cmp_gt_i32_e32 vcc, v4, v7
	s_nop 1
	v_cndmask_b32_e64 v9, 0, 1, vcc
	v_cmp_le_i32_e32 vcc, v7, v4
	s_nop 1
	v_cndmask_b32_e64 v7, 0, 1, vcc
	v_cndmask_b32_e64 v7, v7, v9, s[4:5]
	v_and_b32_e32 v7, 1, v7
	v_cmp_eq_u32_e32 vcc, 1, v7
	s_nop 1
	v_cndmask_b32_e32 v6, v0, v6, vcc
	v_cndmask_b32_e32 v5, v5, v8, vcc
	v_cmp_ge_u32_e32 vcc, v5, v6
	s_or_b64 s[0:1], vcc, s[0:1]
	s_andn2_b64 exec, exec, s[0:1]
	s_cbranch_execnz .LBB124_15
; %bb.16:
	s_or_b64 exec, exec, s[0:1]
.LBB124_17:
	v_add_u32_e32 v0, v5, v3
	s_mov_b64 s[2:3], -1
.LBB124_18:
	s_and_b64 exec, exec, s[2:3]
	s_cbranch_execz .LBB124_20
; %bb.19:
	v_mov_b32_e32 v4, s10
	v_mov_b32_e32 v5, s11
	;; [unrolled: 1-line block ×3, first 2 shown]
	v_lshl_add_u64 v[0:1], v[0:1], 2, v[4:5]
	s_waitcnt vmcnt(0)
	global_store_dword v[0:1], v2, off
.LBB124_20:
	s_endpgm
	.section	.rodata,"a",@progbits
	.p2align	6, 0x0
	.amdhsa_kernel _ZN7rocprim17ROCPRIM_400000_NS6detail17trampoline_kernelINS0_14default_configENS1_38merge_sort_block_merge_config_selectorIiNS0_10empty_typeEEEZZNS1_27merge_sort_block_merge_implIS3_N6thrust23THRUST_200600_302600_NS6detail15normal_iteratorINS9_10device_ptrIiEEEEPS5_jNS1_19radix_merge_compareILb0ELb1EiNS0_19identity_decomposerEEEEE10hipError_tT0_T1_T2_jT3_P12ihipStream_tbPNSt15iterator_traitsISK_E10value_typeEPNSQ_ISL_E10value_typeEPSM_NS1_7vsmem_tEENKUlT_SK_SL_SM_E_clISE_PiSF_SF_EESJ_SZ_SK_SL_SM_EUlSZ_E1_NS1_11comp_targetILNS1_3genE0ELNS1_11target_archE4294967295ELNS1_3gpuE0ELNS1_3repE0EEENS1_36merge_oddeven_config_static_selectorELNS0_4arch9wavefront6targetE1EEEvSL_
		.amdhsa_group_segment_fixed_size 0
		.amdhsa_private_segment_fixed_size 0
		.amdhsa_kernarg_size 48
		.amdhsa_user_sgpr_count 2
		.amdhsa_user_sgpr_dispatch_ptr 0
		.amdhsa_user_sgpr_queue_ptr 0
		.amdhsa_user_sgpr_kernarg_segment_ptr 1
		.amdhsa_user_sgpr_dispatch_id 0
		.amdhsa_user_sgpr_kernarg_preload_length 0
		.amdhsa_user_sgpr_kernarg_preload_offset 0
		.amdhsa_user_sgpr_private_segment_size 0
		.amdhsa_uses_dynamic_stack 0
		.amdhsa_enable_private_segment 0
		.amdhsa_system_sgpr_workgroup_id_x 1
		.amdhsa_system_sgpr_workgroup_id_y 0
		.amdhsa_system_sgpr_workgroup_id_z 0
		.amdhsa_system_sgpr_workgroup_info 0
		.amdhsa_system_vgpr_workitem_id 0
		.amdhsa_next_free_vgpr 10
		.amdhsa_next_free_sgpr 21
		.amdhsa_accum_offset 12
		.amdhsa_reserve_vcc 1
		.amdhsa_float_round_mode_32 0
		.amdhsa_float_round_mode_16_64 0
		.amdhsa_float_denorm_mode_32 3
		.amdhsa_float_denorm_mode_16_64 3
		.amdhsa_dx10_clamp 1
		.amdhsa_ieee_mode 1
		.amdhsa_fp16_overflow 0
		.amdhsa_tg_split 0
		.amdhsa_exception_fp_ieee_invalid_op 0
		.amdhsa_exception_fp_denorm_src 0
		.amdhsa_exception_fp_ieee_div_zero 0
		.amdhsa_exception_fp_ieee_overflow 0
		.amdhsa_exception_fp_ieee_underflow 0
		.amdhsa_exception_fp_ieee_inexact 0
		.amdhsa_exception_int_div_zero 0
	.end_amdhsa_kernel
	.section	.text._ZN7rocprim17ROCPRIM_400000_NS6detail17trampoline_kernelINS0_14default_configENS1_38merge_sort_block_merge_config_selectorIiNS0_10empty_typeEEEZZNS1_27merge_sort_block_merge_implIS3_N6thrust23THRUST_200600_302600_NS6detail15normal_iteratorINS9_10device_ptrIiEEEEPS5_jNS1_19radix_merge_compareILb0ELb1EiNS0_19identity_decomposerEEEEE10hipError_tT0_T1_T2_jT3_P12ihipStream_tbPNSt15iterator_traitsISK_E10value_typeEPNSQ_ISL_E10value_typeEPSM_NS1_7vsmem_tEENKUlT_SK_SL_SM_E_clISE_PiSF_SF_EESJ_SZ_SK_SL_SM_EUlSZ_E1_NS1_11comp_targetILNS1_3genE0ELNS1_11target_archE4294967295ELNS1_3gpuE0ELNS1_3repE0EEENS1_36merge_oddeven_config_static_selectorELNS0_4arch9wavefront6targetE1EEEvSL_,"axG",@progbits,_ZN7rocprim17ROCPRIM_400000_NS6detail17trampoline_kernelINS0_14default_configENS1_38merge_sort_block_merge_config_selectorIiNS0_10empty_typeEEEZZNS1_27merge_sort_block_merge_implIS3_N6thrust23THRUST_200600_302600_NS6detail15normal_iteratorINS9_10device_ptrIiEEEEPS5_jNS1_19radix_merge_compareILb0ELb1EiNS0_19identity_decomposerEEEEE10hipError_tT0_T1_T2_jT3_P12ihipStream_tbPNSt15iterator_traitsISK_E10value_typeEPNSQ_ISL_E10value_typeEPSM_NS1_7vsmem_tEENKUlT_SK_SL_SM_E_clISE_PiSF_SF_EESJ_SZ_SK_SL_SM_EUlSZ_E1_NS1_11comp_targetILNS1_3genE0ELNS1_11target_archE4294967295ELNS1_3gpuE0ELNS1_3repE0EEENS1_36merge_oddeven_config_static_selectorELNS0_4arch9wavefront6targetE1EEEvSL_,comdat
.Lfunc_end124:
	.size	_ZN7rocprim17ROCPRIM_400000_NS6detail17trampoline_kernelINS0_14default_configENS1_38merge_sort_block_merge_config_selectorIiNS0_10empty_typeEEEZZNS1_27merge_sort_block_merge_implIS3_N6thrust23THRUST_200600_302600_NS6detail15normal_iteratorINS9_10device_ptrIiEEEEPS5_jNS1_19radix_merge_compareILb0ELb1EiNS0_19identity_decomposerEEEEE10hipError_tT0_T1_T2_jT3_P12ihipStream_tbPNSt15iterator_traitsISK_E10value_typeEPNSQ_ISL_E10value_typeEPSM_NS1_7vsmem_tEENKUlT_SK_SL_SM_E_clISE_PiSF_SF_EESJ_SZ_SK_SL_SM_EUlSZ_E1_NS1_11comp_targetILNS1_3genE0ELNS1_11target_archE4294967295ELNS1_3gpuE0ELNS1_3repE0EEENS1_36merge_oddeven_config_static_selectorELNS0_4arch9wavefront6targetE1EEEvSL_, .Lfunc_end124-_ZN7rocprim17ROCPRIM_400000_NS6detail17trampoline_kernelINS0_14default_configENS1_38merge_sort_block_merge_config_selectorIiNS0_10empty_typeEEEZZNS1_27merge_sort_block_merge_implIS3_N6thrust23THRUST_200600_302600_NS6detail15normal_iteratorINS9_10device_ptrIiEEEEPS5_jNS1_19radix_merge_compareILb0ELb1EiNS0_19identity_decomposerEEEEE10hipError_tT0_T1_T2_jT3_P12ihipStream_tbPNSt15iterator_traitsISK_E10value_typeEPNSQ_ISL_E10value_typeEPSM_NS1_7vsmem_tEENKUlT_SK_SL_SM_E_clISE_PiSF_SF_EESJ_SZ_SK_SL_SM_EUlSZ_E1_NS1_11comp_targetILNS1_3genE0ELNS1_11target_archE4294967295ELNS1_3gpuE0ELNS1_3repE0EEENS1_36merge_oddeven_config_static_selectorELNS0_4arch9wavefront6targetE1EEEvSL_
                                        ; -- End function
	.set _ZN7rocprim17ROCPRIM_400000_NS6detail17trampoline_kernelINS0_14default_configENS1_38merge_sort_block_merge_config_selectorIiNS0_10empty_typeEEEZZNS1_27merge_sort_block_merge_implIS3_N6thrust23THRUST_200600_302600_NS6detail15normal_iteratorINS9_10device_ptrIiEEEEPS5_jNS1_19radix_merge_compareILb0ELb1EiNS0_19identity_decomposerEEEEE10hipError_tT0_T1_T2_jT3_P12ihipStream_tbPNSt15iterator_traitsISK_E10value_typeEPNSQ_ISL_E10value_typeEPSM_NS1_7vsmem_tEENKUlT_SK_SL_SM_E_clISE_PiSF_SF_EESJ_SZ_SK_SL_SM_EUlSZ_E1_NS1_11comp_targetILNS1_3genE0ELNS1_11target_archE4294967295ELNS1_3gpuE0ELNS1_3repE0EEENS1_36merge_oddeven_config_static_selectorELNS0_4arch9wavefront6targetE1EEEvSL_.num_vgpr, 10
	.set _ZN7rocprim17ROCPRIM_400000_NS6detail17trampoline_kernelINS0_14default_configENS1_38merge_sort_block_merge_config_selectorIiNS0_10empty_typeEEEZZNS1_27merge_sort_block_merge_implIS3_N6thrust23THRUST_200600_302600_NS6detail15normal_iteratorINS9_10device_ptrIiEEEEPS5_jNS1_19radix_merge_compareILb0ELb1EiNS0_19identity_decomposerEEEEE10hipError_tT0_T1_T2_jT3_P12ihipStream_tbPNSt15iterator_traitsISK_E10value_typeEPNSQ_ISL_E10value_typeEPSM_NS1_7vsmem_tEENKUlT_SK_SL_SM_E_clISE_PiSF_SF_EESJ_SZ_SK_SL_SM_EUlSZ_E1_NS1_11comp_targetILNS1_3genE0ELNS1_11target_archE4294967295ELNS1_3gpuE0ELNS1_3repE0EEENS1_36merge_oddeven_config_static_selectorELNS0_4arch9wavefront6targetE1EEEvSL_.num_agpr, 0
	.set _ZN7rocprim17ROCPRIM_400000_NS6detail17trampoline_kernelINS0_14default_configENS1_38merge_sort_block_merge_config_selectorIiNS0_10empty_typeEEEZZNS1_27merge_sort_block_merge_implIS3_N6thrust23THRUST_200600_302600_NS6detail15normal_iteratorINS9_10device_ptrIiEEEEPS5_jNS1_19radix_merge_compareILb0ELb1EiNS0_19identity_decomposerEEEEE10hipError_tT0_T1_T2_jT3_P12ihipStream_tbPNSt15iterator_traitsISK_E10value_typeEPNSQ_ISL_E10value_typeEPSM_NS1_7vsmem_tEENKUlT_SK_SL_SM_E_clISE_PiSF_SF_EESJ_SZ_SK_SL_SM_EUlSZ_E1_NS1_11comp_targetILNS1_3genE0ELNS1_11target_archE4294967295ELNS1_3gpuE0ELNS1_3repE0EEENS1_36merge_oddeven_config_static_selectorELNS0_4arch9wavefront6targetE1EEEvSL_.numbered_sgpr, 21
	.set _ZN7rocprim17ROCPRIM_400000_NS6detail17trampoline_kernelINS0_14default_configENS1_38merge_sort_block_merge_config_selectorIiNS0_10empty_typeEEEZZNS1_27merge_sort_block_merge_implIS3_N6thrust23THRUST_200600_302600_NS6detail15normal_iteratorINS9_10device_ptrIiEEEEPS5_jNS1_19radix_merge_compareILb0ELb1EiNS0_19identity_decomposerEEEEE10hipError_tT0_T1_T2_jT3_P12ihipStream_tbPNSt15iterator_traitsISK_E10value_typeEPNSQ_ISL_E10value_typeEPSM_NS1_7vsmem_tEENKUlT_SK_SL_SM_E_clISE_PiSF_SF_EESJ_SZ_SK_SL_SM_EUlSZ_E1_NS1_11comp_targetILNS1_3genE0ELNS1_11target_archE4294967295ELNS1_3gpuE0ELNS1_3repE0EEENS1_36merge_oddeven_config_static_selectorELNS0_4arch9wavefront6targetE1EEEvSL_.num_named_barrier, 0
	.set _ZN7rocprim17ROCPRIM_400000_NS6detail17trampoline_kernelINS0_14default_configENS1_38merge_sort_block_merge_config_selectorIiNS0_10empty_typeEEEZZNS1_27merge_sort_block_merge_implIS3_N6thrust23THRUST_200600_302600_NS6detail15normal_iteratorINS9_10device_ptrIiEEEEPS5_jNS1_19radix_merge_compareILb0ELb1EiNS0_19identity_decomposerEEEEE10hipError_tT0_T1_T2_jT3_P12ihipStream_tbPNSt15iterator_traitsISK_E10value_typeEPNSQ_ISL_E10value_typeEPSM_NS1_7vsmem_tEENKUlT_SK_SL_SM_E_clISE_PiSF_SF_EESJ_SZ_SK_SL_SM_EUlSZ_E1_NS1_11comp_targetILNS1_3genE0ELNS1_11target_archE4294967295ELNS1_3gpuE0ELNS1_3repE0EEENS1_36merge_oddeven_config_static_selectorELNS0_4arch9wavefront6targetE1EEEvSL_.private_seg_size, 0
	.set _ZN7rocprim17ROCPRIM_400000_NS6detail17trampoline_kernelINS0_14default_configENS1_38merge_sort_block_merge_config_selectorIiNS0_10empty_typeEEEZZNS1_27merge_sort_block_merge_implIS3_N6thrust23THRUST_200600_302600_NS6detail15normal_iteratorINS9_10device_ptrIiEEEEPS5_jNS1_19radix_merge_compareILb0ELb1EiNS0_19identity_decomposerEEEEE10hipError_tT0_T1_T2_jT3_P12ihipStream_tbPNSt15iterator_traitsISK_E10value_typeEPNSQ_ISL_E10value_typeEPSM_NS1_7vsmem_tEENKUlT_SK_SL_SM_E_clISE_PiSF_SF_EESJ_SZ_SK_SL_SM_EUlSZ_E1_NS1_11comp_targetILNS1_3genE0ELNS1_11target_archE4294967295ELNS1_3gpuE0ELNS1_3repE0EEENS1_36merge_oddeven_config_static_selectorELNS0_4arch9wavefront6targetE1EEEvSL_.uses_vcc, 1
	.set _ZN7rocprim17ROCPRIM_400000_NS6detail17trampoline_kernelINS0_14default_configENS1_38merge_sort_block_merge_config_selectorIiNS0_10empty_typeEEEZZNS1_27merge_sort_block_merge_implIS3_N6thrust23THRUST_200600_302600_NS6detail15normal_iteratorINS9_10device_ptrIiEEEEPS5_jNS1_19radix_merge_compareILb0ELb1EiNS0_19identity_decomposerEEEEE10hipError_tT0_T1_T2_jT3_P12ihipStream_tbPNSt15iterator_traitsISK_E10value_typeEPNSQ_ISL_E10value_typeEPSM_NS1_7vsmem_tEENKUlT_SK_SL_SM_E_clISE_PiSF_SF_EESJ_SZ_SK_SL_SM_EUlSZ_E1_NS1_11comp_targetILNS1_3genE0ELNS1_11target_archE4294967295ELNS1_3gpuE0ELNS1_3repE0EEENS1_36merge_oddeven_config_static_selectorELNS0_4arch9wavefront6targetE1EEEvSL_.uses_flat_scratch, 0
	.set _ZN7rocprim17ROCPRIM_400000_NS6detail17trampoline_kernelINS0_14default_configENS1_38merge_sort_block_merge_config_selectorIiNS0_10empty_typeEEEZZNS1_27merge_sort_block_merge_implIS3_N6thrust23THRUST_200600_302600_NS6detail15normal_iteratorINS9_10device_ptrIiEEEEPS5_jNS1_19radix_merge_compareILb0ELb1EiNS0_19identity_decomposerEEEEE10hipError_tT0_T1_T2_jT3_P12ihipStream_tbPNSt15iterator_traitsISK_E10value_typeEPNSQ_ISL_E10value_typeEPSM_NS1_7vsmem_tEENKUlT_SK_SL_SM_E_clISE_PiSF_SF_EESJ_SZ_SK_SL_SM_EUlSZ_E1_NS1_11comp_targetILNS1_3genE0ELNS1_11target_archE4294967295ELNS1_3gpuE0ELNS1_3repE0EEENS1_36merge_oddeven_config_static_selectorELNS0_4arch9wavefront6targetE1EEEvSL_.has_dyn_sized_stack, 0
	.set _ZN7rocprim17ROCPRIM_400000_NS6detail17trampoline_kernelINS0_14default_configENS1_38merge_sort_block_merge_config_selectorIiNS0_10empty_typeEEEZZNS1_27merge_sort_block_merge_implIS3_N6thrust23THRUST_200600_302600_NS6detail15normal_iteratorINS9_10device_ptrIiEEEEPS5_jNS1_19radix_merge_compareILb0ELb1EiNS0_19identity_decomposerEEEEE10hipError_tT0_T1_T2_jT3_P12ihipStream_tbPNSt15iterator_traitsISK_E10value_typeEPNSQ_ISL_E10value_typeEPSM_NS1_7vsmem_tEENKUlT_SK_SL_SM_E_clISE_PiSF_SF_EESJ_SZ_SK_SL_SM_EUlSZ_E1_NS1_11comp_targetILNS1_3genE0ELNS1_11target_archE4294967295ELNS1_3gpuE0ELNS1_3repE0EEENS1_36merge_oddeven_config_static_selectorELNS0_4arch9wavefront6targetE1EEEvSL_.has_recursion, 0
	.set _ZN7rocprim17ROCPRIM_400000_NS6detail17trampoline_kernelINS0_14default_configENS1_38merge_sort_block_merge_config_selectorIiNS0_10empty_typeEEEZZNS1_27merge_sort_block_merge_implIS3_N6thrust23THRUST_200600_302600_NS6detail15normal_iteratorINS9_10device_ptrIiEEEEPS5_jNS1_19radix_merge_compareILb0ELb1EiNS0_19identity_decomposerEEEEE10hipError_tT0_T1_T2_jT3_P12ihipStream_tbPNSt15iterator_traitsISK_E10value_typeEPNSQ_ISL_E10value_typeEPSM_NS1_7vsmem_tEENKUlT_SK_SL_SM_E_clISE_PiSF_SF_EESJ_SZ_SK_SL_SM_EUlSZ_E1_NS1_11comp_targetILNS1_3genE0ELNS1_11target_archE4294967295ELNS1_3gpuE0ELNS1_3repE0EEENS1_36merge_oddeven_config_static_selectorELNS0_4arch9wavefront6targetE1EEEvSL_.has_indirect_call, 0
	.section	.AMDGPU.csdata,"",@progbits
; Kernel info:
; codeLenInByte = 608
; TotalNumSgprs: 27
; NumVgprs: 10
; NumAgprs: 0
; TotalNumVgprs: 10
; ScratchSize: 0
; MemoryBound: 0
; FloatMode: 240
; IeeeMode: 1
; LDSByteSize: 0 bytes/workgroup (compile time only)
; SGPRBlocks: 3
; VGPRBlocks: 1
; NumSGPRsForWavesPerEU: 27
; NumVGPRsForWavesPerEU: 10
; AccumOffset: 12
; Occupancy: 8
; WaveLimiterHint : 0
; COMPUTE_PGM_RSRC2:SCRATCH_EN: 0
; COMPUTE_PGM_RSRC2:USER_SGPR: 2
; COMPUTE_PGM_RSRC2:TRAP_HANDLER: 0
; COMPUTE_PGM_RSRC2:TGID_X_EN: 1
; COMPUTE_PGM_RSRC2:TGID_Y_EN: 0
; COMPUTE_PGM_RSRC2:TGID_Z_EN: 0
; COMPUTE_PGM_RSRC2:TIDIG_COMP_CNT: 0
; COMPUTE_PGM_RSRC3_GFX90A:ACCUM_OFFSET: 2
; COMPUTE_PGM_RSRC3_GFX90A:TG_SPLIT: 0
	.section	.text._ZN7rocprim17ROCPRIM_400000_NS6detail17trampoline_kernelINS0_14default_configENS1_38merge_sort_block_merge_config_selectorIiNS0_10empty_typeEEEZZNS1_27merge_sort_block_merge_implIS3_N6thrust23THRUST_200600_302600_NS6detail15normal_iteratorINS9_10device_ptrIiEEEEPS5_jNS1_19radix_merge_compareILb0ELb1EiNS0_19identity_decomposerEEEEE10hipError_tT0_T1_T2_jT3_P12ihipStream_tbPNSt15iterator_traitsISK_E10value_typeEPNSQ_ISL_E10value_typeEPSM_NS1_7vsmem_tEENKUlT_SK_SL_SM_E_clISE_PiSF_SF_EESJ_SZ_SK_SL_SM_EUlSZ_E1_NS1_11comp_targetILNS1_3genE10ELNS1_11target_archE1201ELNS1_3gpuE5ELNS1_3repE0EEENS1_36merge_oddeven_config_static_selectorELNS0_4arch9wavefront6targetE1EEEvSL_,"axG",@progbits,_ZN7rocprim17ROCPRIM_400000_NS6detail17trampoline_kernelINS0_14default_configENS1_38merge_sort_block_merge_config_selectorIiNS0_10empty_typeEEEZZNS1_27merge_sort_block_merge_implIS3_N6thrust23THRUST_200600_302600_NS6detail15normal_iteratorINS9_10device_ptrIiEEEEPS5_jNS1_19radix_merge_compareILb0ELb1EiNS0_19identity_decomposerEEEEE10hipError_tT0_T1_T2_jT3_P12ihipStream_tbPNSt15iterator_traitsISK_E10value_typeEPNSQ_ISL_E10value_typeEPSM_NS1_7vsmem_tEENKUlT_SK_SL_SM_E_clISE_PiSF_SF_EESJ_SZ_SK_SL_SM_EUlSZ_E1_NS1_11comp_targetILNS1_3genE10ELNS1_11target_archE1201ELNS1_3gpuE5ELNS1_3repE0EEENS1_36merge_oddeven_config_static_selectorELNS0_4arch9wavefront6targetE1EEEvSL_,comdat
	.protected	_ZN7rocprim17ROCPRIM_400000_NS6detail17trampoline_kernelINS0_14default_configENS1_38merge_sort_block_merge_config_selectorIiNS0_10empty_typeEEEZZNS1_27merge_sort_block_merge_implIS3_N6thrust23THRUST_200600_302600_NS6detail15normal_iteratorINS9_10device_ptrIiEEEEPS5_jNS1_19radix_merge_compareILb0ELb1EiNS0_19identity_decomposerEEEEE10hipError_tT0_T1_T2_jT3_P12ihipStream_tbPNSt15iterator_traitsISK_E10value_typeEPNSQ_ISL_E10value_typeEPSM_NS1_7vsmem_tEENKUlT_SK_SL_SM_E_clISE_PiSF_SF_EESJ_SZ_SK_SL_SM_EUlSZ_E1_NS1_11comp_targetILNS1_3genE10ELNS1_11target_archE1201ELNS1_3gpuE5ELNS1_3repE0EEENS1_36merge_oddeven_config_static_selectorELNS0_4arch9wavefront6targetE1EEEvSL_ ; -- Begin function _ZN7rocprim17ROCPRIM_400000_NS6detail17trampoline_kernelINS0_14default_configENS1_38merge_sort_block_merge_config_selectorIiNS0_10empty_typeEEEZZNS1_27merge_sort_block_merge_implIS3_N6thrust23THRUST_200600_302600_NS6detail15normal_iteratorINS9_10device_ptrIiEEEEPS5_jNS1_19radix_merge_compareILb0ELb1EiNS0_19identity_decomposerEEEEE10hipError_tT0_T1_T2_jT3_P12ihipStream_tbPNSt15iterator_traitsISK_E10value_typeEPNSQ_ISL_E10value_typeEPSM_NS1_7vsmem_tEENKUlT_SK_SL_SM_E_clISE_PiSF_SF_EESJ_SZ_SK_SL_SM_EUlSZ_E1_NS1_11comp_targetILNS1_3genE10ELNS1_11target_archE1201ELNS1_3gpuE5ELNS1_3repE0EEENS1_36merge_oddeven_config_static_selectorELNS0_4arch9wavefront6targetE1EEEvSL_
	.globl	_ZN7rocprim17ROCPRIM_400000_NS6detail17trampoline_kernelINS0_14default_configENS1_38merge_sort_block_merge_config_selectorIiNS0_10empty_typeEEEZZNS1_27merge_sort_block_merge_implIS3_N6thrust23THRUST_200600_302600_NS6detail15normal_iteratorINS9_10device_ptrIiEEEEPS5_jNS1_19radix_merge_compareILb0ELb1EiNS0_19identity_decomposerEEEEE10hipError_tT0_T1_T2_jT3_P12ihipStream_tbPNSt15iterator_traitsISK_E10value_typeEPNSQ_ISL_E10value_typeEPSM_NS1_7vsmem_tEENKUlT_SK_SL_SM_E_clISE_PiSF_SF_EESJ_SZ_SK_SL_SM_EUlSZ_E1_NS1_11comp_targetILNS1_3genE10ELNS1_11target_archE1201ELNS1_3gpuE5ELNS1_3repE0EEENS1_36merge_oddeven_config_static_selectorELNS0_4arch9wavefront6targetE1EEEvSL_
	.p2align	8
	.type	_ZN7rocprim17ROCPRIM_400000_NS6detail17trampoline_kernelINS0_14default_configENS1_38merge_sort_block_merge_config_selectorIiNS0_10empty_typeEEEZZNS1_27merge_sort_block_merge_implIS3_N6thrust23THRUST_200600_302600_NS6detail15normal_iteratorINS9_10device_ptrIiEEEEPS5_jNS1_19radix_merge_compareILb0ELb1EiNS0_19identity_decomposerEEEEE10hipError_tT0_T1_T2_jT3_P12ihipStream_tbPNSt15iterator_traitsISK_E10value_typeEPNSQ_ISL_E10value_typeEPSM_NS1_7vsmem_tEENKUlT_SK_SL_SM_E_clISE_PiSF_SF_EESJ_SZ_SK_SL_SM_EUlSZ_E1_NS1_11comp_targetILNS1_3genE10ELNS1_11target_archE1201ELNS1_3gpuE5ELNS1_3repE0EEENS1_36merge_oddeven_config_static_selectorELNS0_4arch9wavefront6targetE1EEEvSL_,@function
_ZN7rocprim17ROCPRIM_400000_NS6detail17trampoline_kernelINS0_14default_configENS1_38merge_sort_block_merge_config_selectorIiNS0_10empty_typeEEEZZNS1_27merge_sort_block_merge_implIS3_N6thrust23THRUST_200600_302600_NS6detail15normal_iteratorINS9_10device_ptrIiEEEEPS5_jNS1_19radix_merge_compareILb0ELb1EiNS0_19identity_decomposerEEEEE10hipError_tT0_T1_T2_jT3_P12ihipStream_tbPNSt15iterator_traitsISK_E10value_typeEPNSQ_ISL_E10value_typeEPSM_NS1_7vsmem_tEENKUlT_SK_SL_SM_E_clISE_PiSF_SF_EESJ_SZ_SK_SL_SM_EUlSZ_E1_NS1_11comp_targetILNS1_3genE10ELNS1_11target_archE1201ELNS1_3gpuE5ELNS1_3repE0EEENS1_36merge_oddeven_config_static_selectorELNS0_4arch9wavefront6targetE1EEEvSL_: ; @_ZN7rocprim17ROCPRIM_400000_NS6detail17trampoline_kernelINS0_14default_configENS1_38merge_sort_block_merge_config_selectorIiNS0_10empty_typeEEEZZNS1_27merge_sort_block_merge_implIS3_N6thrust23THRUST_200600_302600_NS6detail15normal_iteratorINS9_10device_ptrIiEEEEPS5_jNS1_19radix_merge_compareILb0ELb1EiNS0_19identity_decomposerEEEEE10hipError_tT0_T1_T2_jT3_P12ihipStream_tbPNSt15iterator_traitsISK_E10value_typeEPNSQ_ISL_E10value_typeEPSM_NS1_7vsmem_tEENKUlT_SK_SL_SM_E_clISE_PiSF_SF_EESJ_SZ_SK_SL_SM_EUlSZ_E1_NS1_11comp_targetILNS1_3genE10ELNS1_11target_archE1201ELNS1_3gpuE5ELNS1_3repE0EEENS1_36merge_oddeven_config_static_selectorELNS0_4arch9wavefront6targetE1EEEvSL_
; %bb.0:
	.section	.rodata,"a",@progbits
	.p2align	6, 0x0
	.amdhsa_kernel _ZN7rocprim17ROCPRIM_400000_NS6detail17trampoline_kernelINS0_14default_configENS1_38merge_sort_block_merge_config_selectorIiNS0_10empty_typeEEEZZNS1_27merge_sort_block_merge_implIS3_N6thrust23THRUST_200600_302600_NS6detail15normal_iteratorINS9_10device_ptrIiEEEEPS5_jNS1_19radix_merge_compareILb0ELb1EiNS0_19identity_decomposerEEEEE10hipError_tT0_T1_T2_jT3_P12ihipStream_tbPNSt15iterator_traitsISK_E10value_typeEPNSQ_ISL_E10value_typeEPSM_NS1_7vsmem_tEENKUlT_SK_SL_SM_E_clISE_PiSF_SF_EESJ_SZ_SK_SL_SM_EUlSZ_E1_NS1_11comp_targetILNS1_3genE10ELNS1_11target_archE1201ELNS1_3gpuE5ELNS1_3repE0EEENS1_36merge_oddeven_config_static_selectorELNS0_4arch9wavefront6targetE1EEEvSL_
		.amdhsa_group_segment_fixed_size 0
		.amdhsa_private_segment_fixed_size 0
		.amdhsa_kernarg_size 48
		.amdhsa_user_sgpr_count 2
		.amdhsa_user_sgpr_dispatch_ptr 0
		.amdhsa_user_sgpr_queue_ptr 0
		.amdhsa_user_sgpr_kernarg_segment_ptr 1
		.amdhsa_user_sgpr_dispatch_id 0
		.amdhsa_user_sgpr_kernarg_preload_length 0
		.amdhsa_user_sgpr_kernarg_preload_offset 0
		.amdhsa_user_sgpr_private_segment_size 0
		.amdhsa_uses_dynamic_stack 0
		.amdhsa_enable_private_segment 0
		.amdhsa_system_sgpr_workgroup_id_x 1
		.amdhsa_system_sgpr_workgroup_id_y 0
		.amdhsa_system_sgpr_workgroup_id_z 0
		.amdhsa_system_sgpr_workgroup_info 0
		.amdhsa_system_vgpr_workitem_id 0
		.amdhsa_next_free_vgpr 1
		.amdhsa_next_free_sgpr 0
		.amdhsa_accum_offset 4
		.amdhsa_reserve_vcc 0
		.amdhsa_float_round_mode_32 0
		.amdhsa_float_round_mode_16_64 0
		.amdhsa_float_denorm_mode_32 3
		.amdhsa_float_denorm_mode_16_64 3
		.amdhsa_dx10_clamp 1
		.amdhsa_ieee_mode 1
		.amdhsa_fp16_overflow 0
		.amdhsa_tg_split 0
		.amdhsa_exception_fp_ieee_invalid_op 0
		.amdhsa_exception_fp_denorm_src 0
		.amdhsa_exception_fp_ieee_div_zero 0
		.amdhsa_exception_fp_ieee_overflow 0
		.amdhsa_exception_fp_ieee_underflow 0
		.amdhsa_exception_fp_ieee_inexact 0
		.amdhsa_exception_int_div_zero 0
	.end_amdhsa_kernel
	.section	.text._ZN7rocprim17ROCPRIM_400000_NS6detail17trampoline_kernelINS0_14default_configENS1_38merge_sort_block_merge_config_selectorIiNS0_10empty_typeEEEZZNS1_27merge_sort_block_merge_implIS3_N6thrust23THRUST_200600_302600_NS6detail15normal_iteratorINS9_10device_ptrIiEEEEPS5_jNS1_19radix_merge_compareILb0ELb1EiNS0_19identity_decomposerEEEEE10hipError_tT0_T1_T2_jT3_P12ihipStream_tbPNSt15iterator_traitsISK_E10value_typeEPNSQ_ISL_E10value_typeEPSM_NS1_7vsmem_tEENKUlT_SK_SL_SM_E_clISE_PiSF_SF_EESJ_SZ_SK_SL_SM_EUlSZ_E1_NS1_11comp_targetILNS1_3genE10ELNS1_11target_archE1201ELNS1_3gpuE5ELNS1_3repE0EEENS1_36merge_oddeven_config_static_selectorELNS0_4arch9wavefront6targetE1EEEvSL_,"axG",@progbits,_ZN7rocprim17ROCPRIM_400000_NS6detail17trampoline_kernelINS0_14default_configENS1_38merge_sort_block_merge_config_selectorIiNS0_10empty_typeEEEZZNS1_27merge_sort_block_merge_implIS3_N6thrust23THRUST_200600_302600_NS6detail15normal_iteratorINS9_10device_ptrIiEEEEPS5_jNS1_19radix_merge_compareILb0ELb1EiNS0_19identity_decomposerEEEEE10hipError_tT0_T1_T2_jT3_P12ihipStream_tbPNSt15iterator_traitsISK_E10value_typeEPNSQ_ISL_E10value_typeEPSM_NS1_7vsmem_tEENKUlT_SK_SL_SM_E_clISE_PiSF_SF_EESJ_SZ_SK_SL_SM_EUlSZ_E1_NS1_11comp_targetILNS1_3genE10ELNS1_11target_archE1201ELNS1_3gpuE5ELNS1_3repE0EEENS1_36merge_oddeven_config_static_selectorELNS0_4arch9wavefront6targetE1EEEvSL_,comdat
.Lfunc_end125:
	.size	_ZN7rocprim17ROCPRIM_400000_NS6detail17trampoline_kernelINS0_14default_configENS1_38merge_sort_block_merge_config_selectorIiNS0_10empty_typeEEEZZNS1_27merge_sort_block_merge_implIS3_N6thrust23THRUST_200600_302600_NS6detail15normal_iteratorINS9_10device_ptrIiEEEEPS5_jNS1_19radix_merge_compareILb0ELb1EiNS0_19identity_decomposerEEEEE10hipError_tT0_T1_T2_jT3_P12ihipStream_tbPNSt15iterator_traitsISK_E10value_typeEPNSQ_ISL_E10value_typeEPSM_NS1_7vsmem_tEENKUlT_SK_SL_SM_E_clISE_PiSF_SF_EESJ_SZ_SK_SL_SM_EUlSZ_E1_NS1_11comp_targetILNS1_3genE10ELNS1_11target_archE1201ELNS1_3gpuE5ELNS1_3repE0EEENS1_36merge_oddeven_config_static_selectorELNS0_4arch9wavefront6targetE1EEEvSL_, .Lfunc_end125-_ZN7rocprim17ROCPRIM_400000_NS6detail17trampoline_kernelINS0_14default_configENS1_38merge_sort_block_merge_config_selectorIiNS0_10empty_typeEEEZZNS1_27merge_sort_block_merge_implIS3_N6thrust23THRUST_200600_302600_NS6detail15normal_iteratorINS9_10device_ptrIiEEEEPS5_jNS1_19radix_merge_compareILb0ELb1EiNS0_19identity_decomposerEEEEE10hipError_tT0_T1_T2_jT3_P12ihipStream_tbPNSt15iterator_traitsISK_E10value_typeEPNSQ_ISL_E10value_typeEPSM_NS1_7vsmem_tEENKUlT_SK_SL_SM_E_clISE_PiSF_SF_EESJ_SZ_SK_SL_SM_EUlSZ_E1_NS1_11comp_targetILNS1_3genE10ELNS1_11target_archE1201ELNS1_3gpuE5ELNS1_3repE0EEENS1_36merge_oddeven_config_static_selectorELNS0_4arch9wavefront6targetE1EEEvSL_
                                        ; -- End function
	.set _ZN7rocprim17ROCPRIM_400000_NS6detail17trampoline_kernelINS0_14default_configENS1_38merge_sort_block_merge_config_selectorIiNS0_10empty_typeEEEZZNS1_27merge_sort_block_merge_implIS3_N6thrust23THRUST_200600_302600_NS6detail15normal_iteratorINS9_10device_ptrIiEEEEPS5_jNS1_19radix_merge_compareILb0ELb1EiNS0_19identity_decomposerEEEEE10hipError_tT0_T1_T2_jT3_P12ihipStream_tbPNSt15iterator_traitsISK_E10value_typeEPNSQ_ISL_E10value_typeEPSM_NS1_7vsmem_tEENKUlT_SK_SL_SM_E_clISE_PiSF_SF_EESJ_SZ_SK_SL_SM_EUlSZ_E1_NS1_11comp_targetILNS1_3genE10ELNS1_11target_archE1201ELNS1_3gpuE5ELNS1_3repE0EEENS1_36merge_oddeven_config_static_selectorELNS0_4arch9wavefront6targetE1EEEvSL_.num_vgpr, 0
	.set _ZN7rocprim17ROCPRIM_400000_NS6detail17trampoline_kernelINS0_14default_configENS1_38merge_sort_block_merge_config_selectorIiNS0_10empty_typeEEEZZNS1_27merge_sort_block_merge_implIS3_N6thrust23THRUST_200600_302600_NS6detail15normal_iteratorINS9_10device_ptrIiEEEEPS5_jNS1_19radix_merge_compareILb0ELb1EiNS0_19identity_decomposerEEEEE10hipError_tT0_T1_T2_jT3_P12ihipStream_tbPNSt15iterator_traitsISK_E10value_typeEPNSQ_ISL_E10value_typeEPSM_NS1_7vsmem_tEENKUlT_SK_SL_SM_E_clISE_PiSF_SF_EESJ_SZ_SK_SL_SM_EUlSZ_E1_NS1_11comp_targetILNS1_3genE10ELNS1_11target_archE1201ELNS1_3gpuE5ELNS1_3repE0EEENS1_36merge_oddeven_config_static_selectorELNS0_4arch9wavefront6targetE1EEEvSL_.num_agpr, 0
	.set _ZN7rocprim17ROCPRIM_400000_NS6detail17trampoline_kernelINS0_14default_configENS1_38merge_sort_block_merge_config_selectorIiNS0_10empty_typeEEEZZNS1_27merge_sort_block_merge_implIS3_N6thrust23THRUST_200600_302600_NS6detail15normal_iteratorINS9_10device_ptrIiEEEEPS5_jNS1_19radix_merge_compareILb0ELb1EiNS0_19identity_decomposerEEEEE10hipError_tT0_T1_T2_jT3_P12ihipStream_tbPNSt15iterator_traitsISK_E10value_typeEPNSQ_ISL_E10value_typeEPSM_NS1_7vsmem_tEENKUlT_SK_SL_SM_E_clISE_PiSF_SF_EESJ_SZ_SK_SL_SM_EUlSZ_E1_NS1_11comp_targetILNS1_3genE10ELNS1_11target_archE1201ELNS1_3gpuE5ELNS1_3repE0EEENS1_36merge_oddeven_config_static_selectorELNS0_4arch9wavefront6targetE1EEEvSL_.numbered_sgpr, 0
	.set _ZN7rocprim17ROCPRIM_400000_NS6detail17trampoline_kernelINS0_14default_configENS1_38merge_sort_block_merge_config_selectorIiNS0_10empty_typeEEEZZNS1_27merge_sort_block_merge_implIS3_N6thrust23THRUST_200600_302600_NS6detail15normal_iteratorINS9_10device_ptrIiEEEEPS5_jNS1_19radix_merge_compareILb0ELb1EiNS0_19identity_decomposerEEEEE10hipError_tT0_T1_T2_jT3_P12ihipStream_tbPNSt15iterator_traitsISK_E10value_typeEPNSQ_ISL_E10value_typeEPSM_NS1_7vsmem_tEENKUlT_SK_SL_SM_E_clISE_PiSF_SF_EESJ_SZ_SK_SL_SM_EUlSZ_E1_NS1_11comp_targetILNS1_3genE10ELNS1_11target_archE1201ELNS1_3gpuE5ELNS1_3repE0EEENS1_36merge_oddeven_config_static_selectorELNS0_4arch9wavefront6targetE1EEEvSL_.num_named_barrier, 0
	.set _ZN7rocprim17ROCPRIM_400000_NS6detail17trampoline_kernelINS0_14default_configENS1_38merge_sort_block_merge_config_selectorIiNS0_10empty_typeEEEZZNS1_27merge_sort_block_merge_implIS3_N6thrust23THRUST_200600_302600_NS6detail15normal_iteratorINS9_10device_ptrIiEEEEPS5_jNS1_19radix_merge_compareILb0ELb1EiNS0_19identity_decomposerEEEEE10hipError_tT0_T1_T2_jT3_P12ihipStream_tbPNSt15iterator_traitsISK_E10value_typeEPNSQ_ISL_E10value_typeEPSM_NS1_7vsmem_tEENKUlT_SK_SL_SM_E_clISE_PiSF_SF_EESJ_SZ_SK_SL_SM_EUlSZ_E1_NS1_11comp_targetILNS1_3genE10ELNS1_11target_archE1201ELNS1_3gpuE5ELNS1_3repE0EEENS1_36merge_oddeven_config_static_selectorELNS0_4arch9wavefront6targetE1EEEvSL_.private_seg_size, 0
	.set _ZN7rocprim17ROCPRIM_400000_NS6detail17trampoline_kernelINS0_14default_configENS1_38merge_sort_block_merge_config_selectorIiNS0_10empty_typeEEEZZNS1_27merge_sort_block_merge_implIS3_N6thrust23THRUST_200600_302600_NS6detail15normal_iteratorINS9_10device_ptrIiEEEEPS5_jNS1_19radix_merge_compareILb0ELb1EiNS0_19identity_decomposerEEEEE10hipError_tT0_T1_T2_jT3_P12ihipStream_tbPNSt15iterator_traitsISK_E10value_typeEPNSQ_ISL_E10value_typeEPSM_NS1_7vsmem_tEENKUlT_SK_SL_SM_E_clISE_PiSF_SF_EESJ_SZ_SK_SL_SM_EUlSZ_E1_NS1_11comp_targetILNS1_3genE10ELNS1_11target_archE1201ELNS1_3gpuE5ELNS1_3repE0EEENS1_36merge_oddeven_config_static_selectorELNS0_4arch9wavefront6targetE1EEEvSL_.uses_vcc, 0
	.set _ZN7rocprim17ROCPRIM_400000_NS6detail17trampoline_kernelINS0_14default_configENS1_38merge_sort_block_merge_config_selectorIiNS0_10empty_typeEEEZZNS1_27merge_sort_block_merge_implIS3_N6thrust23THRUST_200600_302600_NS6detail15normal_iteratorINS9_10device_ptrIiEEEEPS5_jNS1_19radix_merge_compareILb0ELb1EiNS0_19identity_decomposerEEEEE10hipError_tT0_T1_T2_jT3_P12ihipStream_tbPNSt15iterator_traitsISK_E10value_typeEPNSQ_ISL_E10value_typeEPSM_NS1_7vsmem_tEENKUlT_SK_SL_SM_E_clISE_PiSF_SF_EESJ_SZ_SK_SL_SM_EUlSZ_E1_NS1_11comp_targetILNS1_3genE10ELNS1_11target_archE1201ELNS1_3gpuE5ELNS1_3repE0EEENS1_36merge_oddeven_config_static_selectorELNS0_4arch9wavefront6targetE1EEEvSL_.uses_flat_scratch, 0
	.set _ZN7rocprim17ROCPRIM_400000_NS6detail17trampoline_kernelINS0_14default_configENS1_38merge_sort_block_merge_config_selectorIiNS0_10empty_typeEEEZZNS1_27merge_sort_block_merge_implIS3_N6thrust23THRUST_200600_302600_NS6detail15normal_iteratorINS9_10device_ptrIiEEEEPS5_jNS1_19radix_merge_compareILb0ELb1EiNS0_19identity_decomposerEEEEE10hipError_tT0_T1_T2_jT3_P12ihipStream_tbPNSt15iterator_traitsISK_E10value_typeEPNSQ_ISL_E10value_typeEPSM_NS1_7vsmem_tEENKUlT_SK_SL_SM_E_clISE_PiSF_SF_EESJ_SZ_SK_SL_SM_EUlSZ_E1_NS1_11comp_targetILNS1_3genE10ELNS1_11target_archE1201ELNS1_3gpuE5ELNS1_3repE0EEENS1_36merge_oddeven_config_static_selectorELNS0_4arch9wavefront6targetE1EEEvSL_.has_dyn_sized_stack, 0
	.set _ZN7rocprim17ROCPRIM_400000_NS6detail17trampoline_kernelINS0_14default_configENS1_38merge_sort_block_merge_config_selectorIiNS0_10empty_typeEEEZZNS1_27merge_sort_block_merge_implIS3_N6thrust23THRUST_200600_302600_NS6detail15normal_iteratorINS9_10device_ptrIiEEEEPS5_jNS1_19radix_merge_compareILb0ELb1EiNS0_19identity_decomposerEEEEE10hipError_tT0_T1_T2_jT3_P12ihipStream_tbPNSt15iterator_traitsISK_E10value_typeEPNSQ_ISL_E10value_typeEPSM_NS1_7vsmem_tEENKUlT_SK_SL_SM_E_clISE_PiSF_SF_EESJ_SZ_SK_SL_SM_EUlSZ_E1_NS1_11comp_targetILNS1_3genE10ELNS1_11target_archE1201ELNS1_3gpuE5ELNS1_3repE0EEENS1_36merge_oddeven_config_static_selectorELNS0_4arch9wavefront6targetE1EEEvSL_.has_recursion, 0
	.set _ZN7rocprim17ROCPRIM_400000_NS6detail17trampoline_kernelINS0_14default_configENS1_38merge_sort_block_merge_config_selectorIiNS0_10empty_typeEEEZZNS1_27merge_sort_block_merge_implIS3_N6thrust23THRUST_200600_302600_NS6detail15normal_iteratorINS9_10device_ptrIiEEEEPS5_jNS1_19radix_merge_compareILb0ELb1EiNS0_19identity_decomposerEEEEE10hipError_tT0_T1_T2_jT3_P12ihipStream_tbPNSt15iterator_traitsISK_E10value_typeEPNSQ_ISL_E10value_typeEPSM_NS1_7vsmem_tEENKUlT_SK_SL_SM_E_clISE_PiSF_SF_EESJ_SZ_SK_SL_SM_EUlSZ_E1_NS1_11comp_targetILNS1_3genE10ELNS1_11target_archE1201ELNS1_3gpuE5ELNS1_3repE0EEENS1_36merge_oddeven_config_static_selectorELNS0_4arch9wavefront6targetE1EEEvSL_.has_indirect_call, 0
	.section	.AMDGPU.csdata,"",@progbits
; Kernel info:
; codeLenInByte = 0
; TotalNumSgprs: 6
; NumVgprs: 0
; NumAgprs: 0
; TotalNumVgprs: 0
; ScratchSize: 0
; MemoryBound: 0
; FloatMode: 240
; IeeeMode: 1
; LDSByteSize: 0 bytes/workgroup (compile time only)
; SGPRBlocks: 0
; VGPRBlocks: 0
; NumSGPRsForWavesPerEU: 6
; NumVGPRsForWavesPerEU: 1
; AccumOffset: 4
; Occupancy: 8
; WaveLimiterHint : 0
; COMPUTE_PGM_RSRC2:SCRATCH_EN: 0
; COMPUTE_PGM_RSRC2:USER_SGPR: 2
; COMPUTE_PGM_RSRC2:TRAP_HANDLER: 0
; COMPUTE_PGM_RSRC2:TGID_X_EN: 1
; COMPUTE_PGM_RSRC2:TGID_Y_EN: 0
; COMPUTE_PGM_RSRC2:TGID_Z_EN: 0
; COMPUTE_PGM_RSRC2:TIDIG_COMP_CNT: 0
; COMPUTE_PGM_RSRC3_GFX90A:ACCUM_OFFSET: 0
; COMPUTE_PGM_RSRC3_GFX90A:TG_SPLIT: 0
	.section	.text._ZN7rocprim17ROCPRIM_400000_NS6detail17trampoline_kernelINS0_14default_configENS1_38merge_sort_block_merge_config_selectorIiNS0_10empty_typeEEEZZNS1_27merge_sort_block_merge_implIS3_N6thrust23THRUST_200600_302600_NS6detail15normal_iteratorINS9_10device_ptrIiEEEEPS5_jNS1_19radix_merge_compareILb0ELb1EiNS0_19identity_decomposerEEEEE10hipError_tT0_T1_T2_jT3_P12ihipStream_tbPNSt15iterator_traitsISK_E10value_typeEPNSQ_ISL_E10value_typeEPSM_NS1_7vsmem_tEENKUlT_SK_SL_SM_E_clISE_PiSF_SF_EESJ_SZ_SK_SL_SM_EUlSZ_E1_NS1_11comp_targetILNS1_3genE5ELNS1_11target_archE942ELNS1_3gpuE9ELNS1_3repE0EEENS1_36merge_oddeven_config_static_selectorELNS0_4arch9wavefront6targetE1EEEvSL_,"axG",@progbits,_ZN7rocprim17ROCPRIM_400000_NS6detail17trampoline_kernelINS0_14default_configENS1_38merge_sort_block_merge_config_selectorIiNS0_10empty_typeEEEZZNS1_27merge_sort_block_merge_implIS3_N6thrust23THRUST_200600_302600_NS6detail15normal_iteratorINS9_10device_ptrIiEEEEPS5_jNS1_19radix_merge_compareILb0ELb1EiNS0_19identity_decomposerEEEEE10hipError_tT0_T1_T2_jT3_P12ihipStream_tbPNSt15iterator_traitsISK_E10value_typeEPNSQ_ISL_E10value_typeEPSM_NS1_7vsmem_tEENKUlT_SK_SL_SM_E_clISE_PiSF_SF_EESJ_SZ_SK_SL_SM_EUlSZ_E1_NS1_11comp_targetILNS1_3genE5ELNS1_11target_archE942ELNS1_3gpuE9ELNS1_3repE0EEENS1_36merge_oddeven_config_static_selectorELNS0_4arch9wavefront6targetE1EEEvSL_,comdat
	.protected	_ZN7rocprim17ROCPRIM_400000_NS6detail17trampoline_kernelINS0_14default_configENS1_38merge_sort_block_merge_config_selectorIiNS0_10empty_typeEEEZZNS1_27merge_sort_block_merge_implIS3_N6thrust23THRUST_200600_302600_NS6detail15normal_iteratorINS9_10device_ptrIiEEEEPS5_jNS1_19radix_merge_compareILb0ELb1EiNS0_19identity_decomposerEEEEE10hipError_tT0_T1_T2_jT3_P12ihipStream_tbPNSt15iterator_traitsISK_E10value_typeEPNSQ_ISL_E10value_typeEPSM_NS1_7vsmem_tEENKUlT_SK_SL_SM_E_clISE_PiSF_SF_EESJ_SZ_SK_SL_SM_EUlSZ_E1_NS1_11comp_targetILNS1_3genE5ELNS1_11target_archE942ELNS1_3gpuE9ELNS1_3repE0EEENS1_36merge_oddeven_config_static_selectorELNS0_4arch9wavefront6targetE1EEEvSL_ ; -- Begin function _ZN7rocprim17ROCPRIM_400000_NS6detail17trampoline_kernelINS0_14default_configENS1_38merge_sort_block_merge_config_selectorIiNS0_10empty_typeEEEZZNS1_27merge_sort_block_merge_implIS3_N6thrust23THRUST_200600_302600_NS6detail15normal_iteratorINS9_10device_ptrIiEEEEPS5_jNS1_19radix_merge_compareILb0ELb1EiNS0_19identity_decomposerEEEEE10hipError_tT0_T1_T2_jT3_P12ihipStream_tbPNSt15iterator_traitsISK_E10value_typeEPNSQ_ISL_E10value_typeEPSM_NS1_7vsmem_tEENKUlT_SK_SL_SM_E_clISE_PiSF_SF_EESJ_SZ_SK_SL_SM_EUlSZ_E1_NS1_11comp_targetILNS1_3genE5ELNS1_11target_archE942ELNS1_3gpuE9ELNS1_3repE0EEENS1_36merge_oddeven_config_static_selectorELNS0_4arch9wavefront6targetE1EEEvSL_
	.globl	_ZN7rocprim17ROCPRIM_400000_NS6detail17trampoline_kernelINS0_14default_configENS1_38merge_sort_block_merge_config_selectorIiNS0_10empty_typeEEEZZNS1_27merge_sort_block_merge_implIS3_N6thrust23THRUST_200600_302600_NS6detail15normal_iteratorINS9_10device_ptrIiEEEEPS5_jNS1_19radix_merge_compareILb0ELb1EiNS0_19identity_decomposerEEEEE10hipError_tT0_T1_T2_jT3_P12ihipStream_tbPNSt15iterator_traitsISK_E10value_typeEPNSQ_ISL_E10value_typeEPSM_NS1_7vsmem_tEENKUlT_SK_SL_SM_E_clISE_PiSF_SF_EESJ_SZ_SK_SL_SM_EUlSZ_E1_NS1_11comp_targetILNS1_3genE5ELNS1_11target_archE942ELNS1_3gpuE9ELNS1_3repE0EEENS1_36merge_oddeven_config_static_selectorELNS0_4arch9wavefront6targetE1EEEvSL_
	.p2align	8
	.type	_ZN7rocprim17ROCPRIM_400000_NS6detail17trampoline_kernelINS0_14default_configENS1_38merge_sort_block_merge_config_selectorIiNS0_10empty_typeEEEZZNS1_27merge_sort_block_merge_implIS3_N6thrust23THRUST_200600_302600_NS6detail15normal_iteratorINS9_10device_ptrIiEEEEPS5_jNS1_19radix_merge_compareILb0ELb1EiNS0_19identity_decomposerEEEEE10hipError_tT0_T1_T2_jT3_P12ihipStream_tbPNSt15iterator_traitsISK_E10value_typeEPNSQ_ISL_E10value_typeEPSM_NS1_7vsmem_tEENKUlT_SK_SL_SM_E_clISE_PiSF_SF_EESJ_SZ_SK_SL_SM_EUlSZ_E1_NS1_11comp_targetILNS1_3genE5ELNS1_11target_archE942ELNS1_3gpuE9ELNS1_3repE0EEENS1_36merge_oddeven_config_static_selectorELNS0_4arch9wavefront6targetE1EEEvSL_,@function
_ZN7rocprim17ROCPRIM_400000_NS6detail17trampoline_kernelINS0_14default_configENS1_38merge_sort_block_merge_config_selectorIiNS0_10empty_typeEEEZZNS1_27merge_sort_block_merge_implIS3_N6thrust23THRUST_200600_302600_NS6detail15normal_iteratorINS9_10device_ptrIiEEEEPS5_jNS1_19radix_merge_compareILb0ELb1EiNS0_19identity_decomposerEEEEE10hipError_tT0_T1_T2_jT3_P12ihipStream_tbPNSt15iterator_traitsISK_E10value_typeEPNSQ_ISL_E10value_typeEPSM_NS1_7vsmem_tEENKUlT_SK_SL_SM_E_clISE_PiSF_SF_EESJ_SZ_SK_SL_SM_EUlSZ_E1_NS1_11comp_targetILNS1_3genE5ELNS1_11target_archE942ELNS1_3gpuE9ELNS1_3repE0EEENS1_36merge_oddeven_config_static_selectorELNS0_4arch9wavefront6targetE1EEEvSL_: ; @_ZN7rocprim17ROCPRIM_400000_NS6detail17trampoline_kernelINS0_14default_configENS1_38merge_sort_block_merge_config_selectorIiNS0_10empty_typeEEEZZNS1_27merge_sort_block_merge_implIS3_N6thrust23THRUST_200600_302600_NS6detail15normal_iteratorINS9_10device_ptrIiEEEEPS5_jNS1_19radix_merge_compareILb0ELb1EiNS0_19identity_decomposerEEEEE10hipError_tT0_T1_T2_jT3_P12ihipStream_tbPNSt15iterator_traitsISK_E10value_typeEPNSQ_ISL_E10value_typeEPSM_NS1_7vsmem_tEENKUlT_SK_SL_SM_E_clISE_PiSF_SF_EESJ_SZ_SK_SL_SM_EUlSZ_E1_NS1_11comp_targetILNS1_3genE5ELNS1_11target_archE942ELNS1_3gpuE9ELNS1_3repE0EEENS1_36merge_oddeven_config_static_selectorELNS0_4arch9wavefront6targetE1EEEvSL_
; %bb.0:
	.section	.rodata,"a",@progbits
	.p2align	6, 0x0
	.amdhsa_kernel _ZN7rocprim17ROCPRIM_400000_NS6detail17trampoline_kernelINS0_14default_configENS1_38merge_sort_block_merge_config_selectorIiNS0_10empty_typeEEEZZNS1_27merge_sort_block_merge_implIS3_N6thrust23THRUST_200600_302600_NS6detail15normal_iteratorINS9_10device_ptrIiEEEEPS5_jNS1_19radix_merge_compareILb0ELb1EiNS0_19identity_decomposerEEEEE10hipError_tT0_T1_T2_jT3_P12ihipStream_tbPNSt15iterator_traitsISK_E10value_typeEPNSQ_ISL_E10value_typeEPSM_NS1_7vsmem_tEENKUlT_SK_SL_SM_E_clISE_PiSF_SF_EESJ_SZ_SK_SL_SM_EUlSZ_E1_NS1_11comp_targetILNS1_3genE5ELNS1_11target_archE942ELNS1_3gpuE9ELNS1_3repE0EEENS1_36merge_oddeven_config_static_selectorELNS0_4arch9wavefront6targetE1EEEvSL_
		.amdhsa_group_segment_fixed_size 0
		.amdhsa_private_segment_fixed_size 0
		.amdhsa_kernarg_size 48
		.amdhsa_user_sgpr_count 2
		.amdhsa_user_sgpr_dispatch_ptr 0
		.amdhsa_user_sgpr_queue_ptr 0
		.amdhsa_user_sgpr_kernarg_segment_ptr 1
		.amdhsa_user_sgpr_dispatch_id 0
		.amdhsa_user_sgpr_kernarg_preload_length 0
		.amdhsa_user_sgpr_kernarg_preload_offset 0
		.amdhsa_user_sgpr_private_segment_size 0
		.amdhsa_uses_dynamic_stack 0
		.amdhsa_enable_private_segment 0
		.amdhsa_system_sgpr_workgroup_id_x 1
		.amdhsa_system_sgpr_workgroup_id_y 0
		.amdhsa_system_sgpr_workgroup_id_z 0
		.amdhsa_system_sgpr_workgroup_info 0
		.amdhsa_system_vgpr_workitem_id 0
		.amdhsa_next_free_vgpr 1
		.amdhsa_next_free_sgpr 0
		.amdhsa_accum_offset 4
		.amdhsa_reserve_vcc 0
		.amdhsa_float_round_mode_32 0
		.amdhsa_float_round_mode_16_64 0
		.amdhsa_float_denorm_mode_32 3
		.amdhsa_float_denorm_mode_16_64 3
		.amdhsa_dx10_clamp 1
		.amdhsa_ieee_mode 1
		.amdhsa_fp16_overflow 0
		.amdhsa_tg_split 0
		.amdhsa_exception_fp_ieee_invalid_op 0
		.amdhsa_exception_fp_denorm_src 0
		.amdhsa_exception_fp_ieee_div_zero 0
		.amdhsa_exception_fp_ieee_overflow 0
		.amdhsa_exception_fp_ieee_underflow 0
		.amdhsa_exception_fp_ieee_inexact 0
		.amdhsa_exception_int_div_zero 0
	.end_amdhsa_kernel
	.section	.text._ZN7rocprim17ROCPRIM_400000_NS6detail17trampoline_kernelINS0_14default_configENS1_38merge_sort_block_merge_config_selectorIiNS0_10empty_typeEEEZZNS1_27merge_sort_block_merge_implIS3_N6thrust23THRUST_200600_302600_NS6detail15normal_iteratorINS9_10device_ptrIiEEEEPS5_jNS1_19radix_merge_compareILb0ELb1EiNS0_19identity_decomposerEEEEE10hipError_tT0_T1_T2_jT3_P12ihipStream_tbPNSt15iterator_traitsISK_E10value_typeEPNSQ_ISL_E10value_typeEPSM_NS1_7vsmem_tEENKUlT_SK_SL_SM_E_clISE_PiSF_SF_EESJ_SZ_SK_SL_SM_EUlSZ_E1_NS1_11comp_targetILNS1_3genE5ELNS1_11target_archE942ELNS1_3gpuE9ELNS1_3repE0EEENS1_36merge_oddeven_config_static_selectorELNS0_4arch9wavefront6targetE1EEEvSL_,"axG",@progbits,_ZN7rocprim17ROCPRIM_400000_NS6detail17trampoline_kernelINS0_14default_configENS1_38merge_sort_block_merge_config_selectorIiNS0_10empty_typeEEEZZNS1_27merge_sort_block_merge_implIS3_N6thrust23THRUST_200600_302600_NS6detail15normal_iteratorINS9_10device_ptrIiEEEEPS5_jNS1_19radix_merge_compareILb0ELb1EiNS0_19identity_decomposerEEEEE10hipError_tT0_T1_T2_jT3_P12ihipStream_tbPNSt15iterator_traitsISK_E10value_typeEPNSQ_ISL_E10value_typeEPSM_NS1_7vsmem_tEENKUlT_SK_SL_SM_E_clISE_PiSF_SF_EESJ_SZ_SK_SL_SM_EUlSZ_E1_NS1_11comp_targetILNS1_3genE5ELNS1_11target_archE942ELNS1_3gpuE9ELNS1_3repE0EEENS1_36merge_oddeven_config_static_selectorELNS0_4arch9wavefront6targetE1EEEvSL_,comdat
.Lfunc_end126:
	.size	_ZN7rocprim17ROCPRIM_400000_NS6detail17trampoline_kernelINS0_14default_configENS1_38merge_sort_block_merge_config_selectorIiNS0_10empty_typeEEEZZNS1_27merge_sort_block_merge_implIS3_N6thrust23THRUST_200600_302600_NS6detail15normal_iteratorINS9_10device_ptrIiEEEEPS5_jNS1_19radix_merge_compareILb0ELb1EiNS0_19identity_decomposerEEEEE10hipError_tT0_T1_T2_jT3_P12ihipStream_tbPNSt15iterator_traitsISK_E10value_typeEPNSQ_ISL_E10value_typeEPSM_NS1_7vsmem_tEENKUlT_SK_SL_SM_E_clISE_PiSF_SF_EESJ_SZ_SK_SL_SM_EUlSZ_E1_NS1_11comp_targetILNS1_3genE5ELNS1_11target_archE942ELNS1_3gpuE9ELNS1_3repE0EEENS1_36merge_oddeven_config_static_selectorELNS0_4arch9wavefront6targetE1EEEvSL_, .Lfunc_end126-_ZN7rocprim17ROCPRIM_400000_NS6detail17trampoline_kernelINS0_14default_configENS1_38merge_sort_block_merge_config_selectorIiNS0_10empty_typeEEEZZNS1_27merge_sort_block_merge_implIS3_N6thrust23THRUST_200600_302600_NS6detail15normal_iteratorINS9_10device_ptrIiEEEEPS5_jNS1_19radix_merge_compareILb0ELb1EiNS0_19identity_decomposerEEEEE10hipError_tT0_T1_T2_jT3_P12ihipStream_tbPNSt15iterator_traitsISK_E10value_typeEPNSQ_ISL_E10value_typeEPSM_NS1_7vsmem_tEENKUlT_SK_SL_SM_E_clISE_PiSF_SF_EESJ_SZ_SK_SL_SM_EUlSZ_E1_NS1_11comp_targetILNS1_3genE5ELNS1_11target_archE942ELNS1_3gpuE9ELNS1_3repE0EEENS1_36merge_oddeven_config_static_selectorELNS0_4arch9wavefront6targetE1EEEvSL_
                                        ; -- End function
	.set _ZN7rocprim17ROCPRIM_400000_NS6detail17trampoline_kernelINS0_14default_configENS1_38merge_sort_block_merge_config_selectorIiNS0_10empty_typeEEEZZNS1_27merge_sort_block_merge_implIS3_N6thrust23THRUST_200600_302600_NS6detail15normal_iteratorINS9_10device_ptrIiEEEEPS5_jNS1_19radix_merge_compareILb0ELb1EiNS0_19identity_decomposerEEEEE10hipError_tT0_T1_T2_jT3_P12ihipStream_tbPNSt15iterator_traitsISK_E10value_typeEPNSQ_ISL_E10value_typeEPSM_NS1_7vsmem_tEENKUlT_SK_SL_SM_E_clISE_PiSF_SF_EESJ_SZ_SK_SL_SM_EUlSZ_E1_NS1_11comp_targetILNS1_3genE5ELNS1_11target_archE942ELNS1_3gpuE9ELNS1_3repE0EEENS1_36merge_oddeven_config_static_selectorELNS0_4arch9wavefront6targetE1EEEvSL_.num_vgpr, 0
	.set _ZN7rocprim17ROCPRIM_400000_NS6detail17trampoline_kernelINS0_14default_configENS1_38merge_sort_block_merge_config_selectorIiNS0_10empty_typeEEEZZNS1_27merge_sort_block_merge_implIS3_N6thrust23THRUST_200600_302600_NS6detail15normal_iteratorINS9_10device_ptrIiEEEEPS5_jNS1_19radix_merge_compareILb0ELb1EiNS0_19identity_decomposerEEEEE10hipError_tT0_T1_T2_jT3_P12ihipStream_tbPNSt15iterator_traitsISK_E10value_typeEPNSQ_ISL_E10value_typeEPSM_NS1_7vsmem_tEENKUlT_SK_SL_SM_E_clISE_PiSF_SF_EESJ_SZ_SK_SL_SM_EUlSZ_E1_NS1_11comp_targetILNS1_3genE5ELNS1_11target_archE942ELNS1_3gpuE9ELNS1_3repE0EEENS1_36merge_oddeven_config_static_selectorELNS0_4arch9wavefront6targetE1EEEvSL_.num_agpr, 0
	.set _ZN7rocprim17ROCPRIM_400000_NS6detail17trampoline_kernelINS0_14default_configENS1_38merge_sort_block_merge_config_selectorIiNS0_10empty_typeEEEZZNS1_27merge_sort_block_merge_implIS3_N6thrust23THRUST_200600_302600_NS6detail15normal_iteratorINS9_10device_ptrIiEEEEPS5_jNS1_19radix_merge_compareILb0ELb1EiNS0_19identity_decomposerEEEEE10hipError_tT0_T1_T2_jT3_P12ihipStream_tbPNSt15iterator_traitsISK_E10value_typeEPNSQ_ISL_E10value_typeEPSM_NS1_7vsmem_tEENKUlT_SK_SL_SM_E_clISE_PiSF_SF_EESJ_SZ_SK_SL_SM_EUlSZ_E1_NS1_11comp_targetILNS1_3genE5ELNS1_11target_archE942ELNS1_3gpuE9ELNS1_3repE0EEENS1_36merge_oddeven_config_static_selectorELNS0_4arch9wavefront6targetE1EEEvSL_.numbered_sgpr, 0
	.set _ZN7rocprim17ROCPRIM_400000_NS6detail17trampoline_kernelINS0_14default_configENS1_38merge_sort_block_merge_config_selectorIiNS0_10empty_typeEEEZZNS1_27merge_sort_block_merge_implIS3_N6thrust23THRUST_200600_302600_NS6detail15normal_iteratorINS9_10device_ptrIiEEEEPS5_jNS1_19radix_merge_compareILb0ELb1EiNS0_19identity_decomposerEEEEE10hipError_tT0_T1_T2_jT3_P12ihipStream_tbPNSt15iterator_traitsISK_E10value_typeEPNSQ_ISL_E10value_typeEPSM_NS1_7vsmem_tEENKUlT_SK_SL_SM_E_clISE_PiSF_SF_EESJ_SZ_SK_SL_SM_EUlSZ_E1_NS1_11comp_targetILNS1_3genE5ELNS1_11target_archE942ELNS1_3gpuE9ELNS1_3repE0EEENS1_36merge_oddeven_config_static_selectorELNS0_4arch9wavefront6targetE1EEEvSL_.num_named_barrier, 0
	.set _ZN7rocprim17ROCPRIM_400000_NS6detail17trampoline_kernelINS0_14default_configENS1_38merge_sort_block_merge_config_selectorIiNS0_10empty_typeEEEZZNS1_27merge_sort_block_merge_implIS3_N6thrust23THRUST_200600_302600_NS6detail15normal_iteratorINS9_10device_ptrIiEEEEPS5_jNS1_19radix_merge_compareILb0ELb1EiNS0_19identity_decomposerEEEEE10hipError_tT0_T1_T2_jT3_P12ihipStream_tbPNSt15iterator_traitsISK_E10value_typeEPNSQ_ISL_E10value_typeEPSM_NS1_7vsmem_tEENKUlT_SK_SL_SM_E_clISE_PiSF_SF_EESJ_SZ_SK_SL_SM_EUlSZ_E1_NS1_11comp_targetILNS1_3genE5ELNS1_11target_archE942ELNS1_3gpuE9ELNS1_3repE0EEENS1_36merge_oddeven_config_static_selectorELNS0_4arch9wavefront6targetE1EEEvSL_.private_seg_size, 0
	.set _ZN7rocprim17ROCPRIM_400000_NS6detail17trampoline_kernelINS0_14default_configENS1_38merge_sort_block_merge_config_selectorIiNS0_10empty_typeEEEZZNS1_27merge_sort_block_merge_implIS3_N6thrust23THRUST_200600_302600_NS6detail15normal_iteratorINS9_10device_ptrIiEEEEPS5_jNS1_19radix_merge_compareILb0ELb1EiNS0_19identity_decomposerEEEEE10hipError_tT0_T1_T2_jT3_P12ihipStream_tbPNSt15iterator_traitsISK_E10value_typeEPNSQ_ISL_E10value_typeEPSM_NS1_7vsmem_tEENKUlT_SK_SL_SM_E_clISE_PiSF_SF_EESJ_SZ_SK_SL_SM_EUlSZ_E1_NS1_11comp_targetILNS1_3genE5ELNS1_11target_archE942ELNS1_3gpuE9ELNS1_3repE0EEENS1_36merge_oddeven_config_static_selectorELNS0_4arch9wavefront6targetE1EEEvSL_.uses_vcc, 0
	.set _ZN7rocprim17ROCPRIM_400000_NS6detail17trampoline_kernelINS0_14default_configENS1_38merge_sort_block_merge_config_selectorIiNS0_10empty_typeEEEZZNS1_27merge_sort_block_merge_implIS3_N6thrust23THRUST_200600_302600_NS6detail15normal_iteratorINS9_10device_ptrIiEEEEPS5_jNS1_19radix_merge_compareILb0ELb1EiNS0_19identity_decomposerEEEEE10hipError_tT0_T1_T2_jT3_P12ihipStream_tbPNSt15iterator_traitsISK_E10value_typeEPNSQ_ISL_E10value_typeEPSM_NS1_7vsmem_tEENKUlT_SK_SL_SM_E_clISE_PiSF_SF_EESJ_SZ_SK_SL_SM_EUlSZ_E1_NS1_11comp_targetILNS1_3genE5ELNS1_11target_archE942ELNS1_3gpuE9ELNS1_3repE0EEENS1_36merge_oddeven_config_static_selectorELNS0_4arch9wavefront6targetE1EEEvSL_.uses_flat_scratch, 0
	.set _ZN7rocprim17ROCPRIM_400000_NS6detail17trampoline_kernelINS0_14default_configENS1_38merge_sort_block_merge_config_selectorIiNS0_10empty_typeEEEZZNS1_27merge_sort_block_merge_implIS3_N6thrust23THRUST_200600_302600_NS6detail15normal_iteratorINS9_10device_ptrIiEEEEPS5_jNS1_19radix_merge_compareILb0ELb1EiNS0_19identity_decomposerEEEEE10hipError_tT0_T1_T2_jT3_P12ihipStream_tbPNSt15iterator_traitsISK_E10value_typeEPNSQ_ISL_E10value_typeEPSM_NS1_7vsmem_tEENKUlT_SK_SL_SM_E_clISE_PiSF_SF_EESJ_SZ_SK_SL_SM_EUlSZ_E1_NS1_11comp_targetILNS1_3genE5ELNS1_11target_archE942ELNS1_3gpuE9ELNS1_3repE0EEENS1_36merge_oddeven_config_static_selectorELNS0_4arch9wavefront6targetE1EEEvSL_.has_dyn_sized_stack, 0
	.set _ZN7rocprim17ROCPRIM_400000_NS6detail17trampoline_kernelINS0_14default_configENS1_38merge_sort_block_merge_config_selectorIiNS0_10empty_typeEEEZZNS1_27merge_sort_block_merge_implIS3_N6thrust23THRUST_200600_302600_NS6detail15normal_iteratorINS9_10device_ptrIiEEEEPS5_jNS1_19radix_merge_compareILb0ELb1EiNS0_19identity_decomposerEEEEE10hipError_tT0_T1_T2_jT3_P12ihipStream_tbPNSt15iterator_traitsISK_E10value_typeEPNSQ_ISL_E10value_typeEPSM_NS1_7vsmem_tEENKUlT_SK_SL_SM_E_clISE_PiSF_SF_EESJ_SZ_SK_SL_SM_EUlSZ_E1_NS1_11comp_targetILNS1_3genE5ELNS1_11target_archE942ELNS1_3gpuE9ELNS1_3repE0EEENS1_36merge_oddeven_config_static_selectorELNS0_4arch9wavefront6targetE1EEEvSL_.has_recursion, 0
	.set _ZN7rocprim17ROCPRIM_400000_NS6detail17trampoline_kernelINS0_14default_configENS1_38merge_sort_block_merge_config_selectorIiNS0_10empty_typeEEEZZNS1_27merge_sort_block_merge_implIS3_N6thrust23THRUST_200600_302600_NS6detail15normal_iteratorINS9_10device_ptrIiEEEEPS5_jNS1_19radix_merge_compareILb0ELb1EiNS0_19identity_decomposerEEEEE10hipError_tT0_T1_T2_jT3_P12ihipStream_tbPNSt15iterator_traitsISK_E10value_typeEPNSQ_ISL_E10value_typeEPSM_NS1_7vsmem_tEENKUlT_SK_SL_SM_E_clISE_PiSF_SF_EESJ_SZ_SK_SL_SM_EUlSZ_E1_NS1_11comp_targetILNS1_3genE5ELNS1_11target_archE942ELNS1_3gpuE9ELNS1_3repE0EEENS1_36merge_oddeven_config_static_selectorELNS0_4arch9wavefront6targetE1EEEvSL_.has_indirect_call, 0
	.section	.AMDGPU.csdata,"",@progbits
; Kernel info:
; codeLenInByte = 0
; TotalNumSgprs: 6
; NumVgprs: 0
; NumAgprs: 0
; TotalNumVgprs: 0
; ScratchSize: 0
; MemoryBound: 0
; FloatMode: 240
; IeeeMode: 1
; LDSByteSize: 0 bytes/workgroup (compile time only)
; SGPRBlocks: 0
; VGPRBlocks: 0
; NumSGPRsForWavesPerEU: 6
; NumVGPRsForWavesPerEU: 1
; AccumOffset: 4
; Occupancy: 8
; WaveLimiterHint : 0
; COMPUTE_PGM_RSRC2:SCRATCH_EN: 0
; COMPUTE_PGM_RSRC2:USER_SGPR: 2
; COMPUTE_PGM_RSRC2:TRAP_HANDLER: 0
; COMPUTE_PGM_RSRC2:TGID_X_EN: 1
; COMPUTE_PGM_RSRC2:TGID_Y_EN: 0
; COMPUTE_PGM_RSRC2:TGID_Z_EN: 0
; COMPUTE_PGM_RSRC2:TIDIG_COMP_CNT: 0
; COMPUTE_PGM_RSRC3_GFX90A:ACCUM_OFFSET: 0
; COMPUTE_PGM_RSRC3_GFX90A:TG_SPLIT: 0
	.section	.text._ZN7rocprim17ROCPRIM_400000_NS6detail17trampoline_kernelINS0_14default_configENS1_38merge_sort_block_merge_config_selectorIiNS0_10empty_typeEEEZZNS1_27merge_sort_block_merge_implIS3_N6thrust23THRUST_200600_302600_NS6detail15normal_iteratorINS9_10device_ptrIiEEEEPS5_jNS1_19radix_merge_compareILb0ELb1EiNS0_19identity_decomposerEEEEE10hipError_tT0_T1_T2_jT3_P12ihipStream_tbPNSt15iterator_traitsISK_E10value_typeEPNSQ_ISL_E10value_typeEPSM_NS1_7vsmem_tEENKUlT_SK_SL_SM_E_clISE_PiSF_SF_EESJ_SZ_SK_SL_SM_EUlSZ_E1_NS1_11comp_targetILNS1_3genE4ELNS1_11target_archE910ELNS1_3gpuE8ELNS1_3repE0EEENS1_36merge_oddeven_config_static_selectorELNS0_4arch9wavefront6targetE1EEEvSL_,"axG",@progbits,_ZN7rocprim17ROCPRIM_400000_NS6detail17trampoline_kernelINS0_14default_configENS1_38merge_sort_block_merge_config_selectorIiNS0_10empty_typeEEEZZNS1_27merge_sort_block_merge_implIS3_N6thrust23THRUST_200600_302600_NS6detail15normal_iteratorINS9_10device_ptrIiEEEEPS5_jNS1_19radix_merge_compareILb0ELb1EiNS0_19identity_decomposerEEEEE10hipError_tT0_T1_T2_jT3_P12ihipStream_tbPNSt15iterator_traitsISK_E10value_typeEPNSQ_ISL_E10value_typeEPSM_NS1_7vsmem_tEENKUlT_SK_SL_SM_E_clISE_PiSF_SF_EESJ_SZ_SK_SL_SM_EUlSZ_E1_NS1_11comp_targetILNS1_3genE4ELNS1_11target_archE910ELNS1_3gpuE8ELNS1_3repE0EEENS1_36merge_oddeven_config_static_selectorELNS0_4arch9wavefront6targetE1EEEvSL_,comdat
	.protected	_ZN7rocprim17ROCPRIM_400000_NS6detail17trampoline_kernelINS0_14default_configENS1_38merge_sort_block_merge_config_selectorIiNS0_10empty_typeEEEZZNS1_27merge_sort_block_merge_implIS3_N6thrust23THRUST_200600_302600_NS6detail15normal_iteratorINS9_10device_ptrIiEEEEPS5_jNS1_19radix_merge_compareILb0ELb1EiNS0_19identity_decomposerEEEEE10hipError_tT0_T1_T2_jT3_P12ihipStream_tbPNSt15iterator_traitsISK_E10value_typeEPNSQ_ISL_E10value_typeEPSM_NS1_7vsmem_tEENKUlT_SK_SL_SM_E_clISE_PiSF_SF_EESJ_SZ_SK_SL_SM_EUlSZ_E1_NS1_11comp_targetILNS1_3genE4ELNS1_11target_archE910ELNS1_3gpuE8ELNS1_3repE0EEENS1_36merge_oddeven_config_static_selectorELNS0_4arch9wavefront6targetE1EEEvSL_ ; -- Begin function _ZN7rocprim17ROCPRIM_400000_NS6detail17trampoline_kernelINS0_14default_configENS1_38merge_sort_block_merge_config_selectorIiNS0_10empty_typeEEEZZNS1_27merge_sort_block_merge_implIS3_N6thrust23THRUST_200600_302600_NS6detail15normal_iteratorINS9_10device_ptrIiEEEEPS5_jNS1_19radix_merge_compareILb0ELb1EiNS0_19identity_decomposerEEEEE10hipError_tT0_T1_T2_jT3_P12ihipStream_tbPNSt15iterator_traitsISK_E10value_typeEPNSQ_ISL_E10value_typeEPSM_NS1_7vsmem_tEENKUlT_SK_SL_SM_E_clISE_PiSF_SF_EESJ_SZ_SK_SL_SM_EUlSZ_E1_NS1_11comp_targetILNS1_3genE4ELNS1_11target_archE910ELNS1_3gpuE8ELNS1_3repE0EEENS1_36merge_oddeven_config_static_selectorELNS0_4arch9wavefront6targetE1EEEvSL_
	.globl	_ZN7rocprim17ROCPRIM_400000_NS6detail17trampoline_kernelINS0_14default_configENS1_38merge_sort_block_merge_config_selectorIiNS0_10empty_typeEEEZZNS1_27merge_sort_block_merge_implIS3_N6thrust23THRUST_200600_302600_NS6detail15normal_iteratorINS9_10device_ptrIiEEEEPS5_jNS1_19radix_merge_compareILb0ELb1EiNS0_19identity_decomposerEEEEE10hipError_tT0_T1_T2_jT3_P12ihipStream_tbPNSt15iterator_traitsISK_E10value_typeEPNSQ_ISL_E10value_typeEPSM_NS1_7vsmem_tEENKUlT_SK_SL_SM_E_clISE_PiSF_SF_EESJ_SZ_SK_SL_SM_EUlSZ_E1_NS1_11comp_targetILNS1_3genE4ELNS1_11target_archE910ELNS1_3gpuE8ELNS1_3repE0EEENS1_36merge_oddeven_config_static_selectorELNS0_4arch9wavefront6targetE1EEEvSL_
	.p2align	8
	.type	_ZN7rocprim17ROCPRIM_400000_NS6detail17trampoline_kernelINS0_14default_configENS1_38merge_sort_block_merge_config_selectorIiNS0_10empty_typeEEEZZNS1_27merge_sort_block_merge_implIS3_N6thrust23THRUST_200600_302600_NS6detail15normal_iteratorINS9_10device_ptrIiEEEEPS5_jNS1_19radix_merge_compareILb0ELb1EiNS0_19identity_decomposerEEEEE10hipError_tT0_T1_T2_jT3_P12ihipStream_tbPNSt15iterator_traitsISK_E10value_typeEPNSQ_ISL_E10value_typeEPSM_NS1_7vsmem_tEENKUlT_SK_SL_SM_E_clISE_PiSF_SF_EESJ_SZ_SK_SL_SM_EUlSZ_E1_NS1_11comp_targetILNS1_3genE4ELNS1_11target_archE910ELNS1_3gpuE8ELNS1_3repE0EEENS1_36merge_oddeven_config_static_selectorELNS0_4arch9wavefront6targetE1EEEvSL_,@function
_ZN7rocprim17ROCPRIM_400000_NS6detail17trampoline_kernelINS0_14default_configENS1_38merge_sort_block_merge_config_selectorIiNS0_10empty_typeEEEZZNS1_27merge_sort_block_merge_implIS3_N6thrust23THRUST_200600_302600_NS6detail15normal_iteratorINS9_10device_ptrIiEEEEPS5_jNS1_19radix_merge_compareILb0ELb1EiNS0_19identity_decomposerEEEEE10hipError_tT0_T1_T2_jT3_P12ihipStream_tbPNSt15iterator_traitsISK_E10value_typeEPNSQ_ISL_E10value_typeEPSM_NS1_7vsmem_tEENKUlT_SK_SL_SM_E_clISE_PiSF_SF_EESJ_SZ_SK_SL_SM_EUlSZ_E1_NS1_11comp_targetILNS1_3genE4ELNS1_11target_archE910ELNS1_3gpuE8ELNS1_3repE0EEENS1_36merge_oddeven_config_static_selectorELNS0_4arch9wavefront6targetE1EEEvSL_: ; @_ZN7rocprim17ROCPRIM_400000_NS6detail17trampoline_kernelINS0_14default_configENS1_38merge_sort_block_merge_config_selectorIiNS0_10empty_typeEEEZZNS1_27merge_sort_block_merge_implIS3_N6thrust23THRUST_200600_302600_NS6detail15normal_iteratorINS9_10device_ptrIiEEEEPS5_jNS1_19radix_merge_compareILb0ELb1EiNS0_19identity_decomposerEEEEE10hipError_tT0_T1_T2_jT3_P12ihipStream_tbPNSt15iterator_traitsISK_E10value_typeEPNSQ_ISL_E10value_typeEPSM_NS1_7vsmem_tEENKUlT_SK_SL_SM_E_clISE_PiSF_SF_EESJ_SZ_SK_SL_SM_EUlSZ_E1_NS1_11comp_targetILNS1_3genE4ELNS1_11target_archE910ELNS1_3gpuE8ELNS1_3repE0EEENS1_36merge_oddeven_config_static_selectorELNS0_4arch9wavefront6targetE1EEEvSL_
; %bb.0:
	.section	.rodata,"a",@progbits
	.p2align	6, 0x0
	.amdhsa_kernel _ZN7rocprim17ROCPRIM_400000_NS6detail17trampoline_kernelINS0_14default_configENS1_38merge_sort_block_merge_config_selectorIiNS0_10empty_typeEEEZZNS1_27merge_sort_block_merge_implIS3_N6thrust23THRUST_200600_302600_NS6detail15normal_iteratorINS9_10device_ptrIiEEEEPS5_jNS1_19radix_merge_compareILb0ELb1EiNS0_19identity_decomposerEEEEE10hipError_tT0_T1_T2_jT3_P12ihipStream_tbPNSt15iterator_traitsISK_E10value_typeEPNSQ_ISL_E10value_typeEPSM_NS1_7vsmem_tEENKUlT_SK_SL_SM_E_clISE_PiSF_SF_EESJ_SZ_SK_SL_SM_EUlSZ_E1_NS1_11comp_targetILNS1_3genE4ELNS1_11target_archE910ELNS1_3gpuE8ELNS1_3repE0EEENS1_36merge_oddeven_config_static_selectorELNS0_4arch9wavefront6targetE1EEEvSL_
		.amdhsa_group_segment_fixed_size 0
		.amdhsa_private_segment_fixed_size 0
		.amdhsa_kernarg_size 48
		.amdhsa_user_sgpr_count 2
		.amdhsa_user_sgpr_dispatch_ptr 0
		.amdhsa_user_sgpr_queue_ptr 0
		.amdhsa_user_sgpr_kernarg_segment_ptr 1
		.amdhsa_user_sgpr_dispatch_id 0
		.amdhsa_user_sgpr_kernarg_preload_length 0
		.amdhsa_user_sgpr_kernarg_preload_offset 0
		.amdhsa_user_sgpr_private_segment_size 0
		.amdhsa_uses_dynamic_stack 0
		.amdhsa_enable_private_segment 0
		.amdhsa_system_sgpr_workgroup_id_x 1
		.amdhsa_system_sgpr_workgroup_id_y 0
		.amdhsa_system_sgpr_workgroup_id_z 0
		.amdhsa_system_sgpr_workgroup_info 0
		.amdhsa_system_vgpr_workitem_id 0
		.amdhsa_next_free_vgpr 1
		.amdhsa_next_free_sgpr 0
		.amdhsa_accum_offset 4
		.amdhsa_reserve_vcc 0
		.amdhsa_float_round_mode_32 0
		.amdhsa_float_round_mode_16_64 0
		.amdhsa_float_denorm_mode_32 3
		.amdhsa_float_denorm_mode_16_64 3
		.amdhsa_dx10_clamp 1
		.amdhsa_ieee_mode 1
		.amdhsa_fp16_overflow 0
		.amdhsa_tg_split 0
		.amdhsa_exception_fp_ieee_invalid_op 0
		.amdhsa_exception_fp_denorm_src 0
		.amdhsa_exception_fp_ieee_div_zero 0
		.amdhsa_exception_fp_ieee_overflow 0
		.amdhsa_exception_fp_ieee_underflow 0
		.amdhsa_exception_fp_ieee_inexact 0
		.amdhsa_exception_int_div_zero 0
	.end_amdhsa_kernel
	.section	.text._ZN7rocprim17ROCPRIM_400000_NS6detail17trampoline_kernelINS0_14default_configENS1_38merge_sort_block_merge_config_selectorIiNS0_10empty_typeEEEZZNS1_27merge_sort_block_merge_implIS3_N6thrust23THRUST_200600_302600_NS6detail15normal_iteratorINS9_10device_ptrIiEEEEPS5_jNS1_19radix_merge_compareILb0ELb1EiNS0_19identity_decomposerEEEEE10hipError_tT0_T1_T2_jT3_P12ihipStream_tbPNSt15iterator_traitsISK_E10value_typeEPNSQ_ISL_E10value_typeEPSM_NS1_7vsmem_tEENKUlT_SK_SL_SM_E_clISE_PiSF_SF_EESJ_SZ_SK_SL_SM_EUlSZ_E1_NS1_11comp_targetILNS1_3genE4ELNS1_11target_archE910ELNS1_3gpuE8ELNS1_3repE0EEENS1_36merge_oddeven_config_static_selectorELNS0_4arch9wavefront6targetE1EEEvSL_,"axG",@progbits,_ZN7rocprim17ROCPRIM_400000_NS6detail17trampoline_kernelINS0_14default_configENS1_38merge_sort_block_merge_config_selectorIiNS0_10empty_typeEEEZZNS1_27merge_sort_block_merge_implIS3_N6thrust23THRUST_200600_302600_NS6detail15normal_iteratorINS9_10device_ptrIiEEEEPS5_jNS1_19radix_merge_compareILb0ELb1EiNS0_19identity_decomposerEEEEE10hipError_tT0_T1_T2_jT3_P12ihipStream_tbPNSt15iterator_traitsISK_E10value_typeEPNSQ_ISL_E10value_typeEPSM_NS1_7vsmem_tEENKUlT_SK_SL_SM_E_clISE_PiSF_SF_EESJ_SZ_SK_SL_SM_EUlSZ_E1_NS1_11comp_targetILNS1_3genE4ELNS1_11target_archE910ELNS1_3gpuE8ELNS1_3repE0EEENS1_36merge_oddeven_config_static_selectorELNS0_4arch9wavefront6targetE1EEEvSL_,comdat
.Lfunc_end127:
	.size	_ZN7rocprim17ROCPRIM_400000_NS6detail17trampoline_kernelINS0_14default_configENS1_38merge_sort_block_merge_config_selectorIiNS0_10empty_typeEEEZZNS1_27merge_sort_block_merge_implIS3_N6thrust23THRUST_200600_302600_NS6detail15normal_iteratorINS9_10device_ptrIiEEEEPS5_jNS1_19radix_merge_compareILb0ELb1EiNS0_19identity_decomposerEEEEE10hipError_tT0_T1_T2_jT3_P12ihipStream_tbPNSt15iterator_traitsISK_E10value_typeEPNSQ_ISL_E10value_typeEPSM_NS1_7vsmem_tEENKUlT_SK_SL_SM_E_clISE_PiSF_SF_EESJ_SZ_SK_SL_SM_EUlSZ_E1_NS1_11comp_targetILNS1_3genE4ELNS1_11target_archE910ELNS1_3gpuE8ELNS1_3repE0EEENS1_36merge_oddeven_config_static_selectorELNS0_4arch9wavefront6targetE1EEEvSL_, .Lfunc_end127-_ZN7rocprim17ROCPRIM_400000_NS6detail17trampoline_kernelINS0_14default_configENS1_38merge_sort_block_merge_config_selectorIiNS0_10empty_typeEEEZZNS1_27merge_sort_block_merge_implIS3_N6thrust23THRUST_200600_302600_NS6detail15normal_iteratorINS9_10device_ptrIiEEEEPS5_jNS1_19radix_merge_compareILb0ELb1EiNS0_19identity_decomposerEEEEE10hipError_tT0_T1_T2_jT3_P12ihipStream_tbPNSt15iterator_traitsISK_E10value_typeEPNSQ_ISL_E10value_typeEPSM_NS1_7vsmem_tEENKUlT_SK_SL_SM_E_clISE_PiSF_SF_EESJ_SZ_SK_SL_SM_EUlSZ_E1_NS1_11comp_targetILNS1_3genE4ELNS1_11target_archE910ELNS1_3gpuE8ELNS1_3repE0EEENS1_36merge_oddeven_config_static_selectorELNS0_4arch9wavefront6targetE1EEEvSL_
                                        ; -- End function
	.set _ZN7rocprim17ROCPRIM_400000_NS6detail17trampoline_kernelINS0_14default_configENS1_38merge_sort_block_merge_config_selectorIiNS0_10empty_typeEEEZZNS1_27merge_sort_block_merge_implIS3_N6thrust23THRUST_200600_302600_NS6detail15normal_iteratorINS9_10device_ptrIiEEEEPS5_jNS1_19radix_merge_compareILb0ELb1EiNS0_19identity_decomposerEEEEE10hipError_tT0_T1_T2_jT3_P12ihipStream_tbPNSt15iterator_traitsISK_E10value_typeEPNSQ_ISL_E10value_typeEPSM_NS1_7vsmem_tEENKUlT_SK_SL_SM_E_clISE_PiSF_SF_EESJ_SZ_SK_SL_SM_EUlSZ_E1_NS1_11comp_targetILNS1_3genE4ELNS1_11target_archE910ELNS1_3gpuE8ELNS1_3repE0EEENS1_36merge_oddeven_config_static_selectorELNS0_4arch9wavefront6targetE1EEEvSL_.num_vgpr, 0
	.set _ZN7rocprim17ROCPRIM_400000_NS6detail17trampoline_kernelINS0_14default_configENS1_38merge_sort_block_merge_config_selectorIiNS0_10empty_typeEEEZZNS1_27merge_sort_block_merge_implIS3_N6thrust23THRUST_200600_302600_NS6detail15normal_iteratorINS9_10device_ptrIiEEEEPS5_jNS1_19radix_merge_compareILb0ELb1EiNS0_19identity_decomposerEEEEE10hipError_tT0_T1_T2_jT3_P12ihipStream_tbPNSt15iterator_traitsISK_E10value_typeEPNSQ_ISL_E10value_typeEPSM_NS1_7vsmem_tEENKUlT_SK_SL_SM_E_clISE_PiSF_SF_EESJ_SZ_SK_SL_SM_EUlSZ_E1_NS1_11comp_targetILNS1_3genE4ELNS1_11target_archE910ELNS1_3gpuE8ELNS1_3repE0EEENS1_36merge_oddeven_config_static_selectorELNS0_4arch9wavefront6targetE1EEEvSL_.num_agpr, 0
	.set _ZN7rocprim17ROCPRIM_400000_NS6detail17trampoline_kernelINS0_14default_configENS1_38merge_sort_block_merge_config_selectorIiNS0_10empty_typeEEEZZNS1_27merge_sort_block_merge_implIS3_N6thrust23THRUST_200600_302600_NS6detail15normal_iteratorINS9_10device_ptrIiEEEEPS5_jNS1_19radix_merge_compareILb0ELb1EiNS0_19identity_decomposerEEEEE10hipError_tT0_T1_T2_jT3_P12ihipStream_tbPNSt15iterator_traitsISK_E10value_typeEPNSQ_ISL_E10value_typeEPSM_NS1_7vsmem_tEENKUlT_SK_SL_SM_E_clISE_PiSF_SF_EESJ_SZ_SK_SL_SM_EUlSZ_E1_NS1_11comp_targetILNS1_3genE4ELNS1_11target_archE910ELNS1_3gpuE8ELNS1_3repE0EEENS1_36merge_oddeven_config_static_selectorELNS0_4arch9wavefront6targetE1EEEvSL_.numbered_sgpr, 0
	.set _ZN7rocprim17ROCPRIM_400000_NS6detail17trampoline_kernelINS0_14default_configENS1_38merge_sort_block_merge_config_selectorIiNS0_10empty_typeEEEZZNS1_27merge_sort_block_merge_implIS3_N6thrust23THRUST_200600_302600_NS6detail15normal_iteratorINS9_10device_ptrIiEEEEPS5_jNS1_19radix_merge_compareILb0ELb1EiNS0_19identity_decomposerEEEEE10hipError_tT0_T1_T2_jT3_P12ihipStream_tbPNSt15iterator_traitsISK_E10value_typeEPNSQ_ISL_E10value_typeEPSM_NS1_7vsmem_tEENKUlT_SK_SL_SM_E_clISE_PiSF_SF_EESJ_SZ_SK_SL_SM_EUlSZ_E1_NS1_11comp_targetILNS1_3genE4ELNS1_11target_archE910ELNS1_3gpuE8ELNS1_3repE0EEENS1_36merge_oddeven_config_static_selectorELNS0_4arch9wavefront6targetE1EEEvSL_.num_named_barrier, 0
	.set _ZN7rocprim17ROCPRIM_400000_NS6detail17trampoline_kernelINS0_14default_configENS1_38merge_sort_block_merge_config_selectorIiNS0_10empty_typeEEEZZNS1_27merge_sort_block_merge_implIS3_N6thrust23THRUST_200600_302600_NS6detail15normal_iteratorINS9_10device_ptrIiEEEEPS5_jNS1_19radix_merge_compareILb0ELb1EiNS0_19identity_decomposerEEEEE10hipError_tT0_T1_T2_jT3_P12ihipStream_tbPNSt15iterator_traitsISK_E10value_typeEPNSQ_ISL_E10value_typeEPSM_NS1_7vsmem_tEENKUlT_SK_SL_SM_E_clISE_PiSF_SF_EESJ_SZ_SK_SL_SM_EUlSZ_E1_NS1_11comp_targetILNS1_3genE4ELNS1_11target_archE910ELNS1_3gpuE8ELNS1_3repE0EEENS1_36merge_oddeven_config_static_selectorELNS0_4arch9wavefront6targetE1EEEvSL_.private_seg_size, 0
	.set _ZN7rocprim17ROCPRIM_400000_NS6detail17trampoline_kernelINS0_14default_configENS1_38merge_sort_block_merge_config_selectorIiNS0_10empty_typeEEEZZNS1_27merge_sort_block_merge_implIS3_N6thrust23THRUST_200600_302600_NS6detail15normal_iteratorINS9_10device_ptrIiEEEEPS5_jNS1_19radix_merge_compareILb0ELb1EiNS0_19identity_decomposerEEEEE10hipError_tT0_T1_T2_jT3_P12ihipStream_tbPNSt15iterator_traitsISK_E10value_typeEPNSQ_ISL_E10value_typeEPSM_NS1_7vsmem_tEENKUlT_SK_SL_SM_E_clISE_PiSF_SF_EESJ_SZ_SK_SL_SM_EUlSZ_E1_NS1_11comp_targetILNS1_3genE4ELNS1_11target_archE910ELNS1_3gpuE8ELNS1_3repE0EEENS1_36merge_oddeven_config_static_selectorELNS0_4arch9wavefront6targetE1EEEvSL_.uses_vcc, 0
	.set _ZN7rocprim17ROCPRIM_400000_NS6detail17trampoline_kernelINS0_14default_configENS1_38merge_sort_block_merge_config_selectorIiNS0_10empty_typeEEEZZNS1_27merge_sort_block_merge_implIS3_N6thrust23THRUST_200600_302600_NS6detail15normal_iteratorINS9_10device_ptrIiEEEEPS5_jNS1_19radix_merge_compareILb0ELb1EiNS0_19identity_decomposerEEEEE10hipError_tT0_T1_T2_jT3_P12ihipStream_tbPNSt15iterator_traitsISK_E10value_typeEPNSQ_ISL_E10value_typeEPSM_NS1_7vsmem_tEENKUlT_SK_SL_SM_E_clISE_PiSF_SF_EESJ_SZ_SK_SL_SM_EUlSZ_E1_NS1_11comp_targetILNS1_3genE4ELNS1_11target_archE910ELNS1_3gpuE8ELNS1_3repE0EEENS1_36merge_oddeven_config_static_selectorELNS0_4arch9wavefront6targetE1EEEvSL_.uses_flat_scratch, 0
	.set _ZN7rocprim17ROCPRIM_400000_NS6detail17trampoline_kernelINS0_14default_configENS1_38merge_sort_block_merge_config_selectorIiNS0_10empty_typeEEEZZNS1_27merge_sort_block_merge_implIS3_N6thrust23THRUST_200600_302600_NS6detail15normal_iteratorINS9_10device_ptrIiEEEEPS5_jNS1_19radix_merge_compareILb0ELb1EiNS0_19identity_decomposerEEEEE10hipError_tT0_T1_T2_jT3_P12ihipStream_tbPNSt15iterator_traitsISK_E10value_typeEPNSQ_ISL_E10value_typeEPSM_NS1_7vsmem_tEENKUlT_SK_SL_SM_E_clISE_PiSF_SF_EESJ_SZ_SK_SL_SM_EUlSZ_E1_NS1_11comp_targetILNS1_3genE4ELNS1_11target_archE910ELNS1_3gpuE8ELNS1_3repE0EEENS1_36merge_oddeven_config_static_selectorELNS0_4arch9wavefront6targetE1EEEvSL_.has_dyn_sized_stack, 0
	.set _ZN7rocprim17ROCPRIM_400000_NS6detail17trampoline_kernelINS0_14default_configENS1_38merge_sort_block_merge_config_selectorIiNS0_10empty_typeEEEZZNS1_27merge_sort_block_merge_implIS3_N6thrust23THRUST_200600_302600_NS6detail15normal_iteratorINS9_10device_ptrIiEEEEPS5_jNS1_19radix_merge_compareILb0ELb1EiNS0_19identity_decomposerEEEEE10hipError_tT0_T1_T2_jT3_P12ihipStream_tbPNSt15iterator_traitsISK_E10value_typeEPNSQ_ISL_E10value_typeEPSM_NS1_7vsmem_tEENKUlT_SK_SL_SM_E_clISE_PiSF_SF_EESJ_SZ_SK_SL_SM_EUlSZ_E1_NS1_11comp_targetILNS1_3genE4ELNS1_11target_archE910ELNS1_3gpuE8ELNS1_3repE0EEENS1_36merge_oddeven_config_static_selectorELNS0_4arch9wavefront6targetE1EEEvSL_.has_recursion, 0
	.set _ZN7rocprim17ROCPRIM_400000_NS6detail17trampoline_kernelINS0_14default_configENS1_38merge_sort_block_merge_config_selectorIiNS0_10empty_typeEEEZZNS1_27merge_sort_block_merge_implIS3_N6thrust23THRUST_200600_302600_NS6detail15normal_iteratorINS9_10device_ptrIiEEEEPS5_jNS1_19radix_merge_compareILb0ELb1EiNS0_19identity_decomposerEEEEE10hipError_tT0_T1_T2_jT3_P12ihipStream_tbPNSt15iterator_traitsISK_E10value_typeEPNSQ_ISL_E10value_typeEPSM_NS1_7vsmem_tEENKUlT_SK_SL_SM_E_clISE_PiSF_SF_EESJ_SZ_SK_SL_SM_EUlSZ_E1_NS1_11comp_targetILNS1_3genE4ELNS1_11target_archE910ELNS1_3gpuE8ELNS1_3repE0EEENS1_36merge_oddeven_config_static_selectorELNS0_4arch9wavefront6targetE1EEEvSL_.has_indirect_call, 0
	.section	.AMDGPU.csdata,"",@progbits
; Kernel info:
; codeLenInByte = 0
; TotalNumSgprs: 6
; NumVgprs: 0
; NumAgprs: 0
; TotalNumVgprs: 0
; ScratchSize: 0
; MemoryBound: 0
; FloatMode: 240
; IeeeMode: 1
; LDSByteSize: 0 bytes/workgroup (compile time only)
; SGPRBlocks: 0
; VGPRBlocks: 0
; NumSGPRsForWavesPerEU: 6
; NumVGPRsForWavesPerEU: 1
; AccumOffset: 4
; Occupancy: 8
; WaveLimiterHint : 0
; COMPUTE_PGM_RSRC2:SCRATCH_EN: 0
; COMPUTE_PGM_RSRC2:USER_SGPR: 2
; COMPUTE_PGM_RSRC2:TRAP_HANDLER: 0
; COMPUTE_PGM_RSRC2:TGID_X_EN: 1
; COMPUTE_PGM_RSRC2:TGID_Y_EN: 0
; COMPUTE_PGM_RSRC2:TGID_Z_EN: 0
; COMPUTE_PGM_RSRC2:TIDIG_COMP_CNT: 0
; COMPUTE_PGM_RSRC3_GFX90A:ACCUM_OFFSET: 0
; COMPUTE_PGM_RSRC3_GFX90A:TG_SPLIT: 0
	.section	.text._ZN7rocprim17ROCPRIM_400000_NS6detail17trampoline_kernelINS0_14default_configENS1_38merge_sort_block_merge_config_selectorIiNS0_10empty_typeEEEZZNS1_27merge_sort_block_merge_implIS3_N6thrust23THRUST_200600_302600_NS6detail15normal_iteratorINS9_10device_ptrIiEEEEPS5_jNS1_19radix_merge_compareILb0ELb1EiNS0_19identity_decomposerEEEEE10hipError_tT0_T1_T2_jT3_P12ihipStream_tbPNSt15iterator_traitsISK_E10value_typeEPNSQ_ISL_E10value_typeEPSM_NS1_7vsmem_tEENKUlT_SK_SL_SM_E_clISE_PiSF_SF_EESJ_SZ_SK_SL_SM_EUlSZ_E1_NS1_11comp_targetILNS1_3genE3ELNS1_11target_archE908ELNS1_3gpuE7ELNS1_3repE0EEENS1_36merge_oddeven_config_static_selectorELNS0_4arch9wavefront6targetE1EEEvSL_,"axG",@progbits,_ZN7rocprim17ROCPRIM_400000_NS6detail17trampoline_kernelINS0_14default_configENS1_38merge_sort_block_merge_config_selectorIiNS0_10empty_typeEEEZZNS1_27merge_sort_block_merge_implIS3_N6thrust23THRUST_200600_302600_NS6detail15normal_iteratorINS9_10device_ptrIiEEEEPS5_jNS1_19radix_merge_compareILb0ELb1EiNS0_19identity_decomposerEEEEE10hipError_tT0_T1_T2_jT3_P12ihipStream_tbPNSt15iterator_traitsISK_E10value_typeEPNSQ_ISL_E10value_typeEPSM_NS1_7vsmem_tEENKUlT_SK_SL_SM_E_clISE_PiSF_SF_EESJ_SZ_SK_SL_SM_EUlSZ_E1_NS1_11comp_targetILNS1_3genE3ELNS1_11target_archE908ELNS1_3gpuE7ELNS1_3repE0EEENS1_36merge_oddeven_config_static_selectorELNS0_4arch9wavefront6targetE1EEEvSL_,comdat
	.protected	_ZN7rocprim17ROCPRIM_400000_NS6detail17trampoline_kernelINS0_14default_configENS1_38merge_sort_block_merge_config_selectorIiNS0_10empty_typeEEEZZNS1_27merge_sort_block_merge_implIS3_N6thrust23THRUST_200600_302600_NS6detail15normal_iteratorINS9_10device_ptrIiEEEEPS5_jNS1_19radix_merge_compareILb0ELb1EiNS0_19identity_decomposerEEEEE10hipError_tT0_T1_T2_jT3_P12ihipStream_tbPNSt15iterator_traitsISK_E10value_typeEPNSQ_ISL_E10value_typeEPSM_NS1_7vsmem_tEENKUlT_SK_SL_SM_E_clISE_PiSF_SF_EESJ_SZ_SK_SL_SM_EUlSZ_E1_NS1_11comp_targetILNS1_3genE3ELNS1_11target_archE908ELNS1_3gpuE7ELNS1_3repE0EEENS1_36merge_oddeven_config_static_selectorELNS0_4arch9wavefront6targetE1EEEvSL_ ; -- Begin function _ZN7rocprim17ROCPRIM_400000_NS6detail17trampoline_kernelINS0_14default_configENS1_38merge_sort_block_merge_config_selectorIiNS0_10empty_typeEEEZZNS1_27merge_sort_block_merge_implIS3_N6thrust23THRUST_200600_302600_NS6detail15normal_iteratorINS9_10device_ptrIiEEEEPS5_jNS1_19radix_merge_compareILb0ELb1EiNS0_19identity_decomposerEEEEE10hipError_tT0_T1_T2_jT3_P12ihipStream_tbPNSt15iterator_traitsISK_E10value_typeEPNSQ_ISL_E10value_typeEPSM_NS1_7vsmem_tEENKUlT_SK_SL_SM_E_clISE_PiSF_SF_EESJ_SZ_SK_SL_SM_EUlSZ_E1_NS1_11comp_targetILNS1_3genE3ELNS1_11target_archE908ELNS1_3gpuE7ELNS1_3repE0EEENS1_36merge_oddeven_config_static_selectorELNS0_4arch9wavefront6targetE1EEEvSL_
	.globl	_ZN7rocprim17ROCPRIM_400000_NS6detail17trampoline_kernelINS0_14default_configENS1_38merge_sort_block_merge_config_selectorIiNS0_10empty_typeEEEZZNS1_27merge_sort_block_merge_implIS3_N6thrust23THRUST_200600_302600_NS6detail15normal_iteratorINS9_10device_ptrIiEEEEPS5_jNS1_19radix_merge_compareILb0ELb1EiNS0_19identity_decomposerEEEEE10hipError_tT0_T1_T2_jT3_P12ihipStream_tbPNSt15iterator_traitsISK_E10value_typeEPNSQ_ISL_E10value_typeEPSM_NS1_7vsmem_tEENKUlT_SK_SL_SM_E_clISE_PiSF_SF_EESJ_SZ_SK_SL_SM_EUlSZ_E1_NS1_11comp_targetILNS1_3genE3ELNS1_11target_archE908ELNS1_3gpuE7ELNS1_3repE0EEENS1_36merge_oddeven_config_static_selectorELNS0_4arch9wavefront6targetE1EEEvSL_
	.p2align	8
	.type	_ZN7rocprim17ROCPRIM_400000_NS6detail17trampoline_kernelINS0_14default_configENS1_38merge_sort_block_merge_config_selectorIiNS0_10empty_typeEEEZZNS1_27merge_sort_block_merge_implIS3_N6thrust23THRUST_200600_302600_NS6detail15normal_iteratorINS9_10device_ptrIiEEEEPS5_jNS1_19radix_merge_compareILb0ELb1EiNS0_19identity_decomposerEEEEE10hipError_tT0_T1_T2_jT3_P12ihipStream_tbPNSt15iterator_traitsISK_E10value_typeEPNSQ_ISL_E10value_typeEPSM_NS1_7vsmem_tEENKUlT_SK_SL_SM_E_clISE_PiSF_SF_EESJ_SZ_SK_SL_SM_EUlSZ_E1_NS1_11comp_targetILNS1_3genE3ELNS1_11target_archE908ELNS1_3gpuE7ELNS1_3repE0EEENS1_36merge_oddeven_config_static_selectorELNS0_4arch9wavefront6targetE1EEEvSL_,@function
_ZN7rocprim17ROCPRIM_400000_NS6detail17trampoline_kernelINS0_14default_configENS1_38merge_sort_block_merge_config_selectorIiNS0_10empty_typeEEEZZNS1_27merge_sort_block_merge_implIS3_N6thrust23THRUST_200600_302600_NS6detail15normal_iteratorINS9_10device_ptrIiEEEEPS5_jNS1_19radix_merge_compareILb0ELb1EiNS0_19identity_decomposerEEEEE10hipError_tT0_T1_T2_jT3_P12ihipStream_tbPNSt15iterator_traitsISK_E10value_typeEPNSQ_ISL_E10value_typeEPSM_NS1_7vsmem_tEENKUlT_SK_SL_SM_E_clISE_PiSF_SF_EESJ_SZ_SK_SL_SM_EUlSZ_E1_NS1_11comp_targetILNS1_3genE3ELNS1_11target_archE908ELNS1_3gpuE7ELNS1_3repE0EEENS1_36merge_oddeven_config_static_selectorELNS0_4arch9wavefront6targetE1EEEvSL_: ; @_ZN7rocprim17ROCPRIM_400000_NS6detail17trampoline_kernelINS0_14default_configENS1_38merge_sort_block_merge_config_selectorIiNS0_10empty_typeEEEZZNS1_27merge_sort_block_merge_implIS3_N6thrust23THRUST_200600_302600_NS6detail15normal_iteratorINS9_10device_ptrIiEEEEPS5_jNS1_19radix_merge_compareILb0ELb1EiNS0_19identity_decomposerEEEEE10hipError_tT0_T1_T2_jT3_P12ihipStream_tbPNSt15iterator_traitsISK_E10value_typeEPNSQ_ISL_E10value_typeEPSM_NS1_7vsmem_tEENKUlT_SK_SL_SM_E_clISE_PiSF_SF_EESJ_SZ_SK_SL_SM_EUlSZ_E1_NS1_11comp_targetILNS1_3genE3ELNS1_11target_archE908ELNS1_3gpuE7ELNS1_3repE0EEENS1_36merge_oddeven_config_static_selectorELNS0_4arch9wavefront6targetE1EEEvSL_
; %bb.0:
	.section	.rodata,"a",@progbits
	.p2align	6, 0x0
	.amdhsa_kernel _ZN7rocprim17ROCPRIM_400000_NS6detail17trampoline_kernelINS0_14default_configENS1_38merge_sort_block_merge_config_selectorIiNS0_10empty_typeEEEZZNS1_27merge_sort_block_merge_implIS3_N6thrust23THRUST_200600_302600_NS6detail15normal_iteratorINS9_10device_ptrIiEEEEPS5_jNS1_19radix_merge_compareILb0ELb1EiNS0_19identity_decomposerEEEEE10hipError_tT0_T1_T2_jT3_P12ihipStream_tbPNSt15iterator_traitsISK_E10value_typeEPNSQ_ISL_E10value_typeEPSM_NS1_7vsmem_tEENKUlT_SK_SL_SM_E_clISE_PiSF_SF_EESJ_SZ_SK_SL_SM_EUlSZ_E1_NS1_11comp_targetILNS1_3genE3ELNS1_11target_archE908ELNS1_3gpuE7ELNS1_3repE0EEENS1_36merge_oddeven_config_static_selectorELNS0_4arch9wavefront6targetE1EEEvSL_
		.amdhsa_group_segment_fixed_size 0
		.amdhsa_private_segment_fixed_size 0
		.amdhsa_kernarg_size 48
		.amdhsa_user_sgpr_count 2
		.amdhsa_user_sgpr_dispatch_ptr 0
		.amdhsa_user_sgpr_queue_ptr 0
		.amdhsa_user_sgpr_kernarg_segment_ptr 1
		.amdhsa_user_sgpr_dispatch_id 0
		.amdhsa_user_sgpr_kernarg_preload_length 0
		.amdhsa_user_sgpr_kernarg_preload_offset 0
		.amdhsa_user_sgpr_private_segment_size 0
		.amdhsa_uses_dynamic_stack 0
		.amdhsa_enable_private_segment 0
		.amdhsa_system_sgpr_workgroup_id_x 1
		.amdhsa_system_sgpr_workgroup_id_y 0
		.amdhsa_system_sgpr_workgroup_id_z 0
		.amdhsa_system_sgpr_workgroup_info 0
		.amdhsa_system_vgpr_workitem_id 0
		.amdhsa_next_free_vgpr 1
		.amdhsa_next_free_sgpr 0
		.amdhsa_accum_offset 4
		.amdhsa_reserve_vcc 0
		.amdhsa_float_round_mode_32 0
		.amdhsa_float_round_mode_16_64 0
		.amdhsa_float_denorm_mode_32 3
		.amdhsa_float_denorm_mode_16_64 3
		.amdhsa_dx10_clamp 1
		.amdhsa_ieee_mode 1
		.amdhsa_fp16_overflow 0
		.amdhsa_tg_split 0
		.amdhsa_exception_fp_ieee_invalid_op 0
		.amdhsa_exception_fp_denorm_src 0
		.amdhsa_exception_fp_ieee_div_zero 0
		.amdhsa_exception_fp_ieee_overflow 0
		.amdhsa_exception_fp_ieee_underflow 0
		.amdhsa_exception_fp_ieee_inexact 0
		.amdhsa_exception_int_div_zero 0
	.end_amdhsa_kernel
	.section	.text._ZN7rocprim17ROCPRIM_400000_NS6detail17trampoline_kernelINS0_14default_configENS1_38merge_sort_block_merge_config_selectorIiNS0_10empty_typeEEEZZNS1_27merge_sort_block_merge_implIS3_N6thrust23THRUST_200600_302600_NS6detail15normal_iteratorINS9_10device_ptrIiEEEEPS5_jNS1_19radix_merge_compareILb0ELb1EiNS0_19identity_decomposerEEEEE10hipError_tT0_T1_T2_jT3_P12ihipStream_tbPNSt15iterator_traitsISK_E10value_typeEPNSQ_ISL_E10value_typeEPSM_NS1_7vsmem_tEENKUlT_SK_SL_SM_E_clISE_PiSF_SF_EESJ_SZ_SK_SL_SM_EUlSZ_E1_NS1_11comp_targetILNS1_3genE3ELNS1_11target_archE908ELNS1_3gpuE7ELNS1_3repE0EEENS1_36merge_oddeven_config_static_selectorELNS0_4arch9wavefront6targetE1EEEvSL_,"axG",@progbits,_ZN7rocprim17ROCPRIM_400000_NS6detail17trampoline_kernelINS0_14default_configENS1_38merge_sort_block_merge_config_selectorIiNS0_10empty_typeEEEZZNS1_27merge_sort_block_merge_implIS3_N6thrust23THRUST_200600_302600_NS6detail15normal_iteratorINS9_10device_ptrIiEEEEPS5_jNS1_19radix_merge_compareILb0ELb1EiNS0_19identity_decomposerEEEEE10hipError_tT0_T1_T2_jT3_P12ihipStream_tbPNSt15iterator_traitsISK_E10value_typeEPNSQ_ISL_E10value_typeEPSM_NS1_7vsmem_tEENKUlT_SK_SL_SM_E_clISE_PiSF_SF_EESJ_SZ_SK_SL_SM_EUlSZ_E1_NS1_11comp_targetILNS1_3genE3ELNS1_11target_archE908ELNS1_3gpuE7ELNS1_3repE0EEENS1_36merge_oddeven_config_static_selectorELNS0_4arch9wavefront6targetE1EEEvSL_,comdat
.Lfunc_end128:
	.size	_ZN7rocprim17ROCPRIM_400000_NS6detail17trampoline_kernelINS0_14default_configENS1_38merge_sort_block_merge_config_selectorIiNS0_10empty_typeEEEZZNS1_27merge_sort_block_merge_implIS3_N6thrust23THRUST_200600_302600_NS6detail15normal_iteratorINS9_10device_ptrIiEEEEPS5_jNS1_19radix_merge_compareILb0ELb1EiNS0_19identity_decomposerEEEEE10hipError_tT0_T1_T2_jT3_P12ihipStream_tbPNSt15iterator_traitsISK_E10value_typeEPNSQ_ISL_E10value_typeEPSM_NS1_7vsmem_tEENKUlT_SK_SL_SM_E_clISE_PiSF_SF_EESJ_SZ_SK_SL_SM_EUlSZ_E1_NS1_11comp_targetILNS1_3genE3ELNS1_11target_archE908ELNS1_3gpuE7ELNS1_3repE0EEENS1_36merge_oddeven_config_static_selectorELNS0_4arch9wavefront6targetE1EEEvSL_, .Lfunc_end128-_ZN7rocprim17ROCPRIM_400000_NS6detail17trampoline_kernelINS0_14default_configENS1_38merge_sort_block_merge_config_selectorIiNS0_10empty_typeEEEZZNS1_27merge_sort_block_merge_implIS3_N6thrust23THRUST_200600_302600_NS6detail15normal_iteratorINS9_10device_ptrIiEEEEPS5_jNS1_19radix_merge_compareILb0ELb1EiNS0_19identity_decomposerEEEEE10hipError_tT0_T1_T2_jT3_P12ihipStream_tbPNSt15iterator_traitsISK_E10value_typeEPNSQ_ISL_E10value_typeEPSM_NS1_7vsmem_tEENKUlT_SK_SL_SM_E_clISE_PiSF_SF_EESJ_SZ_SK_SL_SM_EUlSZ_E1_NS1_11comp_targetILNS1_3genE3ELNS1_11target_archE908ELNS1_3gpuE7ELNS1_3repE0EEENS1_36merge_oddeven_config_static_selectorELNS0_4arch9wavefront6targetE1EEEvSL_
                                        ; -- End function
	.set _ZN7rocprim17ROCPRIM_400000_NS6detail17trampoline_kernelINS0_14default_configENS1_38merge_sort_block_merge_config_selectorIiNS0_10empty_typeEEEZZNS1_27merge_sort_block_merge_implIS3_N6thrust23THRUST_200600_302600_NS6detail15normal_iteratorINS9_10device_ptrIiEEEEPS5_jNS1_19radix_merge_compareILb0ELb1EiNS0_19identity_decomposerEEEEE10hipError_tT0_T1_T2_jT3_P12ihipStream_tbPNSt15iterator_traitsISK_E10value_typeEPNSQ_ISL_E10value_typeEPSM_NS1_7vsmem_tEENKUlT_SK_SL_SM_E_clISE_PiSF_SF_EESJ_SZ_SK_SL_SM_EUlSZ_E1_NS1_11comp_targetILNS1_3genE3ELNS1_11target_archE908ELNS1_3gpuE7ELNS1_3repE0EEENS1_36merge_oddeven_config_static_selectorELNS0_4arch9wavefront6targetE1EEEvSL_.num_vgpr, 0
	.set _ZN7rocprim17ROCPRIM_400000_NS6detail17trampoline_kernelINS0_14default_configENS1_38merge_sort_block_merge_config_selectorIiNS0_10empty_typeEEEZZNS1_27merge_sort_block_merge_implIS3_N6thrust23THRUST_200600_302600_NS6detail15normal_iteratorINS9_10device_ptrIiEEEEPS5_jNS1_19radix_merge_compareILb0ELb1EiNS0_19identity_decomposerEEEEE10hipError_tT0_T1_T2_jT3_P12ihipStream_tbPNSt15iterator_traitsISK_E10value_typeEPNSQ_ISL_E10value_typeEPSM_NS1_7vsmem_tEENKUlT_SK_SL_SM_E_clISE_PiSF_SF_EESJ_SZ_SK_SL_SM_EUlSZ_E1_NS1_11comp_targetILNS1_3genE3ELNS1_11target_archE908ELNS1_3gpuE7ELNS1_3repE0EEENS1_36merge_oddeven_config_static_selectorELNS0_4arch9wavefront6targetE1EEEvSL_.num_agpr, 0
	.set _ZN7rocprim17ROCPRIM_400000_NS6detail17trampoline_kernelINS0_14default_configENS1_38merge_sort_block_merge_config_selectorIiNS0_10empty_typeEEEZZNS1_27merge_sort_block_merge_implIS3_N6thrust23THRUST_200600_302600_NS6detail15normal_iteratorINS9_10device_ptrIiEEEEPS5_jNS1_19radix_merge_compareILb0ELb1EiNS0_19identity_decomposerEEEEE10hipError_tT0_T1_T2_jT3_P12ihipStream_tbPNSt15iterator_traitsISK_E10value_typeEPNSQ_ISL_E10value_typeEPSM_NS1_7vsmem_tEENKUlT_SK_SL_SM_E_clISE_PiSF_SF_EESJ_SZ_SK_SL_SM_EUlSZ_E1_NS1_11comp_targetILNS1_3genE3ELNS1_11target_archE908ELNS1_3gpuE7ELNS1_3repE0EEENS1_36merge_oddeven_config_static_selectorELNS0_4arch9wavefront6targetE1EEEvSL_.numbered_sgpr, 0
	.set _ZN7rocprim17ROCPRIM_400000_NS6detail17trampoline_kernelINS0_14default_configENS1_38merge_sort_block_merge_config_selectorIiNS0_10empty_typeEEEZZNS1_27merge_sort_block_merge_implIS3_N6thrust23THRUST_200600_302600_NS6detail15normal_iteratorINS9_10device_ptrIiEEEEPS5_jNS1_19radix_merge_compareILb0ELb1EiNS0_19identity_decomposerEEEEE10hipError_tT0_T1_T2_jT3_P12ihipStream_tbPNSt15iterator_traitsISK_E10value_typeEPNSQ_ISL_E10value_typeEPSM_NS1_7vsmem_tEENKUlT_SK_SL_SM_E_clISE_PiSF_SF_EESJ_SZ_SK_SL_SM_EUlSZ_E1_NS1_11comp_targetILNS1_3genE3ELNS1_11target_archE908ELNS1_3gpuE7ELNS1_3repE0EEENS1_36merge_oddeven_config_static_selectorELNS0_4arch9wavefront6targetE1EEEvSL_.num_named_barrier, 0
	.set _ZN7rocprim17ROCPRIM_400000_NS6detail17trampoline_kernelINS0_14default_configENS1_38merge_sort_block_merge_config_selectorIiNS0_10empty_typeEEEZZNS1_27merge_sort_block_merge_implIS3_N6thrust23THRUST_200600_302600_NS6detail15normal_iteratorINS9_10device_ptrIiEEEEPS5_jNS1_19radix_merge_compareILb0ELb1EiNS0_19identity_decomposerEEEEE10hipError_tT0_T1_T2_jT3_P12ihipStream_tbPNSt15iterator_traitsISK_E10value_typeEPNSQ_ISL_E10value_typeEPSM_NS1_7vsmem_tEENKUlT_SK_SL_SM_E_clISE_PiSF_SF_EESJ_SZ_SK_SL_SM_EUlSZ_E1_NS1_11comp_targetILNS1_3genE3ELNS1_11target_archE908ELNS1_3gpuE7ELNS1_3repE0EEENS1_36merge_oddeven_config_static_selectorELNS0_4arch9wavefront6targetE1EEEvSL_.private_seg_size, 0
	.set _ZN7rocprim17ROCPRIM_400000_NS6detail17trampoline_kernelINS0_14default_configENS1_38merge_sort_block_merge_config_selectorIiNS0_10empty_typeEEEZZNS1_27merge_sort_block_merge_implIS3_N6thrust23THRUST_200600_302600_NS6detail15normal_iteratorINS9_10device_ptrIiEEEEPS5_jNS1_19radix_merge_compareILb0ELb1EiNS0_19identity_decomposerEEEEE10hipError_tT0_T1_T2_jT3_P12ihipStream_tbPNSt15iterator_traitsISK_E10value_typeEPNSQ_ISL_E10value_typeEPSM_NS1_7vsmem_tEENKUlT_SK_SL_SM_E_clISE_PiSF_SF_EESJ_SZ_SK_SL_SM_EUlSZ_E1_NS1_11comp_targetILNS1_3genE3ELNS1_11target_archE908ELNS1_3gpuE7ELNS1_3repE0EEENS1_36merge_oddeven_config_static_selectorELNS0_4arch9wavefront6targetE1EEEvSL_.uses_vcc, 0
	.set _ZN7rocprim17ROCPRIM_400000_NS6detail17trampoline_kernelINS0_14default_configENS1_38merge_sort_block_merge_config_selectorIiNS0_10empty_typeEEEZZNS1_27merge_sort_block_merge_implIS3_N6thrust23THRUST_200600_302600_NS6detail15normal_iteratorINS9_10device_ptrIiEEEEPS5_jNS1_19radix_merge_compareILb0ELb1EiNS0_19identity_decomposerEEEEE10hipError_tT0_T1_T2_jT3_P12ihipStream_tbPNSt15iterator_traitsISK_E10value_typeEPNSQ_ISL_E10value_typeEPSM_NS1_7vsmem_tEENKUlT_SK_SL_SM_E_clISE_PiSF_SF_EESJ_SZ_SK_SL_SM_EUlSZ_E1_NS1_11comp_targetILNS1_3genE3ELNS1_11target_archE908ELNS1_3gpuE7ELNS1_3repE0EEENS1_36merge_oddeven_config_static_selectorELNS0_4arch9wavefront6targetE1EEEvSL_.uses_flat_scratch, 0
	.set _ZN7rocprim17ROCPRIM_400000_NS6detail17trampoline_kernelINS0_14default_configENS1_38merge_sort_block_merge_config_selectorIiNS0_10empty_typeEEEZZNS1_27merge_sort_block_merge_implIS3_N6thrust23THRUST_200600_302600_NS6detail15normal_iteratorINS9_10device_ptrIiEEEEPS5_jNS1_19radix_merge_compareILb0ELb1EiNS0_19identity_decomposerEEEEE10hipError_tT0_T1_T2_jT3_P12ihipStream_tbPNSt15iterator_traitsISK_E10value_typeEPNSQ_ISL_E10value_typeEPSM_NS1_7vsmem_tEENKUlT_SK_SL_SM_E_clISE_PiSF_SF_EESJ_SZ_SK_SL_SM_EUlSZ_E1_NS1_11comp_targetILNS1_3genE3ELNS1_11target_archE908ELNS1_3gpuE7ELNS1_3repE0EEENS1_36merge_oddeven_config_static_selectorELNS0_4arch9wavefront6targetE1EEEvSL_.has_dyn_sized_stack, 0
	.set _ZN7rocprim17ROCPRIM_400000_NS6detail17trampoline_kernelINS0_14default_configENS1_38merge_sort_block_merge_config_selectorIiNS0_10empty_typeEEEZZNS1_27merge_sort_block_merge_implIS3_N6thrust23THRUST_200600_302600_NS6detail15normal_iteratorINS9_10device_ptrIiEEEEPS5_jNS1_19radix_merge_compareILb0ELb1EiNS0_19identity_decomposerEEEEE10hipError_tT0_T1_T2_jT3_P12ihipStream_tbPNSt15iterator_traitsISK_E10value_typeEPNSQ_ISL_E10value_typeEPSM_NS1_7vsmem_tEENKUlT_SK_SL_SM_E_clISE_PiSF_SF_EESJ_SZ_SK_SL_SM_EUlSZ_E1_NS1_11comp_targetILNS1_3genE3ELNS1_11target_archE908ELNS1_3gpuE7ELNS1_3repE0EEENS1_36merge_oddeven_config_static_selectorELNS0_4arch9wavefront6targetE1EEEvSL_.has_recursion, 0
	.set _ZN7rocprim17ROCPRIM_400000_NS6detail17trampoline_kernelINS0_14default_configENS1_38merge_sort_block_merge_config_selectorIiNS0_10empty_typeEEEZZNS1_27merge_sort_block_merge_implIS3_N6thrust23THRUST_200600_302600_NS6detail15normal_iteratorINS9_10device_ptrIiEEEEPS5_jNS1_19radix_merge_compareILb0ELb1EiNS0_19identity_decomposerEEEEE10hipError_tT0_T1_T2_jT3_P12ihipStream_tbPNSt15iterator_traitsISK_E10value_typeEPNSQ_ISL_E10value_typeEPSM_NS1_7vsmem_tEENKUlT_SK_SL_SM_E_clISE_PiSF_SF_EESJ_SZ_SK_SL_SM_EUlSZ_E1_NS1_11comp_targetILNS1_3genE3ELNS1_11target_archE908ELNS1_3gpuE7ELNS1_3repE0EEENS1_36merge_oddeven_config_static_selectorELNS0_4arch9wavefront6targetE1EEEvSL_.has_indirect_call, 0
	.section	.AMDGPU.csdata,"",@progbits
; Kernel info:
; codeLenInByte = 0
; TotalNumSgprs: 6
; NumVgprs: 0
; NumAgprs: 0
; TotalNumVgprs: 0
; ScratchSize: 0
; MemoryBound: 0
; FloatMode: 240
; IeeeMode: 1
; LDSByteSize: 0 bytes/workgroup (compile time only)
; SGPRBlocks: 0
; VGPRBlocks: 0
; NumSGPRsForWavesPerEU: 6
; NumVGPRsForWavesPerEU: 1
; AccumOffset: 4
; Occupancy: 8
; WaveLimiterHint : 0
; COMPUTE_PGM_RSRC2:SCRATCH_EN: 0
; COMPUTE_PGM_RSRC2:USER_SGPR: 2
; COMPUTE_PGM_RSRC2:TRAP_HANDLER: 0
; COMPUTE_PGM_RSRC2:TGID_X_EN: 1
; COMPUTE_PGM_RSRC2:TGID_Y_EN: 0
; COMPUTE_PGM_RSRC2:TGID_Z_EN: 0
; COMPUTE_PGM_RSRC2:TIDIG_COMP_CNT: 0
; COMPUTE_PGM_RSRC3_GFX90A:ACCUM_OFFSET: 0
; COMPUTE_PGM_RSRC3_GFX90A:TG_SPLIT: 0
	.section	.text._ZN7rocprim17ROCPRIM_400000_NS6detail17trampoline_kernelINS0_14default_configENS1_38merge_sort_block_merge_config_selectorIiNS0_10empty_typeEEEZZNS1_27merge_sort_block_merge_implIS3_N6thrust23THRUST_200600_302600_NS6detail15normal_iteratorINS9_10device_ptrIiEEEEPS5_jNS1_19radix_merge_compareILb0ELb1EiNS0_19identity_decomposerEEEEE10hipError_tT0_T1_T2_jT3_P12ihipStream_tbPNSt15iterator_traitsISK_E10value_typeEPNSQ_ISL_E10value_typeEPSM_NS1_7vsmem_tEENKUlT_SK_SL_SM_E_clISE_PiSF_SF_EESJ_SZ_SK_SL_SM_EUlSZ_E1_NS1_11comp_targetILNS1_3genE2ELNS1_11target_archE906ELNS1_3gpuE6ELNS1_3repE0EEENS1_36merge_oddeven_config_static_selectorELNS0_4arch9wavefront6targetE1EEEvSL_,"axG",@progbits,_ZN7rocprim17ROCPRIM_400000_NS6detail17trampoline_kernelINS0_14default_configENS1_38merge_sort_block_merge_config_selectorIiNS0_10empty_typeEEEZZNS1_27merge_sort_block_merge_implIS3_N6thrust23THRUST_200600_302600_NS6detail15normal_iteratorINS9_10device_ptrIiEEEEPS5_jNS1_19radix_merge_compareILb0ELb1EiNS0_19identity_decomposerEEEEE10hipError_tT0_T1_T2_jT3_P12ihipStream_tbPNSt15iterator_traitsISK_E10value_typeEPNSQ_ISL_E10value_typeEPSM_NS1_7vsmem_tEENKUlT_SK_SL_SM_E_clISE_PiSF_SF_EESJ_SZ_SK_SL_SM_EUlSZ_E1_NS1_11comp_targetILNS1_3genE2ELNS1_11target_archE906ELNS1_3gpuE6ELNS1_3repE0EEENS1_36merge_oddeven_config_static_selectorELNS0_4arch9wavefront6targetE1EEEvSL_,comdat
	.protected	_ZN7rocprim17ROCPRIM_400000_NS6detail17trampoline_kernelINS0_14default_configENS1_38merge_sort_block_merge_config_selectorIiNS0_10empty_typeEEEZZNS1_27merge_sort_block_merge_implIS3_N6thrust23THRUST_200600_302600_NS6detail15normal_iteratorINS9_10device_ptrIiEEEEPS5_jNS1_19radix_merge_compareILb0ELb1EiNS0_19identity_decomposerEEEEE10hipError_tT0_T1_T2_jT3_P12ihipStream_tbPNSt15iterator_traitsISK_E10value_typeEPNSQ_ISL_E10value_typeEPSM_NS1_7vsmem_tEENKUlT_SK_SL_SM_E_clISE_PiSF_SF_EESJ_SZ_SK_SL_SM_EUlSZ_E1_NS1_11comp_targetILNS1_3genE2ELNS1_11target_archE906ELNS1_3gpuE6ELNS1_3repE0EEENS1_36merge_oddeven_config_static_selectorELNS0_4arch9wavefront6targetE1EEEvSL_ ; -- Begin function _ZN7rocprim17ROCPRIM_400000_NS6detail17trampoline_kernelINS0_14default_configENS1_38merge_sort_block_merge_config_selectorIiNS0_10empty_typeEEEZZNS1_27merge_sort_block_merge_implIS3_N6thrust23THRUST_200600_302600_NS6detail15normal_iteratorINS9_10device_ptrIiEEEEPS5_jNS1_19radix_merge_compareILb0ELb1EiNS0_19identity_decomposerEEEEE10hipError_tT0_T1_T2_jT3_P12ihipStream_tbPNSt15iterator_traitsISK_E10value_typeEPNSQ_ISL_E10value_typeEPSM_NS1_7vsmem_tEENKUlT_SK_SL_SM_E_clISE_PiSF_SF_EESJ_SZ_SK_SL_SM_EUlSZ_E1_NS1_11comp_targetILNS1_3genE2ELNS1_11target_archE906ELNS1_3gpuE6ELNS1_3repE0EEENS1_36merge_oddeven_config_static_selectorELNS0_4arch9wavefront6targetE1EEEvSL_
	.globl	_ZN7rocprim17ROCPRIM_400000_NS6detail17trampoline_kernelINS0_14default_configENS1_38merge_sort_block_merge_config_selectorIiNS0_10empty_typeEEEZZNS1_27merge_sort_block_merge_implIS3_N6thrust23THRUST_200600_302600_NS6detail15normal_iteratorINS9_10device_ptrIiEEEEPS5_jNS1_19radix_merge_compareILb0ELb1EiNS0_19identity_decomposerEEEEE10hipError_tT0_T1_T2_jT3_P12ihipStream_tbPNSt15iterator_traitsISK_E10value_typeEPNSQ_ISL_E10value_typeEPSM_NS1_7vsmem_tEENKUlT_SK_SL_SM_E_clISE_PiSF_SF_EESJ_SZ_SK_SL_SM_EUlSZ_E1_NS1_11comp_targetILNS1_3genE2ELNS1_11target_archE906ELNS1_3gpuE6ELNS1_3repE0EEENS1_36merge_oddeven_config_static_selectorELNS0_4arch9wavefront6targetE1EEEvSL_
	.p2align	8
	.type	_ZN7rocprim17ROCPRIM_400000_NS6detail17trampoline_kernelINS0_14default_configENS1_38merge_sort_block_merge_config_selectorIiNS0_10empty_typeEEEZZNS1_27merge_sort_block_merge_implIS3_N6thrust23THRUST_200600_302600_NS6detail15normal_iteratorINS9_10device_ptrIiEEEEPS5_jNS1_19radix_merge_compareILb0ELb1EiNS0_19identity_decomposerEEEEE10hipError_tT0_T1_T2_jT3_P12ihipStream_tbPNSt15iterator_traitsISK_E10value_typeEPNSQ_ISL_E10value_typeEPSM_NS1_7vsmem_tEENKUlT_SK_SL_SM_E_clISE_PiSF_SF_EESJ_SZ_SK_SL_SM_EUlSZ_E1_NS1_11comp_targetILNS1_3genE2ELNS1_11target_archE906ELNS1_3gpuE6ELNS1_3repE0EEENS1_36merge_oddeven_config_static_selectorELNS0_4arch9wavefront6targetE1EEEvSL_,@function
_ZN7rocprim17ROCPRIM_400000_NS6detail17trampoline_kernelINS0_14default_configENS1_38merge_sort_block_merge_config_selectorIiNS0_10empty_typeEEEZZNS1_27merge_sort_block_merge_implIS3_N6thrust23THRUST_200600_302600_NS6detail15normal_iteratorINS9_10device_ptrIiEEEEPS5_jNS1_19radix_merge_compareILb0ELb1EiNS0_19identity_decomposerEEEEE10hipError_tT0_T1_T2_jT3_P12ihipStream_tbPNSt15iterator_traitsISK_E10value_typeEPNSQ_ISL_E10value_typeEPSM_NS1_7vsmem_tEENKUlT_SK_SL_SM_E_clISE_PiSF_SF_EESJ_SZ_SK_SL_SM_EUlSZ_E1_NS1_11comp_targetILNS1_3genE2ELNS1_11target_archE906ELNS1_3gpuE6ELNS1_3repE0EEENS1_36merge_oddeven_config_static_selectorELNS0_4arch9wavefront6targetE1EEEvSL_: ; @_ZN7rocprim17ROCPRIM_400000_NS6detail17trampoline_kernelINS0_14default_configENS1_38merge_sort_block_merge_config_selectorIiNS0_10empty_typeEEEZZNS1_27merge_sort_block_merge_implIS3_N6thrust23THRUST_200600_302600_NS6detail15normal_iteratorINS9_10device_ptrIiEEEEPS5_jNS1_19radix_merge_compareILb0ELb1EiNS0_19identity_decomposerEEEEE10hipError_tT0_T1_T2_jT3_P12ihipStream_tbPNSt15iterator_traitsISK_E10value_typeEPNSQ_ISL_E10value_typeEPSM_NS1_7vsmem_tEENKUlT_SK_SL_SM_E_clISE_PiSF_SF_EESJ_SZ_SK_SL_SM_EUlSZ_E1_NS1_11comp_targetILNS1_3genE2ELNS1_11target_archE906ELNS1_3gpuE6ELNS1_3repE0EEENS1_36merge_oddeven_config_static_selectorELNS0_4arch9wavefront6targetE1EEEvSL_
; %bb.0:
	.section	.rodata,"a",@progbits
	.p2align	6, 0x0
	.amdhsa_kernel _ZN7rocprim17ROCPRIM_400000_NS6detail17trampoline_kernelINS0_14default_configENS1_38merge_sort_block_merge_config_selectorIiNS0_10empty_typeEEEZZNS1_27merge_sort_block_merge_implIS3_N6thrust23THRUST_200600_302600_NS6detail15normal_iteratorINS9_10device_ptrIiEEEEPS5_jNS1_19radix_merge_compareILb0ELb1EiNS0_19identity_decomposerEEEEE10hipError_tT0_T1_T2_jT3_P12ihipStream_tbPNSt15iterator_traitsISK_E10value_typeEPNSQ_ISL_E10value_typeEPSM_NS1_7vsmem_tEENKUlT_SK_SL_SM_E_clISE_PiSF_SF_EESJ_SZ_SK_SL_SM_EUlSZ_E1_NS1_11comp_targetILNS1_3genE2ELNS1_11target_archE906ELNS1_3gpuE6ELNS1_3repE0EEENS1_36merge_oddeven_config_static_selectorELNS0_4arch9wavefront6targetE1EEEvSL_
		.amdhsa_group_segment_fixed_size 0
		.amdhsa_private_segment_fixed_size 0
		.amdhsa_kernarg_size 48
		.amdhsa_user_sgpr_count 2
		.amdhsa_user_sgpr_dispatch_ptr 0
		.amdhsa_user_sgpr_queue_ptr 0
		.amdhsa_user_sgpr_kernarg_segment_ptr 1
		.amdhsa_user_sgpr_dispatch_id 0
		.amdhsa_user_sgpr_kernarg_preload_length 0
		.amdhsa_user_sgpr_kernarg_preload_offset 0
		.amdhsa_user_sgpr_private_segment_size 0
		.amdhsa_uses_dynamic_stack 0
		.amdhsa_enable_private_segment 0
		.amdhsa_system_sgpr_workgroup_id_x 1
		.amdhsa_system_sgpr_workgroup_id_y 0
		.amdhsa_system_sgpr_workgroup_id_z 0
		.amdhsa_system_sgpr_workgroup_info 0
		.amdhsa_system_vgpr_workitem_id 0
		.amdhsa_next_free_vgpr 1
		.amdhsa_next_free_sgpr 0
		.amdhsa_accum_offset 4
		.amdhsa_reserve_vcc 0
		.amdhsa_float_round_mode_32 0
		.amdhsa_float_round_mode_16_64 0
		.amdhsa_float_denorm_mode_32 3
		.amdhsa_float_denorm_mode_16_64 3
		.amdhsa_dx10_clamp 1
		.amdhsa_ieee_mode 1
		.amdhsa_fp16_overflow 0
		.amdhsa_tg_split 0
		.amdhsa_exception_fp_ieee_invalid_op 0
		.amdhsa_exception_fp_denorm_src 0
		.amdhsa_exception_fp_ieee_div_zero 0
		.amdhsa_exception_fp_ieee_overflow 0
		.amdhsa_exception_fp_ieee_underflow 0
		.amdhsa_exception_fp_ieee_inexact 0
		.amdhsa_exception_int_div_zero 0
	.end_amdhsa_kernel
	.section	.text._ZN7rocprim17ROCPRIM_400000_NS6detail17trampoline_kernelINS0_14default_configENS1_38merge_sort_block_merge_config_selectorIiNS0_10empty_typeEEEZZNS1_27merge_sort_block_merge_implIS3_N6thrust23THRUST_200600_302600_NS6detail15normal_iteratorINS9_10device_ptrIiEEEEPS5_jNS1_19radix_merge_compareILb0ELb1EiNS0_19identity_decomposerEEEEE10hipError_tT0_T1_T2_jT3_P12ihipStream_tbPNSt15iterator_traitsISK_E10value_typeEPNSQ_ISL_E10value_typeEPSM_NS1_7vsmem_tEENKUlT_SK_SL_SM_E_clISE_PiSF_SF_EESJ_SZ_SK_SL_SM_EUlSZ_E1_NS1_11comp_targetILNS1_3genE2ELNS1_11target_archE906ELNS1_3gpuE6ELNS1_3repE0EEENS1_36merge_oddeven_config_static_selectorELNS0_4arch9wavefront6targetE1EEEvSL_,"axG",@progbits,_ZN7rocprim17ROCPRIM_400000_NS6detail17trampoline_kernelINS0_14default_configENS1_38merge_sort_block_merge_config_selectorIiNS0_10empty_typeEEEZZNS1_27merge_sort_block_merge_implIS3_N6thrust23THRUST_200600_302600_NS6detail15normal_iteratorINS9_10device_ptrIiEEEEPS5_jNS1_19radix_merge_compareILb0ELb1EiNS0_19identity_decomposerEEEEE10hipError_tT0_T1_T2_jT3_P12ihipStream_tbPNSt15iterator_traitsISK_E10value_typeEPNSQ_ISL_E10value_typeEPSM_NS1_7vsmem_tEENKUlT_SK_SL_SM_E_clISE_PiSF_SF_EESJ_SZ_SK_SL_SM_EUlSZ_E1_NS1_11comp_targetILNS1_3genE2ELNS1_11target_archE906ELNS1_3gpuE6ELNS1_3repE0EEENS1_36merge_oddeven_config_static_selectorELNS0_4arch9wavefront6targetE1EEEvSL_,comdat
.Lfunc_end129:
	.size	_ZN7rocprim17ROCPRIM_400000_NS6detail17trampoline_kernelINS0_14default_configENS1_38merge_sort_block_merge_config_selectorIiNS0_10empty_typeEEEZZNS1_27merge_sort_block_merge_implIS3_N6thrust23THRUST_200600_302600_NS6detail15normal_iteratorINS9_10device_ptrIiEEEEPS5_jNS1_19radix_merge_compareILb0ELb1EiNS0_19identity_decomposerEEEEE10hipError_tT0_T1_T2_jT3_P12ihipStream_tbPNSt15iterator_traitsISK_E10value_typeEPNSQ_ISL_E10value_typeEPSM_NS1_7vsmem_tEENKUlT_SK_SL_SM_E_clISE_PiSF_SF_EESJ_SZ_SK_SL_SM_EUlSZ_E1_NS1_11comp_targetILNS1_3genE2ELNS1_11target_archE906ELNS1_3gpuE6ELNS1_3repE0EEENS1_36merge_oddeven_config_static_selectorELNS0_4arch9wavefront6targetE1EEEvSL_, .Lfunc_end129-_ZN7rocprim17ROCPRIM_400000_NS6detail17trampoline_kernelINS0_14default_configENS1_38merge_sort_block_merge_config_selectorIiNS0_10empty_typeEEEZZNS1_27merge_sort_block_merge_implIS3_N6thrust23THRUST_200600_302600_NS6detail15normal_iteratorINS9_10device_ptrIiEEEEPS5_jNS1_19radix_merge_compareILb0ELb1EiNS0_19identity_decomposerEEEEE10hipError_tT0_T1_T2_jT3_P12ihipStream_tbPNSt15iterator_traitsISK_E10value_typeEPNSQ_ISL_E10value_typeEPSM_NS1_7vsmem_tEENKUlT_SK_SL_SM_E_clISE_PiSF_SF_EESJ_SZ_SK_SL_SM_EUlSZ_E1_NS1_11comp_targetILNS1_3genE2ELNS1_11target_archE906ELNS1_3gpuE6ELNS1_3repE0EEENS1_36merge_oddeven_config_static_selectorELNS0_4arch9wavefront6targetE1EEEvSL_
                                        ; -- End function
	.set _ZN7rocprim17ROCPRIM_400000_NS6detail17trampoline_kernelINS0_14default_configENS1_38merge_sort_block_merge_config_selectorIiNS0_10empty_typeEEEZZNS1_27merge_sort_block_merge_implIS3_N6thrust23THRUST_200600_302600_NS6detail15normal_iteratorINS9_10device_ptrIiEEEEPS5_jNS1_19radix_merge_compareILb0ELb1EiNS0_19identity_decomposerEEEEE10hipError_tT0_T1_T2_jT3_P12ihipStream_tbPNSt15iterator_traitsISK_E10value_typeEPNSQ_ISL_E10value_typeEPSM_NS1_7vsmem_tEENKUlT_SK_SL_SM_E_clISE_PiSF_SF_EESJ_SZ_SK_SL_SM_EUlSZ_E1_NS1_11comp_targetILNS1_3genE2ELNS1_11target_archE906ELNS1_3gpuE6ELNS1_3repE0EEENS1_36merge_oddeven_config_static_selectorELNS0_4arch9wavefront6targetE1EEEvSL_.num_vgpr, 0
	.set _ZN7rocprim17ROCPRIM_400000_NS6detail17trampoline_kernelINS0_14default_configENS1_38merge_sort_block_merge_config_selectorIiNS0_10empty_typeEEEZZNS1_27merge_sort_block_merge_implIS3_N6thrust23THRUST_200600_302600_NS6detail15normal_iteratorINS9_10device_ptrIiEEEEPS5_jNS1_19radix_merge_compareILb0ELb1EiNS0_19identity_decomposerEEEEE10hipError_tT0_T1_T2_jT3_P12ihipStream_tbPNSt15iterator_traitsISK_E10value_typeEPNSQ_ISL_E10value_typeEPSM_NS1_7vsmem_tEENKUlT_SK_SL_SM_E_clISE_PiSF_SF_EESJ_SZ_SK_SL_SM_EUlSZ_E1_NS1_11comp_targetILNS1_3genE2ELNS1_11target_archE906ELNS1_3gpuE6ELNS1_3repE0EEENS1_36merge_oddeven_config_static_selectorELNS0_4arch9wavefront6targetE1EEEvSL_.num_agpr, 0
	.set _ZN7rocprim17ROCPRIM_400000_NS6detail17trampoline_kernelINS0_14default_configENS1_38merge_sort_block_merge_config_selectorIiNS0_10empty_typeEEEZZNS1_27merge_sort_block_merge_implIS3_N6thrust23THRUST_200600_302600_NS6detail15normal_iteratorINS9_10device_ptrIiEEEEPS5_jNS1_19radix_merge_compareILb0ELb1EiNS0_19identity_decomposerEEEEE10hipError_tT0_T1_T2_jT3_P12ihipStream_tbPNSt15iterator_traitsISK_E10value_typeEPNSQ_ISL_E10value_typeEPSM_NS1_7vsmem_tEENKUlT_SK_SL_SM_E_clISE_PiSF_SF_EESJ_SZ_SK_SL_SM_EUlSZ_E1_NS1_11comp_targetILNS1_3genE2ELNS1_11target_archE906ELNS1_3gpuE6ELNS1_3repE0EEENS1_36merge_oddeven_config_static_selectorELNS0_4arch9wavefront6targetE1EEEvSL_.numbered_sgpr, 0
	.set _ZN7rocprim17ROCPRIM_400000_NS6detail17trampoline_kernelINS0_14default_configENS1_38merge_sort_block_merge_config_selectorIiNS0_10empty_typeEEEZZNS1_27merge_sort_block_merge_implIS3_N6thrust23THRUST_200600_302600_NS6detail15normal_iteratorINS9_10device_ptrIiEEEEPS5_jNS1_19radix_merge_compareILb0ELb1EiNS0_19identity_decomposerEEEEE10hipError_tT0_T1_T2_jT3_P12ihipStream_tbPNSt15iterator_traitsISK_E10value_typeEPNSQ_ISL_E10value_typeEPSM_NS1_7vsmem_tEENKUlT_SK_SL_SM_E_clISE_PiSF_SF_EESJ_SZ_SK_SL_SM_EUlSZ_E1_NS1_11comp_targetILNS1_3genE2ELNS1_11target_archE906ELNS1_3gpuE6ELNS1_3repE0EEENS1_36merge_oddeven_config_static_selectorELNS0_4arch9wavefront6targetE1EEEvSL_.num_named_barrier, 0
	.set _ZN7rocprim17ROCPRIM_400000_NS6detail17trampoline_kernelINS0_14default_configENS1_38merge_sort_block_merge_config_selectorIiNS0_10empty_typeEEEZZNS1_27merge_sort_block_merge_implIS3_N6thrust23THRUST_200600_302600_NS6detail15normal_iteratorINS9_10device_ptrIiEEEEPS5_jNS1_19radix_merge_compareILb0ELb1EiNS0_19identity_decomposerEEEEE10hipError_tT0_T1_T2_jT3_P12ihipStream_tbPNSt15iterator_traitsISK_E10value_typeEPNSQ_ISL_E10value_typeEPSM_NS1_7vsmem_tEENKUlT_SK_SL_SM_E_clISE_PiSF_SF_EESJ_SZ_SK_SL_SM_EUlSZ_E1_NS1_11comp_targetILNS1_3genE2ELNS1_11target_archE906ELNS1_3gpuE6ELNS1_3repE0EEENS1_36merge_oddeven_config_static_selectorELNS0_4arch9wavefront6targetE1EEEvSL_.private_seg_size, 0
	.set _ZN7rocprim17ROCPRIM_400000_NS6detail17trampoline_kernelINS0_14default_configENS1_38merge_sort_block_merge_config_selectorIiNS0_10empty_typeEEEZZNS1_27merge_sort_block_merge_implIS3_N6thrust23THRUST_200600_302600_NS6detail15normal_iteratorINS9_10device_ptrIiEEEEPS5_jNS1_19radix_merge_compareILb0ELb1EiNS0_19identity_decomposerEEEEE10hipError_tT0_T1_T2_jT3_P12ihipStream_tbPNSt15iterator_traitsISK_E10value_typeEPNSQ_ISL_E10value_typeEPSM_NS1_7vsmem_tEENKUlT_SK_SL_SM_E_clISE_PiSF_SF_EESJ_SZ_SK_SL_SM_EUlSZ_E1_NS1_11comp_targetILNS1_3genE2ELNS1_11target_archE906ELNS1_3gpuE6ELNS1_3repE0EEENS1_36merge_oddeven_config_static_selectorELNS0_4arch9wavefront6targetE1EEEvSL_.uses_vcc, 0
	.set _ZN7rocprim17ROCPRIM_400000_NS6detail17trampoline_kernelINS0_14default_configENS1_38merge_sort_block_merge_config_selectorIiNS0_10empty_typeEEEZZNS1_27merge_sort_block_merge_implIS3_N6thrust23THRUST_200600_302600_NS6detail15normal_iteratorINS9_10device_ptrIiEEEEPS5_jNS1_19radix_merge_compareILb0ELb1EiNS0_19identity_decomposerEEEEE10hipError_tT0_T1_T2_jT3_P12ihipStream_tbPNSt15iterator_traitsISK_E10value_typeEPNSQ_ISL_E10value_typeEPSM_NS1_7vsmem_tEENKUlT_SK_SL_SM_E_clISE_PiSF_SF_EESJ_SZ_SK_SL_SM_EUlSZ_E1_NS1_11comp_targetILNS1_3genE2ELNS1_11target_archE906ELNS1_3gpuE6ELNS1_3repE0EEENS1_36merge_oddeven_config_static_selectorELNS0_4arch9wavefront6targetE1EEEvSL_.uses_flat_scratch, 0
	.set _ZN7rocprim17ROCPRIM_400000_NS6detail17trampoline_kernelINS0_14default_configENS1_38merge_sort_block_merge_config_selectorIiNS0_10empty_typeEEEZZNS1_27merge_sort_block_merge_implIS3_N6thrust23THRUST_200600_302600_NS6detail15normal_iteratorINS9_10device_ptrIiEEEEPS5_jNS1_19radix_merge_compareILb0ELb1EiNS0_19identity_decomposerEEEEE10hipError_tT0_T1_T2_jT3_P12ihipStream_tbPNSt15iterator_traitsISK_E10value_typeEPNSQ_ISL_E10value_typeEPSM_NS1_7vsmem_tEENKUlT_SK_SL_SM_E_clISE_PiSF_SF_EESJ_SZ_SK_SL_SM_EUlSZ_E1_NS1_11comp_targetILNS1_3genE2ELNS1_11target_archE906ELNS1_3gpuE6ELNS1_3repE0EEENS1_36merge_oddeven_config_static_selectorELNS0_4arch9wavefront6targetE1EEEvSL_.has_dyn_sized_stack, 0
	.set _ZN7rocprim17ROCPRIM_400000_NS6detail17trampoline_kernelINS0_14default_configENS1_38merge_sort_block_merge_config_selectorIiNS0_10empty_typeEEEZZNS1_27merge_sort_block_merge_implIS3_N6thrust23THRUST_200600_302600_NS6detail15normal_iteratorINS9_10device_ptrIiEEEEPS5_jNS1_19radix_merge_compareILb0ELb1EiNS0_19identity_decomposerEEEEE10hipError_tT0_T1_T2_jT3_P12ihipStream_tbPNSt15iterator_traitsISK_E10value_typeEPNSQ_ISL_E10value_typeEPSM_NS1_7vsmem_tEENKUlT_SK_SL_SM_E_clISE_PiSF_SF_EESJ_SZ_SK_SL_SM_EUlSZ_E1_NS1_11comp_targetILNS1_3genE2ELNS1_11target_archE906ELNS1_3gpuE6ELNS1_3repE0EEENS1_36merge_oddeven_config_static_selectorELNS0_4arch9wavefront6targetE1EEEvSL_.has_recursion, 0
	.set _ZN7rocprim17ROCPRIM_400000_NS6detail17trampoline_kernelINS0_14default_configENS1_38merge_sort_block_merge_config_selectorIiNS0_10empty_typeEEEZZNS1_27merge_sort_block_merge_implIS3_N6thrust23THRUST_200600_302600_NS6detail15normal_iteratorINS9_10device_ptrIiEEEEPS5_jNS1_19radix_merge_compareILb0ELb1EiNS0_19identity_decomposerEEEEE10hipError_tT0_T1_T2_jT3_P12ihipStream_tbPNSt15iterator_traitsISK_E10value_typeEPNSQ_ISL_E10value_typeEPSM_NS1_7vsmem_tEENKUlT_SK_SL_SM_E_clISE_PiSF_SF_EESJ_SZ_SK_SL_SM_EUlSZ_E1_NS1_11comp_targetILNS1_3genE2ELNS1_11target_archE906ELNS1_3gpuE6ELNS1_3repE0EEENS1_36merge_oddeven_config_static_selectorELNS0_4arch9wavefront6targetE1EEEvSL_.has_indirect_call, 0
	.section	.AMDGPU.csdata,"",@progbits
; Kernel info:
; codeLenInByte = 0
; TotalNumSgprs: 6
; NumVgprs: 0
; NumAgprs: 0
; TotalNumVgprs: 0
; ScratchSize: 0
; MemoryBound: 0
; FloatMode: 240
; IeeeMode: 1
; LDSByteSize: 0 bytes/workgroup (compile time only)
; SGPRBlocks: 0
; VGPRBlocks: 0
; NumSGPRsForWavesPerEU: 6
; NumVGPRsForWavesPerEU: 1
; AccumOffset: 4
; Occupancy: 8
; WaveLimiterHint : 0
; COMPUTE_PGM_RSRC2:SCRATCH_EN: 0
; COMPUTE_PGM_RSRC2:USER_SGPR: 2
; COMPUTE_PGM_RSRC2:TRAP_HANDLER: 0
; COMPUTE_PGM_RSRC2:TGID_X_EN: 1
; COMPUTE_PGM_RSRC2:TGID_Y_EN: 0
; COMPUTE_PGM_RSRC2:TGID_Z_EN: 0
; COMPUTE_PGM_RSRC2:TIDIG_COMP_CNT: 0
; COMPUTE_PGM_RSRC3_GFX90A:ACCUM_OFFSET: 0
; COMPUTE_PGM_RSRC3_GFX90A:TG_SPLIT: 0
	.section	.text._ZN7rocprim17ROCPRIM_400000_NS6detail17trampoline_kernelINS0_14default_configENS1_38merge_sort_block_merge_config_selectorIiNS0_10empty_typeEEEZZNS1_27merge_sort_block_merge_implIS3_N6thrust23THRUST_200600_302600_NS6detail15normal_iteratorINS9_10device_ptrIiEEEEPS5_jNS1_19radix_merge_compareILb0ELb1EiNS0_19identity_decomposerEEEEE10hipError_tT0_T1_T2_jT3_P12ihipStream_tbPNSt15iterator_traitsISK_E10value_typeEPNSQ_ISL_E10value_typeEPSM_NS1_7vsmem_tEENKUlT_SK_SL_SM_E_clISE_PiSF_SF_EESJ_SZ_SK_SL_SM_EUlSZ_E1_NS1_11comp_targetILNS1_3genE9ELNS1_11target_archE1100ELNS1_3gpuE3ELNS1_3repE0EEENS1_36merge_oddeven_config_static_selectorELNS0_4arch9wavefront6targetE1EEEvSL_,"axG",@progbits,_ZN7rocprim17ROCPRIM_400000_NS6detail17trampoline_kernelINS0_14default_configENS1_38merge_sort_block_merge_config_selectorIiNS0_10empty_typeEEEZZNS1_27merge_sort_block_merge_implIS3_N6thrust23THRUST_200600_302600_NS6detail15normal_iteratorINS9_10device_ptrIiEEEEPS5_jNS1_19radix_merge_compareILb0ELb1EiNS0_19identity_decomposerEEEEE10hipError_tT0_T1_T2_jT3_P12ihipStream_tbPNSt15iterator_traitsISK_E10value_typeEPNSQ_ISL_E10value_typeEPSM_NS1_7vsmem_tEENKUlT_SK_SL_SM_E_clISE_PiSF_SF_EESJ_SZ_SK_SL_SM_EUlSZ_E1_NS1_11comp_targetILNS1_3genE9ELNS1_11target_archE1100ELNS1_3gpuE3ELNS1_3repE0EEENS1_36merge_oddeven_config_static_selectorELNS0_4arch9wavefront6targetE1EEEvSL_,comdat
	.protected	_ZN7rocprim17ROCPRIM_400000_NS6detail17trampoline_kernelINS0_14default_configENS1_38merge_sort_block_merge_config_selectorIiNS0_10empty_typeEEEZZNS1_27merge_sort_block_merge_implIS3_N6thrust23THRUST_200600_302600_NS6detail15normal_iteratorINS9_10device_ptrIiEEEEPS5_jNS1_19radix_merge_compareILb0ELb1EiNS0_19identity_decomposerEEEEE10hipError_tT0_T1_T2_jT3_P12ihipStream_tbPNSt15iterator_traitsISK_E10value_typeEPNSQ_ISL_E10value_typeEPSM_NS1_7vsmem_tEENKUlT_SK_SL_SM_E_clISE_PiSF_SF_EESJ_SZ_SK_SL_SM_EUlSZ_E1_NS1_11comp_targetILNS1_3genE9ELNS1_11target_archE1100ELNS1_3gpuE3ELNS1_3repE0EEENS1_36merge_oddeven_config_static_selectorELNS0_4arch9wavefront6targetE1EEEvSL_ ; -- Begin function _ZN7rocprim17ROCPRIM_400000_NS6detail17trampoline_kernelINS0_14default_configENS1_38merge_sort_block_merge_config_selectorIiNS0_10empty_typeEEEZZNS1_27merge_sort_block_merge_implIS3_N6thrust23THRUST_200600_302600_NS6detail15normal_iteratorINS9_10device_ptrIiEEEEPS5_jNS1_19radix_merge_compareILb0ELb1EiNS0_19identity_decomposerEEEEE10hipError_tT0_T1_T2_jT3_P12ihipStream_tbPNSt15iterator_traitsISK_E10value_typeEPNSQ_ISL_E10value_typeEPSM_NS1_7vsmem_tEENKUlT_SK_SL_SM_E_clISE_PiSF_SF_EESJ_SZ_SK_SL_SM_EUlSZ_E1_NS1_11comp_targetILNS1_3genE9ELNS1_11target_archE1100ELNS1_3gpuE3ELNS1_3repE0EEENS1_36merge_oddeven_config_static_selectorELNS0_4arch9wavefront6targetE1EEEvSL_
	.globl	_ZN7rocprim17ROCPRIM_400000_NS6detail17trampoline_kernelINS0_14default_configENS1_38merge_sort_block_merge_config_selectorIiNS0_10empty_typeEEEZZNS1_27merge_sort_block_merge_implIS3_N6thrust23THRUST_200600_302600_NS6detail15normal_iteratorINS9_10device_ptrIiEEEEPS5_jNS1_19radix_merge_compareILb0ELb1EiNS0_19identity_decomposerEEEEE10hipError_tT0_T1_T2_jT3_P12ihipStream_tbPNSt15iterator_traitsISK_E10value_typeEPNSQ_ISL_E10value_typeEPSM_NS1_7vsmem_tEENKUlT_SK_SL_SM_E_clISE_PiSF_SF_EESJ_SZ_SK_SL_SM_EUlSZ_E1_NS1_11comp_targetILNS1_3genE9ELNS1_11target_archE1100ELNS1_3gpuE3ELNS1_3repE0EEENS1_36merge_oddeven_config_static_selectorELNS0_4arch9wavefront6targetE1EEEvSL_
	.p2align	8
	.type	_ZN7rocprim17ROCPRIM_400000_NS6detail17trampoline_kernelINS0_14default_configENS1_38merge_sort_block_merge_config_selectorIiNS0_10empty_typeEEEZZNS1_27merge_sort_block_merge_implIS3_N6thrust23THRUST_200600_302600_NS6detail15normal_iteratorINS9_10device_ptrIiEEEEPS5_jNS1_19radix_merge_compareILb0ELb1EiNS0_19identity_decomposerEEEEE10hipError_tT0_T1_T2_jT3_P12ihipStream_tbPNSt15iterator_traitsISK_E10value_typeEPNSQ_ISL_E10value_typeEPSM_NS1_7vsmem_tEENKUlT_SK_SL_SM_E_clISE_PiSF_SF_EESJ_SZ_SK_SL_SM_EUlSZ_E1_NS1_11comp_targetILNS1_3genE9ELNS1_11target_archE1100ELNS1_3gpuE3ELNS1_3repE0EEENS1_36merge_oddeven_config_static_selectorELNS0_4arch9wavefront6targetE1EEEvSL_,@function
_ZN7rocprim17ROCPRIM_400000_NS6detail17trampoline_kernelINS0_14default_configENS1_38merge_sort_block_merge_config_selectorIiNS0_10empty_typeEEEZZNS1_27merge_sort_block_merge_implIS3_N6thrust23THRUST_200600_302600_NS6detail15normal_iteratorINS9_10device_ptrIiEEEEPS5_jNS1_19radix_merge_compareILb0ELb1EiNS0_19identity_decomposerEEEEE10hipError_tT0_T1_T2_jT3_P12ihipStream_tbPNSt15iterator_traitsISK_E10value_typeEPNSQ_ISL_E10value_typeEPSM_NS1_7vsmem_tEENKUlT_SK_SL_SM_E_clISE_PiSF_SF_EESJ_SZ_SK_SL_SM_EUlSZ_E1_NS1_11comp_targetILNS1_3genE9ELNS1_11target_archE1100ELNS1_3gpuE3ELNS1_3repE0EEENS1_36merge_oddeven_config_static_selectorELNS0_4arch9wavefront6targetE1EEEvSL_: ; @_ZN7rocprim17ROCPRIM_400000_NS6detail17trampoline_kernelINS0_14default_configENS1_38merge_sort_block_merge_config_selectorIiNS0_10empty_typeEEEZZNS1_27merge_sort_block_merge_implIS3_N6thrust23THRUST_200600_302600_NS6detail15normal_iteratorINS9_10device_ptrIiEEEEPS5_jNS1_19radix_merge_compareILb0ELb1EiNS0_19identity_decomposerEEEEE10hipError_tT0_T1_T2_jT3_P12ihipStream_tbPNSt15iterator_traitsISK_E10value_typeEPNSQ_ISL_E10value_typeEPSM_NS1_7vsmem_tEENKUlT_SK_SL_SM_E_clISE_PiSF_SF_EESJ_SZ_SK_SL_SM_EUlSZ_E1_NS1_11comp_targetILNS1_3genE9ELNS1_11target_archE1100ELNS1_3gpuE3ELNS1_3repE0EEENS1_36merge_oddeven_config_static_selectorELNS0_4arch9wavefront6targetE1EEEvSL_
; %bb.0:
	.section	.rodata,"a",@progbits
	.p2align	6, 0x0
	.amdhsa_kernel _ZN7rocprim17ROCPRIM_400000_NS6detail17trampoline_kernelINS0_14default_configENS1_38merge_sort_block_merge_config_selectorIiNS0_10empty_typeEEEZZNS1_27merge_sort_block_merge_implIS3_N6thrust23THRUST_200600_302600_NS6detail15normal_iteratorINS9_10device_ptrIiEEEEPS5_jNS1_19radix_merge_compareILb0ELb1EiNS0_19identity_decomposerEEEEE10hipError_tT0_T1_T2_jT3_P12ihipStream_tbPNSt15iterator_traitsISK_E10value_typeEPNSQ_ISL_E10value_typeEPSM_NS1_7vsmem_tEENKUlT_SK_SL_SM_E_clISE_PiSF_SF_EESJ_SZ_SK_SL_SM_EUlSZ_E1_NS1_11comp_targetILNS1_3genE9ELNS1_11target_archE1100ELNS1_3gpuE3ELNS1_3repE0EEENS1_36merge_oddeven_config_static_selectorELNS0_4arch9wavefront6targetE1EEEvSL_
		.amdhsa_group_segment_fixed_size 0
		.amdhsa_private_segment_fixed_size 0
		.amdhsa_kernarg_size 48
		.amdhsa_user_sgpr_count 2
		.amdhsa_user_sgpr_dispatch_ptr 0
		.amdhsa_user_sgpr_queue_ptr 0
		.amdhsa_user_sgpr_kernarg_segment_ptr 1
		.amdhsa_user_sgpr_dispatch_id 0
		.amdhsa_user_sgpr_kernarg_preload_length 0
		.amdhsa_user_sgpr_kernarg_preload_offset 0
		.amdhsa_user_sgpr_private_segment_size 0
		.amdhsa_uses_dynamic_stack 0
		.amdhsa_enable_private_segment 0
		.amdhsa_system_sgpr_workgroup_id_x 1
		.amdhsa_system_sgpr_workgroup_id_y 0
		.amdhsa_system_sgpr_workgroup_id_z 0
		.amdhsa_system_sgpr_workgroup_info 0
		.amdhsa_system_vgpr_workitem_id 0
		.amdhsa_next_free_vgpr 1
		.amdhsa_next_free_sgpr 0
		.amdhsa_accum_offset 4
		.amdhsa_reserve_vcc 0
		.amdhsa_float_round_mode_32 0
		.amdhsa_float_round_mode_16_64 0
		.amdhsa_float_denorm_mode_32 3
		.amdhsa_float_denorm_mode_16_64 3
		.amdhsa_dx10_clamp 1
		.amdhsa_ieee_mode 1
		.amdhsa_fp16_overflow 0
		.amdhsa_tg_split 0
		.amdhsa_exception_fp_ieee_invalid_op 0
		.amdhsa_exception_fp_denorm_src 0
		.amdhsa_exception_fp_ieee_div_zero 0
		.amdhsa_exception_fp_ieee_overflow 0
		.amdhsa_exception_fp_ieee_underflow 0
		.amdhsa_exception_fp_ieee_inexact 0
		.amdhsa_exception_int_div_zero 0
	.end_amdhsa_kernel
	.section	.text._ZN7rocprim17ROCPRIM_400000_NS6detail17trampoline_kernelINS0_14default_configENS1_38merge_sort_block_merge_config_selectorIiNS0_10empty_typeEEEZZNS1_27merge_sort_block_merge_implIS3_N6thrust23THRUST_200600_302600_NS6detail15normal_iteratorINS9_10device_ptrIiEEEEPS5_jNS1_19radix_merge_compareILb0ELb1EiNS0_19identity_decomposerEEEEE10hipError_tT0_T1_T2_jT3_P12ihipStream_tbPNSt15iterator_traitsISK_E10value_typeEPNSQ_ISL_E10value_typeEPSM_NS1_7vsmem_tEENKUlT_SK_SL_SM_E_clISE_PiSF_SF_EESJ_SZ_SK_SL_SM_EUlSZ_E1_NS1_11comp_targetILNS1_3genE9ELNS1_11target_archE1100ELNS1_3gpuE3ELNS1_3repE0EEENS1_36merge_oddeven_config_static_selectorELNS0_4arch9wavefront6targetE1EEEvSL_,"axG",@progbits,_ZN7rocprim17ROCPRIM_400000_NS6detail17trampoline_kernelINS0_14default_configENS1_38merge_sort_block_merge_config_selectorIiNS0_10empty_typeEEEZZNS1_27merge_sort_block_merge_implIS3_N6thrust23THRUST_200600_302600_NS6detail15normal_iteratorINS9_10device_ptrIiEEEEPS5_jNS1_19radix_merge_compareILb0ELb1EiNS0_19identity_decomposerEEEEE10hipError_tT0_T1_T2_jT3_P12ihipStream_tbPNSt15iterator_traitsISK_E10value_typeEPNSQ_ISL_E10value_typeEPSM_NS1_7vsmem_tEENKUlT_SK_SL_SM_E_clISE_PiSF_SF_EESJ_SZ_SK_SL_SM_EUlSZ_E1_NS1_11comp_targetILNS1_3genE9ELNS1_11target_archE1100ELNS1_3gpuE3ELNS1_3repE0EEENS1_36merge_oddeven_config_static_selectorELNS0_4arch9wavefront6targetE1EEEvSL_,comdat
.Lfunc_end130:
	.size	_ZN7rocprim17ROCPRIM_400000_NS6detail17trampoline_kernelINS0_14default_configENS1_38merge_sort_block_merge_config_selectorIiNS0_10empty_typeEEEZZNS1_27merge_sort_block_merge_implIS3_N6thrust23THRUST_200600_302600_NS6detail15normal_iteratorINS9_10device_ptrIiEEEEPS5_jNS1_19radix_merge_compareILb0ELb1EiNS0_19identity_decomposerEEEEE10hipError_tT0_T1_T2_jT3_P12ihipStream_tbPNSt15iterator_traitsISK_E10value_typeEPNSQ_ISL_E10value_typeEPSM_NS1_7vsmem_tEENKUlT_SK_SL_SM_E_clISE_PiSF_SF_EESJ_SZ_SK_SL_SM_EUlSZ_E1_NS1_11comp_targetILNS1_3genE9ELNS1_11target_archE1100ELNS1_3gpuE3ELNS1_3repE0EEENS1_36merge_oddeven_config_static_selectorELNS0_4arch9wavefront6targetE1EEEvSL_, .Lfunc_end130-_ZN7rocprim17ROCPRIM_400000_NS6detail17trampoline_kernelINS0_14default_configENS1_38merge_sort_block_merge_config_selectorIiNS0_10empty_typeEEEZZNS1_27merge_sort_block_merge_implIS3_N6thrust23THRUST_200600_302600_NS6detail15normal_iteratorINS9_10device_ptrIiEEEEPS5_jNS1_19radix_merge_compareILb0ELb1EiNS0_19identity_decomposerEEEEE10hipError_tT0_T1_T2_jT3_P12ihipStream_tbPNSt15iterator_traitsISK_E10value_typeEPNSQ_ISL_E10value_typeEPSM_NS1_7vsmem_tEENKUlT_SK_SL_SM_E_clISE_PiSF_SF_EESJ_SZ_SK_SL_SM_EUlSZ_E1_NS1_11comp_targetILNS1_3genE9ELNS1_11target_archE1100ELNS1_3gpuE3ELNS1_3repE0EEENS1_36merge_oddeven_config_static_selectorELNS0_4arch9wavefront6targetE1EEEvSL_
                                        ; -- End function
	.set _ZN7rocprim17ROCPRIM_400000_NS6detail17trampoline_kernelINS0_14default_configENS1_38merge_sort_block_merge_config_selectorIiNS0_10empty_typeEEEZZNS1_27merge_sort_block_merge_implIS3_N6thrust23THRUST_200600_302600_NS6detail15normal_iteratorINS9_10device_ptrIiEEEEPS5_jNS1_19radix_merge_compareILb0ELb1EiNS0_19identity_decomposerEEEEE10hipError_tT0_T1_T2_jT3_P12ihipStream_tbPNSt15iterator_traitsISK_E10value_typeEPNSQ_ISL_E10value_typeEPSM_NS1_7vsmem_tEENKUlT_SK_SL_SM_E_clISE_PiSF_SF_EESJ_SZ_SK_SL_SM_EUlSZ_E1_NS1_11comp_targetILNS1_3genE9ELNS1_11target_archE1100ELNS1_3gpuE3ELNS1_3repE0EEENS1_36merge_oddeven_config_static_selectorELNS0_4arch9wavefront6targetE1EEEvSL_.num_vgpr, 0
	.set _ZN7rocprim17ROCPRIM_400000_NS6detail17trampoline_kernelINS0_14default_configENS1_38merge_sort_block_merge_config_selectorIiNS0_10empty_typeEEEZZNS1_27merge_sort_block_merge_implIS3_N6thrust23THRUST_200600_302600_NS6detail15normal_iteratorINS9_10device_ptrIiEEEEPS5_jNS1_19radix_merge_compareILb0ELb1EiNS0_19identity_decomposerEEEEE10hipError_tT0_T1_T2_jT3_P12ihipStream_tbPNSt15iterator_traitsISK_E10value_typeEPNSQ_ISL_E10value_typeEPSM_NS1_7vsmem_tEENKUlT_SK_SL_SM_E_clISE_PiSF_SF_EESJ_SZ_SK_SL_SM_EUlSZ_E1_NS1_11comp_targetILNS1_3genE9ELNS1_11target_archE1100ELNS1_3gpuE3ELNS1_3repE0EEENS1_36merge_oddeven_config_static_selectorELNS0_4arch9wavefront6targetE1EEEvSL_.num_agpr, 0
	.set _ZN7rocprim17ROCPRIM_400000_NS6detail17trampoline_kernelINS0_14default_configENS1_38merge_sort_block_merge_config_selectorIiNS0_10empty_typeEEEZZNS1_27merge_sort_block_merge_implIS3_N6thrust23THRUST_200600_302600_NS6detail15normal_iteratorINS9_10device_ptrIiEEEEPS5_jNS1_19radix_merge_compareILb0ELb1EiNS0_19identity_decomposerEEEEE10hipError_tT0_T1_T2_jT3_P12ihipStream_tbPNSt15iterator_traitsISK_E10value_typeEPNSQ_ISL_E10value_typeEPSM_NS1_7vsmem_tEENKUlT_SK_SL_SM_E_clISE_PiSF_SF_EESJ_SZ_SK_SL_SM_EUlSZ_E1_NS1_11comp_targetILNS1_3genE9ELNS1_11target_archE1100ELNS1_3gpuE3ELNS1_3repE0EEENS1_36merge_oddeven_config_static_selectorELNS0_4arch9wavefront6targetE1EEEvSL_.numbered_sgpr, 0
	.set _ZN7rocprim17ROCPRIM_400000_NS6detail17trampoline_kernelINS0_14default_configENS1_38merge_sort_block_merge_config_selectorIiNS0_10empty_typeEEEZZNS1_27merge_sort_block_merge_implIS3_N6thrust23THRUST_200600_302600_NS6detail15normal_iteratorINS9_10device_ptrIiEEEEPS5_jNS1_19radix_merge_compareILb0ELb1EiNS0_19identity_decomposerEEEEE10hipError_tT0_T1_T2_jT3_P12ihipStream_tbPNSt15iterator_traitsISK_E10value_typeEPNSQ_ISL_E10value_typeEPSM_NS1_7vsmem_tEENKUlT_SK_SL_SM_E_clISE_PiSF_SF_EESJ_SZ_SK_SL_SM_EUlSZ_E1_NS1_11comp_targetILNS1_3genE9ELNS1_11target_archE1100ELNS1_3gpuE3ELNS1_3repE0EEENS1_36merge_oddeven_config_static_selectorELNS0_4arch9wavefront6targetE1EEEvSL_.num_named_barrier, 0
	.set _ZN7rocprim17ROCPRIM_400000_NS6detail17trampoline_kernelINS0_14default_configENS1_38merge_sort_block_merge_config_selectorIiNS0_10empty_typeEEEZZNS1_27merge_sort_block_merge_implIS3_N6thrust23THRUST_200600_302600_NS6detail15normal_iteratorINS9_10device_ptrIiEEEEPS5_jNS1_19radix_merge_compareILb0ELb1EiNS0_19identity_decomposerEEEEE10hipError_tT0_T1_T2_jT3_P12ihipStream_tbPNSt15iterator_traitsISK_E10value_typeEPNSQ_ISL_E10value_typeEPSM_NS1_7vsmem_tEENKUlT_SK_SL_SM_E_clISE_PiSF_SF_EESJ_SZ_SK_SL_SM_EUlSZ_E1_NS1_11comp_targetILNS1_3genE9ELNS1_11target_archE1100ELNS1_3gpuE3ELNS1_3repE0EEENS1_36merge_oddeven_config_static_selectorELNS0_4arch9wavefront6targetE1EEEvSL_.private_seg_size, 0
	.set _ZN7rocprim17ROCPRIM_400000_NS6detail17trampoline_kernelINS0_14default_configENS1_38merge_sort_block_merge_config_selectorIiNS0_10empty_typeEEEZZNS1_27merge_sort_block_merge_implIS3_N6thrust23THRUST_200600_302600_NS6detail15normal_iteratorINS9_10device_ptrIiEEEEPS5_jNS1_19radix_merge_compareILb0ELb1EiNS0_19identity_decomposerEEEEE10hipError_tT0_T1_T2_jT3_P12ihipStream_tbPNSt15iterator_traitsISK_E10value_typeEPNSQ_ISL_E10value_typeEPSM_NS1_7vsmem_tEENKUlT_SK_SL_SM_E_clISE_PiSF_SF_EESJ_SZ_SK_SL_SM_EUlSZ_E1_NS1_11comp_targetILNS1_3genE9ELNS1_11target_archE1100ELNS1_3gpuE3ELNS1_3repE0EEENS1_36merge_oddeven_config_static_selectorELNS0_4arch9wavefront6targetE1EEEvSL_.uses_vcc, 0
	.set _ZN7rocprim17ROCPRIM_400000_NS6detail17trampoline_kernelINS0_14default_configENS1_38merge_sort_block_merge_config_selectorIiNS0_10empty_typeEEEZZNS1_27merge_sort_block_merge_implIS3_N6thrust23THRUST_200600_302600_NS6detail15normal_iteratorINS9_10device_ptrIiEEEEPS5_jNS1_19radix_merge_compareILb0ELb1EiNS0_19identity_decomposerEEEEE10hipError_tT0_T1_T2_jT3_P12ihipStream_tbPNSt15iterator_traitsISK_E10value_typeEPNSQ_ISL_E10value_typeEPSM_NS1_7vsmem_tEENKUlT_SK_SL_SM_E_clISE_PiSF_SF_EESJ_SZ_SK_SL_SM_EUlSZ_E1_NS1_11comp_targetILNS1_3genE9ELNS1_11target_archE1100ELNS1_3gpuE3ELNS1_3repE0EEENS1_36merge_oddeven_config_static_selectorELNS0_4arch9wavefront6targetE1EEEvSL_.uses_flat_scratch, 0
	.set _ZN7rocprim17ROCPRIM_400000_NS6detail17trampoline_kernelINS0_14default_configENS1_38merge_sort_block_merge_config_selectorIiNS0_10empty_typeEEEZZNS1_27merge_sort_block_merge_implIS3_N6thrust23THRUST_200600_302600_NS6detail15normal_iteratorINS9_10device_ptrIiEEEEPS5_jNS1_19radix_merge_compareILb0ELb1EiNS0_19identity_decomposerEEEEE10hipError_tT0_T1_T2_jT3_P12ihipStream_tbPNSt15iterator_traitsISK_E10value_typeEPNSQ_ISL_E10value_typeEPSM_NS1_7vsmem_tEENKUlT_SK_SL_SM_E_clISE_PiSF_SF_EESJ_SZ_SK_SL_SM_EUlSZ_E1_NS1_11comp_targetILNS1_3genE9ELNS1_11target_archE1100ELNS1_3gpuE3ELNS1_3repE0EEENS1_36merge_oddeven_config_static_selectorELNS0_4arch9wavefront6targetE1EEEvSL_.has_dyn_sized_stack, 0
	.set _ZN7rocprim17ROCPRIM_400000_NS6detail17trampoline_kernelINS0_14default_configENS1_38merge_sort_block_merge_config_selectorIiNS0_10empty_typeEEEZZNS1_27merge_sort_block_merge_implIS3_N6thrust23THRUST_200600_302600_NS6detail15normal_iteratorINS9_10device_ptrIiEEEEPS5_jNS1_19radix_merge_compareILb0ELb1EiNS0_19identity_decomposerEEEEE10hipError_tT0_T1_T2_jT3_P12ihipStream_tbPNSt15iterator_traitsISK_E10value_typeEPNSQ_ISL_E10value_typeEPSM_NS1_7vsmem_tEENKUlT_SK_SL_SM_E_clISE_PiSF_SF_EESJ_SZ_SK_SL_SM_EUlSZ_E1_NS1_11comp_targetILNS1_3genE9ELNS1_11target_archE1100ELNS1_3gpuE3ELNS1_3repE0EEENS1_36merge_oddeven_config_static_selectorELNS0_4arch9wavefront6targetE1EEEvSL_.has_recursion, 0
	.set _ZN7rocprim17ROCPRIM_400000_NS6detail17trampoline_kernelINS0_14default_configENS1_38merge_sort_block_merge_config_selectorIiNS0_10empty_typeEEEZZNS1_27merge_sort_block_merge_implIS3_N6thrust23THRUST_200600_302600_NS6detail15normal_iteratorINS9_10device_ptrIiEEEEPS5_jNS1_19radix_merge_compareILb0ELb1EiNS0_19identity_decomposerEEEEE10hipError_tT0_T1_T2_jT3_P12ihipStream_tbPNSt15iterator_traitsISK_E10value_typeEPNSQ_ISL_E10value_typeEPSM_NS1_7vsmem_tEENKUlT_SK_SL_SM_E_clISE_PiSF_SF_EESJ_SZ_SK_SL_SM_EUlSZ_E1_NS1_11comp_targetILNS1_3genE9ELNS1_11target_archE1100ELNS1_3gpuE3ELNS1_3repE0EEENS1_36merge_oddeven_config_static_selectorELNS0_4arch9wavefront6targetE1EEEvSL_.has_indirect_call, 0
	.section	.AMDGPU.csdata,"",@progbits
; Kernel info:
; codeLenInByte = 0
; TotalNumSgprs: 6
; NumVgprs: 0
; NumAgprs: 0
; TotalNumVgprs: 0
; ScratchSize: 0
; MemoryBound: 0
; FloatMode: 240
; IeeeMode: 1
; LDSByteSize: 0 bytes/workgroup (compile time only)
; SGPRBlocks: 0
; VGPRBlocks: 0
; NumSGPRsForWavesPerEU: 6
; NumVGPRsForWavesPerEU: 1
; AccumOffset: 4
; Occupancy: 8
; WaveLimiterHint : 0
; COMPUTE_PGM_RSRC2:SCRATCH_EN: 0
; COMPUTE_PGM_RSRC2:USER_SGPR: 2
; COMPUTE_PGM_RSRC2:TRAP_HANDLER: 0
; COMPUTE_PGM_RSRC2:TGID_X_EN: 1
; COMPUTE_PGM_RSRC2:TGID_Y_EN: 0
; COMPUTE_PGM_RSRC2:TGID_Z_EN: 0
; COMPUTE_PGM_RSRC2:TIDIG_COMP_CNT: 0
; COMPUTE_PGM_RSRC3_GFX90A:ACCUM_OFFSET: 0
; COMPUTE_PGM_RSRC3_GFX90A:TG_SPLIT: 0
	.section	.text._ZN7rocprim17ROCPRIM_400000_NS6detail17trampoline_kernelINS0_14default_configENS1_38merge_sort_block_merge_config_selectorIiNS0_10empty_typeEEEZZNS1_27merge_sort_block_merge_implIS3_N6thrust23THRUST_200600_302600_NS6detail15normal_iteratorINS9_10device_ptrIiEEEEPS5_jNS1_19radix_merge_compareILb0ELb1EiNS0_19identity_decomposerEEEEE10hipError_tT0_T1_T2_jT3_P12ihipStream_tbPNSt15iterator_traitsISK_E10value_typeEPNSQ_ISL_E10value_typeEPSM_NS1_7vsmem_tEENKUlT_SK_SL_SM_E_clISE_PiSF_SF_EESJ_SZ_SK_SL_SM_EUlSZ_E1_NS1_11comp_targetILNS1_3genE8ELNS1_11target_archE1030ELNS1_3gpuE2ELNS1_3repE0EEENS1_36merge_oddeven_config_static_selectorELNS0_4arch9wavefront6targetE1EEEvSL_,"axG",@progbits,_ZN7rocprim17ROCPRIM_400000_NS6detail17trampoline_kernelINS0_14default_configENS1_38merge_sort_block_merge_config_selectorIiNS0_10empty_typeEEEZZNS1_27merge_sort_block_merge_implIS3_N6thrust23THRUST_200600_302600_NS6detail15normal_iteratorINS9_10device_ptrIiEEEEPS5_jNS1_19radix_merge_compareILb0ELb1EiNS0_19identity_decomposerEEEEE10hipError_tT0_T1_T2_jT3_P12ihipStream_tbPNSt15iterator_traitsISK_E10value_typeEPNSQ_ISL_E10value_typeEPSM_NS1_7vsmem_tEENKUlT_SK_SL_SM_E_clISE_PiSF_SF_EESJ_SZ_SK_SL_SM_EUlSZ_E1_NS1_11comp_targetILNS1_3genE8ELNS1_11target_archE1030ELNS1_3gpuE2ELNS1_3repE0EEENS1_36merge_oddeven_config_static_selectorELNS0_4arch9wavefront6targetE1EEEvSL_,comdat
	.protected	_ZN7rocprim17ROCPRIM_400000_NS6detail17trampoline_kernelINS0_14default_configENS1_38merge_sort_block_merge_config_selectorIiNS0_10empty_typeEEEZZNS1_27merge_sort_block_merge_implIS3_N6thrust23THRUST_200600_302600_NS6detail15normal_iteratorINS9_10device_ptrIiEEEEPS5_jNS1_19radix_merge_compareILb0ELb1EiNS0_19identity_decomposerEEEEE10hipError_tT0_T1_T2_jT3_P12ihipStream_tbPNSt15iterator_traitsISK_E10value_typeEPNSQ_ISL_E10value_typeEPSM_NS1_7vsmem_tEENKUlT_SK_SL_SM_E_clISE_PiSF_SF_EESJ_SZ_SK_SL_SM_EUlSZ_E1_NS1_11comp_targetILNS1_3genE8ELNS1_11target_archE1030ELNS1_3gpuE2ELNS1_3repE0EEENS1_36merge_oddeven_config_static_selectorELNS0_4arch9wavefront6targetE1EEEvSL_ ; -- Begin function _ZN7rocprim17ROCPRIM_400000_NS6detail17trampoline_kernelINS0_14default_configENS1_38merge_sort_block_merge_config_selectorIiNS0_10empty_typeEEEZZNS1_27merge_sort_block_merge_implIS3_N6thrust23THRUST_200600_302600_NS6detail15normal_iteratorINS9_10device_ptrIiEEEEPS5_jNS1_19radix_merge_compareILb0ELb1EiNS0_19identity_decomposerEEEEE10hipError_tT0_T1_T2_jT3_P12ihipStream_tbPNSt15iterator_traitsISK_E10value_typeEPNSQ_ISL_E10value_typeEPSM_NS1_7vsmem_tEENKUlT_SK_SL_SM_E_clISE_PiSF_SF_EESJ_SZ_SK_SL_SM_EUlSZ_E1_NS1_11comp_targetILNS1_3genE8ELNS1_11target_archE1030ELNS1_3gpuE2ELNS1_3repE0EEENS1_36merge_oddeven_config_static_selectorELNS0_4arch9wavefront6targetE1EEEvSL_
	.globl	_ZN7rocprim17ROCPRIM_400000_NS6detail17trampoline_kernelINS0_14default_configENS1_38merge_sort_block_merge_config_selectorIiNS0_10empty_typeEEEZZNS1_27merge_sort_block_merge_implIS3_N6thrust23THRUST_200600_302600_NS6detail15normal_iteratorINS9_10device_ptrIiEEEEPS5_jNS1_19radix_merge_compareILb0ELb1EiNS0_19identity_decomposerEEEEE10hipError_tT0_T1_T2_jT3_P12ihipStream_tbPNSt15iterator_traitsISK_E10value_typeEPNSQ_ISL_E10value_typeEPSM_NS1_7vsmem_tEENKUlT_SK_SL_SM_E_clISE_PiSF_SF_EESJ_SZ_SK_SL_SM_EUlSZ_E1_NS1_11comp_targetILNS1_3genE8ELNS1_11target_archE1030ELNS1_3gpuE2ELNS1_3repE0EEENS1_36merge_oddeven_config_static_selectorELNS0_4arch9wavefront6targetE1EEEvSL_
	.p2align	8
	.type	_ZN7rocprim17ROCPRIM_400000_NS6detail17trampoline_kernelINS0_14default_configENS1_38merge_sort_block_merge_config_selectorIiNS0_10empty_typeEEEZZNS1_27merge_sort_block_merge_implIS3_N6thrust23THRUST_200600_302600_NS6detail15normal_iteratorINS9_10device_ptrIiEEEEPS5_jNS1_19radix_merge_compareILb0ELb1EiNS0_19identity_decomposerEEEEE10hipError_tT0_T1_T2_jT3_P12ihipStream_tbPNSt15iterator_traitsISK_E10value_typeEPNSQ_ISL_E10value_typeEPSM_NS1_7vsmem_tEENKUlT_SK_SL_SM_E_clISE_PiSF_SF_EESJ_SZ_SK_SL_SM_EUlSZ_E1_NS1_11comp_targetILNS1_3genE8ELNS1_11target_archE1030ELNS1_3gpuE2ELNS1_3repE0EEENS1_36merge_oddeven_config_static_selectorELNS0_4arch9wavefront6targetE1EEEvSL_,@function
_ZN7rocprim17ROCPRIM_400000_NS6detail17trampoline_kernelINS0_14default_configENS1_38merge_sort_block_merge_config_selectorIiNS0_10empty_typeEEEZZNS1_27merge_sort_block_merge_implIS3_N6thrust23THRUST_200600_302600_NS6detail15normal_iteratorINS9_10device_ptrIiEEEEPS5_jNS1_19radix_merge_compareILb0ELb1EiNS0_19identity_decomposerEEEEE10hipError_tT0_T1_T2_jT3_P12ihipStream_tbPNSt15iterator_traitsISK_E10value_typeEPNSQ_ISL_E10value_typeEPSM_NS1_7vsmem_tEENKUlT_SK_SL_SM_E_clISE_PiSF_SF_EESJ_SZ_SK_SL_SM_EUlSZ_E1_NS1_11comp_targetILNS1_3genE8ELNS1_11target_archE1030ELNS1_3gpuE2ELNS1_3repE0EEENS1_36merge_oddeven_config_static_selectorELNS0_4arch9wavefront6targetE1EEEvSL_: ; @_ZN7rocprim17ROCPRIM_400000_NS6detail17trampoline_kernelINS0_14default_configENS1_38merge_sort_block_merge_config_selectorIiNS0_10empty_typeEEEZZNS1_27merge_sort_block_merge_implIS3_N6thrust23THRUST_200600_302600_NS6detail15normal_iteratorINS9_10device_ptrIiEEEEPS5_jNS1_19radix_merge_compareILb0ELb1EiNS0_19identity_decomposerEEEEE10hipError_tT0_T1_T2_jT3_P12ihipStream_tbPNSt15iterator_traitsISK_E10value_typeEPNSQ_ISL_E10value_typeEPSM_NS1_7vsmem_tEENKUlT_SK_SL_SM_E_clISE_PiSF_SF_EESJ_SZ_SK_SL_SM_EUlSZ_E1_NS1_11comp_targetILNS1_3genE8ELNS1_11target_archE1030ELNS1_3gpuE2ELNS1_3repE0EEENS1_36merge_oddeven_config_static_selectorELNS0_4arch9wavefront6targetE1EEEvSL_
; %bb.0:
	.section	.rodata,"a",@progbits
	.p2align	6, 0x0
	.amdhsa_kernel _ZN7rocprim17ROCPRIM_400000_NS6detail17trampoline_kernelINS0_14default_configENS1_38merge_sort_block_merge_config_selectorIiNS0_10empty_typeEEEZZNS1_27merge_sort_block_merge_implIS3_N6thrust23THRUST_200600_302600_NS6detail15normal_iteratorINS9_10device_ptrIiEEEEPS5_jNS1_19radix_merge_compareILb0ELb1EiNS0_19identity_decomposerEEEEE10hipError_tT0_T1_T2_jT3_P12ihipStream_tbPNSt15iterator_traitsISK_E10value_typeEPNSQ_ISL_E10value_typeEPSM_NS1_7vsmem_tEENKUlT_SK_SL_SM_E_clISE_PiSF_SF_EESJ_SZ_SK_SL_SM_EUlSZ_E1_NS1_11comp_targetILNS1_3genE8ELNS1_11target_archE1030ELNS1_3gpuE2ELNS1_3repE0EEENS1_36merge_oddeven_config_static_selectorELNS0_4arch9wavefront6targetE1EEEvSL_
		.amdhsa_group_segment_fixed_size 0
		.amdhsa_private_segment_fixed_size 0
		.amdhsa_kernarg_size 48
		.amdhsa_user_sgpr_count 2
		.amdhsa_user_sgpr_dispatch_ptr 0
		.amdhsa_user_sgpr_queue_ptr 0
		.amdhsa_user_sgpr_kernarg_segment_ptr 1
		.amdhsa_user_sgpr_dispatch_id 0
		.amdhsa_user_sgpr_kernarg_preload_length 0
		.amdhsa_user_sgpr_kernarg_preload_offset 0
		.amdhsa_user_sgpr_private_segment_size 0
		.amdhsa_uses_dynamic_stack 0
		.amdhsa_enable_private_segment 0
		.amdhsa_system_sgpr_workgroup_id_x 1
		.amdhsa_system_sgpr_workgroup_id_y 0
		.amdhsa_system_sgpr_workgroup_id_z 0
		.amdhsa_system_sgpr_workgroup_info 0
		.amdhsa_system_vgpr_workitem_id 0
		.amdhsa_next_free_vgpr 1
		.amdhsa_next_free_sgpr 0
		.amdhsa_accum_offset 4
		.amdhsa_reserve_vcc 0
		.amdhsa_float_round_mode_32 0
		.amdhsa_float_round_mode_16_64 0
		.amdhsa_float_denorm_mode_32 3
		.amdhsa_float_denorm_mode_16_64 3
		.amdhsa_dx10_clamp 1
		.amdhsa_ieee_mode 1
		.amdhsa_fp16_overflow 0
		.amdhsa_tg_split 0
		.amdhsa_exception_fp_ieee_invalid_op 0
		.amdhsa_exception_fp_denorm_src 0
		.amdhsa_exception_fp_ieee_div_zero 0
		.amdhsa_exception_fp_ieee_overflow 0
		.amdhsa_exception_fp_ieee_underflow 0
		.amdhsa_exception_fp_ieee_inexact 0
		.amdhsa_exception_int_div_zero 0
	.end_amdhsa_kernel
	.section	.text._ZN7rocprim17ROCPRIM_400000_NS6detail17trampoline_kernelINS0_14default_configENS1_38merge_sort_block_merge_config_selectorIiNS0_10empty_typeEEEZZNS1_27merge_sort_block_merge_implIS3_N6thrust23THRUST_200600_302600_NS6detail15normal_iteratorINS9_10device_ptrIiEEEEPS5_jNS1_19radix_merge_compareILb0ELb1EiNS0_19identity_decomposerEEEEE10hipError_tT0_T1_T2_jT3_P12ihipStream_tbPNSt15iterator_traitsISK_E10value_typeEPNSQ_ISL_E10value_typeEPSM_NS1_7vsmem_tEENKUlT_SK_SL_SM_E_clISE_PiSF_SF_EESJ_SZ_SK_SL_SM_EUlSZ_E1_NS1_11comp_targetILNS1_3genE8ELNS1_11target_archE1030ELNS1_3gpuE2ELNS1_3repE0EEENS1_36merge_oddeven_config_static_selectorELNS0_4arch9wavefront6targetE1EEEvSL_,"axG",@progbits,_ZN7rocprim17ROCPRIM_400000_NS6detail17trampoline_kernelINS0_14default_configENS1_38merge_sort_block_merge_config_selectorIiNS0_10empty_typeEEEZZNS1_27merge_sort_block_merge_implIS3_N6thrust23THRUST_200600_302600_NS6detail15normal_iteratorINS9_10device_ptrIiEEEEPS5_jNS1_19radix_merge_compareILb0ELb1EiNS0_19identity_decomposerEEEEE10hipError_tT0_T1_T2_jT3_P12ihipStream_tbPNSt15iterator_traitsISK_E10value_typeEPNSQ_ISL_E10value_typeEPSM_NS1_7vsmem_tEENKUlT_SK_SL_SM_E_clISE_PiSF_SF_EESJ_SZ_SK_SL_SM_EUlSZ_E1_NS1_11comp_targetILNS1_3genE8ELNS1_11target_archE1030ELNS1_3gpuE2ELNS1_3repE0EEENS1_36merge_oddeven_config_static_selectorELNS0_4arch9wavefront6targetE1EEEvSL_,comdat
.Lfunc_end131:
	.size	_ZN7rocprim17ROCPRIM_400000_NS6detail17trampoline_kernelINS0_14default_configENS1_38merge_sort_block_merge_config_selectorIiNS0_10empty_typeEEEZZNS1_27merge_sort_block_merge_implIS3_N6thrust23THRUST_200600_302600_NS6detail15normal_iteratorINS9_10device_ptrIiEEEEPS5_jNS1_19radix_merge_compareILb0ELb1EiNS0_19identity_decomposerEEEEE10hipError_tT0_T1_T2_jT3_P12ihipStream_tbPNSt15iterator_traitsISK_E10value_typeEPNSQ_ISL_E10value_typeEPSM_NS1_7vsmem_tEENKUlT_SK_SL_SM_E_clISE_PiSF_SF_EESJ_SZ_SK_SL_SM_EUlSZ_E1_NS1_11comp_targetILNS1_3genE8ELNS1_11target_archE1030ELNS1_3gpuE2ELNS1_3repE0EEENS1_36merge_oddeven_config_static_selectorELNS0_4arch9wavefront6targetE1EEEvSL_, .Lfunc_end131-_ZN7rocprim17ROCPRIM_400000_NS6detail17trampoline_kernelINS0_14default_configENS1_38merge_sort_block_merge_config_selectorIiNS0_10empty_typeEEEZZNS1_27merge_sort_block_merge_implIS3_N6thrust23THRUST_200600_302600_NS6detail15normal_iteratorINS9_10device_ptrIiEEEEPS5_jNS1_19radix_merge_compareILb0ELb1EiNS0_19identity_decomposerEEEEE10hipError_tT0_T1_T2_jT3_P12ihipStream_tbPNSt15iterator_traitsISK_E10value_typeEPNSQ_ISL_E10value_typeEPSM_NS1_7vsmem_tEENKUlT_SK_SL_SM_E_clISE_PiSF_SF_EESJ_SZ_SK_SL_SM_EUlSZ_E1_NS1_11comp_targetILNS1_3genE8ELNS1_11target_archE1030ELNS1_3gpuE2ELNS1_3repE0EEENS1_36merge_oddeven_config_static_selectorELNS0_4arch9wavefront6targetE1EEEvSL_
                                        ; -- End function
	.set _ZN7rocprim17ROCPRIM_400000_NS6detail17trampoline_kernelINS0_14default_configENS1_38merge_sort_block_merge_config_selectorIiNS0_10empty_typeEEEZZNS1_27merge_sort_block_merge_implIS3_N6thrust23THRUST_200600_302600_NS6detail15normal_iteratorINS9_10device_ptrIiEEEEPS5_jNS1_19radix_merge_compareILb0ELb1EiNS0_19identity_decomposerEEEEE10hipError_tT0_T1_T2_jT3_P12ihipStream_tbPNSt15iterator_traitsISK_E10value_typeEPNSQ_ISL_E10value_typeEPSM_NS1_7vsmem_tEENKUlT_SK_SL_SM_E_clISE_PiSF_SF_EESJ_SZ_SK_SL_SM_EUlSZ_E1_NS1_11comp_targetILNS1_3genE8ELNS1_11target_archE1030ELNS1_3gpuE2ELNS1_3repE0EEENS1_36merge_oddeven_config_static_selectorELNS0_4arch9wavefront6targetE1EEEvSL_.num_vgpr, 0
	.set _ZN7rocprim17ROCPRIM_400000_NS6detail17trampoline_kernelINS0_14default_configENS1_38merge_sort_block_merge_config_selectorIiNS0_10empty_typeEEEZZNS1_27merge_sort_block_merge_implIS3_N6thrust23THRUST_200600_302600_NS6detail15normal_iteratorINS9_10device_ptrIiEEEEPS5_jNS1_19radix_merge_compareILb0ELb1EiNS0_19identity_decomposerEEEEE10hipError_tT0_T1_T2_jT3_P12ihipStream_tbPNSt15iterator_traitsISK_E10value_typeEPNSQ_ISL_E10value_typeEPSM_NS1_7vsmem_tEENKUlT_SK_SL_SM_E_clISE_PiSF_SF_EESJ_SZ_SK_SL_SM_EUlSZ_E1_NS1_11comp_targetILNS1_3genE8ELNS1_11target_archE1030ELNS1_3gpuE2ELNS1_3repE0EEENS1_36merge_oddeven_config_static_selectorELNS0_4arch9wavefront6targetE1EEEvSL_.num_agpr, 0
	.set _ZN7rocprim17ROCPRIM_400000_NS6detail17trampoline_kernelINS0_14default_configENS1_38merge_sort_block_merge_config_selectorIiNS0_10empty_typeEEEZZNS1_27merge_sort_block_merge_implIS3_N6thrust23THRUST_200600_302600_NS6detail15normal_iteratorINS9_10device_ptrIiEEEEPS5_jNS1_19radix_merge_compareILb0ELb1EiNS0_19identity_decomposerEEEEE10hipError_tT0_T1_T2_jT3_P12ihipStream_tbPNSt15iterator_traitsISK_E10value_typeEPNSQ_ISL_E10value_typeEPSM_NS1_7vsmem_tEENKUlT_SK_SL_SM_E_clISE_PiSF_SF_EESJ_SZ_SK_SL_SM_EUlSZ_E1_NS1_11comp_targetILNS1_3genE8ELNS1_11target_archE1030ELNS1_3gpuE2ELNS1_3repE0EEENS1_36merge_oddeven_config_static_selectorELNS0_4arch9wavefront6targetE1EEEvSL_.numbered_sgpr, 0
	.set _ZN7rocprim17ROCPRIM_400000_NS6detail17trampoline_kernelINS0_14default_configENS1_38merge_sort_block_merge_config_selectorIiNS0_10empty_typeEEEZZNS1_27merge_sort_block_merge_implIS3_N6thrust23THRUST_200600_302600_NS6detail15normal_iteratorINS9_10device_ptrIiEEEEPS5_jNS1_19radix_merge_compareILb0ELb1EiNS0_19identity_decomposerEEEEE10hipError_tT0_T1_T2_jT3_P12ihipStream_tbPNSt15iterator_traitsISK_E10value_typeEPNSQ_ISL_E10value_typeEPSM_NS1_7vsmem_tEENKUlT_SK_SL_SM_E_clISE_PiSF_SF_EESJ_SZ_SK_SL_SM_EUlSZ_E1_NS1_11comp_targetILNS1_3genE8ELNS1_11target_archE1030ELNS1_3gpuE2ELNS1_3repE0EEENS1_36merge_oddeven_config_static_selectorELNS0_4arch9wavefront6targetE1EEEvSL_.num_named_barrier, 0
	.set _ZN7rocprim17ROCPRIM_400000_NS6detail17trampoline_kernelINS0_14default_configENS1_38merge_sort_block_merge_config_selectorIiNS0_10empty_typeEEEZZNS1_27merge_sort_block_merge_implIS3_N6thrust23THRUST_200600_302600_NS6detail15normal_iteratorINS9_10device_ptrIiEEEEPS5_jNS1_19radix_merge_compareILb0ELb1EiNS0_19identity_decomposerEEEEE10hipError_tT0_T1_T2_jT3_P12ihipStream_tbPNSt15iterator_traitsISK_E10value_typeEPNSQ_ISL_E10value_typeEPSM_NS1_7vsmem_tEENKUlT_SK_SL_SM_E_clISE_PiSF_SF_EESJ_SZ_SK_SL_SM_EUlSZ_E1_NS1_11comp_targetILNS1_3genE8ELNS1_11target_archE1030ELNS1_3gpuE2ELNS1_3repE0EEENS1_36merge_oddeven_config_static_selectorELNS0_4arch9wavefront6targetE1EEEvSL_.private_seg_size, 0
	.set _ZN7rocprim17ROCPRIM_400000_NS6detail17trampoline_kernelINS0_14default_configENS1_38merge_sort_block_merge_config_selectorIiNS0_10empty_typeEEEZZNS1_27merge_sort_block_merge_implIS3_N6thrust23THRUST_200600_302600_NS6detail15normal_iteratorINS9_10device_ptrIiEEEEPS5_jNS1_19radix_merge_compareILb0ELb1EiNS0_19identity_decomposerEEEEE10hipError_tT0_T1_T2_jT3_P12ihipStream_tbPNSt15iterator_traitsISK_E10value_typeEPNSQ_ISL_E10value_typeEPSM_NS1_7vsmem_tEENKUlT_SK_SL_SM_E_clISE_PiSF_SF_EESJ_SZ_SK_SL_SM_EUlSZ_E1_NS1_11comp_targetILNS1_3genE8ELNS1_11target_archE1030ELNS1_3gpuE2ELNS1_3repE0EEENS1_36merge_oddeven_config_static_selectorELNS0_4arch9wavefront6targetE1EEEvSL_.uses_vcc, 0
	.set _ZN7rocprim17ROCPRIM_400000_NS6detail17trampoline_kernelINS0_14default_configENS1_38merge_sort_block_merge_config_selectorIiNS0_10empty_typeEEEZZNS1_27merge_sort_block_merge_implIS3_N6thrust23THRUST_200600_302600_NS6detail15normal_iteratorINS9_10device_ptrIiEEEEPS5_jNS1_19radix_merge_compareILb0ELb1EiNS0_19identity_decomposerEEEEE10hipError_tT0_T1_T2_jT3_P12ihipStream_tbPNSt15iterator_traitsISK_E10value_typeEPNSQ_ISL_E10value_typeEPSM_NS1_7vsmem_tEENKUlT_SK_SL_SM_E_clISE_PiSF_SF_EESJ_SZ_SK_SL_SM_EUlSZ_E1_NS1_11comp_targetILNS1_3genE8ELNS1_11target_archE1030ELNS1_3gpuE2ELNS1_3repE0EEENS1_36merge_oddeven_config_static_selectorELNS0_4arch9wavefront6targetE1EEEvSL_.uses_flat_scratch, 0
	.set _ZN7rocprim17ROCPRIM_400000_NS6detail17trampoline_kernelINS0_14default_configENS1_38merge_sort_block_merge_config_selectorIiNS0_10empty_typeEEEZZNS1_27merge_sort_block_merge_implIS3_N6thrust23THRUST_200600_302600_NS6detail15normal_iteratorINS9_10device_ptrIiEEEEPS5_jNS1_19radix_merge_compareILb0ELb1EiNS0_19identity_decomposerEEEEE10hipError_tT0_T1_T2_jT3_P12ihipStream_tbPNSt15iterator_traitsISK_E10value_typeEPNSQ_ISL_E10value_typeEPSM_NS1_7vsmem_tEENKUlT_SK_SL_SM_E_clISE_PiSF_SF_EESJ_SZ_SK_SL_SM_EUlSZ_E1_NS1_11comp_targetILNS1_3genE8ELNS1_11target_archE1030ELNS1_3gpuE2ELNS1_3repE0EEENS1_36merge_oddeven_config_static_selectorELNS0_4arch9wavefront6targetE1EEEvSL_.has_dyn_sized_stack, 0
	.set _ZN7rocprim17ROCPRIM_400000_NS6detail17trampoline_kernelINS0_14default_configENS1_38merge_sort_block_merge_config_selectorIiNS0_10empty_typeEEEZZNS1_27merge_sort_block_merge_implIS3_N6thrust23THRUST_200600_302600_NS6detail15normal_iteratorINS9_10device_ptrIiEEEEPS5_jNS1_19radix_merge_compareILb0ELb1EiNS0_19identity_decomposerEEEEE10hipError_tT0_T1_T2_jT3_P12ihipStream_tbPNSt15iterator_traitsISK_E10value_typeEPNSQ_ISL_E10value_typeEPSM_NS1_7vsmem_tEENKUlT_SK_SL_SM_E_clISE_PiSF_SF_EESJ_SZ_SK_SL_SM_EUlSZ_E1_NS1_11comp_targetILNS1_3genE8ELNS1_11target_archE1030ELNS1_3gpuE2ELNS1_3repE0EEENS1_36merge_oddeven_config_static_selectorELNS0_4arch9wavefront6targetE1EEEvSL_.has_recursion, 0
	.set _ZN7rocprim17ROCPRIM_400000_NS6detail17trampoline_kernelINS0_14default_configENS1_38merge_sort_block_merge_config_selectorIiNS0_10empty_typeEEEZZNS1_27merge_sort_block_merge_implIS3_N6thrust23THRUST_200600_302600_NS6detail15normal_iteratorINS9_10device_ptrIiEEEEPS5_jNS1_19radix_merge_compareILb0ELb1EiNS0_19identity_decomposerEEEEE10hipError_tT0_T1_T2_jT3_P12ihipStream_tbPNSt15iterator_traitsISK_E10value_typeEPNSQ_ISL_E10value_typeEPSM_NS1_7vsmem_tEENKUlT_SK_SL_SM_E_clISE_PiSF_SF_EESJ_SZ_SK_SL_SM_EUlSZ_E1_NS1_11comp_targetILNS1_3genE8ELNS1_11target_archE1030ELNS1_3gpuE2ELNS1_3repE0EEENS1_36merge_oddeven_config_static_selectorELNS0_4arch9wavefront6targetE1EEEvSL_.has_indirect_call, 0
	.section	.AMDGPU.csdata,"",@progbits
; Kernel info:
; codeLenInByte = 0
; TotalNumSgprs: 6
; NumVgprs: 0
; NumAgprs: 0
; TotalNumVgprs: 0
; ScratchSize: 0
; MemoryBound: 0
; FloatMode: 240
; IeeeMode: 1
; LDSByteSize: 0 bytes/workgroup (compile time only)
; SGPRBlocks: 0
; VGPRBlocks: 0
; NumSGPRsForWavesPerEU: 6
; NumVGPRsForWavesPerEU: 1
; AccumOffset: 4
; Occupancy: 8
; WaveLimiterHint : 0
; COMPUTE_PGM_RSRC2:SCRATCH_EN: 0
; COMPUTE_PGM_RSRC2:USER_SGPR: 2
; COMPUTE_PGM_RSRC2:TRAP_HANDLER: 0
; COMPUTE_PGM_RSRC2:TGID_X_EN: 1
; COMPUTE_PGM_RSRC2:TGID_Y_EN: 0
; COMPUTE_PGM_RSRC2:TGID_Z_EN: 0
; COMPUTE_PGM_RSRC2:TIDIG_COMP_CNT: 0
; COMPUTE_PGM_RSRC3_GFX90A:ACCUM_OFFSET: 0
; COMPUTE_PGM_RSRC3_GFX90A:TG_SPLIT: 0
	.section	.text._ZN7rocprim17ROCPRIM_400000_NS6detail17trampoline_kernelINS0_14default_configENS1_35radix_sort_onesweep_config_selectorIiNS0_10empty_typeEEEZNS1_34radix_sort_onesweep_global_offsetsIS3_Lb0EN6thrust23THRUST_200600_302600_NS6detail15normal_iteratorINS9_10device_ptrIiEEEEPS5_jNS0_19identity_decomposerEEE10hipError_tT1_T2_PT3_SK_jT4_jjP12ihipStream_tbEUlT_E_NS1_11comp_targetILNS1_3genE0ELNS1_11target_archE4294967295ELNS1_3gpuE0ELNS1_3repE0EEENS1_52radix_sort_onesweep_histogram_config_static_selectorELNS0_4arch9wavefront6targetE1EEEvSI_,"axG",@progbits,_ZN7rocprim17ROCPRIM_400000_NS6detail17trampoline_kernelINS0_14default_configENS1_35radix_sort_onesweep_config_selectorIiNS0_10empty_typeEEEZNS1_34radix_sort_onesweep_global_offsetsIS3_Lb0EN6thrust23THRUST_200600_302600_NS6detail15normal_iteratorINS9_10device_ptrIiEEEEPS5_jNS0_19identity_decomposerEEE10hipError_tT1_T2_PT3_SK_jT4_jjP12ihipStream_tbEUlT_E_NS1_11comp_targetILNS1_3genE0ELNS1_11target_archE4294967295ELNS1_3gpuE0ELNS1_3repE0EEENS1_52radix_sort_onesweep_histogram_config_static_selectorELNS0_4arch9wavefront6targetE1EEEvSI_,comdat
	.protected	_ZN7rocprim17ROCPRIM_400000_NS6detail17trampoline_kernelINS0_14default_configENS1_35radix_sort_onesweep_config_selectorIiNS0_10empty_typeEEEZNS1_34radix_sort_onesweep_global_offsetsIS3_Lb0EN6thrust23THRUST_200600_302600_NS6detail15normal_iteratorINS9_10device_ptrIiEEEEPS5_jNS0_19identity_decomposerEEE10hipError_tT1_T2_PT3_SK_jT4_jjP12ihipStream_tbEUlT_E_NS1_11comp_targetILNS1_3genE0ELNS1_11target_archE4294967295ELNS1_3gpuE0ELNS1_3repE0EEENS1_52radix_sort_onesweep_histogram_config_static_selectorELNS0_4arch9wavefront6targetE1EEEvSI_ ; -- Begin function _ZN7rocprim17ROCPRIM_400000_NS6detail17trampoline_kernelINS0_14default_configENS1_35radix_sort_onesweep_config_selectorIiNS0_10empty_typeEEEZNS1_34radix_sort_onesweep_global_offsetsIS3_Lb0EN6thrust23THRUST_200600_302600_NS6detail15normal_iteratorINS9_10device_ptrIiEEEEPS5_jNS0_19identity_decomposerEEE10hipError_tT1_T2_PT3_SK_jT4_jjP12ihipStream_tbEUlT_E_NS1_11comp_targetILNS1_3genE0ELNS1_11target_archE4294967295ELNS1_3gpuE0ELNS1_3repE0EEENS1_52radix_sort_onesweep_histogram_config_static_selectorELNS0_4arch9wavefront6targetE1EEEvSI_
	.globl	_ZN7rocprim17ROCPRIM_400000_NS6detail17trampoline_kernelINS0_14default_configENS1_35radix_sort_onesweep_config_selectorIiNS0_10empty_typeEEEZNS1_34radix_sort_onesweep_global_offsetsIS3_Lb0EN6thrust23THRUST_200600_302600_NS6detail15normal_iteratorINS9_10device_ptrIiEEEEPS5_jNS0_19identity_decomposerEEE10hipError_tT1_T2_PT3_SK_jT4_jjP12ihipStream_tbEUlT_E_NS1_11comp_targetILNS1_3genE0ELNS1_11target_archE4294967295ELNS1_3gpuE0ELNS1_3repE0EEENS1_52radix_sort_onesweep_histogram_config_static_selectorELNS0_4arch9wavefront6targetE1EEEvSI_
	.p2align	8
	.type	_ZN7rocprim17ROCPRIM_400000_NS6detail17trampoline_kernelINS0_14default_configENS1_35radix_sort_onesweep_config_selectorIiNS0_10empty_typeEEEZNS1_34radix_sort_onesweep_global_offsetsIS3_Lb0EN6thrust23THRUST_200600_302600_NS6detail15normal_iteratorINS9_10device_ptrIiEEEEPS5_jNS0_19identity_decomposerEEE10hipError_tT1_T2_PT3_SK_jT4_jjP12ihipStream_tbEUlT_E_NS1_11comp_targetILNS1_3genE0ELNS1_11target_archE4294967295ELNS1_3gpuE0ELNS1_3repE0EEENS1_52radix_sort_onesweep_histogram_config_static_selectorELNS0_4arch9wavefront6targetE1EEEvSI_,@function
_ZN7rocprim17ROCPRIM_400000_NS6detail17trampoline_kernelINS0_14default_configENS1_35radix_sort_onesweep_config_selectorIiNS0_10empty_typeEEEZNS1_34radix_sort_onesweep_global_offsetsIS3_Lb0EN6thrust23THRUST_200600_302600_NS6detail15normal_iteratorINS9_10device_ptrIiEEEEPS5_jNS0_19identity_decomposerEEE10hipError_tT1_T2_PT3_SK_jT4_jjP12ihipStream_tbEUlT_E_NS1_11comp_targetILNS1_3genE0ELNS1_11target_archE4294967295ELNS1_3gpuE0ELNS1_3repE0EEENS1_52radix_sort_onesweep_histogram_config_static_selectorELNS0_4arch9wavefront6targetE1EEEvSI_: ; @_ZN7rocprim17ROCPRIM_400000_NS6detail17trampoline_kernelINS0_14default_configENS1_35radix_sort_onesweep_config_selectorIiNS0_10empty_typeEEEZNS1_34radix_sort_onesweep_global_offsetsIS3_Lb0EN6thrust23THRUST_200600_302600_NS6detail15normal_iteratorINS9_10device_ptrIiEEEEPS5_jNS0_19identity_decomposerEEE10hipError_tT1_T2_PT3_SK_jT4_jjP12ihipStream_tbEUlT_E_NS1_11comp_targetILNS1_3genE0ELNS1_11target_archE4294967295ELNS1_3gpuE0ELNS1_3repE0EEENS1_52radix_sort_onesweep_histogram_config_static_selectorELNS0_4arch9wavefront6targetE1EEEvSI_
; %bb.0:
	.section	.rodata,"a",@progbits
	.p2align	6, 0x0
	.amdhsa_kernel _ZN7rocprim17ROCPRIM_400000_NS6detail17trampoline_kernelINS0_14default_configENS1_35radix_sort_onesweep_config_selectorIiNS0_10empty_typeEEEZNS1_34radix_sort_onesweep_global_offsetsIS3_Lb0EN6thrust23THRUST_200600_302600_NS6detail15normal_iteratorINS9_10device_ptrIiEEEEPS5_jNS0_19identity_decomposerEEE10hipError_tT1_T2_PT3_SK_jT4_jjP12ihipStream_tbEUlT_E_NS1_11comp_targetILNS1_3genE0ELNS1_11target_archE4294967295ELNS1_3gpuE0ELNS1_3repE0EEENS1_52radix_sort_onesweep_histogram_config_static_selectorELNS0_4arch9wavefront6targetE1EEEvSI_
		.amdhsa_group_segment_fixed_size 0
		.amdhsa_private_segment_fixed_size 0
		.amdhsa_kernarg_size 40
		.amdhsa_user_sgpr_count 2
		.amdhsa_user_sgpr_dispatch_ptr 0
		.amdhsa_user_sgpr_queue_ptr 0
		.amdhsa_user_sgpr_kernarg_segment_ptr 1
		.amdhsa_user_sgpr_dispatch_id 0
		.amdhsa_user_sgpr_kernarg_preload_length 0
		.amdhsa_user_sgpr_kernarg_preload_offset 0
		.amdhsa_user_sgpr_private_segment_size 0
		.amdhsa_uses_dynamic_stack 0
		.amdhsa_enable_private_segment 0
		.amdhsa_system_sgpr_workgroup_id_x 1
		.amdhsa_system_sgpr_workgroup_id_y 0
		.amdhsa_system_sgpr_workgroup_id_z 0
		.amdhsa_system_sgpr_workgroup_info 0
		.amdhsa_system_vgpr_workitem_id 0
		.amdhsa_next_free_vgpr 1
		.amdhsa_next_free_sgpr 0
		.amdhsa_accum_offset 4
		.amdhsa_reserve_vcc 0
		.amdhsa_float_round_mode_32 0
		.amdhsa_float_round_mode_16_64 0
		.amdhsa_float_denorm_mode_32 3
		.amdhsa_float_denorm_mode_16_64 3
		.amdhsa_dx10_clamp 1
		.amdhsa_ieee_mode 1
		.amdhsa_fp16_overflow 0
		.amdhsa_tg_split 0
		.amdhsa_exception_fp_ieee_invalid_op 0
		.amdhsa_exception_fp_denorm_src 0
		.amdhsa_exception_fp_ieee_div_zero 0
		.amdhsa_exception_fp_ieee_overflow 0
		.amdhsa_exception_fp_ieee_underflow 0
		.amdhsa_exception_fp_ieee_inexact 0
		.amdhsa_exception_int_div_zero 0
	.end_amdhsa_kernel
	.section	.text._ZN7rocprim17ROCPRIM_400000_NS6detail17trampoline_kernelINS0_14default_configENS1_35radix_sort_onesweep_config_selectorIiNS0_10empty_typeEEEZNS1_34radix_sort_onesweep_global_offsetsIS3_Lb0EN6thrust23THRUST_200600_302600_NS6detail15normal_iteratorINS9_10device_ptrIiEEEEPS5_jNS0_19identity_decomposerEEE10hipError_tT1_T2_PT3_SK_jT4_jjP12ihipStream_tbEUlT_E_NS1_11comp_targetILNS1_3genE0ELNS1_11target_archE4294967295ELNS1_3gpuE0ELNS1_3repE0EEENS1_52radix_sort_onesweep_histogram_config_static_selectorELNS0_4arch9wavefront6targetE1EEEvSI_,"axG",@progbits,_ZN7rocprim17ROCPRIM_400000_NS6detail17trampoline_kernelINS0_14default_configENS1_35radix_sort_onesweep_config_selectorIiNS0_10empty_typeEEEZNS1_34radix_sort_onesweep_global_offsetsIS3_Lb0EN6thrust23THRUST_200600_302600_NS6detail15normal_iteratorINS9_10device_ptrIiEEEEPS5_jNS0_19identity_decomposerEEE10hipError_tT1_T2_PT3_SK_jT4_jjP12ihipStream_tbEUlT_E_NS1_11comp_targetILNS1_3genE0ELNS1_11target_archE4294967295ELNS1_3gpuE0ELNS1_3repE0EEENS1_52radix_sort_onesweep_histogram_config_static_selectorELNS0_4arch9wavefront6targetE1EEEvSI_,comdat
.Lfunc_end132:
	.size	_ZN7rocprim17ROCPRIM_400000_NS6detail17trampoline_kernelINS0_14default_configENS1_35radix_sort_onesweep_config_selectorIiNS0_10empty_typeEEEZNS1_34radix_sort_onesweep_global_offsetsIS3_Lb0EN6thrust23THRUST_200600_302600_NS6detail15normal_iteratorINS9_10device_ptrIiEEEEPS5_jNS0_19identity_decomposerEEE10hipError_tT1_T2_PT3_SK_jT4_jjP12ihipStream_tbEUlT_E_NS1_11comp_targetILNS1_3genE0ELNS1_11target_archE4294967295ELNS1_3gpuE0ELNS1_3repE0EEENS1_52radix_sort_onesweep_histogram_config_static_selectorELNS0_4arch9wavefront6targetE1EEEvSI_, .Lfunc_end132-_ZN7rocprim17ROCPRIM_400000_NS6detail17trampoline_kernelINS0_14default_configENS1_35radix_sort_onesweep_config_selectorIiNS0_10empty_typeEEEZNS1_34radix_sort_onesweep_global_offsetsIS3_Lb0EN6thrust23THRUST_200600_302600_NS6detail15normal_iteratorINS9_10device_ptrIiEEEEPS5_jNS0_19identity_decomposerEEE10hipError_tT1_T2_PT3_SK_jT4_jjP12ihipStream_tbEUlT_E_NS1_11comp_targetILNS1_3genE0ELNS1_11target_archE4294967295ELNS1_3gpuE0ELNS1_3repE0EEENS1_52radix_sort_onesweep_histogram_config_static_selectorELNS0_4arch9wavefront6targetE1EEEvSI_
                                        ; -- End function
	.set _ZN7rocprim17ROCPRIM_400000_NS6detail17trampoline_kernelINS0_14default_configENS1_35radix_sort_onesweep_config_selectorIiNS0_10empty_typeEEEZNS1_34radix_sort_onesweep_global_offsetsIS3_Lb0EN6thrust23THRUST_200600_302600_NS6detail15normal_iteratorINS9_10device_ptrIiEEEEPS5_jNS0_19identity_decomposerEEE10hipError_tT1_T2_PT3_SK_jT4_jjP12ihipStream_tbEUlT_E_NS1_11comp_targetILNS1_3genE0ELNS1_11target_archE4294967295ELNS1_3gpuE0ELNS1_3repE0EEENS1_52radix_sort_onesweep_histogram_config_static_selectorELNS0_4arch9wavefront6targetE1EEEvSI_.num_vgpr, 0
	.set _ZN7rocprim17ROCPRIM_400000_NS6detail17trampoline_kernelINS0_14default_configENS1_35radix_sort_onesweep_config_selectorIiNS0_10empty_typeEEEZNS1_34radix_sort_onesweep_global_offsetsIS3_Lb0EN6thrust23THRUST_200600_302600_NS6detail15normal_iteratorINS9_10device_ptrIiEEEEPS5_jNS0_19identity_decomposerEEE10hipError_tT1_T2_PT3_SK_jT4_jjP12ihipStream_tbEUlT_E_NS1_11comp_targetILNS1_3genE0ELNS1_11target_archE4294967295ELNS1_3gpuE0ELNS1_3repE0EEENS1_52radix_sort_onesweep_histogram_config_static_selectorELNS0_4arch9wavefront6targetE1EEEvSI_.num_agpr, 0
	.set _ZN7rocprim17ROCPRIM_400000_NS6detail17trampoline_kernelINS0_14default_configENS1_35radix_sort_onesweep_config_selectorIiNS0_10empty_typeEEEZNS1_34radix_sort_onesweep_global_offsetsIS3_Lb0EN6thrust23THRUST_200600_302600_NS6detail15normal_iteratorINS9_10device_ptrIiEEEEPS5_jNS0_19identity_decomposerEEE10hipError_tT1_T2_PT3_SK_jT4_jjP12ihipStream_tbEUlT_E_NS1_11comp_targetILNS1_3genE0ELNS1_11target_archE4294967295ELNS1_3gpuE0ELNS1_3repE0EEENS1_52radix_sort_onesweep_histogram_config_static_selectorELNS0_4arch9wavefront6targetE1EEEvSI_.numbered_sgpr, 0
	.set _ZN7rocprim17ROCPRIM_400000_NS6detail17trampoline_kernelINS0_14default_configENS1_35radix_sort_onesweep_config_selectorIiNS0_10empty_typeEEEZNS1_34radix_sort_onesweep_global_offsetsIS3_Lb0EN6thrust23THRUST_200600_302600_NS6detail15normal_iteratorINS9_10device_ptrIiEEEEPS5_jNS0_19identity_decomposerEEE10hipError_tT1_T2_PT3_SK_jT4_jjP12ihipStream_tbEUlT_E_NS1_11comp_targetILNS1_3genE0ELNS1_11target_archE4294967295ELNS1_3gpuE0ELNS1_3repE0EEENS1_52radix_sort_onesweep_histogram_config_static_selectorELNS0_4arch9wavefront6targetE1EEEvSI_.num_named_barrier, 0
	.set _ZN7rocprim17ROCPRIM_400000_NS6detail17trampoline_kernelINS0_14default_configENS1_35radix_sort_onesweep_config_selectorIiNS0_10empty_typeEEEZNS1_34radix_sort_onesweep_global_offsetsIS3_Lb0EN6thrust23THRUST_200600_302600_NS6detail15normal_iteratorINS9_10device_ptrIiEEEEPS5_jNS0_19identity_decomposerEEE10hipError_tT1_T2_PT3_SK_jT4_jjP12ihipStream_tbEUlT_E_NS1_11comp_targetILNS1_3genE0ELNS1_11target_archE4294967295ELNS1_3gpuE0ELNS1_3repE0EEENS1_52radix_sort_onesweep_histogram_config_static_selectorELNS0_4arch9wavefront6targetE1EEEvSI_.private_seg_size, 0
	.set _ZN7rocprim17ROCPRIM_400000_NS6detail17trampoline_kernelINS0_14default_configENS1_35radix_sort_onesweep_config_selectorIiNS0_10empty_typeEEEZNS1_34radix_sort_onesweep_global_offsetsIS3_Lb0EN6thrust23THRUST_200600_302600_NS6detail15normal_iteratorINS9_10device_ptrIiEEEEPS5_jNS0_19identity_decomposerEEE10hipError_tT1_T2_PT3_SK_jT4_jjP12ihipStream_tbEUlT_E_NS1_11comp_targetILNS1_3genE0ELNS1_11target_archE4294967295ELNS1_3gpuE0ELNS1_3repE0EEENS1_52radix_sort_onesweep_histogram_config_static_selectorELNS0_4arch9wavefront6targetE1EEEvSI_.uses_vcc, 0
	.set _ZN7rocprim17ROCPRIM_400000_NS6detail17trampoline_kernelINS0_14default_configENS1_35radix_sort_onesweep_config_selectorIiNS0_10empty_typeEEEZNS1_34radix_sort_onesweep_global_offsetsIS3_Lb0EN6thrust23THRUST_200600_302600_NS6detail15normal_iteratorINS9_10device_ptrIiEEEEPS5_jNS0_19identity_decomposerEEE10hipError_tT1_T2_PT3_SK_jT4_jjP12ihipStream_tbEUlT_E_NS1_11comp_targetILNS1_3genE0ELNS1_11target_archE4294967295ELNS1_3gpuE0ELNS1_3repE0EEENS1_52radix_sort_onesweep_histogram_config_static_selectorELNS0_4arch9wavefront6targetE1EEEvSI_.uses_flat_scratch, 0
	.set _ZN7rocprim17ROCPRIM_400000_NS6detail17trampoline_kernelINS0_14default_configENS1_35radix_sort_onesweep_config_selectorIiNS0_10empty_typeEEEZNS1_34radix_sort_onesweep_global_offsetsIS3_Lb0EN6thrust23THRUST_200600_302600_NS6detail15normal_iteratorINS9_10device_ptrIiEEEEPS5_jNS0_19identity_decomposerEEE10hipError_tT1_T2_PT3_SK_jT4_jjP12ihipStream_tbEUlT_E_NS1_11comp_targetILNS1_3genE0ELNS1_11target_archE4294967295ELNS1_3gpuE0ELNS1_3repE0EEENS1_52radix_sort_onesweep_histogram_config_static_selectorELNS0_4arch9wavefront6targetE1EEEvSI_.has_dyn_sized_stack, 0
	.set _ZN7rocprim17ROCPRIM_400000_NS6detail17trampoline_kernelINS0_14default_configENS1_35radix_sort_onesweep_config_selectorIiNS0_10empty_typeEEEZNS1_34radix_sort_onesweep_global_offsetsIS3_Lb0EN6thrust23THRUST_200600_302600_NS6detail15normal_iteratorINS9_10device_ptrIiEEEEPS5_jNS0_19identity_decomposerEEE10hipError_tT1_T2_PT3_SK_jT4_jjP12ihipStream_tbEUlT_E_NS1_11comp_targetILNS1_3genE0ELNS1_11target_archE4294967295ELNS1_3gpuE0ELNS1_3repE0EEENS1_52radix_sort_onesweep_histogram_config_static_selectorELNS0_4arch9wavefront6targetE1EEEvSI_.has_recursion, 0
	.set _ZN7rocprim17ROCPRIM_400000_NS6detail17trampoline_kernelINS0_14default_configENS1_35radix_sort_onesweep_config_selectorIiNS0_10empty_typeEEEZNS1_34radix_sort_onesweep_global_offsetsIS3_Lb0EN6thrust23THRUST_200600_302600_NS6detail15normal_iteratorINS9_10device_ptrIiEEEEPS5_jNS0_19identity_decomposerEEE10hipError_tT1_T2_PT3_SK_jT4_jjP12ihipStream_tbEUlT_E_NS1_11comp_targetILNS1_3genE0ELNS1_11target_archE4294967295ELNS1_3gpuE0ELNS1_3repE0EEENS1_52radix_sort_onesweep_histogram_config_static_selectorELNS0_4arch9wavefront6targetE1EEEvSI_.has_indirect_call, 0
	.section	.AMDGPU.csdata,"",@progbits
; Kernel info:
; codeLenInByte = 0
; TotalNumSgprs: 6
; NumVgprs: 0
; NumAgprs: 0
; TotalNumVgprs: 0
; ScratchSize: 0
; MemoryBound: 0
; FloatMode: 240
; IeeeMode: 1
; LDSByteSize: 0 bytes/workgroup (compile time only)
; SGPRBlocks: 0
; VGPRBlocks: 0
; NumSGPRsForWavesPerEU: 6
; NumVGPRsForWavesPerEU: 1
; AccumOffset: 4
; Occupancy: 8
; WaveLimiterHint : 0
; COMPUTE_PGM_RSRC2:SCRATCH_EN: 0
; COMPUTE_PGM_RSRC2:USER_SGPR: 2
; COMPUTE_PGM_RSRC2:TRAP_HANDLER: 0
; COMPUTE_PGM_RSRC2:TGID_X_EN: 1
; COMPUTE_PGM_RSRC2:TGID_Y_EN: 0
; COMPUTE_PGM_RSRC2:TGID_Z_EN: 0
; COMPUTE_PGM_RSRC2:TIDIG_COMP_CNT: 0
; COMPUTE_PGM_RSRC3_GFX90A:ACCUM_OFFSET: 0
; COMPUTE_PGM_RSRC3_GFX90A:TG_SPLIT: 0
	.section	.text._ZN7rocprim17ROCPRIM_400000_NS6detail17trampoline_kernelINS0_14default_configENS1_35radix_sort_onesweep_config_selectorIiNS0_10empty_typeEEEZNS1_34radix_sort_onesweep_global_offsetsIS3_Lb0EN6thrust23THRUST_200600_302600_NS6detail15normal_iteratorINS9_10device_ptrIiEEEEPS5_jNS0_19identity_decomposerEEE10hipError_tT1_T2_PT3_SK_jT4_jjP12ihipStream_tbEUlT_E_NS1_11comp_targetILNS1_3genE6ELNS1_11target_archE950ELNS1_3gpuE13ELNS1_3repE0EEENS1_52radix_sort_onesweep_histogram_config_static_selectorELNS0_4arch9wavefront6targetE1EEEvSI_,"axG",@progbits,_ZN7rocprim17ROCPRIM_400000_NS6detail17trampoline_kernelINS0_14default_configENS1_35radix_sort_onesweep_config_selectorIiNS0_10empty_typeEEEZNS1_34radix_sort_onesweep_global_offsetsIS3_Lb0EN6thrust23THRUST_200600_302600_NS6detail15normal_iteratorINS9_10device_ptrIiEEEEPS5_jNS0_19identity_decomposerEEE10hipError_tT1_T2_PT3_SK_jT4_jjP12ihipStream_tbEUlT_E_NS1_11comp_targetILNS1_3genE6ELNS1_11target_archE950ELNS1_3gpuE13ELNS1_3repE0EEENS1_52radix_sort_onesweep_histogram_config_static_selectorELNS0_4arch9wavefront6targetE1EEEvSI_,comdat
	.protected	_ZN7rocprim17ROCPRIM_400000_NS6detail17trampoline_kernelINS0_14default_configENS1_35radix_sort_onesweep_config_selectorIiNS0_10empty_typeEEEZNS1_34radix_sort_onesweep_global_offsetsIS3_Lb0EN6thrust23THRUST_200600_302600_NS6detail15normal_iteratorINS9_10device_ptrIiEEEEPS5_jNS0_19identity_decomposerEEE10hipError_tT1_T2_PT3_SK_jT4_jjP12ihipStream_tbEUlT_E_NS1_11comp_targetILNS1_3genE6ELNS1_11target_archE950ELNS1_3gpuE13ELNS1_3repE0EEENS1_52radix_sort_onesweep_histogram_config_static_selectorELNS0_4arch9wavefront6targetE1EEEvSI_ ; -- Begin function _ZN7rocprim17ROCPRIM_400000_NS6detail17trampoline_kernelINS0_14default_configENS1_35radix_sort_onesweep_config_selectorIiNS0_10empty_typeEEEZNS1_34radix_sort_onesweep_global_offsetsIS3_Lb0EN6thrust23THRUST_200600_302600_NS6detail15normal_iteratorINS9_10device_ptrIiEEEEPS5_jNS0_19identity_decomposerEEE10hipError_tT1_T2_PT3_SK_jT4_jjP12ihipStream_tbEUlT_E_NS1_11comp_targetILNS1_3genE6ELNS1_11target_archE950ELNS1_3gpuE13ELNS1_3repE0EEENS1_52radix_sort_onesweep_histogram_config_static_selectorELNS0_4arch9wavefront6targetE1EEEvSI_
	.globl	_ZN7rocprim17ROCPRIM_400000_NS6detail17trampoline_kernelINS0_14default_configENS1_35radix_sort_onesweep_config_selectorIiNS0_10empty_typeEEEZNS1_34radix_sort_onesweep_global_offsetsIS3_Lb0EN6thrust23THRUST_200600_302600_NS6detail15normal_iteratorINS9_10device_ptrIiEEEEPS5_jNS0_19identity_decomposerEEE10hipError_tT1_T2_PT3_SK_jT4_jjP12ihipStream_tbEUlT_E_NS1_11comp_targetILNS1_3genE6ELNS1_11target_archE950ELNS1_3gpuE13ELNS1_3repE0EEENS1_52radix_sort_onesweep_histogram_config_static_selectorELNS0_4arch9wavefront6targetE1EEEvSI_
	.p2align	8
	.type	_ZN7rocprim17ROCPRIM_400000_NS6detail17trampoline_kernelINS0_14default_configENS1_35radix_sort_onesweep_config_selectorIiNS0_10empty_typeEEEZNS1_34radix_sort_onesweep_global_offsetsIS3_Lb0EN6thrust23THRUST_200600_302600_NS6detail15normal_iteratorINS9_10device_ptrIiEEEEPS5_jNS0_19identity_decomposerEEE10hipError_tT1_T2_PT3_SK_jT4_jjP12ihipStream_tbEUlT_E_NS1_11comp_targetILNS1_3genE6ELNS1_11target_archE950ELNS1_3gpuE13ELNS1_3repE0EEENS1_52radix_sort_onesweep_histogram_config_static_selectorELNS0_4arch9wavefront6targetE1EEEvSI_,@function
_ZN7rocprim17ROCPRIM_400000_NS6detail17trampoline_kernelINS0_14default_configENS1_35radix_sort_onesweep_config_selectorIiNS0_10empty_typeEEEZNS1_34radix_sort_onesweep_global_offsetsIS3_Lb0EN6thrust23THRUST_200600_302600_NS6detail15normal_iteratorINS9_10device_ptrIiEEEEPS5_jNS0_19identity_decomposerEEE10hipError_tT1_T2_PT3_SK_jT4_jjP12ihipStream_tbEUlT_E_NS1_11comp_targetILNS1_3genE6ELNS1_11target_archE950ELNS1_3gpuE13ELNS1_3repE0EEENS1_52radix_sort_onesweep_histogram_config_static_selectorELNS0_4arch9wavefront6targetE1EEEvSI_: ; @_ZN7rocprim17ROCPRIM_400000_NS6detail17trampoline_kernelINS0_14default_configENS1_35radix_sort_onesweep_config_selectorIiNS0_10empty_typeEEEZNS1_34radix_sort_onesweep_global_offsetsIS3_Lb0EN6thrust23THRUST_200600_302600_NS6detail15normal_iteratorINS9_10device_ptrIiEEEEPS5_jNS0_19identity_decomposerEEE10hipError_tT1_T2_PT3_SK_jT4_jjP12ihipStream_tbEUlT_E_NS1_11comp_targetILNS1_3genE6ELNS1_11target_archE950ELNS1_3gpuE13ELNS1_3repE0EEENS1_52radix_sort_onesweep_histogram_config_static_selectorELNS0_4arch9wavefront6targetE1EEEvSI_
; %bb.0:
	s_load_dword s11, s[0:1], 0x14
	s_load_dwordx4 s[4:7], s[0:1], 0x0
	s_load_dwordx2 s[8:9], s[0:1], 0x1c
	s_lshl_b32 s10, s2, 13
	s_waitcnt lgkmcnt(0)
	s_cmp_ge_u32 s2, s11
	s_mov_b64 s[2:3], -1
	s_cbranch_scc0 .LBB133_159
; %bb.1:
	s_load_dword s2, s[0:1], 0x10
	s_lshl_b32 s3, s11, 13
	s_mov_b32 s11, 0
	s_lshl_b64 s[0:1], s[10:11], 2
	v_mov_b32_e32 v2, 0
	s_waitcnt lgkmcnt(0)
	s_sub_i32 s11, s2, s3
	s_add_u32 s0, s4, s0
	v_cmp_gt_u32_e32 vcc, s11, v0
	s_addc_u32 s1, s5, s1
	v_mov_b32_e32 v3, v2
	v_mov_b32_e32 v4, v2
	v_mov_b32_e32 v5, v2
	v_mov_b32_e32 v6, v2
	v_mov_b32_e32 v7, v2
	v_mov_b32_e32 v8, v2
	v_mov_b32_e32 v9, v2
	s_and_saveexec_b64 s[2:3], vcc
	s_cbranch_execz .LBB133_3
; %bb.2:
	v_lshlrev_b32_e32 v1, 2, v0
	global_load_dword v4, v1, s[0:1]
	v_mov_b32_e32 v5, v2
	v_mov_b32_e32 v6, v2
	;; [unrolled: 1-line block ×7, first 2 shown]
	s_waitcnt vmcnt(0)
	v_mov_b64_e32 v[2:3], v[4:5]
	v_mov_b64_e32 v[4:5], v[6:7]
	;; [unrolled: 1-line block ×4, first 2 shown]
.LBB133_3:
	s_or_b64 exec, exec, s[2:3]
	v_or_b32_e32 v17, 0x400, v0
	v_cmp_gt_u32_e32 vcc, s11, v17
	s_and_saveexec_b64 s[2:3], vcc
	s_cbranch_execz .LBB133_5
; %bb.4:
	v_lshlrev_b32_e32 v1, 2, v17
	global_load_dword v3, v1, s[0:1]
.LBB133_5:
	s_or_b64 exec, exec, s[2:3]
	v_or_b32_e32 v16, 0x800, v0
	v_cmp_gt_u32_e32 vcc, s11, v16
	s_and_saveexec_b64 s[2:3], vcc
	s_cbranch_execz .LBB133_7
; %bb.6:
	v_lshlrev_b32_e32 v1, 2, v16
	global_load_dword v4, v1, s[0:1]
.LBB133_7:
	;; [unrolled: 9-line block ×7, first 2 shown]
	s_or_b64 exec, exec, s[2:3]
	s_cmp_le_u32 s9, s8
	s_cselect_b64 s[2:3], -1, 0
	s_and_b64 s[0:1], s[2:3], exec
	v_lshlrev_b32_e32 v1, 2, v0
	v_mov_b32_e32 v18, 0
	v_cmp_le_u32_e32 vcc, s11, v0
	s_cselect_b32 s18, 8, 10
	v_and_b32_e32 v10, 3, v0
	ds_write2st64_b32 v1, v18, v18 offset1:16
	ds_write2st64_b32 v1, v18, v18 offset0:32 offset1:48
	v_xor_b32_e32 v2, 0x80000000, v2
	s_nor_b64 s[12:13], s[2:3], vcc
	v_mov_b32_e32 v18, s18
	s_waitcnt lgkmcnt(0)
	s_barrier
	s_and_saveexec_b64 s[0:1], s[12:13]
	s_cbranch_execz .LBB133_19
; %bb.18:
	s_sub_i32 s12, s9, s8
	s_min_u32 s12, s12, 8
	v_lshrrev_b32_e32 v18, s8, v2
	v_bfe_u32 v18, v18, 0, s12
	v_lshlrev_b32_e32 v19, 2, v10
	v_lshl_or_b32 v18, v18, 4, v19
	v_mov_b32_e32 v19, 1
	ds_add_u32 v18, v19
	v_mov_b32_e32 v18, 0
.LBB133_19:
	s_or_b64 exec, exec, s[0:1]
	v_cmp_gt_i32_e64 s[0:1], 10, v18
	s_mov_b64 s[14:15], -1
	s_and_saveexec_b64 s[12:13], s[0:1]
; %bb.20:
	v_cmp_eq_u32_e64 s[0:1], 0, v18
	s_orn2_b64 s[14:15], s[0:1], exec
; %bb.21:
	s_or_b64 exec, exec, s[12:13]
	s_and_saveexec_b64 s[12:13], s[14:15]
	s_cbranch_execz .LBB133_34
; %bb.22:
	s_add_i32 s14, s8, 8
	s_cmp_le_u32 s9, s14
	s_cselect_b64 s[0:1], -1, 0
	s_and_b64 s[16:17], s[0:1], exec
	s_cselect_b32 s15, 8, 10
	s_nor_b64 s[16:17], s[0:1], vcc
	v_mov_b32_e32 v18, s15
	s_and_saveexec_b64 s[0:1], s[16:17]
	s_cbranch_execz .LBB133_24
; %bb.23:
	s_sub_i32 s15, s9, s14
	s_min_u32 s15, s15, 8
	v_lshrrev_b32_e32 v18, s14, v2
	v_bfe_u32 v18, v18, 0, s15
	v_lshlrev_b32_e32 v19, 2, v10
	v_lshl_or_b32 v18, v18, 4, v19
	v_mov_b32_e32 v19, 1
	ds_add_u32 v18, v19 offset:4096
	v_mov_b32_e32 v18, 0
.LBB133_24:
	s_or_b64 exec, exec, s[0:1]
	v_cmp_gt_i32_e64 s[0:1], 10, v18
	s_mov_b64 s[14:15], -1
	s_and_saveexec_b64 s[16:17], s[0:1]
; %bb.25:
	v_cmp_eq_u32_e64 s[0:1], 0, v18
	s_orn2_b64 s[14:15], s[0:1], exec
; %bb.26:
	s_or_b64 exec, exec, s[16:17]
	s_and_b64 exec, exec, s[14:15]
	s_cbranch_execz .LBB133_34
; %bb.27:
	s_add_i32 s14, s8, 16
	s_cmp_le_u32 s9, s14
	s_cselect_b64 s[0:1], -1, 0
	s_and_b64 s[16:17], s[0:1], exec
	s_cselect_b32 s15, 8, 10
	s_nor_b64 s[16:17], s[0:1], vcc
	v_mov_b32_e32 v18, s15
	s_and_saveexec_b64 s[0:1], s[16:17]
	s_cbranch_execz .LBB133_29
; %bb.28:
	s_sub_i32 s15, s9, s14
	s_min_u32 s15, s15, 8
	v_lshrrev_b32_e32 v18, s14, v2
	v_bfe_u32 v18, v18, 0, s15
	v_lshlrev_b32_e32 v19, 2, v10
	v_lshl_or_b32 v18, v18, 4, v19
	v_mov_b32_e32 v19, 1
	ds_add_u32 v18, v19 offset:8192
	v_mov_b32_e32 v18, 0
.LBB133_29:
	s_or_b64 exec, exec, s[0:1]
	v_cmp_gt_i32_e64 s[0:1], 10, v18
	s_mov_b64 s[14:15], -1
	s_and_saveexec_b64 s[16:17], s[0:1]
; %bb.30:
	v_cmp_eq_u32_e64 s[0:1], 0, v18
	s_orn2_b64 s[14:15], s[0:1], exec
; %bb.31:
	s_or_b64 exec, exec, s[16:17]
	s_and_b64 exec, exec, s[14:15]
	s_cbranch_execz .LBB133_34
; %bb.32:
	s_add_i32 s0, s8, 24
	s_cmp_gt_u32 s9, s0
	s_cselect_b64 s[14:15], -1, 0
	s_xor_b64 s[16:17], vcc, -1
	s_and_b64 s[14:15], s[14:15], s[16:17]
	s_and_b64 exec, exec, s[14:15]
	s_cbranch_execz .LBB133_34
; %bb.33:
	s_sub_i32 s1, s9, s0
	s_min_u32 s1, s1, 8
	v_lshrrev_b32_e32 v2, s0, v2
	v_bfe_u32 v2, v2, 0, s1
	v_lshlrev_b32_e32 v18, 2, v10
	v_lshl_or_b32 v2, v2, 4, v18
	v_mov_b32_e32 v18, 1
	ds_add_u32 v2, v18 offset:12288
.LBB133_34:
	s_or_b64 exec, exec, s[12:13]
	v_cmp_le_u32_e32 vcc, s11, v17
	s_waitcnt vmcnt(0)
	v_xor_b32_e32 v2, 0x80000000, v3
	s_nor_b64 s[12:13], s[2:3], vcc
	v_mov_b32_e32 v3, s18
	s_and_saveexec_b64 s[0:1], s[12:13]
	s_cbranch_execz .LBB133_36
; %bb.35:
	s_sub_i32 s12, s9, s8
	s_min_u32 s12, s12, 8
	v_lshrrev_b32_e32 v3, s8, v2
	v_bfe_u32 v3, v3, 0, s12
	v_lshlrev_b32_e32 v17, 2, v10
	v_lshl_or_b32 v3, v3, 4, v17
	v_mov_b32_e32 v17, 1
	ds_add_u32 v3, v17
	v_mov_b32_e32 v3, 0
.LBB133_36:
	s_or_b64 exec, exec, s[0:1]
	v_cmp_gt_i32_e64 s[0:1], 10, v3
	s_mov_b64 s[14:15], -1
	s_and_saveexec_b64 s[12:13], s[0:1]
; %bb.37:
	v_cmp_eq_u32_e64 s[0:1], 0, v3
	s_orn2_b64 s[14:15], s[0:1], exec
; %bb.38:
	s_or_b64 exec, exec, s[12:13]
	s_and_saveexec_b64 s[12:13], s[14:15]
	s_cbranch_execz .LBB133_51
; %bb.39:
	s_add_i32 s14, s8, 8
	s_cmp_le_u32 s9, s14
	s_cselect_b64 s[0:1], -1, 0
	s_and_b64 s[16:17], s[0:1], exec
	s_cselect_b32 s15, 8, 10
	s_nor_b64 s[16:17], s[0:1], vcc
	v_mov_b32_e32 v3, s15
	s_and_saveexec_b64 s[0:1], s[16:17]
	s_cbranch_execz .LBB133_41
; %bb.40:
	s_sub_i32 s15, s9, s14
	s_min_u32 s15, s15, 8
	v_lshrrev_b32_e32 v3, s14, v2
	v_bfe_u32 v3, v3, 0, s15
	v_lshlrev_b32_e32 v17, 2, v10
	v_lshl_or_b32 v3, v3, 4, v17
	v_mov_b32_e32 v17, 1
	ds_add_u32 v3, v17 offset:4096
	v_mov_b32_e32 v3, 0
.LBB133_41:
	s_or_b64 exec, exec, s[0:1]
	v_cmp_gt_i32_e64 s[0:1], 10, v3
	s_mov_b64 s[14:15], -1
	s_and_saveexec_b64 s[16:17], s[0:1]
; %bb.42:
	v_cmp_eq_u32_e64 s[0:1], 0, v3
	s_orn2_b64 s[14:15], s[0:1], exec
; %bb.43:
	s_or_b64 exec, exec, s[16:17]
	s_and_b64 exec, exec, s[14:15]
	s_cbranch_execz .LBB133_51
; %bb.44:
	s_add_i32 s14, s8, 16
	s_cmp_le_u32 s9, s14
	s_cselect_b64 s[0:1], -1, 0
	s_and_b64 s[16:17], s[0:1], exec
	s_cselect_b32 s15, 8, 10
	s_nor_b64 s[16:17], s[0:1], vcc
	v_mov_b32_e32 v3, s15
	s_and_saveexec_b64 s[0:1], s[16:17]
	s_cbranch_execz .LBB133_46
; %bb.45:
	s_sub_i32 s15, s9, s14
	s_min_u32 s15, s15, 8
	v_lshrrev_b32_e32 v3, s14, v2
	v_bfe_u32 v3, v3, 0, s15
	v_lshlrev_b32_e32 v17, 2, v10
	v_lshl_or_b32 v3, v3, 4, v17
	v_mov_b32_e32 v17, 1
	ds_add_u32 v3, v17 offset:8192
	v_mov_b32_e32 v3, 0
.LBB133_46:
	s_or_b64 exec, exec, s[0:1]
	v_cmp_gt_i32_e64 s[0:1], 10, v3
	s_mov_b64 s[14:15], -1
	s_and_saveexec_b64 s[16:17], s[0:1]
; %bb.47:
	v_cmp_eq_u32_e64 s[0:1], 0, v3
	s_orn2_b64 s[14:15], s[0:1], exec
; %bb.48:
	s_or_b64 exec, exec, s[16:17]
	s_and_b64 exec, exec, s[14:15]
	s_cbranch_execz .LBB133_51
; %bb.49:
	s_add_i32 s0, s8, 24
	s_cmp_gt_u32 s9, s0
	s_cselect_b64 s[14:15], -1, 0
	s_xor_b64 s[16:17], vcc, -1
	s_and_b64 s[14:15], s[14:15], s[16:17]
	s_and_b64 exec, exec, s[14:15]
	s_cbranch_execz .LBB133_51
; %bb.50:
	s_sub_i32 s1, s9, s0
	s_min_u32 s1, s1, 8
	v_lshrrev_b32_e32 v2, s0, v2
	v_bfe_u32 v2, v2, 0, s1
	v_lshlrev_b32_e32 v3, 2, v10
	v_lshl_or_b32 v2, v2, 4, v3
	v_mov_b32_e32 v3, 1
	ds_add_u32 v2, v3 offset:12288
.LBB133_51:
	s_or_b64 exec, exec, s[12:13]
	v_cmp_le_u32_e32 vcc, s11, v16
	v_xor_b32_e32 v2, 0x80000000, v4
	s_nor_b64 s[12:13], s[2:3], vcc
	v_mov_b32_e32 v3, s18
	s_and_saveexec_b64 s[0:1], s[12:13]
	s_cbranch_execz .LBB133_53
; %bb.52:
	s_sub_i32 s12, s9, s8
	s_min_u32 s12, s12, 8
	v_lshrrev_b32_e32 v3, s8, v2
	v_bfe_u32 v3, v3, 0, s12
	v_lshlrev_b32_e32 v4, 2, v10
	v_lshl_or_b32 v3, v3, 4, v4
	v_mov_b32_e32 v4, 1
	ds_add_u32 v3, v4
	v_mov_b32_e32 v3, 0
.LBB133_53:
	s_or_b64 exec, exec, s[0:1]
	v_cmp_gt_i32_e64 s[0:1], 10, v3
	s_mov_b64 s[14:15], -1
	s_and_saveexec_b64 s[12:13], s[0:1]
; %bb.54:
	v_cmp_eq_u32_e64 s[0:1], 0, v3
	s_orn2_b64 s[14:15], s[0:1], exec
; %bb.55:
	s_or_b64 exec, exec, s[12:13]
	s_and_saveexec_b64 s[12:13], s[14:15]
	s_cbranch_execz .LBB133_68
; %bb.56:
	s_add_i32 s14, s8, 8
	s_cmp_le_u32 s9, s14
	s_cselect_b64 s[0:1], -1, 0
	s_and_b64 s[16:17], s[0:1], exec
	s_cselect_b32 s15, 8, 10
	s_nor_b64 s[16:17], s[0:1], vcc
	v_mov_b32_e32 v3, s15
	s_and_saveexec_b64 s[0:1], s[16:17]
	s_cbranch_execz .LBB133_58
; %bb.57:
	s_sub_i32 s15, s9, s14
	s_min_u32 s15, s15, 8
	v_lshrrev_b32_e32 v3, s14, v2
	v_bfe_u32 v3, v3, 0, s15
	v_lshlrev_b32_e32 v4, 2, v10
	v_lshl_or_b32 v3, v3, 4, v4
	v_mov_b32_e32 v4, 1
	ds_add_u32 v3, v4 offset:4096
	v_mov_b32_e32 v3, 0
.LBB133_58:
	s_or_b64 exec, exec, s[0:1]
	v_cmp_gt_i32_e64 s[0:1], 10, v3
	s_mov_b64 s[14:15], -1
	s_and_saveexec_b64 s[16:17], s[0:1]
; %bb.59:
	v_cmp_eq_u32_e64 s[0:1], 0, v3
	s_orn2_b64 s[14:15], s[0:1], exec
; %bb.60:
	s_or_b64 exec, exec, s[16:17]
	s_and_b64 exec, exec, s[14:15]
	s_cbranch_execz .LBB133_68
; %bb.61:
	s_add_i32 s14, s8, 16
	s_cmp_le_u32 s9, s14
	s_cselect_b64 s[0:1], -1, 0
	s_and_b64 s[16:17], s[0:1], exec
	s_cselect_b32 s15, 8, 10
	s_nor_b64 s[16:17], s[0:1], vcc
	v_mov_b32_e32 v3, s15
	s_and_saveexec_b64 s[0:1], s[16:17]
	s_cbranch_execz .LBB133_63
; %bb.62:
	s_sub_i32 s15, s9, s14
	s_min_u32 s15, s15, 8
	v_lshrrev_b32_e32 v3, s14, v2
	v_bfe_u32 v3, v3, 0, s15
	v_lshlrev_b32_e32 v4, 2, v10
	v_lshl_or_b32 v3, v3, 4, v4
	v_mov_b32_e32 v4, 1
	ds_add_u32 v3, v4 offset:8192
	v_mov_b32_e32 v3, 0
.LBB133_63:
	s_or_b64 exec, exec, s[0:1]
	v_cmp_gt_i32_e64 s[0:1], 10, v3
	s_mov_b64 s[14:15], -1
	s_and_saveexec_b64 s[16:17], s[0:1]
; %bb.64:
	v_cmp_eq_u32_e64 s[0:1], 0, v3
	s_orn2_b64 s[14:15], s[0:1], exec
; %bb.65:
	s_or_b64 exec, exec, s[16:17]
	s_and_b64 exec, exec, s[14:15]
	s_cbranch_execz .LBB133_68
; %bb.66:
	s_add_i32 s0, s8, 24
	s_cmp_gt_u32 s9, s0
	s_cselect_b64 s[14:15], -1, 0
	s_xor_b64 s[16:17], vcc, -1
	s_and_b64 s[14:15], s[14:15], s[16:17]
	s_and_b64 exec, exec, s[14:15]
	s_cbranch_execz .LBB133_68
; %bb.67:
	s_sub_i32 s1, s9, s0
	s_min_u32 s1, s1, 8
	v_lshrrev_b32_e32 v2, s0, v2
	v_bfe_u32 v2, v2, 0, s1
	v_lshlrev_b32_e32 v3, 2, v10
	v_lshl_or_b32 v2, v2, 4, v3
	v_mov_b32_e32 v3, 1
	ds_add_u32 v2, v3 offset:12288
.LBB133_68:
	s_or_b64 exec, exec, s[12:13]
	v_cmp_le_u32_e32 vcc, s11, v15
	v_xor_b32_e32 v2, 0x80000000, v5
	s_nor_b64 s[12:13], s[2:3], vcc
	v_mov_b32_e32 v3, s18
	s_and_saveexec_b64 s[0:1], s[12:13]
	s_cbranch_execz .LBB133_70
; %bb.69:
	s_sub_i32 s12, s9, s8
	s_min_u32 s12, s12, 8
	v_lshrrev_b32_e32 v3, s8, v2
	v_bfe_u32 v3, v3, 0, s12
	v_lshlrev_b32_e32 v4, 2, v10
	v_lshl_or_b32 v3, v3, 4, v4
	v_mov_b32_e32 v4, 1
	ds_add_u32 v3, v4
	v_mov_b32_e32 v3, 0
.LBB133_70:
	s_or_b64 exec, exec, s[0:1]
	v_cmp_gt_i32_e64 s[0:1], 10, v3
	s_mov_b64 s[14:15], -1
	s_and_saveexec_b64 s[12:13], s[0:1]
; %bb.71:
	v_cmp_eq_u32_e64 s[0:1], 0, v3
	s_orn2_b64 s[14:15], s[0:1], exec
; %bb.72:
	s_or_b64 exec, exec, s[12:13]
	s_and_saveexec_b64 s[12:13], s[14:15]
	s_cbranch_execz .LBB133_85
; %bb.73:
	s_add_i32 s14, s8, 8
	s_cmp_le_u32 s9, s14
	s_cselect_b64 s[0:1], -1, 0
	s_and_b64 s[16:17], s[0:1], exec
	s_cselect_b32 s15, 8, 10
	s_nor_b64 s[16:17], s[0:1], vcc
	v_mov_b32_e32 v3, s15
	s_and_saveexec_b64 s[0:1], s[16:17]
	s_cbranch_execz .LBB133_75
; %bb.74:
	s_sub_i32 s15, s9, s14
	s_min_u32 s15, s15, 8
	v_lshrrev_b32_e32 v3, s14, v2
	v_bfe_u32 v3, v3, 0, s15
	v_lshlrev_b32_e32 v4, 2, v10
	v_lshl_or_b32 v3, v3, 4, v4
	v_mov_b32_e32 v4, 1
	ds_add_u32 v3, v4 offset:4096
	v_mov_b32_e32 v3, 0
.LBB133_75:
	s_or_b64 exec, exec, s[0:1]
	v_cmp_gt_i32_e64 s[0:1], 10, v3
	s_mov_b64 s[14:15], -1
	s_and_saveexec_b64 s[16:17], s[0:1]
; %bb.76:
	v_cmp_eq_u32_e64 s[0:1], 0, v3
	s_orn2_b64 s[14:15], s[0:1], exec
; %bb.77:
	s_or_b64 exec, exec, s[16:17]
	s_and_b64 exec, exec, s[14:15]
	s_cbranch_execz .LBB133_85
; %bb.78:
	s_add_i32 s14, s8, 16
	s_cmp_le_u32 s9, s14
	s_cselect_b64 s[0:1], -1, 0
	s_and_b64 s[16:17], s[0:1], exec
	s_cselect_b32 s15, 8, 10
	s_nor_b64 s[16:17], s[0:1], vcc
	v_mov_b32_e32 v3, s15
	s_and_saveexec_b64 s[0:1], s[16:17]
	s_cbranch_execz .LBB133_80
; %bb.79:
	s_sub_i32 s15, s9, s14
	s_min_u32 s15, s15, 8
	v_lshrrev_b32_e32 v3, s14, v2
	v_bfe_u32 v3, v3, 0, s15
	v_lshlrev_b32_e32 v4, 2, v10
	v_lshl_or_b32 v3, v3, 4, v4
	v_mov_b32_e32 v4, 1
	ds_add_u32 v3, v4 offset:8192
	v_mov_b32_e32 v3, 0
.LBB133_80:
	s_or_b64 exec, exec, s[0:1]
	v_cmp_gt_i32_e64 s[0:1], 10, v3
	s_mov_b64 s[14:15], -1
	s_and_saveexec_b64 s[16:17], s[0:1]
; %bb.81:
	v_cmp_eq_u32_e64 s[0:1], 0, v3
	s_orn2_b64 s[14:15], s[0:1], exec
; %bb.82:
	s_or_b64 exec, exec, s[16:17]
	s_and_b64 exec, exec, s[14:15]
	s_cbranch_execz .LBB133_85
; %bb.83:
	s_add_i32 s0, s8, 24
	s_cmp_gt_u32 s9, s0
	s_cselect_b64 s[14:15], -1, 0
	s_xor_b64 s[16:17], vcc, -1
	s_and_b64 s[14:15], s[14:15], s[16:17]
	s_and_b64 exec, exec, s[14:15]
	s_cbranch_execz .LBB133_85
; %bb.84:
	s_sub_i32 s1, s9, s0
	s_min_u32 s1, s1, 8
	v_lshrrev_b32_e32 v2, s0, v2
	v_bfe_u32 v2, v2, 0, s1
	v_lshlrev_b32_e32 v3, 2, v10
	v_lshl_or_b32 v2, v2, 4, v3
	v_mov_b32_e32 v3, 1
	ds_add_u32 v2, v3 offset:12288
.LBB133_85:
	s_or_b64 exec, exec, s[12:13]
	v_cmp_le_u32_e32 vcc, s11, v14
	v_xor_b32_e32 v2, 0x80000000, v6
	s_nor_b64 s[12:13], s[2:3], vcc
	v_mov_b32_e32 v3, s18
	s_and_saveexec_b64 s[0:1], s[12:13]
	s_cbranch_execz .LBB133_87
; %bb.86:
	s_sub_i32 s12, s9, s8
	s_min_u32 s12, s12, 8
	v_lshrrev_b32_e32 v3, s8, v2
	v_bfe_u32 v3, v3, 0, s12
	v_lshlrev_b32_e32 v4, 2, v10
	v_lshl_or_b32 v3, v3, 4, v4
	v_mov_b32_e32 v4, 1
	ds_add_u32 v3, v4
	v_mov_b32_e32 v3, 0
.LBB133_87:
	s_or_b64 exec, exec, s[0:1]
	v_cmp_gt_i32_e64 s[0:1], 10, v3
	s_mov_b64 s[14:15], -1
	s_and_saveexec_b64 s[12:13], s[0:1]
; %bb.88:
	v_cmp_eq_u32_e64 s[0:1], 0, v3
	s_orn2_b64 s[14:15], s[0:1], exec
; %bb.89:
	s_or_b64 exec, exec, s[12:13]
	s_and_saveexec_b64 s[12:13], s[14:15]
	s_cbranch_execz .LBB133_102
; %bb.90:
	s_add_i32 s14, s8, 8
	s_cmp_le_u32 s9, s14
	s_cselect_b64 s[0:1], -1, 0
	s_and_b64 s[16:17], s[0:1], exec
	s_cselect_b32 s15, 8, 10
	s_nor_b64 s[16:17], s[0:1], vcc
	v_mov_b32_e32 v3, s15
	s_and_saveexec_b64 s[0:1], s[16:17]
	s_cbranch_execz .LBB133_92
; %bb.91:
	s_sub_i32 s15, s9, s14
	s_min_u32 s15, s15, 8
	v_lshrrev_b32_e32 v3, s14, v2
	v_bfe_u32 v3, v3, 0, s15
	v_lshlrev_b32_e32 v4, 2, v10
	v_lshl_or_b32 v3, v3, 4, v4
	v_mov_b32_e32 v4, 1
	ds_add_u32 v3, v4 offset:4096
	v_mov_b32_e32 v3, 0
.LBB133_92:
	s_or_b64 exec, exec, s[0:1]
	v_cmp_gt_i32_e64 s[0:1], 10, v3
	s_mov_b64 s[14:15], -1
	s_and_saveexec_b64 s[16:17], s[0:1]
; %bb.93:
	v_cmp_eq_u32_e64 s[0:1], 0, v3
	s_orn2_b64 s[14:15], s[0:1], exec
; %bb.94:
	s_or_b64 exec, exec, s[16:17]
	s_and_b64 exec, exec, s[14:15]
	s_cbranch_execz .LBB133_102
; %bb.95:
	s_add_i32 s14, s8, 16
	s_cmp_le_u32 s9, s14
	s_cselect_b64 s[0:1], -1, 0
	s_and_b64 s[16:17], s[0:1], exec
	s_cselect_b32 s15, 8, 10
	s_nor_b64 s[16:17], s[0:1], vcc
	v_mov_b32_e32 v3, s15
	s_and_saveexec_b64 s[0:1], s[16:17]
	s_cbranch_execz .LBB133_97
; %bb.96:
	s_sub_i32 s15, s9, s14
	s_min_u32 s15, s15, 8
	v_lshrrev_b32_e32 v3, s14, v2
	v_bfe_u32 v3, v3, 0, s15
	v_lshlrev_b32_e32 v4, 2, v10
	v_lshl_or_b32 v3, v3, 4, v4
	v_mov_b32_e32 v4, 1
	ds_add_u32 v3, v4 offset:8192
	v_mov_b32_e32 v3, 0
.LBB133_97:
	s_or_b64 exec, exec, s[0:1]
	v_cmp_gt_i32_e64 s[0:1], 10, v3
	s_mov_b64 s[14:15], -1
	s_and_saveexec_b64 s[16:17], s[0:1]
; %bb.98:
	v_cmp_eq_u32_e64 s[0:1], 0, v3
	s_orn2_b64 s[14:15], s[0:1], exec
; %bb.99:
	s_or_b64 exec, exec, s[16:17]
	s_and_b64 exec, exec, s[14:15]
	s_cbranch_execz .LBB133_102
; %bb.100:
	s_add_i32 s0, s8, 24
	s_cmp_gt_u32 s9, s0
	s_cselect_b64 s[14:15], -1, 0
	s_xor_b64 s[16:17], vcc, -1
	s_and_b64 s[14:15], s[14:15], s[16:17]
	s_and_b64 exec, exec, s[14:15]
	s_cbranch_execz .LBB133_102
; %bb.101:
	s_sub_i32 s1, s9, s0
	s_min_u32 s1, s1, 8
	v_lshrrev_b32_e32 v2, s0, v2
	v_bfe_u32 v2, v2, 0, s1
	v_lshlrev_b32_e32 v3, 2, v10
	v_lshl_or_b32 v2, v2, 4, v3
	v_mov_b32_e32 v3, 1
	ds_add_u32 v2, v3 offset:12288
.LBB133_102:
	s_or_b64 exec, exec, s[12:13]
	v_cmp_le_u32_e32 vcc, s11, v13
	v_xor_b32_e32 v2, 0x80000000, v7
	s_nor_b64 s[12:13], s[2:3], vcc
	v_mov_b32_e32 v3, s18
	s_and_saveexec_b64 s[0:1], s[12:13]
	s_cbranch_execz .LBB133_104
; %bb.103:
	s_sub_i32 s12, s9, s8
	s_min_u32 s12, s12, 8
	v_lshrrev_b32_e32 v3, s8, v2
	v_bfe_u32 v3, v3, 0, s12
	v_lshlrev_b32_e32 v4, 2, v10
	v_lshl_or_b32 v3, v3, 4, v4
	v_mov_b32_e32 v4, 1
	ds_add_u32 v3, v4
	v_mov_b32_e32 v3, 0
.LBB133_104:
	s_or_b64 exec, exec, s[0:1]
	v_cmp_gt_i32_e64 s[0:1], 10, v3
	s_mov_b64 s[14:15], -1
	s_and_saveexec_b64 s[12:13], s[0:1]
; %bb.105:
	v_cmp_eq_u32_e64 s[0:1], 0, v3
	s_orn2_b64 s[14:15], s[0:1], exec
; %bb.106:
	s_or_b64 exec, exec, s[12:13]
	s_and_saveexec_b64 s[12:13], s[14:15]
	s_cbranch_execz .LBB133_119
; %bb.107:
	s_add_i32 s14, s8, 8
	s_cmp_le_u32 s9, s14
	s_cselect_b64 s[0:1], -1, 0
	s_and_b64 s[16:17], s[0:1], exec
	s_cselect_b32 s15, 8, 10
	s_nor_b64 s[16:17], s[0:1], vcc
	v_mov_b32_e32 v3, s15
	s_and_saveexec_b64 s[0:1], s[16:17]
	s_cbranch_execz .LBB133_109
; %bb.108:
	s_sub_i32 s15, s9, s14
	s_min_u32 s15, s15, 8
	v_lshrrev_b32_e32 v3, s14, v2
	v_bfe_u32 v3, v3, 0, s15
	v_lshlrev_b32_e32 v4, 2, v10
	v_lshl_or_b32 v3, v3, 4, v4
	v_mov_b32_e32 v4, 1
	ds_add_u32 v3, v4 offset:4096
	v_mov_b32_e32 v3, 0
.LBB133_109:
	s_or_b64 exec, exec, s[0:1]
	v_cmp_gt_i32_e64 s[0:1], 10, v3
	s_mov_b64 s[14:15], -1
	s_and_saveexec_b64 s[16:17], s[0:1]
; %bb.110:
	v_cmp_eq_u32_e64 s[0:1], 0, v3
	s_orn2_b64 s[14:15], s[0:1], exec
; %bb.111:
	s_or_b64 exec, exec, s[16:17]
	s_and_b64 exec, exec, s[14:15]
	s_cbranch_execz .LBB133_119
; %bb.112:
	s_add_i32 s14, s8, 16
	s_cmp_le_u32 s9, s14
	s_cselect_b64 s[0:1], -1, 0
	s_and_b64 s[16:17], s[0:1], exec
	s_cselect_b32 s15, 8, 10
	s_nor_b64 s[16:17], s[0:1], vcc
	v_mov_b32_e32 v3, s15
	s_and_saveexec_b64 s[0:1], s[16:17]
	s_cbranch_execz .LBB133_114
; %bb.113:
	s_sub_i32 s15, s9, s14
	s_min_u32 s15, s15, 8
	v_lshrrev_b32_e32 v3, s14, v2
	v_bfe_u32 v3, v3, 0, s15
	v_lshlrev_b32_e32 v4, 2, v10
	v_lshl_or_b32 v3, v3, 4, v4
	v_mov_b32_e32 v4, 1
	ds_add_u32 v3, v4 offset:8192
	v_mov_b32_e32 v3, 0
.LBB133_114:
	s_or_b64 exec, exec, s[0:1]
	v_cmp_gt_i32_e64 s[0:1], 10, v3
	s_mov_b64 s[14:15], -1
	s_and_saveexec_b64 s[16:17], s[0:1]
; %bb.115:
	v_cmp_eq_u32_e64 s[0:1], 0, v3
	s_orn2_b64 s[14:15], s[0:1], exec
; %bb.116:
	s_or_b64 exec, exec, s[16:17]
	s_and_b64 exec, exec, s[14:15]
	s_cbranch_execz .LBB133_119
; %bb.117:
	s_add_i32 s0, s8, 24
	s_cmp_gt_u32 s9, s0
	s_cselect_b64 s[14:15], -1, 0
	s_xor_b64 s[16:17], vcc, -1
	s_and_b64 s[14:15], s[14:15], s[16:17]
	s_and_b64 exec, exec, s[14:15]
	s_cbranch_execz .LBB133_119
; %bb.118:
	s_sub_i32 s1, s9, s0
	s_min_u32 s1, s1, 8
	v_lshrrev_b32_e32 v2, s0, v2
	v_bfe_u32 v2, v2, 0, s1
	v_lshlrev_b32_e32 v3, 2, v10
	v_lshl_or_b32 v2, v2, 4, v3
	v_mov_b32_e32 v3, 1
	ds_add_u32 v2, v3 offset:12288
.LBB133_119:
	s_or_b64 exec, exec, s[12:13]
	v_cmp_le_u32_e32 vcc, s11, v12
	v_xor_b32_e32 v2, 0x80000000, v8
	s_nor_b64 s[12:13], s[2:3], vcc
	v_mov_b32_e32 v3, s18
	s_and_saveexec_b64 s[0:1], s[12:13]
	s_cbranch_execz .LBB133_121
; %bb.120:
	s_sub_i32 s12, s9, s8
	s_min_u32 s12, s12, 8
	v_lshrrev_b32_e32 v3, s8, v2
	v_bfe_u32 v3, v3, 0, s12
	v_lshlrev_b32_e32 v4, 2, v10
	v_lshl_or_b32 v3, v3, 4, v4
	v_mov_b32_e32 v4, 1
	ds_add_u32 v3, v4
	v_mov_b32_e32 v3, 0
.LBB133_121:
	s_or_b64 exec, exec, s[0:1]
	v_cmp_gt_i32_e64 s[0:1], 10, v3
	s_mov_b64 s[14:15], -1
	s_and_saveexec_b64 s[12:13], s[0:1]
; %bb.122:
	v_cmp_eq_u32_e64 s[0:1], 0, v3
	s_orn2_b64 s[14:15], s[0:1], exec
; %bb.123:
	s_or_b64 exec, exec, s[12:13]
	s_and_saveexec_b64 s[12:13], s[14:15]
	s_cbranch_execz .LBB133_136
; %bb.124:
	s_add_i32 s14, s8, 8
	s_cmp_le_u32 s9, s14
	s_cselect_b64 s[0:1], -1, 0
	s_and_b64 s[16:17], s[0:1], exec
	s_cselect_b32 s15, 8, 10
	s_nor_b64 s[16:17], s[0:1], vcc
	v_mov_b32_e32 v3, s15
	s_and_saveexec_b64 s[0:1], s[16:17]
	s_cbranch_execz .LBB133_126
; %bb.125:
	s_sub_i32 s15, s9, s14
	s_min_u32 s15, s15, 8
	v_lshrrev_b32_e32 v3, s14, v2
	v_bfe_u32 v3, v3, 0, s15
	v_lshlrev_b32_e32 v4, 2, v10
	v_lshl_or_b32 v3, v3, 4, v4
	v_mov_b32_e32 v4, 1
	ds_add_u32 v3, v4 offset:4096
	v_mov_b32_e32 v3, 0
.LBB133_126:
	s_or_b64 exec, exec, s[0:1]
	v_cmp_gt_i32_e64 s[0:1], 10, v3
	s_mov_b64 s[14:15], -1
	s_and_saveexec_b64 s[16:17], s[0:1]
; %bb.127:
	v_cmp_eq_u32_e64 s[0:1], 0, v3
	s_orn2_b64 s[14:15], s[0:1], exec
; %bb.128:
	s_or_b64 exec, exec, s[16:17]
	s_and_b64 exec, exec, s[14:15]
	s_cbranch_execz .LBB133_136
; %bb.129:
	s_add_i32 s14, s8, 16
	s_cmp_le_u32 s9, s14
	s_cselect_b64 s[0:1], -1, 0
	s_and_b64 s[16:17], s[0:1], exec
	s_cselect_b32 s15, 8, 10
	s_nor_b64 s[16:17], s[0:1], vcc
	v_mov_b32_e32 v3, s15
	s_and_saveexec_b64 s[0:1], s[16:17]
	s_cbranch_execz .LBB133_131
; %bb.130:
	s_sub_i32 s15, s9, s14
	s_min_u32 s15, s15, 8
	v_lshrrev_b32_e32 v3, s14, v2
	v_bfe_u32 v3, v3, 0, s15
	v_lshlrev_b32_e32 v4, 2, v10
	v_lshl_or_b32 v3, v3, 4, v4
	v_mov_b32_e32 v4, 1
	ds_add_u32 v3, v4 offset:8192
	v_mov_b32_e32 v3, 0
.LBB133_131:
	s_or_b64 exec, exec, s[0:1]
	v_cmp_gt_i32_e64 s[0:1], 10, v3
	s_mov_b64 s[14:15], -1
	s_and_saveexec_b64 s[16:17], s[0:1]
; %bb.132:
	v_cmp_eq_u32_e64 s[0:1], 0, v3
	s_orn2_b64 s[14:15], s[0:1], exec
; %bb.133:
	s_or_b64 exec, exec, s[16:17]
	s_and_b64 exec, exec, s[14:15]
	s_cbranch_execz .LBB133_136
; %bb.134:
	s_add_i32 s0, s8, 24
	s_cmp_gt_u32 s9, s0
	s_cselect_b64 s[14:15], -1, 0
	s_xor_b64 s[16:17], vcc, -1
	s_and_b64 s[14:15], s[14:15], s[16:17]
	s_and_b64 exec, exec, s[14:15]
	s_cbranch_execz .LBB133_136
; %bb.135:
	s_sub_i32 s1, s9, s0
	s_min_u32 s1, s1, 8
	v_lshrrev_b32_e32 v2, s0, v2
	v_bfe_u32 v2, v2, 0, s1
	v_lshlrev_b32_e32 v3, 2, v10
	v_lshl_or_b32 v2, v2, 4, v3
	v_mov_b32_e32 v3, 1
	ds_add_u32 v2, v3 offset:12288
.LBB133_136:
	s_or_b64 exec, exec, s[12:13]
	v_cmp_le_u32_e32 vcc, s11, v11
	v_xor_b32_e32 v2, 0x80000000, v9
	s_nor_b64 s[2:3], s[2:3], vcc
	v_mov_b32_e32 v3, s18
	s_and_saveexec_b64 s[0:1], s[2:3]
	s_cbranch_execz .LBB133_138
; %bb.137:
	s_sub_i32 s2, s9, s8
	s_min_u32 s2, s2, 8
	v_lshrrev_b32_e32 v3, s8, v2
	v_bfe_u32 v3, v3, 0, s2
	v_lshlrev_b32_e32 v4, 2, v10
	v_lshl_or_b32 v3, v3, 4, v4
	v_mov_b32_e32 v4, 1
	ds_add_u32 v3, v4
	v_mov_b32_e32 v3, 0
.LBB133_138:
	s_or_b64 exec, exec, s[0:1]
	v_cmp_gt_i32_e64 s[0:1], 10, v3
	s_mov_b64 s[12:13], -1
	s_and_saveexec_b64 s[2:3], s[0:1]
; %bb.139:
	v_cmp_eq_u32_e64 s[0:1], 0, v3
	s_orn2_b64 s[12:13], s[0:1], exec
; %bb.140:
	s_or_b64 exec, exec, s[2:3]
	s_and_saveexec_b64 s[2:3], s[12:13]
	s_cbranch_execz .LBB133_153
; %bb.141:
	s_add_i32 s11, s8, 8
	s_cmp_le_u32 s9, s11
	s_cselect_b64 s[0:1], -1, 0
	s_and_b64 s[12:13], s[0:1], exec
	s_cselect_b32 s14, 8, 10
	s_nor_b64 s[12:13], s[0:1], vcc
	v_mov_b32_e32 v3, s14
	s_and_saveexec_b64 s[0:1], s[12:13]
	s_cbranch_execz .LBB133_143
; %bb.142:
	s_sub_i32 s12, s9, s11
	s_min_u32 s12, s12, 8
	v_lshrrev_b32_e32 v3, s11, v2
	v_bfe_u32 v3, v3, 0, s12
	v_lshlrev_b32_e32 v4, 2, v10
	v_lshl_or_b32 v3, v3, 4, v4
	v_mov_b32_e32 v4, 1
	ds_add_u32 v3, v4 offset:4096
	v_mov_b32_e32 v3, 0
.LBB133_143:
	s_or_b64 exec, exec, s[0:1]
	v_cmp_gt_i32_e64 s[0:1], 10, v3
	s_mov_b64 s[12:13], -1
	s_and_saveexec_b64 s[14:15], s[0:1]
; %bb.144:
	v_cmp_eq_u32_e64 s[0:1], 0, v3
	s_orn2_b64 s[12:13], s[0:1], exec
; %bb.145:
	s_or_b64 exec, exec, s[14:15]
	s_and_b64 exec, exec, s[12:13]
	s_cbranch_execz .LBB133_153
; %bb.146:
	s_add_i32 s11, s8, 16
	s_cmp_le_u32 s9, s11
	s_cselect_b64 s[0:1], -1, 0
	s_and_b64 s[12:13], s[0:1], exec
	s_cselect_b32 s14, 8, 10
	s_nor_b64 s[12:13], s[0:1], vcc
	v_mov_b32_e32 v3, s14
	s_and_saveexec_b64 s[0:1], s[12:13]
	s_cbranch_execz .LBB133_148
; %bb.147:
	s_sub_i32 s12, s9, s11
	s_min_u32 s12, s12, 8
	v_lshrrev_b32_e32 v3, s11, v2
	v_bfe_u32 v3, v3, 0, s12
	v_lshlrev_b32_e32 v4, 2, v10
	v_lshl_or_b32 v3, v3, 4, v4
	v_mov_b32_e32 v4, 1
	ds_add_u32 v3, v4 offset:8192
	v_mov_b32_e32 v3, 0
.LBB133_148:
	s_or_b64 exec, exec, s[0:1]
	v_cmp_gt_i32_e64 s[0:1], 10, v3
	s_mov_b64 s[12:13], -1
	s_and_saveexec_b64 s[14:15], s[0:1]
; %bb.149:
	v_cmp_eq_u32_e64 s[0:1], 0, v3
	s_orn2_b64 s[12:13], s[0:1], exec
; %bb.150:
	s_or_b64 exec, exec, s[14:15]
	s_and_b64 exec, exec, s[12:13]
	s_cbranch_execz .LBB133_153
; %bb.151:
	s_add_i32 s0, s8, 24
	s_cmp_gt_u32 s9, s0
	s_cselect_b64 s[12:13], -1, 0
	s_xor_b64 s[14:15], vcc, -1
	s_and_b64 s[12:13], s[12:13], s[14:15]
	s_and_b64 exec, exec, s[12:13]
	s_cbranch_execz .LBB133_153
; %bb.152:
	s_sub_i32 s1, s9, s0
	s_min_u32 s1, s1, 8
	v_lshrrev_b32_e32 v2, s0, v2
	v_bfe_u32 v2, v2, 0, s1
	v_lshlrev_b32_e32 v3, 2, v10
	v_lshl_or_b32 v2, v2, 4, v3
	v_mov_b32_e32 v3, 1
	ds_add_u32 v2, v3 offset:12288
.LBB133_153:
	s_or_b64 exec, exec, s[2:3]
	s_cmp_gt_u32 s9, s8
	s_waitcnt lgkmcnt(0)
	s_barrier
	s_cbranch_scc0 .LBB133_158
; %bb.154:
	s_movk_i32 s0, 0x100
	v_cmp_gt_u32_e32 vcc, s0, v0
	v_mad_u32_u24 v1, v0, 12, v1
	v_mov_b32_e32 v3, 0
	v_mov_b32_e32 v2, v0
	s_mov_b32 s2, s8
	s_branch .LBB133_156
.LBB133_155:                            ;   in Loop: Header=BB133_156 Depth=1
	s_or_b64 exec, exec, s[0:1]
	s_add_i32 s2, s2, 8
	v_add_u32_e32 v2, 0x100, v2
	s_cmp_lt_u32 s2, s9
	v_add_u32_e32 v1, 0x1000, v1
	s_cbranch_scc0 .LBB133_158
.LBB133_156:                            ; =>This Inner Loop Header: Depth=1
	s_and_saveexec_b64 s[0:1], vcc
	s_cbranch_execz .LBB133_155
; %bb.157:                              ;   in Loop: Header=BB133_156 Depth=1
	ds_read2_b32 v[4:5], v1 offset1:1
	ds_read2_b32 v[6:7], v1 offset0:2 offset1:3
	s_waitcnt lgkmcnt(1)
	v_add_u32_e32 v4, v5, v4
	s_waitcnt lgkmcnt(0)
	v_add3_u32 v6, v4, v6, v7
	v_lshl_add_u64 v[4:5], v[2:3], 2, s[6:7]
	global_atomic_add v[4:5], v6, off
	s_branch .LBB133_155
.LBB133_158:
	s_mov_b64 s[2:3], 0
.LBB133_159:
	s_and_b64 vcc, exec, s[2:3]
	s_cbranch_vccz .LBB133_219
; %bb.160:
	s_cmp_eq_u32 s8, 0
	s_cselect_b64 s[0:1], -1, 0
	s_cmp_eq_u32 s9, 32
	s_mov_b32 s11, 0
	s_cselect_b64 s[2:3], -1, 0
	s_and_b64 s[2:3], s[0:1], s[2:3]
	s_lshl_b64 s[0:1], s[10:11], 2
	s_add_u32 s0, s4, s0
	s_addc_u32 s1, s5, s1
	v_mov_b32_e32 v3, 0
	v_lshlrev_b32_e32 v2, 2, v0
	v_lshl_add_u64 v[4:5], s[0:1], 0, v[2:3]
	s_movk_i32 s4, 0x2000
	v_add_co_u32_e32 v14, vcc, s4, v4
	s_movk_i32 s4, 0x4000
	s_nop 0
	v_addc_co_u32_e32 v15, vcc, 0, v5, vcc
	v_add_co_u32_e32 v16, vcc, s4, v4
	s_movk_i32 s4, 0x5000
	s_nop 0
	v_addc_co_u32_e32 v17, vcc, 0, v5, vcc
	v_add_co_u32_e32 v18, vcc, s4, v4
	s_nop 1
	v_addc_co_u32_e32 v19, vcc, 0, v5, vcc
	v_add_co_u32_e32 v20, vcc, 0x6000, v4
	;; [unrolled: 3-line block ×3, first 2 shown]
	s_nop 1
	v_addc_co_u32_e32 v5, vcc, 0, v5, vcc
	global_load_dword v12, v2, s[0:1]
	global_load_dword v11, v[14:15], off offset:-4096
	global_load_dword v10, v[14:15], off
	global_load_dword v9, v[16:17], off offset:-4096
	global_load_dword v8, v[16:17], off
	global_load_dword v7, v[18:19], off
	;; [unrolled: 1-line block ×4, first 2 shown]
	s_mov_b64 s[0:1], -1
	s_and_b64 vcc, exec, s[2:3]
	s_cbranch_vccnz .LBB133_216
; %bb.161:
	s_cmp_gt_u32 s9, s8
	s_cselect_b64 s[0:1], -1, 0
	s_and_b64 vcc, exec, s[0:1]
	ds_write2st64_b32 v2, v3, v3 offset1:16
	ds_write2st64_b32 v2, v3, v3 offset0:32 offset1:48
	s_waitcnt lgkmcnt(0)
	s_barrier
	s_cbranch_vccz .LBB133_210
; %bb.162:
	s_sub_i32 s2, s9, s8
	s_waitcnt vmcnt(7)
	v_xor_b32_e32 v13, 0x80000000, v12
	s_min_u32 s2, s2, 8
	v_and_b32_e32 v3, 3, v0
	s_lshl_b32 s2, -1, s2
	v_lshrrev_b32_e32 v4, s8, v13
	v_bitop3_b32 v14, v4, s2, v4 bitop3:0x30
	v_lshlrev_b32_e32 v4, 2, v3
	v_lshl_or_b32 v14, v14, 4, v4
	v_mov_b32_e32 v15, 1
	s_not_b32 s13, s2
	ds_add_u32 v14, v15
	s_add_i32 s12, s8, 8
	s_waitcnt vmcnt(6)
	v_xor_b32_e32 v5, 0x80000000, v11
	s_cmp_le_u32 s9, s12
	s_cselect_b64 s[2:3], -1, 0
	v_lshrrev_b32_e32 v14, s8, v5
	s_and_b64 vcc, exec, s[2:3]
	v_and_b32_e32 v14, s13, v14
	s_cbranch_vccz .LBB133_164
; %bb.163:
	v_lshlrev_b32_e32 v15, 4, v14
	s_mov_b64 s[4:5], -1
	s_cbranch_execz .LBB133_165
	s_branch .LBB133_172
.LBB133_164:
	s_mov_b64 s[4:5], 0
                                        ; implicit-def: $vgpr15
.LBB133_165:
	s_sub_i32 s10, s9, s12
	s_min_u32 s10, s10, 8
	s_lshl_b32 s10, -1, s10
	v_lshrrev_b32_e32 v15, s12, v13
	v_bitop3_b32 v15, v15, s10, v15 bitop3:0x30
	v_lshl_or_b32 v16, v15, 4, v4
	v_mov_b32_e32 v15, 1
	ds_add_u32 v16, v15 offset:4096
	s_not_b32 s15, s10
	s_add_i32 s14, s8, 16
	s_cmp_gt_u32 s9, s14
	s_cselect_b64 s[10:11], -1, 0
	s_cmp_le_u32 s9, s14
	s_cbranch_scc1 .LBB133_168
; %bb.166:
	s_sub_i32 s16, s9, s14
	s_min_u32 s16, s16, 8
	v_lshrrev_b32_e32 v16, s14, v13
	v_bfe_u32 v16, v16, 0, s16
	v_lshl_or_b32 v16, v16, 4, v4
	ds_add_u32 v16, v15 offset:8192
	s_add_i32 s16, s8, 24
	s_cmp_le_u32 s9, s16
	s_cbranch_scc1 .LBB133_168
; %bb.167:
	s_sub_i32 s17, s9, s16
	s_min_u32 s17, s17, 8
	v_lshrrev_b32_e32 v13, s16, v13
	v_bfe_u32 v13, v13, 0, s17
	v_lshl_or_b32 v13, v13, 4, v4
	v_mov_b32_e32 v16, 1
	ds_add_u32 v13, v16 offset:12288
.LBB133_168:
	v_lshl_or_b32 v13, v14, 4, v4
	ds_add_u32 v13, v15
	v_lshrrev_b32_e32 v13, s12, v5
	v_and_b32_e32 v13, s15, v13
	v_lshl_or_b32 v13, v13, 4, v4
	ds_add_u32 v13, v15 offset:4096
	s_andn2_b64 vcc, exec, s[10:11]
	s_cbranch_vccnz .LBB133_171
; %bb.169:
	s_sub_i32 s10, s9, s14
	s_min_u32 s10, s10, 8
	v_lshrrev_b32_e32 v13, s14, v5
	v_bfe_u32 v13, v13, 0, s10
	v_lshl_or_b32 v13, v13, 4, v4
	v_mov_b32_e32 v14, 1
	ds_add_u32 v13, v14 offset:8192
	s_add_i32 s10, s8, 24
	s_cmp_gt_u32 s9, s10
                                        ; implicit-def: $vgpr15
	s_cbranch_scc0 .LBB133_172
; %bb.170:
	s_sub_i32 s4, s9, s10
	s_min_u32 s4, s4, 8
	v_lshrrev_b32_e32 v5, s10, v5
	v_bfe_u32 v5, v5, 0, s4
	v_mov_b32_e32 v13, 0x3000
	v_lshl_add_u32 v15, v5, 4, v13
	s_mov_b64 s[4:5], -1
	s_branch .LBB133_172
.LBB133_171:
                                        ; implicit-def: $vgpr15
.LBB133_172:
	s_and_b64 vcc, exec, s[4:5]
	s_cbranch_vccz .LBB133_174
; %bb.173:
	v_lshl_add_u32 v5, v3, 2, v15
	v_mov_b32_e32 v13, 1
	ds_add_u32 v5, v13
.LBB133_174:
	s_waitcnt vmcnt(5)
	v_xor_b32_e32 v13, 0x80000000, v10
	v_lshrrev_b32_e32 v14, s8, v13
	v_and_b32_e32 v14, s13, v14
	v_lshl_or_b32 v14, v14, 4, v4
	v_mov_b32_e32 v15, 1
	ds_add_u32 v14, v15
	s_waitcnt vmcnt(4)
	v_xor_b32_e32 v5, 0x80000000, v9
	v_lshrrev_b32_e32 v14, s8, v5
	s_and_b64 vcc, exec, s[2:3]
	v_and_b32_e32 v14, s13, v14
	s_cbranch_vccz .LBB133_176
; %bb.175:
	v_lshlrev_b32_e32 v15, 4, v14
	s_mov_b64 s[4:5], -1
	s_cbranch_execz .LBB133_177
	s_branch .LBB133_184
.LBB133_176:
	s_mov_b64 s[4:5], 0
                                        ; implicit-def: $vgpr15
.LBB133_177:
	s_sub_i32 s10, s9, s12
	s_min_u32 s10, s10, 8
	s_lshl_b32 s10, -1, s10
	v_lshrrev_b32_e32 v15, s12, v13
	v_bitop3_b32 v15, v15, s10, v15 bitop3:0x30
	v_lshl_or_b32 v16, v15, 4, v4
	v_mov_b32_e32 v15, 1
	ds_add_u32 v16, v15 offset:4096
	s_not_b32 s15, s10
	s_add_i32 s14, s8, 16
	s_cmp_gt_u32 s9, s14
	s_cselect_b64 s[10:11], -1, 0
	s_cmp_le_u32 s9, s14
	s_cbranch_scc1 .LBB133_180
; %bb.178:
	s_sub_i32 s16, s9, s14
	s_min_u32 s16, s16, 8
	v_lshrrev_b32_e32 v16, s14, v13
	v_bfe_u32 v16, v16, 0, s16
	v_lshl_or_b32 v16, v16, 4, v4
	ds_add_u32 v16, v15 offset:8192
	s_add_i32 s16, s8, 24
	s_cmp_le_u32 s9, s16
	s_cbranch_scc1 .LBB133_180
; %bb.179:
	s_sub_i32 s17, s9, s16
	s_min_u32 s17, s17, 8
	v_lshrrev_b32_e32 v13, s16, v13
	v_bfe_u32 v13, v13, 0, s17
	v_lshl_or_b32 v13, v13, 4, v4
	v_mov_b32_e32 v16, 1
	ds_add_u32 v13, v16 offset:12288
.LBB133_180:
	v_lshl_or_b32 v13, v14, 4, v4
	ds_add_u32 v13, v15
	v_lshrrev_b32_e32 v13, s12, v5
	v_and_b32_e32 v13, s15, v13
	v_lshl_or_b32 v13, v13, 4, v4
	ds_add_u32 v13, v15 offset:4096
	s_andn2_b64 vcc, exec, s[10:11]
	s_cbranch_vccnz .LBB133_183
; %bb.181:
	s_sub_i32 s10, s9, s14
	s_min_u32 s10, s10, 8
	v_lshrrev_b32_e32 v13, s14, v5
	v_bfe_u32 v13, v13, 0, s10
	v_lshl_or_b32 v13, v13, 4, v4
	v_mov_b32_e32 v14, 1
	ds_add_u32 v13, v14 offset:8192
	s_add_i32 s10, s8, 24
	s_cmp_gt_u32 s9, s10
                                        ; implicit-def: $vgpr15
	s_cbranch_scc0 .LBB133_184
; %bb.182:
	s_sub_i32 s4, s9, s10
	s_min_u32 s4, s4, 8
	v_lshrrev_b32_e32 v5, s10, v5
	v_bfe_u32 v5, v5, 0, s4
	v_mov_b32_e32 v13, 0x3000
	v_lshl_add_u32 v15, v5, 4, v13
	s_mov_b64 s[4:5], -1
	s_branch .LBB133_184
.LBB133_183:
                                        ; implicit-def: $vgpr15
.LBB133_184:
	s_and_b64 vcc, exec, s[4:5]
	s_cbranch_vccz .LBB133_186
; %bb.185:
	v_lshl_add_u32 v5, v3, 2, v15
	v_mov_b32_e32 v13, 1
	ds_add_u32 v5, v13
.LBB133_186:
	s_waitcnt vmcnt(3)
	v_xor_b32_e32 v13, 0x80000000, v8
	v_lshrrev_b32_e32 v14, s8, v13
	v_and_b32_e32 v14, s13, v14
	v_lshl_or_b32 v14, v14, 4, v4
	v_mov_b32_e32 v15, 1
	ds_add_u32 v14, v15
	s_waitcnt vmcnt(2)
	v_xor_b32_e32 v5, 0x80000000, v7
	v_lshrrev_b32_e32 v14, s8, v5
	s_and_b64 vcc, exec, s[2:3]
	v_and_b32_e32 v14, s13, v14
	s_cbranch_vccz .LBB133_188
; %bb.187:
	v_lshlrev_b32_e32 v15, 4, v14
	s_mov_b64 s[4:5], -1
	s_cbranch_execz .LBB133_189
	s_branch .LBB133_196
.LBB133_188:
	s_mov_b64 s[4:5], 0
                                        ; implicit-def: $vgpr15
.LBB133_189:
	s_sub_i32 s10, s9, s12
	s_min_u32 s10, s10, 8
	s_lshl_b32 s10, -1, s10
	v_lshrrev_b32_e32 v15, s12, v13
	v_bitop3_b32 v15, v15, s10, v15 bitop3:0x30
	v_lshl_or_b32 v16, v15, 4, v4
	v_mov_b32_e32 v15, 1
	ds_add_u32 v16, v15 offset:4096
	s_not_b32 s15, s10
	s_add_i32 s14, s8, 16
	s_cmp_gt_u32 s9, s14
	s_cselect_b64 s[10:11], -1, 0
	s_cmp_le_u32 s9, s14
	s_cbranch_scc1 .LBB133_192
; %bb.190:
	s_sub_i32 s16, s9, s14
	s_min_u32 s16, s16, 8
	v_lshrrev_b32_e32 v16, s14, v13
	v_bfe_u32 v16, v16, 0, s16
	v_lshl_or_b32 v16, v16, 4, v4
	ds_add_u32 v16, v15 offset:8192
	s_add_i32 s16, s8, 24
	s_cmp_le_u32 s9, s16
	s_cbranch_scc1 .LBB133_192
; %bb.191:
	s_sub_i32 s17, s9, s16
	s_min_u32 s17, s17, 8
	v_lshrrev_b32_e32 v13, s16, v13
	v_bfe_u32 v13, v13, 0, s17
	v_lshl_or_b32 v13, v13, 4, v4
	v_mov_b32_e32 v16, 1
	ds_add_u32 v13, v16 offset:12288
.LBB133_192:
	v_lshl_or_b32 v13, v14, 4, v4
	ds_add_u32 v13, v15
	v_lshrrev_b32_e32 v13, s12, v5
	v_and_b32_e32 v13, s15, v13
	v_lshl_or_b32 v13, v13, 4, v4
	ds_add_u32 v13, v15 offset:4096
	s_andn2_b64 vcc, exec, s[10:11]
	s_cbranch_vccnz .LBB133_195
; %bb.193:
	s_sub_i32 s10, s9, s14
	s_min_u32 s10, s10, 8
	v_lshrrev_b32_e32 v13, s14, v5
	v_bfe_u32 v13, v13, 0, s10
	v_lshl_or_b32 v13, v13, 4, v4
	v_mov_b32_e32 v14, 1
	ds_add_u32 v13, v14 offset:8192
	s_add_i32 s10, s8, 24
	s_cmp_gt_u32 s9, s10
                                        ; implicit-def: $vgpr15
	s_cbranch_scc0 .LBB133_196
; %bb.194:
	s_sub_i32 s4, s9, s10
	s_min_u32 s4, s4, 8
	v_lshrrev_b32_e32 v5, s10, v5
	v_bfe_u32 v5, v5, 0, s4
	v_mov_b32_e32 v13, 0x3000
	v_lshl_add_u32 v15, v5, 4, v13
	s_mov_b64 s[4:5], -1
	s_branch .LBB133_196
.LBB133_195:
                                        ; implicit-def: $vgpr15
.LBB133_196:
	s_and_b64 vcc, exec, s[4:5]
	s_cbranch_vccz .LBB133_198
; %bb.197:
	v_lshl_add_u32 v5, v3, 2, v15
	v_mov_b32_e32 v13, 1
	ds_add_u32 v5, v13
.LBB133_198:
	s_waitcnt vmcnt(1)
	v_xor_b32_e32 v13, 0x80000000, v6
	v_lshrrev_b32_e32 v14, s8, v13
	v_and_b32_e32 v14, s13, v14
	v_lshl_or_b32 v14, v14, 4, v4
	v_mov_b32_e32 v15, 1
	ds_add_u32 v14, v15
	s_waitcnt vmcnt(0)
	v_xor_b32_e32 v5, 0x80000000, v1
	v_lshrrev_b32_e32 v14, s8, v5
	s_and_b64 vcc, exec, s[2:3]
	v_and_b32_e32 v14, s13, v14
	s_cbranch_vccz .LBB133_200
; %bb.199:
	v_lshlrev_b32_e32 v15, 4, v14
	s_mov_b64 s[2:3], -1
	s_cbranch_execz .LBB133_201
	s_branch .LBB133_208
.LBB133_200:
	s_mov_b64 s[2:3], 0
                                        ; implicit-def: $vgpr15
.LBB133_201:
	s_sub_i32 s4, s9, s12
	s_min_u32 s4, s4, 8
	s_lshl_b32 s4, -1, s4
	v_lshrrev_b32_e32 v15, s12, v13
	v_bitop3_b32 v15, v15, s4, v15 bitop3:0x30
	v_lshl_or_b32 v16, v15, 4, v4
	v_mov_b32_e32 v15, 1
	ds_add_u32 v16, v15 offset:4096
	s_not_b32 s11, s4
	s_add_i32 s10, s8, 16
	s_cmp_gt_u32 s9, s10
	s_cselect_b64 s[4:5], -1, 0
	s_cmp_le_u32 s9, s10
	s_cbranch_scc1 .LBB133_204
; %bb.202:
	s_sub_i32 s13, s9, s10
	s_min_u32 s13, s13, 8
	v_lshrrev_b32_e32 v16, s10, v13
	v_bfe_u32 v16, v16, 0, s13
	v_lshl_or_b32 v16, v16, 4, v4
	ds_add_u32 v16, v15 offset:8192
	s_add_i32 s13, s8, 24
	s_cmp_le_u32 s9, s13
	s_cbranch_scc1 .LBB133_204
; %bb.203:
	s_sub_i32 s14, s9, s13
	s_min_u32 s14, s14, 8
	v_lshrrev_b32_e32 v13, s13, v13
	v_bfe_u32 v13, v13, 0, s14
	v_lshl_or_b32 v13, v13, 4, v4
	v_mov_b32_e32 v16, 1
	ds_add_u32 v13, v16 offset:12288
.LBB133_204:
	v_lshl_or_b32 v13, v14, 4, v4
	ds_add_u32 v13, v15
	v_lshrrev_b32_e32 v13, s12, v5
	v_and_b32_e32 v13, s11, v13
	v_lshl_or_b32 v13, v13, 4, v4
	ds_add_u32 v13, v15 offset:4096
	s_andn2_b64 vcc, exec, s[4:5]
	s_cbranch_vccnz .LBB133_207
; %bb.205:
	s_sub_i32 s4, s9, s10
	s_min_u32 s4, s4, 8
	v_lshrrev_b32_e32 v13, s10, v5
	v_bfe_u32 v13, v13, 0, s4
	v_lshl_or_b32 v4, v13, 4, v4
	v_mov_b32_e32 v13, 1
	ds_add_u32 v4, v13 offset:8192
	s_add_i32 s4, s8, 24
	s_cmp_gt_u32 s9, s4
                                        ; implicit-def: $vgpr15
	s_cbranch_scc0 .LBB133_208
; %bb.206:
	s_sub_i32 s2, s9, s4
	s_min_u32 s2, s2, 8
	v_lshrrev_b32_e32 v4, s4, v5
	v_bfe_u32 v4, v4, 0, s2
	v_mov_b32_e32 v5, 0x3000
	v_lshl_add_u32 v15, v4, 4, v5
	s_mov_b64 s[2:3], -1
	s_branch .LBB133_208
.LBB133_207:
                                        ; implicit-def: $vgpr15
.LBB133_208:
	s_and_b64 vcc, exec, s[2:3]
	s_cbranch_vccz .LBB133_210
; %bb.209:
	v_lshl_add_u32 v3, v3, 2, v15
	v_mov_b32_e32 v4, 1
	ds_add_u32 v3, v4
.LBB133_210:
	s_and_b64 vcc, exec, s[0:1]
	s_waitcnt lgkmcnt(0)
	s_barrier
	s_cbranch_vccz .LBB133_215
; %bb.211:
	s_movk_i32 s0, 0x100
	v_cmp_gt_u32_e32 vcc, s0, v0
	v_lshlrev_b32_e32 v3, 4, v0
	v_mov_b32_e32 v5, 0
	v_mov_b32_e32 v4, v0
	s_branch .LBB133_213
.LBB133_212:                            ;   in Loop: Header=BB133_213 Depth=1
	s_or_b64 exec, exec, s[0:1]
	s_add_i32 s8, s8, 8
	v_add_u32_e32 v4, 0x100, v4
	s_cmp_ge_u32 s8, s9
	v_add_u32_e32 v3, 0x1000, v3
	s_cbranch_scc1 .LBB133_215
.LBB133_213:                            ; =>This Inner Loop Header: Depth=1
	s_and_saveexec_b64 s[0:1], vcc
	s_cbranch_execz .LBB133_212
; %bb.214:                              ;   in Loop: Header=BB133_213 Depth=1
	ds_read2_b32 v[14:15], v3 offset1:1
	ds_read2_b32 v[16:17], v3 offset0:2 offset1:3
	s_waitcnt lgkmcnt(1)
	v_add_u32_e32 v13, v15, v14
	s_waitcnt lgkmcnt(0)
	v_add3_u32 v13, v13, v16, v17
	v_lshl_add_u64 v[14:15], v[4:5], 2, s[6:7]
	global_atomic_add v[14:15], v13, off
	s_branch .LBB133_212
.LBB133_215:
	s_mov_b64 s[0:1], 0
.LBB133_216:
	s_and_b64 vcc, exec, s[0:1]
	s_cbranch_vccz .LBB133_219
; %bb.217:
	v_mov_b32_e32 v3, 0
	ds_write2st64_b32 v2, v3, v3 offset1:16
	ds_write2st64_b32 v2, v3, v3 offset0:32 offset1:48
	v_and_b32_e32 v3, 3, v0
	s_waitcnt vmcnt(7)
	v_lshlrev_b32_e32 v4, 4, v12
	v_lshlrev_b32_e32 v3, 2, v3
	s_movk_i32 s0, 0xff0
	v_and_or_b32 v4, v4, s0, v3
	v_mov_b32_e32 v5, 1
	s_waitcnt lgkmcnt(0)
	s_barrier
	ds_add_u32 v4, v5
	v_bfe_u32 v4, v12, 8, 8
	v_lshl_or_b32 v4, v4, 4, v3
	ds_add_u32 v4, v5 offset:4096
	v_bfe_u32 v4, v12, 16, 8
	v_lshl_or_b32 v4, v4, 4, v3
	ds_add_u32 v4, v5 offset:8192
	v_mov_b32_e32 v4, 2
	v_lshlrev_b32_sdwa v12, v4, v12 dst_sel:DWORD dst_unused:UNUSED_PAD src0_sel:DWORD src1_sel:BYTE_3
	v_xor_b32_e32 v12, 0x200, v12
	v_lshl_or_b32 v12, v12, 2, v3
	ds_add_u32 v12, v5 offset:12288
	s_waitcnt vmcnt(6)
	v_lshlrev_b32_e32 v12, 4, v11
	v_and_or_b32 v12, v12, s0, v3
	ds_add_u32 v12, v5
	v_bfe_u32 v12, v11, 8, 8
	v_lshl_or_b32 v12, v12, 4, v3
	ds_add_u32 v12, v5 offset:4096
	v_bfe_u32 v12, v11, 16, 8
	v_lshlrev_b32_sdwa v11, v4, v11 dst_sel:DWORD dst_unused:UNUSED_PAD src0_sel:DWORD src1_sel:BYTE_3
	v_lshl_or_b32 v12, v12, 4, v3
	v_xor_b32_e32 v11, 0x200, v11
	ds_add_u32 v12, v5 offset:8192
	v_lshl_or_b32 v11, v11, 2, v3
	ds_add_u32 v11, v5 offset:12288
	s_waitcnt vmcnt(5)
	v_lshlrev_b32_e32 v11, 4, v10
	v_and_or_b32 v11, v11, s0, v3
	ds_add_u32 v11, v5
	v_bfe_u32 v11, v10, 8, 8
	v_lshl_or_b32 v11, v11, 4, v3
	ds_add_u32 v11, v5 offset:4096
	v_bfe_u32 v11, v10, 16, 8
	v_lshlrev_b32_sdwa v10, v4, v10 dst_sel:DWORD dst_unused:UNUSED_PAD src0_sel:DWORD src1_sel:BYTE_3
	v_lshl_or_b32 v11, v11, 4, v3
	v_xor_b32_e32 v10, 0x200, v10
	ds_add_u32 v11, v5 offset:8192
	;; [unrolled: 14-line block ×7, first 2 shown]
	v_lshl_or_b32 v1, v1, 2, v3
	ds_add_u32 v1, v5 offset:12288
	s_movk_i32 s0, 0x100
	v_cmp_gt_u32_e32 vcc, s0, v0
	s_waitcnt lgkmcnt(0)
	s_barrier
	s_and_saveexec_b64 s[0:1], vcc
	s_cbranch_execz .LBB133_219
; %bb.218:
	v_lshlrev_b32_e32 v3, 4, v0
	ds_read2_b32 v[0:1], v3 offset1:1
	ds_read2_b32 v[4:5], v3 offset0:2 offset1:3
	v_add_u32_e32 v6, 0x1000, v3
	v_add_u32_e32 v7, 0x1008, v3
	s_waitcnt lgkmcnt(1)
	v_add_u32_e32 v0, v1, v0
	s_waitcnt lgkmcnt(0)
	v_add3_u32 v0, v0, v4, v5
	global_atomic_add v2, v0, s[6:7]
	ds_read2_b32 v[0:1], v6 offset1:1
	ds_read2_b32 v[4:5], v7 offset1:1
	v_add_u32_e32 v6, 0x2000, v3
	v_add_u32_e32 v7, 0x2008, v3
	s_waitcnt lgkmcnt(1)
	v_add_u32_e32 v0, v1, v0
	s_waitcnt lgkmcnt(0)
	v_add3_u32 v0, v0, v4, v5
	global_atomic_add v2, v0, s[6:7] offset:1024
	ds_read2_b32 v[0:1], v6 offset1:1
	ds_read2_b32 v[4:5], v7 offset1:1
	v_add_u32_e32 v6, 0x3000, v3
	v_add_u32_e32 v3, 0x3008, v3
	s_waitcnt lgkmcnt(1)
	v_add_u32_e32 v0, v1, v0
	s_waitcnt lgkmcnt(0)
	v_add3_u32 v0, v0, v4, v5
	global_atomic_add v2, v0, s[6:7] offset:2048
	ds_read2_b32 v[0:1], v6 offset1:1
	ds_read2_b32 v[4:5], v3 offset1:1
	s_waitcnt lgkmcnt(1)
	v_add_u32_e32 v0, v1, v0
	s_waitcnt lgkmcnt(0)
	v_add3_u32 v0, v0, v4, v5
	global_atomic_add v2, v0, s[6:7] offset:3072
.LBB133_219:
	s_endpgm
	.section	.rodata,"a",@progbits
	.p2align	6, 0x0
	.amdhsa_kernel _ZN7rocprim17ROCPRIM_400000_NS6detail17trampoline_kernelINS0_14default_configENS1_35radix_sort_onesweep_config_selectorIiNS0_10empty_typeEEEZNS1_34radix_sort_onesweep_global_offsetsIS3_Lb0EN6thrust23THRUST_200600_302600_NS6detail15normal_iteratorINS9_10device_ptrIiEEEEPS5_jNS0_19identity_decomposerEEE10hipError_tT1_T2_PT3_SK_jT4_jjP12ihipStream_tbEUlT_E_NS1_11comp_targetILNS1_3genE6ELNS1_11target_archE950ELNS1_3gpuE13ELNS1_3repE0EEENS1_52radix_sort_onesweep_histogram_config_static_selectorELNS0_4arch9wavefront6targetE1EEEvSI_
		.amdhsa_group_segment_fixed_size 16384
		.amdhsa_private_segment_fixed_size 0
		.amdhsa_kernarg_size 40
		.amdhsa_user_sgpr_count 2
		.amdhsa_user_sgpr_dispatch_ptr 0
		.amdhsa_user_sgpr_queue_ptr 0
		.amdhsa_user_sgpr_kernarg_segment_ptr 1
		.amdhsa_user_sgpr_dispatch_id 0
		.amdhsa_user_sgpr_kernarg_preload_length 0
		.amdhsa_user_sgpr_kernarg_preload_offset 0
		.amdhsa_user_sgpr_private_segment_size 0
		.amdhsa_uses_dynamic_stack 0
		.amdhsa_enable_private_segment 0
		.amdhsa_system_sgpr_workgroup_id_x 1
		.amdhsa_system_sgpr_workgroup_id_y 0
		.amdhsa_system_sgpr_workgroup_id_z 0
		.amdhsa_system_sgpr_workgroup_info 0
		.amdhsa_system_vgpr_workitem_id 0
		.amdhsa_next_free_vgpr 22
		.amdhsa_next_free_sgpr 19
		.amdhsa_accum_offset 24
		.amdhsa_reserve_vcc 1
		.amdhsa_float_round_mode_32 0
		.amdhsa_float_round_mode_16_64 0
		.amdhsa_float_denorm_mode_32 3
		.amdhsa_float_denorm_mode_16_64 3
		.amdhsa_dx10_clamp 1
		.amdhsa_ieee_mode 1
		.amdhsa_fp16_overflow 0
		.amdhsa_tg_split 0
		.amdhsa_exception_fp_ieee_invalid_op 0
		.amdhsa_exception_fp_denorm_src 0
		.amdhsa_exception_fp_ieee_div_zero 0
		.amdhsa_exception_fp_ieee_overflow 0
		.amdhsa_exception_fp_ieee_underflow 0
		.amdhsa_exception_fp_ieee_inexact 0
		.amdhsa_exception_int_div_zero 0
	.end_amdhsa_kernel
	.section	.text._ZN7rocprim17ROCPRIM_400000_NS6detail17trampoline_kernelINS0_14default_configENS1_35radix_sort_onesweep_config_selectorIiNS0_10empty_typeEEEZNS1_34radix_sort_onesweep_global_offsetsIS3_Lb0EN6thrust23THRUST_200600_302600_NS6detail15normal_iteratorINS9_10device_ptrIiEEEEPS5_jNS0_19identity_decomposerEEE10hipError_tT1_T2_PT3_SK_jT4_jjP12ihipStream_tbEUlT_E_NS1_11comp_targetILNS1_3genE6ELNS1_11target_archE950ELNS1_3gpuE13ELNS1_3repE0EEENS1_52radix_sort_onesweep_histogram_config_static_selectorELNS0_4arch9wavefront6targetE1EEEvSI_,"axG",@progbits,_ZN7rocprim17ROCPRIM_400000_NS6detail17trampoline_kernelINS0_14default_configENS1_35radix_sort_onesweep_config_selectorIiNS0_10empty_typeEEEZNS1_34radix_sort_onesweep_global_offsetsIS3_Lb0EN6thrust23THRUST_200600_302600_NS6detail15normal_iteratorINS9_10device_ptrIiEEEEPS5_jNS0_19identity_decomposerEEE10hipError_tT1_T2_PT3_SK_jT4_jjP12ihipStream_tbEUlT_E_NS1_11comp_targetILNS1_3genE6ELNS1_11target_archE950ELNS1_3gpuE13ELNS1_3repE0EEENS1_52radix_sort_onesweep_histogram_config_static_selectorELNS0_4arch9wavefront6targetE1EEEvSI_,comdat
.Lfunc_end133:
	.size	_ZN7rocprim17ROCPRIM_400000_NS6detail17trampoline_kernelINS0_14default_configENS1_35radix_sort_onesweep_config_selectorIiNS0_10empty_typeEEEZNS1_34radix_sort_onesweep_global_offsetsIS3_Lb0EN6thrust23THRUST_200600_302600_NS6detail15normal_iteratorINS9_10device_ptrIiEEEEPS5_jNS0_19identity_decomposerEEE10hipError_tT1_T2_PT3_SK_jT4_jjP12ihipStream_tbEUlT_E_NS1_11comp_targetILNS1_3genE6ELNS1_11target_archE950ELNS1_3gpuE13ELNS1_3repE0EEENS1_52radix_sort_onesweep_histogram_config_static_selectorELNS0_4arch9wavefront6targetE1EEEvSI_, .Lfunc_end133-_ZN7rocprim17ROCPRIM_400000_NS6detail17trampoline_kernelINS0_14default_configENS1_35radix_sort_onesweep_config_selectorIiNS0_10empty_typeEEEZNS1_34radix_sort_onesweep_global_offsetsIS3_Lb0EN6thrust23THRUST_200600_302600_NS6detail15normal_iteratorINS9_10device_ptrIiEEEEPS5_jNS0_19identity_decomposerEEE10hipError_tT1_T2_PT3_SK_jT4_jjP12ihipStream_tbEUlT_E_NS1_11comp_targetILNS1_3genE6ELNS1_11target_archE950ELNS1_3gpuE13ELNS1_3repE0EEENS1_52radix_sort_onesweep_histogram_config_static_selectorELNS0_4arch9wavefront6targetE1EEEvSI_
                                        ; -- End function
	.set _ZN7rocprim17ROCPRIM_400000_NS6detail17trampoline_kernelINS0_14default_configENS1_35radix_sort_onesweep_config_selectorIiNS0_10empty_typeEEEZNS1_34radix_sort_onesweep_global_offsetsIS3_Lb0EN6thrust23THRUST_200600_302600_NS6detail15normal_iteratorINS9_10device_ptrIiEEEEPS5_jNS0_19identity_decomposerEEE10hipError_tT1_T2_PT3_SK_jT4_jjP12ihipStream_tbEUlT_E_NS1_11comp_targetILNS1_3genE6ELNS1_11target_archE950ELNS1_3gpuE13ELNS1_3repE0EEENS1_52radix_sort_onesweep_histogram_config_static_selectorELNS0_4arch9wavefront6targetE1EEEvSI_.num_vgpr, 22
	.set _ZN7rocprim17ROCPRIM_400000_NS6detail17trampoline_kernelINS0_14default_configENS1_35radix_sort_onesweep_config_selectorIiNS0_10empty_typeEEEZNS1_34radix_sort_onesweep_global_offsetsIS3_Lb0EN6thrust23THRUST_200600_302600_NS6detail15normal_iteratorINS9_10device_ptrIiEEEEPS5_jNS0_19identity_decomposerEEE10hipError_tT1_T2_PT3_SK_jT4_jjP12ihipStream_tbEUlT_E_NS1_11comp_targetILNS1_3genE6ELNS1_11target_archE950ELNS1_3gpuE13ELNS1_3repE0EEENS1_52radix_sort_onesweep_histogram_config_static_selectorELNS0_4arch9wavefront6targetE1EEEvSI_.num_agpr, 0
	.set _ZN7rocprim17ROCPRIM_400000_NS6detail17trampoline_kernelINS0_14default_configENS1_35radix_sort_onesweep_config_selectorIiNS0_10empty_typeEEEZNS1_34radix_sort_onesweep_global_offsetsIS3_Lb0EN6thrust23THRUST_200600_302600_NS6detail15normal_iteratorINS9_10device_ptrIiEEEEPS5_jNS0_19identity_decomposerEEE10hipError_tT1_T2_PT3_SK_jT4_jjP12ihipStream_tbEUlT_E_NS1_11comp_targetILNS1_3genE6ELNS1_11target_archE950ELNS1_3gpuE13ELNS1_3repE0EEENS1_52radix_sort_onesweep_histogram_config_static_selectorELNS0_4arch9wavefront6targetE1EEEvSI_.numbered_sgpr, 19
	.set _ZN7rocprim17ROCPRIM_400000_NS6detail17trampoline_kernelINS0_14default_configENS1_35radix_sort_onesweep_config_selectorIiNS0_10empty_typeEEEZNS1_34radix_sort_onesweep_global_offsetsIS3_Lb0EN6thrust23THRUST_200600_302600_NS6detail15normal_iteratorINS9_10device_ptrIiEEEEPS5_jNS0_19identity_decomposerEEE10hipError_tT1_T2_PT3_SK_jT4_jjP12ihipStream_tbEUlT_E_NS1_11comp_targetILNS1_3genE6ELNS1_11target_archE950ELNS1_3gpuE13ELNS1_3repE0EEENS1_52radix_sort_onesweep_histogram_config_static_selectorELNS0_4arch9wavefront6targetE1EEEvSI_.num_named_barrier, 0
	.set _ZN7rocprim17ROCPRIM_400000_NS6detail17trampoline_kernelINS0_14default_configENS1_35radix_sort_onesweep_config_selectorIiNS0_10empty_typeEEEZNS1_34radix_sort_onesweep_global_offsetsIS3_Lb0EN6thrust23THRUST_200600_302600_NS6detail15normal_iteratorINS9_10device_ptrIiEEEEPS5_jNS0_19identity_decomposerEEE10hipError_tT1_T2_PT3_SK_jT4_jjP12ihipStream_tbEUlT_E_NS1_11comp_targetILNS1_3genE6ELNS1_11target_archE950ELNS1_3gpuE13ELNS1_3repE0EEENS1_52radix_sort_onesweep_histogram_config_static_selectorELNS0_4arch9wavefront6targetE1EEEvSI_.private_seg_size, 0
	.set _ZN7rocprim17ROCPRIM_400000_NS6detail17trampoline_kernelINS0_14default_configENS1_35radix_sort_onesweep_config_selectorIiNS0_10empty_typeEEEZNS1_34radix_sort_onesweep_global_offsetsIS3_Lb0EN6thrust23THRUST_200600_302600_NS6detail15normal_iteratorINS9_10device_ptrIiEEEEPS5_jNS0_19identity_decomposerEEE10hipError_tT1_T2_PT3_SK_jT4_jjP12ihipStream_tbEUlT_E_NS1_11comp_targetILNS1_3genE6ELNS1_11target_archE950ELNS1_3gpuE13ELNS1_3repE0EEENS1_52radix_sort_onesweep_histogram_config_static_selectorELNS0_4arch9wavefront6targetE1EEEvSI_.uses_vcc, 1
	.set _ZN7rocprim17ROCPRIM_400000_NS6detail17trampoline_kernelINS0_14default_configENS1_35radix_sort_onesweep_config_selectorIiNS0_10empty_typeEEEZNS1_34radix_sort_onesweep_global_offsetsIS3_Lb0EN6thrust23THRUST_200600_302600_NS6detail15normal_iteratorINS9_10device_ptrIiEEEEPS5_jNS0_19identity_decomposerEEE10hipError_tT1_T2_PT3_SK_jT4_jjP12ihipStream_tbEUlT_E_NS1_11comp_targetILNS1_3genE6ELNS1_11target_archE950ELNS1_3gpuE13ELNS1_3repE0EEENS1_52radix_sort_onesweep_histogram_config_static_selectorELNS0_4arch9wavefront6targetE1EEEvSI_.uses_flat_scratch, 0
	.set _ZN7rocprim17ROCPRIM_400000_NS6detail17trampoline_kernelINS0_14default_configENS1_35radix_sort_onesweep_config_selectorIiNS0_10empty_typeEEEZNS1_34radix_sort_onesweep_global_offsetsIS3_Lb0EN6thrust23THRUST_200600_302600_NS6detail15normal_iteratorINS9_10device_ptrIiEEEEPS5_jNS0_19identity_decomposerEEE10hipError_tT1_T2_PT3_SK_jT4_jjP12ihipStream_tbEUlT_E_NS1_11comp_targetILNS1_3genE6ELNS1_11target_archE950ELNS1_3gpuE13ELNS1_3repE0EEENS1_52radix_sort_onesweep_histogram_config_static_selectorELNS0_4arch9wavefront6targetE1EEEvSI_.has_dyn_sized_stack, 0
	.set _ZN7rocprim17ROCPRIM_400000_NS6detail17trampoline_kernelINS0_14default_configENS1_35radix_sort_onesweep_config_selectorIiNS0_10empty_typeEEEZNS1_34radix_sort_onesweep_global_offsetsIS3_Lb0EN6thrust23THRUST_200600_302600_NS6detail15normal_iteratorINS9_10device_ptrIiEEEEPS5_jNS0_19identity_decomposerEEE10hipError_tT1_T2_PT3_SK_jT4_jjP12ihipStream_tbEUlT_E_NS1_11comp_targetILNS1_3genE6ELNS1_11target_archE950ELNS1_3gpuE13ELNS1_3repE0EEENS1_52radix_sort_onesweep_histogram_config_static_selectorELNS0_4arch9wavefront6targetE1EEEvSI_.has_recursion, 0
	.set _ZN7rocprim17ROCPRIM_400000_NS6detail17trampoline_kernelINS0_14default_configENS1_35radix_sort_onesweep_config_selectorIiNS0_10empty_typeEEEZNS1_34radix_sort_onesweep_global_offsetsIS3_Lb0EN6thrust23THRUST_200600_302600_NS6detail15normal_iteratorINS9_10device_ptrIiEEEEPS5_jNS0_19identity_decomposerEEE10hipError_tT1_T2_PT3_SK_jT4_jjP12ihipStream_tbEUlT_E_NS1_11comp_targetILNS1_3genE6ELNS1_11target_archE950ELNS1_3gpuE13ELNS1_3repE0EEENS1_52radix_sort_onesweep_histogram_config_static_selectorELNS0_4arch9wavefront6targetE1EEEvSI_.has_indirect_call, 0
	.section	.AMDGPU.csdata,"",@progbits
; Kernel info:
; codeLenInByte = 7504
; TotalNumSgprs: 25
; NumVgprs: 22
; NumAgprs: 0
; TotalNumVgprs: 22
; ScratchSize: 0
; MemoryBound: 0
; FloatMode: 240
; IeeeMode: 1
; LDSByteSize: 16384 bytes/workgroup (compile time only)
; SGPRBlocks: 3
; VGPRBlocks: 2
; NumSGPRsForWavesPerEU: 25
; NumVGPRsForWavesPerEU: 22
; AccumOffset: 24
; Occupancy: 8
; WaveLimiterHint : 1
; COMPUTE_PGM_RSRC2:SCRATCH_EN: 0
; COMPUTE_PGM_RSRC2:USER_SGPR: 2
; COMPUTE_PGM_RSRC2:TRAP_HANDLER: 0
; COMPUTE_PGM_RSRC2:TGID_X_EN: 1
; COMPUTE_PGM_RSRC2:TGID_Y_EN: 0
; COMPUTE_PGM_RSRC2:TGID_Z_EN: 0
; COMPUTE_PGM_RSRC2:TIDIG_COMP_CNT: 0
; COMPUTE_PGM_RSRC3_GFX90A:ACCUM_OFFSET: 5
; COMPUTE_PGM_RSRC3_GFX90A:TG_SPLIT: 0
	.section	.text._ZN7rocprim17ROCPRIM_400000_NS6detail17trampoline_kernelINS0_14default_configENS1_35radix_sort_onesweep_config_selectorIiNS0_10empty_typeEEEZNS1_34radix_sort_onesweep_global_offsetsIS3_Lb0EN6thrust23THRUST_200600_302600_NS6detail15normal_iteratorINS9_10device_ptrIiEEEEPS5_jNS0_19identity_decomposerEEE10hipError_tT1_T2_PT3_SK_jT4_jjP12ihipStream_tbEUlT_E_NS1_11comp_targetILNS1_3genE5ELNS1_11target_archE942ELNS1_3gpuE9ELNS1_3repE0EEENS1_52radix_sort_onesweep_histogram_config_static_selectorELNS0_4arch9wavefront6targetE1EEEvSI_,"axG",@progbits,_ZN7rocprim17ROCPRIM_400000_NS6detail17trampoline_kernelINS0_14default_configENS1_35radix_sort_onesweep_config_selectorIiNS0_10empty_typeEEEZNS1_34radix_sort_onesweep_global_offsetsIS3_Lb0EN6thrust23THRUST_200600_302600_NS6detail15normal_iteratorINS9_10device_ptrIiEEEEPS5_jNS0_19identity_decomposerEEE10hipError_tT1_T2_PT3_SK_jT4_jjP12ihipStream_tbEUlT_E_NS1_11comp_targetILNS1_3genE5ELNS1_11target_archE942ELNS1_3gpuE9ELNS1_3repE0EEENS1_52radix_sort_onesweep_histogram_config_static_selectorELNS0_4arch9wavefront6targetE1EEEvSI_,comdat
	.protected	_ZN7rocprim17ROCPRIM_400000_NS6detail17trampoline_kernelINS0_14default_configENS1_35radix_sort_onesweep_config_selectorIiNS0_10empty_typeEEEZNS1_34radix_sort_onesweep_global_offsetsIS3_Lb0EN6thrust23THRUST_200600_302600_NS6detail15normal_iteratorINS9_10device_ptrIiEEEEPS5_jNS0_19identity_decomposerEEE10hipError_tT1_T2_PT3_SK_jT4_jjP12ihipStream_tbEUlT_E_NS1_11comp_targetILNS1_3genE5ELNS1_11target_archE942ELNS1_3gpuE9ELNS1_3repE0EEENS1_52radix_sort_onesweep_histogram_config_static_selectorELNS0_4arch9wavefront6targetE1EEEvSI_ ; -- Begin function _ZN7rocprim17ROCPRIM_400000_NS6detail17trampoline_kernelINS0_14default_configENS1_35radix_sort_onesweep_config_selectorIiNS0_10empty_typeEEEZNS1_34radix_sort_onesweep_global_offsetsIS3_Lb0EN6thrust23THRUST_200600_302600_NS6detail15normal_iteratorINS9_10device_ptrIiEEEEPS5_jNS0_19identity_decomposerEEE10hipError_tT1_T2_PT3_SK_jT4_jjP12ihipStream_tbEUlT_E_NS1_11comp_targetILNS1_3genE5ELNS1_11target_archE942ELNS1_3gpuE9ELNS1_3repE0EEENS1_52radix_sort_onesweep_histogram_config_static_selectorELNS0_4arch9wavefront6targetE1EEEvSI_
	.globl	_ZN7rocprim17ROCPRIM_400000_NS6detail17trampoline_kernelINS0_14default_configENS1_35radix_sort_onesweep_config_selectorIiNS0_10empty_typeEEEZNS1_34radix_sort_onesweep_global_offsetsIS3_Lb0EN6thrust23THRUST_200600_302600_NS6detail15normal_iteratorINS9_10device_ptrIiEEEEPS5_jNS0_19identity_decomposerEEE10hipError_tT1_T2_PT3_SK_jT4_jjP12ihipStream_tbEUlT_E_NS1_11comp_targetILNS1_3genE5ELNS1_11target_archE942ELNS1_3gpuE9ELNS1_3repE0EEENS1_52radix_sort_onesweep_histogram_config_static_selectorELNS0_4arch9wavefront6targetE1EEEvSI_
	.p2align	8
	.type	_ZN7rocprim17ROCPRIM_400000_NS6detail17trampoline_kernelINS0_14default_configENS1_35radix_sort_onesweep_config_selectorIiNS0_10empty_typeEEEZNS1_34radix_sort_onesweep_global_offsetsIS3_Lb0EN6thrust23THRUST_200600_302600_NS6detail15normal_iteratorINS9_10device_ptrIiEEEEPS5_jNS0_19identity_decomposerEEE10hipError_tT1_T2_PT3_SK_jT4_jjP12ihipStream_tbEUlT_E_NS1_11comp_targetILNS1_3genE5ELNS1_11target_archE942ELNS1_3gpuE9ELNS1_3repE0EEENS1_52radix_sort_onesweep_histogram_config_static_selectorELNS0_4arch9wavefront6targetE1EEEvSI_,@function
_ZN7rocprim17ROCPRIM_400000_NS6detail17trampoline_kernelINS0_14default_configENS1_35radix_sort_onesweep_config_selectorIiNS0_10empty_typeEEEZNS1_34radix_sort_onesweep_global_offsetsIS3_Lb0EN6thrust23THRUST_200600_302600_NS6detail15normal_iteratorINS9_10device_ptrIiEEEEPS5_jNS0_19identity_decomposerEEE10hipError_tT1_T2_PT3_SK_jT4_jjP12ihipStream_tbEUlT_E_NS1_11comp_targetILNS1_3genE5ELNS1_11target_archE942ELNS1_3gpuE9ELNS1_3repE0EEENS1_52radix_sort_onesweep_histogram_config_static_selectorELNS0_4arch9wavefront6targetE1EEEvSI_: ; @_ZN7rocprim17ROCPRIM_400000_NS6detail17trampoline_kernelINS0_14default_configENS1_35radix_sort_onesweep_config_selectorIiNS0_10empty_typeEEEZNS1_34radix_sort_onesweep_global_offsetsIS3_Lb0EN6thrust23THRUST_200600_302600_NS6detail15normal_iteratorINS9_10device_ptrIiEEEEPS5_jNS0_19identity_decomposerEEE10hipError_tT1_T2_PT3_SK_jT4_jjP12ihipStream_tbEUlT_E_NS1_11comp_targetILNS1_3genE5ELNS1_11target_archE942ELNS1_3gpuE9ELNS1_3repE0EEENS1_52radix_sort_onesweep_histogram_config_static_selectorELNS0_4arch9wavefront6targetE1EEEvSI_
; %bb.0:
	.section	.rodata,"a",@progbits
	.p2align	6, 0x0
	.amdhsa_kernel _ZN7rocprim17ROCPRIM_400000_NS6detail17trampoline_kernelINS0_14default_configENS1_35radix_sort_onesweep_config_selectorIiNS0_10empty_typeEEEZNS1_34radix_sort_onesweep_global_offsetsIS3_Lb0EN6thrust23THRUST_200600_302600_NS6detail15normal_iteratorINS9_10device_ptrIiEEEEPS5_jNS0_19identity_decomposerEEE10hipError_tT1_T2_PT3_SK_jT4_jjP12ihipStream_tbEUlT_E_NS1_11comp_targetILNS1_3genE5ELNS1_11target_archE942ELNS1_3gpuE9ELNS1_3repE0EEENS1_52radix_sort_onesweep_histogram_config_static_selectorELNS0_4arch9wavefront6targetE1EEEvSI_
		.amdhsa_group_segment_fixed_size 0
		.amdhsa_private_segment_fixed_size 0
		.amdhsa_kernarg_size 40
		.amdhsa_user_sgpr_count 2
		.amdhsa_user_sgpr_dispatch_ptr 0
		.amdhsa_user_sgpr_queue_ptr 0
		.amdhsa_user_sgpr_kernarg_segment_ptr 1
		.amdhsa_user_sgpr_dispatch_id 0
		.amdhsa_user_sgpr_kernarg_preload_length 0
		.amdhsa_user_sgpr_kernarg_preload_offset 0
		.amdhsa_user_sgpr_private_segment_size 0
		.amdhsa_uses_dynamic_stack 0
		.amdhsa_enable_private_segment 0
		.amdhsa_system_sgpr_workgroup_id_x 1
		.amdhsa_system_sgpr_workgroup_id_y 0
		.amdhsa_system_sgpr_workgroup_id_z 0
		.amdhsa_system_sgpr_workgroup_info 0
		.amdhsa_system_vgpr_workitem_id 0
		.amdhsa_next_free_vgpr 1
		.amdhsa_next_free_sgpr 0
		.amdhsa_accum_offset 4
		.amdhsa_reserve_vcc 0
		.amdhsa_float_round_mode_32 0
		.amdhsa_float_round_mode_16_64 0
		.amdhsa_float_denorm_mode_32 3
		.amdhsa_float_denorm_mode_16_64 3
		.amdhsa_dx10_clamp 1
		.amdhsa_ieee_mode 1
		.amdhsa_fp16_overflow 0
		.amdhsa_tg_split 0
		.amdhsa_exception_fp_ieee_invalid_op 0
		.amdhsa_exception_fp_denorm_src 0
		.amdhsa_exception_fp_ieee_div_zero 0
		.amdhsa_exception_fp_ieee_overflow 0
		.amdhsa_exception_fp_ieee_underflow 0
		.amdhsa_exception_fp_ieee_inexact 0
		.amdhsa_exception_int_div_zero 0
	.end_amdhsa_kernel
	.section	.text._ZN7rocprim17ROCPRIM_400000_NS6detail17trampoline_kernelINS0_14default_configENS1_35radix_sort_onesweep_config_selectorIiNS0_10empty_typeEEEZNS1_34radix_sort_onesweep_global_offsetsIS3_Lb0EN6thrust23THRUST_200600_302600_NS6detail15normal_iteratorINS9_10device_ptrIiEEEEPS5_jNS0_19identity_decomposerEEE10hipError_tT1_T2_PT3_SK_jT4_jjP12ihipStream_tbEUlT_E_NS1_11comp_targetILNS1_3genE5ELNS1_11target_archE942ELNS1_3gpuE9ELNS1_3repE0EEENS1_52radix_sort_onesweep_histogram_config_static_selectorELNS0_4arch9wavefront6targetE1EEEvSI_,"axG",@progbits,_ZN7rocprim17ROCPRIM_400000_NS6detail17trampoline_kernelINS0_14default_configENS1_35radix_sort_onesweep_config_selectorIiNS0_10empty_typeEEEZNS1_34radix_sort_onesweep_global_offsetsIS3_Lb0EN6thrust23THRUST_200600_302600_NS6detail15normal_iteratorINS9_10device_ptrIiEEEEPS5_jNS0_19identity_decomposerEEE10hipError_tT1_T2_PT3_SK_jT4_jjP12ihipStream_tbEUlT_E_NS1_11comp_targetILNS1_3genE5ELNS1_11target_archE942ELNS1_3gpuE9ELNS1_3repE0EEENS1_52radix_sort_onesweep_histogram_config_static_selectorELNS0_4arch9wavefront6targetE1EEEvSI_,comdat
.Lfunc_end134:
	.size	_ZN7rocprim17ROCPRIM_400000_NS6detail17trampoline_kernelINS0_14default_configENS1_35radix_sort_onesweep_config_selectorIiNS0_10empty_typeEEEZNS1_34radix_sort_onesweep_global_offsetsIS3_Lb0EN6thrust23THRUST_200600_302600_NS6detail15normal_iteratorINS9_10device_ptrIiEEEEPS5_jNS0_19identity_decomposerEEE10hipError_tT1_T2_PT3_SK_jT4_jjP12ihipStream_tbEUlT_E_NS1_11comp_targetILNS1_3genE5ELNS1_11target_archE942ELNS1_3gpuE9ELNS1_3repE0EEENS1_52radix_sort_onesweep_histogram_config_static_selectorELNS0_4arch9wavefront6targetE1EEEvSI_, .Lfunc_end134-_ZN7rocprim17ROCPRIM_400000_NS6detail17trampoline_kernelINS0_14default_configENS1_35radix_sort_onesweep_config_selectorIiNS0_10empty_typeEEEZNS1_34radix_sort_onesweep_global_offsetsIS3_Lb0EN6thrust23THRUST_200600_302600_NS6detail15normal_iteratorINS9_10device_ptrIiEEEEPS5_jNS0_19identity_decomposerEEE10hipError_tT1_T2_PT3_SK_jT4_jjP12ihipStream_tbEUlT_E_NS1_11comp_targetILNS1_3genE5ELNS1_11target_archE942ELNS1_3gpuE9ELNS1_3repE0EEENS1_52radix_sort_onesweep_histogram_config_static_selectorELNS0_4arch9wavefront6targetE1EEEvSI_
                                        ; -- End function
	.set _ZN7rocprim17ROCPRIM_400000_NS6detail17trampoline_kernelINS0_14default_configENS1_35radix_sort_onesweep_config_selectorIiNS0_10empty_typeEEEZNS1_34radix_sort_onesweep_global_offsetsIS3_Lb0EN6thrust23THRUST_200600_302600_NS6detail15normal_iteratorINS9_10device_ptrIiEEEEPS5_jNS0_19identity_decomposerEEE10hipError_tT1_T2_PT3_SK_jT4_jjP12ihipStream_tbEUlT_E_NS1_11comp_targetILNS1_3genE5ELNS1_11target_archE942ELNS1_3gpuE9ELNS1_3repE0EEENS1_52radix_sort_onesweep_histogram_config_static_selectorELNS0_4arch9wavefront6targetE1EEEvSI_.num_vgpr, 0
	.set _ZN7rocprim17ROCPRIM_400000_NS6detail17trampoline_kernelINS0_14default_configENS1_35radix_sort_onesweep_config_selectorIiNS0_10empty_typeEEEZNS1_34radix_sort_onesweep_global_offsetsIS3_Lb0EN6thrust23THRUST_200600_302600_NS6detail15normal_iteratorINS9_10device_ptrIiEEEEPS5_jNS0_19identity_decomposerEEE10hipError_tT1_T2_PT3_SK_jT4_jjP12ihipStream_tbEUlT_E_NS1_11comp_targetILNS1_3genE5ELNS1_11target_archE942ELNS1_3gpuE9ELNS1_3repE0EEENS1_52radix_sort_onesweep_histogram_config_static_selectorELNS0_4arch9wavefront6targetE1EEEvSI_.num_agpr, 0
	.set _ZN7rocprim17ROCPRIM_400000_NS6detail17trampoline_kernelINS0_14default_configENS1_35radix_sort_onesweep_config_selectorIiNS0_10empty_typeEEEZNS1_34radix_sort_onesweep_global_offsetsIS3_Lb0EN6thrust23THRUST_200600_302600_NS6detail15normal_iteratorINS9_10device_ptrIiEEEEPS5_jNS0_19identity_decomposerEEE10hipError_tT1_T2_PT3_SK_jT4_jjP12ihipStream_tbEUlT_E_NS1_11comp_targetILNS1_3genE5ELNS1_11target_archE942ELNS1_3gpuE9ELNS1_3repE0EEENS1_52radix_sort_onesweep_histogram_config_static_selectorELNS0_4arch9wavefront6targetE1EEEvSI_.numbered_sgpr, 0
	.set _ZN7rocprim17ROCPRIM_400000_NS6detail17trampoline_kernelINS0_14default_configENS1_35radix_sort_onesweep_config_selectorIiNS0_10empty_typeEEEZNS1_34radix_sort_onesweep_global_offsetsIS3_Lb0EN6thrust23THRUST_200600_302600_NS6detail15normal_iteratorINS9_10device_ptrIiEEEEPS5_jNS0_19identity_decomposerEEE10hipError_tT1_T2_PT3_SK_jT4_jjP12ihipStream_tbEUlT_E_NS1_11comp_targetILNS1_3genE5ELNS1_11target_archE942ELNS1_3gpuE9ELNS1_3repE0EEENS1_52radix_sort_onesweep_histogram_config_static_selectorELNS0_4arch9wavefront6targetE1EEEvSI_.num_named_barrier, 0
	.set _ZN7rocprim17ROCPRIM_400000_NS6detail17trampoline_kernelINS0_14default_configENS1_35radix_sort_onesweep_config_selectorIiNS0_10empty_typeEEEZNS1_34radix_sort_onesweep_global_offsetsIS3_Lb0EN6thrust23THRUST_200600_302600_NS6detail15normal_iteratorINS9_10device_ptrIiEEEEPS5_jNS0_19identity_decomposerEEE10hipError_tT1_T2_PT3_SK_jT4_jjP12ihipStream_tbEUlT_E_NS1_11comp_targetILNS1_3genE5ELNS1_11target_archE942ELNS1_3gpuE9ELNS1_3repE0EEENS1_52radix_sort_onesweep_histogram_config_static_selectorELNS0_4arch9wavefront6targetE1EEEvSI_.private_seg_size, 0
	.set _ZN7rocprim17ROCPRIM_400000_NS6detail17trampoline_kernelINS0_14default_configENS1_35radix_sort_onesweep_config_selectorIiNS0_10empty_typeEEEZNS1_34radix_sort_onesweep_global_offsetsIS3_Lb0EN6thrust23THRUST_200600_302600_NS6detail15normal_iteratorINS9_10device_ptrIiEEEEPS5_jNS0_19identity_decomposerEEE10hipError_tT1_T2_PT3_SK_jT4_jjP12ihipStream_tbEUlT_E_NS1_11comp_targetILNS1_3genE5ELNS1_11target_archE942ELNS1_3gpuE9ELNS1_3repE0EEENS1_52radix_sort_onesweep_histogram_config_static_selectorELNS0_4arch9wavefront6targetE1EEEvSI_.uses_vcc, 0
	.set _ZN7rocprim17ROCPRIM_400000_NS6detail17trampoline_kernelINS0_14default_configENS1_35radix_sort_onesweep_config_selectorIiNS0_10empty_typeEEEZNS1_34radix_sort_onesweep_global_offsetsIS3_Lb0EN6thrust23THRUST_200600_302600_NS6detail15normal_iteratorINS9_10device_ptrIiEEEEPS5_jNS0_19identity_decomposerEEE10hipError_tT1_T2_PT3_SK_jT4_jjP12ihipStream_tbEUlT_E_NS1_11comp_targetILNS1_3genE5ELNS1_11target_archE942ELNS1_3gpuE9ELNS1_3repE0EEENS1_52radix_sort_onesweep_histogram_config_static_selectorELNS0_4arch9wavefront6targetE1EEEvSI_.uses_flat_scratch, 0
	.set _ZN7rocprim17ROCPRIM_400000_NS6detail17trampoline_kernelINS0_14default_configENS1_35radix_sort_onesweep_config_selectorIiNS0_10empty_typeEEEZNS1_34radix_sort_onesweep_global_offsetsIS3_Lb0EN6thrust23THRUST_200600_302600_NS6detail15normal_iteratorINS9_10device_ptrIiEEEEPS5_jNS0_19identity_decomposerEEE10hipError_tT1_T2_PT3_SK_jT4_jjP12ihipStream_tbEUlT_E_NS1_11comp_targetILNS1_3genE5ELNS1_11target_archE942ELNS1_3gpuE9ELNS1_3repE0EEENS1_52radix_sort_onesweep_histogram_config_static_selectorELNS0_4arch9wavefront6targetE1EEEvSI_.has_dyn_sized_stack, 0
	.set _ZN7rocprim17ROCPRIM_400000_NS6detail17trampoline_kernelINS0_14default_configENS1_35radix_sort_onesweep_config_selectorIiNS0_10empty_typeEEEZNS1_34radix_sort_onesweep_global_offsetsIS3_Lb0EN6thrust23THRUST_200600_302600_NS6detail15normal_iteratorINS9_10device_ptrIiEEEEPS5_jNS0_19identity_decomposerEEE10hipError_tT1_T2_PT3_SK_jT4_jjP12ihipStream_tbEUlT_E_NS1_11comp_targetILNS1_3genE5ELNS1_11target_archE942ELNS1_3gpuE9ELNS1_3repE0EEENS1_52radix_sort_onesweep_histogram_config_static_selectorELNS0_4arch9wavefront6targetE1EEEvSI_.has_recursion, 0
	.set _ZN7rocprim17ROCPRIM_400000_NS6detail17trampoline_kernelINS0_14default_configENS1_35radix_sort_onesweep_config_selectorIiNS0_10empty_typeEEEZNS1_34radix_sort_onesweep_global_offsetsIS3_Lb0EN6thrust23THRUST_200600_302600_NS6detail15normal_iteratorINS9_10device_ptrIiEEEEPS5_jNS0_19identity_decomposerEEE10hipError_tT1_T2_PT3_SK_jT4_jjP12ihipStream_tbEUlT_E_NS1_11comp_targetILNS1_3genE5ELNS1_11target_archE942ELNS1_3gpuE9ELNS1_3repE0EEENS1_52radix_sort_onesweep_histogram_config_static_selectorELNS0_4arch9wavefront6targetE1EEEvSI_.has_indirect_call, 0
	.section	.AMDGPU.csdata,"",@progbits
; Kernel info:
; codeLenInByte = 0
; TotalNumSgprs: 6
; NumVgprs: 0
; NumAgprs: 0
; TotalNumVgprs: 0
; ScratchSize: 0
; MemoryBound: 0
; FloatMode: 240
; IeeeMode: 1
; LDSByteSize: 0 bytes/workgroup (compile time only)
; SGPRBlocks: 0
; VGPRBlocks: 0
; NumSGPRsForWavesPerEU: 6
; NumVGPRsForWavesPerEU: 1
; AccumOffset: 4
; Occupancy: 8
; WaveLimiterHint : 0
; COMPUTE_PGM_RSRC2:SCRATCH_EN: 0
; COMPUTE_PGM_RSRC2:USER_SGPR: 2
; COMPUTE_PGM_RSRC2:TRAP_HANDLER: 0
; COMPUTE_PGM_RSRC2:TGID_X_EN: 1
; COMPUTE_PGM_RSRC2:TGID_Y_EN: 0
; COMPUTE_PGM_RSRC2:TGID_Z_EN: 0
; COMPUTE_PGM_RSRC2:TIDIG_COMP_CNT: 0
; COMPUTE_PGM_RSRC3_GFX90A:ACCUM_OFFSET: 0
; COMPUTE_PGM_RSRC3_GFX90A:TG_SPLIT: 0
	.section	.text._ZN7rocprim17ROCPRIM_400000_NS6detail17trampoline_kernelINS0_14default_configENS1_35radix_sort_onesweep_config_selectorIiNS0_10empty_typeEEEZNS1_34radix_sort_onesweep_global_offsetsIS3_Lb0EN6thrust23THRUST_200600_302600_NS6detail15normal_iteratorINS9_10device_ptrIiEEEEPS5_jNS0_19identity_decomposerEEE10hipError_tT1_T2_PT3_SK_jT4_jjP12ihipStream_tbEUlT_E_NS1_11comp_targetILNS1_3genE2ELNS1_11target_archE906ELNS1_3gpuE6ELNS1_3repE0EEENS1_52radix_sort_onesweep_histogram_config_static_selectorELNS0_4arch9wavefront6targetE1EEEvSI_,"axG",@progbits,_ZN7rocprim17ROCPRIM_400000_NS6detail17trampoline_kernelINS0_14default_configENS1_35radix_sort_onesweep_config_selectorIiNS0_10empty_typeEEEZNS1_34radix_sort_onesweep_global_offsetsIS3_Lb0EN6thrust23THRUST_200600_302600_NS6detail15normal_iteratorINS9_10device_ptrIiEEEEPS5_jNS0_19identity_decomposerEEE10hipError_tT1_T2_PT3_SK_jT4_jjP12ihipStream_tbEUlT_E_NS1_11comp_targetILNS1_3genE2ELNS1_11target_archE906ELNS1_3gpuE6ELNS1_3repE0EEENS1_52radix_sort_onesweep_histogram_config_static_selectorELNS0_4arch9wavefront6targetE1EEEvSI_,comdat
	.protected	_ZN7rocprim17ROCPRIM_400000_NS6detail17trampoline_kernelINS0_14default_configENS1_35radix_sort_onesweep_config_selectorIiNS0_10empty_typeEEEZNS1_34radix_sort_onesweep_global_offsetsIS3_Lb0EN6thrust23THRUST_200600_302600_NS6detail15normal_iteratorINS9_10device_ptrIiEEEEPS5_jNS0_19identity_decomposerEEE10hipError_tT1_T2_PT3_SK_jT4_jjP12ihipStream_tbEUlT_E_NS1_11comp_targetILNS1_3genE2ELNS1_11target_archE906ELNS1_3gpuE6ELNS1_3repE0EEENS1_52radix_sort_onesweep_histogram_config_static_selectorELNS0_4arch9wavefront6targetE1EEEvSI_ ; -- Begin function _ZN7rocprim17ROCPRIM_400000_NS6detail17trampoline_kernelINS0_14default_configENS1_35radix_sort_onesweep_config_selectorIiNS0_10empty_typeEEEZNS1_34radix_sort_onesweep_global_offsetsIS3_Lb0EN6thrust23THRUST_200600_302600_NS6detail15normal_iteratorINS9_10device_ptrIiEEEEPS5_jNS0_19identity_decomposerEEE10hipError_tT1_T2_PT3_SK_jT4_jjP12ihipStream_tbEUlT_E_NS1_11comp_targetILNS1_3genE2ELNS1_11target_archE906ELNS1_3gpuE6ELNS1_3repE0EEENS1_52radix_sort_onesweep_histogram_config_static_selectorELNS0_4arch9wavefront6targetE1EEEvSI_
	.globl	_ZN7rocprim17ROCPRIM_400000_NS6detail17trampoline_kernelINS0_14default_configENS1_35radix_sort_onesweep_config_selectorIiNS0_10empty_typeEEEZNS1_34radix_sort_onesweep_global_offsetsIS3_Lb0EN6thrust23THRUST_200600_302600_NS6detail15normal_iteratorINS9_10device_ptrIiEEEEPS5_jNS0_19identity_decomposerEEE10hipError_tT1_T2_PT3_SK_jT4_jjP12ihipStream_tbEUlT_E_NS1_11comp_targetILNS1_3genE2ELNS1_11target_archE906ELNS1_3gpuE6ELNS1_3repE0EEENS1_52radix_sort_onesweep_histogram_config_static_selectorELNS0_4arch9wavefront6targetE1EEEvSI_
	.p2align	8
	.type	_ZN7rocprim17ROCPRIM_400000_NS6detail17trampoline_kernelINS0_14default_configENS1_35radix_sort_onesweep_config_selectorIiNS0_10empty_typeEEEZNS1_34radix_sort_onesweep_global_offsetsIS3_Lb0EN6thrust23THRUST_200600_302600_NS6detail15normal_iteratorINS9_10device_ptrIiEEEEPS5_jNS0_19identity_decomposerEEE10hipError_tT1_T2_PT3_SK_jT4_jjP12ihipStream_tbEUlT_E_NS1_11comp_targetILNS1_3genE2ELNS1_11target_archE906ELNS1_3gpuE6ELNS1_3repE0EEENS1_52radix_sort_onesweep_histogram_config_static_selectorELNS0_4arch9wavefront6targetE1EEEvSI_,@function
_ZN7rocprim17ROCPRIM_400000_NS6detail17trampoline_kernelINS0_14default_configENS1_35radix_sort_onesweep_config_selectorIiNS0_10empty_typeEEEZNS1_34radix_sort_onesweep_global_offsetsIS3_Lb0EN6thrust23THRUST_200600_302600_NS6detail15normal_iteratorINS9_10device_ptrIiEEEEPS5_jNS0_19identity_decomposerEEE10hipError_tT1_T2_PT3_SK_jT4_jjP12ihipStream_tbEUlT_E_NS1_11comp_targetILNS1_3genE2ELNS1_11target_archE906ELNS1_3gpuE6ELNS1_3repE0EEENS1_52radix_sort_onesweep_histogram_config_static_selectorELNS0_4arch9wavefront6targetE1EEEvSI_: ; @_ZN7rocprim17ROCPRIM_400000_NS6detail17trampoline_kernelINS0_14default_configENS1_35radix_sort_onesweep_config_selectorIiNS0_10empty_typeEEEZNS1_34radix_sort_onesweep_global_offsetsIS3_Lb0EN6thrust23THRUST_200600_302600_NS6detail15normal_iteratorINS9_10device_ptrIiEEEEPS5_jNS0_19identity_decomposerEEE10hipError_tT1_T2_PT3_SK_jT4_jjP12ihipStream_tbEUlT_E_NS1_11comp_targetILNS1_3genE2ELNS1_11target_archE906ELNS1_3gpuE6ELNS1_3repE0EEENS1_52radix_sort_onesweep_histogram_config_static_selectorELNS0_4arch9wavefront6targetE1EEEvSI_
; %bb.0:
	.section	.rodata,"a",@progbits
	.p2align	6, 0x0
	.amdhsa_kernel _ZN7rocprim17ROCPRIM_400000_NS6detail17trampoline_kernelINS0_14default_configENS1_35radix_sort_onesweep_config_selectorIiNS0_10empty_typeEEEZNS1_34radix_sort_onesweep_global_offsetsIS3_Lb0EN6thrust23THRUST_200600_302600_NS6detail15normal_iteratorINS9_10device_ptrIiEEEEPS5_jNS0_19identity_decomposerEEE10hipError_tT1_T2_PT3_SK_jT4_jjP12ihipStream_tbEUlT_E_NS1_11comp_targetILNS1_3genE2ELNS1_11target_archE906ELNS1_3gpuE6ELNS1_3repE0EEENS1_52radix_sort_onesweep_histogram_config_static_selectorELNS0_4arch9wavefront6targetE1EEEvSI_
		.amdhsa_group_segment_fixed_size 0
		.amdhsa_private_segment_fixed_size 0
		.amdhsa_kernarg_size 40
		.amdhsa_user_sgpr_count 2
		.amdhsa_user_sgpr_dispatch_ptr 0
		.amdhsa_user_sgpr_queue_ptr 0
		.amdhsa_user_sgpr_kernarg_segment_ptr 1
		.amdhsa_user_sgpr_dispatch_id 0
		.amdhsa_user_sgpr_kernarg_preload_length 0
		.amdhsa_user_sgpr_kernarg_preload_offset 0
		.amdhsa_user_sgpr_private_segment_size 0
		.amdhsa_uses_dynamic_stack 0
		.amdhsa_enable_private_segment 0
		.amdhsa_system_sgpr_workgroup_id_x 1
		.amdhsa_system_sgpr_workgroup_id_y 0
		.amdhsa_system_sgpr_workgroup_id_z 0
		.amdhsa_system_sgpr_workgroup_info 0
		.amdhsa_system_vgpr_workitem_id 0
		.amdhsa_next_free_vgpr 1
		.amdhsa_next_free_sgpr 0
		.amdhsa_accum_offset 4
		.amdhsa_reserve_vcc 0
		.amdhsa_float_round_mode_32 0
		.amdhsa_float_round_mode_16_64 0
		.amdhsa_float_denorm_mode_32 3
		.amdhsa_float_denorm_mode_16_64 3
		.amdhsa_dx10_clamp 1
		.amdhsa_ieee_mode 1
		.amdhsa_fp16_overflow 0
		.amdhsa_tg_split 0
		.amdhsa_exception_fp_ieee_invalid_op 0
		.amdhsa_exception_fp_denorm_src 0
		.amdhsa_exception_fp_ieee_div_zero 0
		.amdhsa_exception_fp_ieee_overflow 0
		.amdhsa_exception_fp_ieee_underflow 0
		.amdhsa_exception_fp_ieee_inexact 0
		.amdhsa_exception_int_div_zero 0
	.end_amdhsa_kernel
	.section	.text._ZN7rocprim17ROCPRIM_400000_NS6detail17trampoline_kernelINS0_14default_configENS1_35radix_sort_onesweep_config_selectorIiNS0_10empty_typeEEEZNS1_34radix_sort_onesweep_global_offsetsIS3_Lb0EN6thrust23THRUST_200600_302600_NS6detail15normal_iteratorINS9_10device_ptrIiEEEEPS5_jNS0_19identity_decomposerEEE10hipError_tT1_T2_PT3_SK_jT4_jjP12ihipStream_tbEUlT_E_NS1_11comp_targetILNS1_3genE2ELNS1_11target_archE906ELNS1_3gpuE6ELNS1_3repE0EEENS1_52radix_sort_onesweep_histogram_config_static_selectorELNS0_4arch9wavefront6targetE1EEEvSI_,"axG",@progbits,_ZN7rocprim17ROCPRIM_400000_NS6detail17trampoline_kernelINS0_14default_configENS1_35radix_sort_onesweep_config_selectorIiNS0_10empty_typeEEEZNS1_34radix_sort_onesweep_global_offsetsIS3_Lb0EN6thrust23THRUST_200600_302600_NS6detail15normal_iteratorINS9_10device_ptrIiEEEEPS5_jNS0_19identity_decomposerEEE10hipError_tT1_T2_PT3_SK_jT4_jjP12ihipStream_tbEUlT_E_NS1_11comp_targetILNS1_3genE2ELNS1_11target_archE906ELNS1_3gpuE6ELNS1_3repE0EEENS1_52radix_sort_onesweep_histogram_config_static_selectorELNS0_4arch9wavefront6targetE1EEEvSI_,comdat
.Lfunc_end135:
	.size	_ZN7rocprim17ROCPRIM_400000_NS6detail17trampoline_kernelINS0_14default_configENS1_35radix_sort_onesweep_config_selectorIiNS0_10empty_typeEEEZNS1_34radix_sort_onesweep_global_offsetsIS3_Lb0EN6thrust23THRUST_200600_302600_NS6detail15normal_iteratorINS9_10device_ptrIiEEEEPS5_jNS0_19identity_decomposerEEE10hipError_tT1_T2_PT3_SK_jT4_jjP12ihipStream_tbEUlT_E_NS1_11comp_targetILNS1_3genE2ELNS1_11target_archE906ELNS1_3gpuE6ELNS1_3repE0EEENS1_52radix_sort_onesweep_histogram_config_static_selectorELNS0_4arch9wavefront6targetE1EEEvSI_, .Lfunc_end135-_ZN7rocprim17ROCPRIM_400000_NS6detail17trampoline_kernelINS0_14default_configENS1_35radix_sort_onesweep_config_selectorIiNS0_10empty_typeEEEZNS1_34radix_sort_onesweep_global_offsetsIS3_Lb0EN6thrust23THRUST_200600_302600_NS6detail15normal_iteratorINS9_10device_ptrIiEEEEPS5_jNS0_19identity_decomposerEEE10hipError_tT1_T2_PT3_SK_jT4_jjP12ihipStream_tbEUlT_E_NS1_11comp_targetILNS1_3genE2ELNS1_11target_archE906ELNS1_3gpuE6ELNS1_3repE0EEENS1_52radix_sort_onesweep_histogram_config_static_selectorELNS0_4arch9wavefront6targetE1EEEvSI_
                                        ; -- End function
	.set _ZN7rocprim17ROCPRIM_400000_NS6detail17trampoline_kernelINS0_14default_configENS1_35radix_sort_onesweep_config_selectorIiNS0_10empty_typeEEEZNS1_34radix_sort_onesweep_global_offsetsIS3_Lb0EN6thrust23THRUST_200600_302600_NS6detail15normal_iteratorINS9_10device_ptrIiEEEEPS5_jNS0_19identity_decomposerEEE10hipError_tT1_T2_PT3_SK_jT4_jjP12ihipStream_tbEUlT_E_NS1_11comp_targetILNS1_3genE2ELNS1_11target_archE906ELNS1_3gpuE6ELNS1_3repE0EEENS1_52radix_sort_onesweep_histogram_config_static_selectorELNS0_4arch9wavefront6targetE1EEEvSI_.num_vgpr, 0
	.set _ZN7rocprim17ROCPRIM_400000_NS6detail17trampoline_kernelINS0_14default_configENS1_35radix_sort_onesweep_config_selectorIiNS0_10empty_typeEEEZNS1_34radix_sort_onesweep_global_offsetsIS3_Lb0EN6thrust23THRUST_200600_302600_NS6detail15normal_iteratorINS9_10device_ptrIiEEEEPS5_jNS0_19identity_decomposerEEE10hipError_tT1_T2_PT3_SK_jT4_jjP12ihipStream_tbEUlT_E_NS1_11comp_targetILNS1_3genE2ELNS1_11target_archE906ELNS1_3gpuE6ELNS1_3repE0EEENS1_52radix_sort_onesweep_histogram_config_static_selectorELNS0_4arch9wavefront6targetE1EEEvSI_.num_agpr, 0
	.set _ZN7rocprim17ROCPRIM_400000_NS6detail17trampoline_kernelINS0_14default_configENS1_35radix_sort_onesweep_config_selectorIiNS0_10empty_typeEEEZNS1_34radix_sort_onesweep_global_offsetsIS3_Lb0EN6thrust23THRUST_200600_302600_NS6detail15normal_iteratorINS9_10device_ptrIiEEEEPS5_jNS0_19identity_decomposerEEE10hipError_tT1_T2_PT3_SK_jT4_jjP12ihipStream_tbEUlT_E_NS1_11comp_targetILNS1_3genE2ELNS1_11target_archE906ELNS1_3gpuE6ELNS1_3repE0EEENS1_52radix_sort_onesweep_histogram_config_static_selectorELNS0_4arch9wavefront6targetE1EEEvSI_.numbered_sgpr, 0
	.set _ZN7rocprim17ROCPRIM_400000_NS6detail17trampoline_kernelINS0_14default_configENS1_35radix_sort_onesweep_config_selectorIiNS0_10empty_typeEEEZNS1_34radix_sort_onesweep_global_offsetsIS3_Lb0EN6thrust23THRUST_200600_302600_NS6detail15normal_iteratorINS9_10device_ptrIiEEEEPS5_jNS0_19identity_decomposerEEE10hipError_tT1_T2_PT3_SK_jT4_jjP12ihipStream_tbEUlT_E_NS1_11comp_targetILNS1_3genE2ELNS1_11target_archE906ELNS1_3gpuE6ELNS1_3repE0EEENS1_52radix_sort_onesweep_histogram_config_static_selectorELNS0_4arch9wavefront6targetE1EEEvSI_.num_named_barrier, 0
	.set _ZN7rocprim17ROCPRIM_400000_NS6detail17trampoline_kernelINS0_14default_configENS1_35radix_sort_onesweep_config_selectorIiNS0_10empty_typeEEEZNS1_34radix_sort_onesweep_global_offsetsIS3_Lb0EN6thrust23THRUST_200600_302600_NS6detail15normal_iteratorINS9_10device_ptrIiEEEEPS5_jNS0_19identity_decomposerEEE10hipError_tT1_T2_PT3_SK_jT4_jjP12ihipStream_tbEUlT_E_NS1_11comp_targetILNS1_3genE2ELNS1_11target_archE906ELNS1_3gpuE6ELNS1_3repE0EEENS1_52radix_sort_onesweep_histogram_config_static_selectorELNS0_4arch9wavefront6targetE1EEEvSI_.private_seg_size, 0
	.set _ZN7rocprim17ROCPRIM_400000_NS6detail17trampoline_kernelINS0_14default_configENS1_35radix_sort_onesweep_config_selectorIiNS0_10empty_typeEEEZNS1_34radix_sort_onesweep_global_offsetsIS3_Lb0EN6thrust23THRUST_200600_302600_NS6detail15normal_iteratorINS9_10device_ptrIiEEEEPS5_jNS0_19identity_decomposerEEE10hipError_tT1_T2_PT3_SK_jT4_jjP12ihipStream_tbEUlT_E_NS1_11comp_targetILNS1_3genE2ELNS1_11target_archE906ELNS1_3gpuE6ELNS1_3repE0EEENS1_52radix_sort_onesweep_histogram_config_static_selectorELNS0_4arch9wavefront6targetE1EEEvSI_.uses_vcc, 0
	.set _ZN7rocprim17ROCPRIM_400000_NS6detail17trampoline_kernelINS0_14default_configENS1_35radix_sort_onesweep_config_selectorIiNS0_10empty_typeEEEZNS1_34radix_sort_onesweep_global_offsetsIS3_Lb0EN6thrust23THRUST_200600_302600_NS6detail15normal_iteratorINS9_10device_ptrIiEEEEPS5_jNS0_19identity_decomposerEEE10hipError_tT1_T2_PT3_SK_jT4_jjP12ihipStream_tbEUlT_E_NS1_11comp_targetILNS1_3genE2ELNS1_11target_archE906ELNS1_3gpuE6ELNS1_3repE0EEENS1_52radix_sort_onesweep_histogram_config_static_selectorELNS0_4arch9wavefront6targetE1EEEvSI_.uses_flat_scratch, 0
	.set _ZN7rocprim17ROCPRIM_400000_NS6detail17trampoline_kernelINS0_14default_configENS1_35radix_sort_onesweep_config_selectorIiNS0_10empty_typeEEEZNS1_34radix_sort_onesweep_global_offsetsIS3_Lb0EN6thrust23THRUST_200600_302600_NS6detail15normal_iteratorINS9_10device_ptrIiEEEEPS5_jNS0_19identity_decomposerEEE10hipError_tT1_T2_PT3_SK_jT4_jjP12ihipStream_tbEUlT_E_NS1_11comp_targetILNS1_3genE2ELNS1_11target_archE906ELNS1_3gpuE6ELNS1_3repE0EEENS1_52radix_sort_onesweep_histogram_config_static_selectorELNS0_4arch9wavefront6targetE1EEEvSI_.has_dyn_sized_stack, 0
	.set _ZN7rocprim17ROCPRIM_400000_NS6detail17trampoline_kernelINS0_14default_configENS1_35radix_sort_onesweep_config_selectorIiNS0_10empty_typeEEEZNS1_34radix_sort_onesweep_global_offsetsIS3_Lb0EN6thrust23THRUST_200600_302600_NS6detail15normal_iteratorINS9_10device_ptrIiEEEEPS5_jNS0_19identity_decomposerEEE10hipError_tT1_T2_PT3_SK_jT4_jjP12ihipStream_tbEUlT_E_NS1_11comp_targetILNS1_3genE2ELNS1_11target_archE906ELNS1_3gpuE6ELNS1_3repE0EEENS1_52radix_sort_onesweep_histogram_config_static_selectorELNS0_4arch9wavefront6targetE1EEEvSI_.has_recursion, 0
	.set _ZN7rocprim17ROCPRIM_400000_NS6detail17trampoline_kernelINS0_14default_configENS1_35radix_sort_onesweep_config_selectorIiNS0_10empty_typeEEEZNS1_34radix_sort_onesweep_global_offsetsIS3_Lb0EN6thrust23THRUST_200600_302600_NS6detail15normal_iteratorINS9_10device_ptrIiEEEEPS5_jNS0_19identity_decomposerEEE10hipError_tT1_T2_PT3_SK_jT4_jjP12ihipStream_tbEUlT_E_NS1_11comp_targetILNS1_3genE2ELNS1_11target_archE906ELNS1_3gpuE6ELNS1_3repE0EEENS1_52radix_sort_onesweep_histogram_config_static_selectorELNS0_4arch9wavefront6targetE1EEEvSI_.has_indirect_call, 0
	.section	.AMDGPU.csdata,"",@progbits
; Kernel info:
; codeLenInByte = 0
; TotalNumSgprs: 6
; NumVgprs: 0
; NumAgprs: 0
; TotalNumVgprs: 0
; ScratchSize: 0
; MemoryBound: 0
; FloatMode: 240
; IeeeMode: 1
; LDSByteSize: 0 bytes/workgroup (compile time only)
; SGPRBlocks: 0
; VGPRBlocks: 0
; NumSGPRsForWavesPerEU: 6
; NumVGPRsForWavesPerEU: 1
; AccumOffset: 4
; Occupancy: 8
; WaveLimiterHint : 0
; COMPUTE_PGM_RSRC2:SCRATCH_EN: 0
; COMPUTE_PGM_RSRC2:USER_SGPR: 2
; COMPUTE_PGM_RSRC2:TRAP_HANDLER: 0
; COMPUTE_PGM_RSRC2:TGID_X_EN: 1
; COMPUTE_PGM_RSRC2:TGID_Y_EN: 0
; COMPUTE_PGM_RSRC2:TGID_Z_EN: 0
; COMPUTE_PGM_RSRC2:TIDIG_COMP_CNT: 0
; COMPUTE_PGM_RSRC3_GFX90A:ACCUM_OFFSET: 0
; COMPUTE_PGM_RSRC3_GFX90A:TG_SPLIT: 0
	.section	.text._ZN7rocprim17ROCPRIM_400000_NS6detail17trampoline_kernelINS0_14default_configENS1_35radix_sort_onesweep_config_selectorIiNS0_10empty_typeEEEZNS1_34radix_sort_onesweep_global_offsetsIS3_Lb0EN6thrust23THRUST_200600_302600_NS6detail15normal_iteratorINS9_10device_ptrIiEEEEPS5_jNS0_19identity_decomposerEEE10hipError_tT1_T2_PT3_SK_jT4_jjP12ihipStream_tbEUlT_E_NS1_11comp_targetILNS1_3genE4ELNS1_11target_archE910ELNS1_3gpuE8ELNS1_3repE0EEENS1_52radix_sort_onesweep_histogram_config_static_selectorELNS0_4arch9wavefront6targetE1EEEvSI_,"axG",@progbits,_ZN7rocprim17ROCPRIM_400000_NS6detail17trampoline_kernelINS0_14default_configENS1_35radix_sort_onesweep_config_selectorIiNS0_10empty_typeEEEZNS1_34radix_sort_onesweep_global_offsetsIS3_Lb0EN6thrust23THRUST_200600_302600_NS6detail15normal_iteratorINS9_10device_ptrIiEEEEPS5_jNS0_19identity_decomposerEEE10hipError_tT1_T2_PT3_SK_jT4_jjP12ihipStream_tbEUlT_E_NS1_11comp_targetILNS1_3genE4ELNS1_11target_archE910ELNS1_3gpuE8ELNS1_3repE0EEENS1_52radix_sort_onesweep_histogram_config_static_selectorELNS0_4arch9wavefront6targetE1EEEvSI_,comdat
	.protected	_ZN7rocprim17ROCPRIM_400000_NS6detail17trampoline_kernelINS0_14default_configENS1_35radix_sort_onesweep_config_selectorIiNS0_10empty_typeEEEZNS1_34radix_sort_onesweep_global_offsetsIS3_Lb0EN6thrust23THRUST_200600_302600_NS6detail15normal_iteratorINS9_10device_ptrIiEEEEPS5_jNS0_19identity_decomposerEEE10hipError_tT1_T2_PT3_SK_jT4_jjP12ihipStream_tbEUlT_E_NS1_11comp_targetILNS1_3genE4ELNS1_11target_archE910ELNS1_3gpuE8ELNS1_3repE0EEENS1_52radix_sort_onesweep_histogram_config_static_selectorELNS0_4arch9wavefront6targetE1EEEvSI_ ; -- Begin function _ZN7rocprim17ROCPRIM_400000_NS6detail17trampoline_kernelINS0_14default_configENS1_35radix_sort_onesweep_config_selectorIiNS0_10empty_typeEEEZNS1_34radix_sort_onesweep_global_offsetsIS3_Lb0EN6thrust23THRUST_200600_302600_NS6detail15normal_iteratorINS9_10device_ptrIiEEEEPS5_jNS0_19identity_decomposerEEE10hipError_tT1_T2_PT3_SK_jT4_jjP12ihipStream_tbEUlT_E_NS1_11comp_targetILNS1_3genE4ELNS1_11target_archE910ELNS1_3gpuE8ELNS1_3repE0EEENS1_52radix_sort_onesweep_histogram_config_static_selectorELNS0_4arch9wavefront6targetE1EEEvSI_
	.globl	_ZN7rocprim17ROCPRIM_400000_NS6detail17trampoline_kernelINS0_14default_configENS1_35radix_sort_onesweep_config_selectorIiNS0_10empty_typeEEEZNS1_34radix_sort_onesweep_global_offsetsIS3_Lb0EN6thrust23THRUST_200600_302600_NS6detail15normal_iteratorINS9_10device_ptrIiEEEEPS5_jNS0_19identity_decomposerEEE10hipError_tT1_T2_PT3_SK_jT4_jjP12ihipStream_tbEUlT_E_NS1_11comp_targetILNS1_3genE4ELNS1_11target_archE910ELNS1_3gpuE8ELNS1_3repE0EEENS1_52radix_sort_onesweep_histogram_config_static_selectorELNS0_4arch9wavefront6targetE1EEEvSI_
	.p2align	8
	.type	_ZN7rocprim17ROCPRIM_400000_NS6detail17trampoline_kernelINS0_14default_configENS1_35radix_sort_onesweep_config_selectorIiNS0_10empty_typeEEEZNS1_34radix_sort_onesweep_global_offsetsIS3_Lb0EN6thrust23THRUST_200600_302600_NS6detail15normal_iteratorINS9_10device_ptrIiEEEEPS5_jNS0_19identity_decomposerEEE10hipError_tT1_T2_PT3_SK_jT4_jjP12ihipStream_tbEUlT_E_NS1_11comp_targetILNS1_3genE4ELNS1_11target_archE910ELNS1_3gpuE8ELNS1_3repE0EEENS1_52radix_sort_onesweep_histogram_config_static_selectorELNS0_4arch9wavefront6targetE1EEEvSI_,@function
_ZN7rocprim17ROCPRIM_400000_NS6detail17trampoline_kernelINS0_14default_configENS1_35radix_sort_onesweep_config_selectorIiNS0_10empty_typeEEEZNS1_34radix_sort_onesweep_global_offsetsIS3_Lb0EN6thrust23THRUST_200600_302600_NS6detail15normal_iteratorINS9_10device_ptrIiEEEEPS5_jNS0_19identity_decomposerEEE10hipError_tT1_T2_PT3_SK_jT4_jjP12ihipStream_tbEUlT_E_NS1_11comp_targetILNS1_3genE4ELNS1_11target_archE910ELNS1_3gpuE8ELNS1_3repE0EEENS1_52radix_sort_onesweep_histogram_config_static_selectorELNS0_4arch9wavefront6targetE1EEEvSI_: ; @_ZN7rocprim17ROCPRIM_400000_NS6detail17trampoline_kernelINS0_14default_configENS1_35radix_sort_onesweep_config_selectorIiNS0_10empty_typeEEEZNS1_34radix_sort_onesweep_global_offsetsIS3_Lb0EN6thrust23THRUST_200600_302600_NS6detail15normal_iteratorINS9_10device_ptrIiEEEEPS5_jNS0_19identity_decomposerEEE10hipError_tT1_T2_PT3_SK_jT4_jjP12ihipStream_tbEUlT_E_NS1_11comp_targetILNS1_3genE4ELNS1_11target_archE910ELNS1_3gpuE8ELNS1_3repE0EEENS1_52radix_sort_onesweep_histogram_config_static_selectorELNS0_4arch9wavefront6targetE1EEEvSI_
; %bb.0:
	.section	.rodata,"a",@progbits
	.p2align	6, 0x0
	.amdhsa_kernel _ZN7rocprim17ROCPRIM_400000_NS6detail17trampoline_kernelINS0_14default_configENS1_35radix_sort_onesweep_config_selectorIiNS0_10empty_typeEEEZNS1_34radix_sort_onesweep_global_offsetsIS3_Lb0EN6thrust23THRUST_200600_302600_NS6detail15normal_iteratorINS9_10device_ptrIiEEEEPS5_jNS0_19identity_decomposerEEE10hipError_tT1_T2_PT3_SK_jT4_jjP12ihipStream_tbEUlT_E_NS1_11comp_targetILNS1_3genE4ELNS1_11target_archE910ELNS1_3gpuE8ELNS1_3repE0EEENS1_52radix_sort_onesweep_histogram_config_static_selectorELNS0_4arch9wavefront6targetE1EEEvSI_
		.amdhsa_group_segment_fixed_size 0
		.amdhsa_private_segment_fixed_size 0
		.amdhsa_kernarg_size 40
		.amdhsa_user_sgpr_count 2
		.amdhsa_user_sgpr_dispatch_ptr 0
		.amdhsa_user_sgpr_queue_ptr 0
		.amdhsa_user_sgpr_kernarg_segment_ptr 1
		.amdhsa_user_sgpr_dispatch_id 0
		.amdhsa_user_sgpr_kernarg_preload_length 0
		.amdhsa_user_sgpr_kernarg_preload_offset 0
		.amdhsa_user_sgpr_private_segment_size 0
		.amdhsa_uses_dynamic_stack 0
		.amdhsa_enable_private_segment 0
		.amdhsa_system_sgpr_workgroup_id_x 1
		.amdhsa_system_sgpr_workgroup_id_y 0
		.amdhsa_system_sgpr_workgroup_id_z 0
		.amdhsa_system_sgpr_workgroup_info 0
		.amdhsa_system_vgpr_workitem_id 0
		.amdhsa_next_free_vgpr 1
		.amdhsa_next_free_sgpr 0
		.amdhsa_accum_offset 4
		.amdhsa_reserve_vcc 0
		.amdhsa_float_round_mode_32 0
		.amdhsa_float_round_mode_16_64 0
		.amdhsa_float_denorm_mode_32 3
		.amdhsa_float_denorm_mode_16_64 3
		.amdhsa_dx10_clamp 1
		.amdhsa_ieee_mode 1
		.amdhsa_fp16_overflow 0
		.amdhsa_tg_split 0
		.amdhsa_exception_fp_ieee_invalid_op 0
		.amdhsa_exception_fp_denorm_src 0
		.amdhsa_exception_fp_ieee_div_zero 0
		.amdhsa_exception_fp_ieee_overflow 0
		.amdhsa_exception_fp_ieee_underflow 0
		.amdhsa_exception_fp_ieee_inexact 0
		.amdhsa_exception_int_div_zero 0
	.end_amdhsa_kernel
	.section	.text._ZN7rocprim17ROCPRIM_400000_NS6detail17trampoline_kernelINS0_14default_configENS1_35radix_sort_onesweep_config_selectorIiNS0_10empty_typeEEEZNS1_34radix_sort_onesweep_global_offsetsIS3_Lb0EN6thrust23THRUST_200600_302600_NS6detail15normal_iteratorINS9_10device_ptrIiEEEEPS5_jNS0_19identity_decomposerEEE10hipError_tT1_T2_PT3_SK_jT4_jjP12ihipStream_tbEUlT_E_NS1_11comp_targetILNS1_3genE4ELNS1_11target_archE910ELNS1_3gpuE8ELNS1_3repE0EEENS1_52radix_sort_onesweep_histogram_config_static_selectorELNS0_4arch9wavefront6targetE1EEEvSI_,"axG",@progbits,_ZN7rocprim17ROCPRIM_400000_NS6detail17trampoline_kernelINS0_14default_configENS1_35radix_sort_onesweep_config_selectorIiNS0_10empty_typeEEEZNS1_34radix_sort_onesweep_global_offsetsIS3_Lb0EN6thrust23THRUST_200600_302600_NS6detail15normal_iteratorINS9_10device_ptrIiEEEEPS5_jNS0_19identity_decomposerEEE10hipError_tT1_T2_PT3_SK_jT4_jjP12ihipStream_tbEUlT_E_NS1_11comp_targetILNS1_3genE4ELNS1_11target_archE910ELNS1_3gpuE8ELNS1_3repE0EEENS1_52radix_sort_onesweep_histogram_config_static_selectorELNS0_4arch9wavefront6targetE1EEEvSI_,comdat
.Lfunc_end136:
	.size	_ZN7rocprim17ROCPRIM_400000_NS6detail17trampoline_kernelINS0_14default_configENS1_35radix_sort_onesweep_config_selectorIiNS0_10empty_typeEEEZNS1_34radix_sort_onesweep_global_offsetsIS3_Lb0EN6thrust23THRUST_200600_302600_NS6detail15normal_iteratorINS9_10device_ptrIiEEEEPS5_jNS0_19identity_decomposerEEE10hipError_tT1_T2_PT3_SK_jT4_jjP12ihipStream_tbEUlT_E_NS1_11comp_targetILNS1_3genE4ELNS1_11target_archE910ELNS1_3gpuE8ELNS1_3repE0EEENS1_52radix_sort_onesweep_histogram_config_static_selectorELNS0_4arch9wavefront6targetE1EEEvSI_, .Lfunc_end136-_ZN7rocprim17ROCPRIM_400000_NS6detail17trampoline_kernelINS0_14default_configENS1_35radix_sort_onesweep_config_selectorIiNS0_10empty_typeEEEZNS1_34radix_sort_onesweep_global_offsetsIS3_Lb0EN6thrust23THRUST_200600_302600_NS6detail15normal_iteratorINS9_10device_ptrIiEEEEPS5_jNS0_19identity_decomposerEEE10hipError_tT1_T2_PT3_SK_jT4_jjP12ihipStream_tbEUlT_E_NS1_11comp_targetILNS1_3genE4ELNS1_11target_archE910ELNS1_3gpuE8ELNS1_3repE0EEENS1_52radix_sort_onesweep_histogram_config_static_selectorELNS0_4arch9wavefront6targetE1EEEvSI_
                                        ; -- End function
	.set _ZN7rocprim17ROCPRIM_400000_NS6detail17trampoline_kernelINS0_14default_configENS1_35radix_sort_onesweep_config_selectorIiNS0_10empty_typeEEEZNS1_34radix_sort_onesweep_global_offsetsIS3_Lb0EN6thrust23THRUST_200600_302600_NS6detail15normal_iteratorINS9_10device_ptrIiEEEEPS5_jNS0_19identity_decomposerEEE10hipError_tT1_T2_PT3_SK_jT4_jjP12ihipStream_tbEUlT_E_NS1_11comp_targetILNS1_3genE4ELNS1_11target_archE910ELNS1_3gpuE8ELNS1_3repE0EEENS1_52radix_sort_onesweep_histogram_config_static_selectorELNS0_4arch9wavefront6targetE1EEEvSI_.num_vgpr, 0
	.set _ZN7rocprim17ROCPRIM_400000_NS6detail17trampoline_kernelINS0_14default_configENS1_35radix_sort_onesweep_config_selectorIiNS0_10empty_typeEEEZNS1_34radix_sort_onesweep_global_offsetsIS3_Lb0EN6thrust23THRUST_200600_302600_NS6detail15normal_iteratorINS9_10device_ptrIiEEEEPS5_jNS0_19identity_decomposerEEE10hipError_tT1_T2_PT3_SK_jT4_jjP12ihipStream_tbEUlT_E_NS1_11comp_targetILNS1_3genE4ELNS1_11target_archE910ELNS1_3gpuE8ELNS1_3repE0EEENS1_52radix_sort_onesweep_histogram_config_static_selectorELNS0_4arch9wavefront6targetE1EEEvSI_.num_agpr, 0
	.set _ZN7rocprim17ROCPRIM_400000_NS6detail17trampoline_kernelINS0_14default_configENS1_35radix_sort_onesweep_config_selectorIiNS0_10empty_typeEEEZNS1_34radix_sort_onesweep_global_offsetsIS3_Lb0EN6thrust23THRUST_200600_302600_NS6detail15normal_iteratorINS9_10device_ptrIiEEEEPS5_jNS0_19identity_decomposerEEE10hipError_tT1_T2_PT3_SK_jT4_jjP12ihipStream_tbEUlT_E_NS1_11comp_targetILNS1_3genE4ELNS1_11target_archE910ELNS1_3gpuE8ELNS1_3repE0EEENS1_52radix_sort_onesweep_histogram_config_static_selectorELNS0_4arch9wavefront6targetE1EEEvSI_.numbered_sgpr, 0
	.set _ZN7rocprim17ROCPRIM_400000_NS6detail17trampoline_kernelINS0_14default_configENS1_35radix_sort_onesweep_config_selectorIiNS0_10empty_typeEEEZNS1_34radix_sort_onesweep_global_offsetsIS3_Lb0EN6thrust23THRUST_200600_302600_NS6detail15normal_iteratorINS9_10device_ptrIiEEEEPS5_jNS0_19identity_decomposerEEE10hipError_tT1_T2_PT3_SK_jT4_jjP12ihipStream_tbEUlT_E_NS1_11comp_targetILNS1_3genE4ELNS1_11target_archE910ELNS1_3gpuE8ELNS1_3repE0EEENS1_52radix_sort_onesweep_histogram_config_static_selectorELNS0_4arch9wavefront6targetE1EEEvSI_.num_named_barrier, 0
	.set _ZN7rocprim17ROCPRIM_400000_NS6detail17trampoline_kernelINS0_14default_configENS1_35radix_sort_onesweep_config_selectorIiNS0_10empty_typeEEEZNS1_34radix_sort_onesweep_global_offsetsIS3_Lb0EN6thrust23THRUST_200600_302600_NS6detail15normal_iteratorINS9_10device_ptrIiEEEEPS5_jNS0_19identity_decomposerEEE10hipError_tT1_T2_PT3_SK_jT4_jjP12ihipStream_tbEUlT_E_NS1_11comp_targetILNS1_3genE4ELNS1_11target_archE910ELNS1_3gpuE8ELNS1_3repE0EEENS1_52radix_sort_onesweep_histogram_config_static_selectorELNS0_4arch9wavefront6targetE1EEEvSI_.private_seg_size, 0
	.set _ZN7rocprim17ROCPRIM_400000_NS6detail17trampoline_kernelINS0_14default_configENS1_35radix_sort_onesweep_config_selectorIiNS0_10empty_typeEEEZNS1_34radix_sort_onesweep_global_offsetsIS3_Lb0EN6thrust23THRUST_200600_302600_NS6detail15normal_iteratorINS9_10device_ptrIiEEEEPS5_jNS0_19identity_decomposerEEE10hipError_tT1_T2_PT3_SK_jT4_jjP12ihipStream_tbEUlT_E_NS1_11comp_targetILNS1_3genE4ELNS1_11target_archE910ELNS1_3gpuE8ELNS1_3repE0EEENS1_52radix_sort_onesweep_histogram_config_static_selectorELNS0_4arch9wavefront6targetE1EEEvSI_.uses_vcc, 0
	.set _ZN7rocprim17ROCPRIM_400000_NS6detail17trampoline_kernelINS0_14default_configENS1_35radix_sort_onesweep_config_selectorIiNS0_10empty_typeEEEZNS1_34radix_sort_onesweep_global_offsetsIS3_Lb0EN6thrust23THRUST_200600_302600_NS6detail15normal_iteratorINS9_10device_ptrIiEEEEPS5_jNS0_19identity_decomposerEEE10hipError_tT1_T2_PT3_SK_jT4_jjP12ihipStream_tbEUlT_E_NS1_11comp_targetILNS1_3genE4ELNS1_11target_archE910ELNS1_3gpuE8ELNS1_3repE0EEENS1_52radix_sort_onesweep_histogram_config_static_selectorELNS0_4arch9wavefront6targetE1EEEvSI_.uses_flat_scratch, 0
	.set _ZN7rocprim17ROCPRIM_400000_NS6detail17trampoline_kernelINS0_14default_configENS1_35radix_sort_onesweep_config_selectorIiNS0_10empty_typeEEEZNS1_34radix_sort_onesweep_global_offsetsIS3_Lb0EN6thrust23THRUST_200600_302600_NS6detail15normal_iteratorINS9_10device_ptrIiEEEEPS5_jNS0_19identity_decomposerEEE10hipError_tT1_T2_PT3_SK_jT4_jjP12ihipStream_tbEUlT_E_NS1_11comp_targetILNS1_3genE4ELNS1_11target_archE910ELNS1_3gpuE8ELNS1_3repE0EEENS1_52radix_sort_onesweep_histogram_config_static_selectorELNS0_4arch9wavefront6targetE1EEEvSI_.has_dyn_sized_stack, 0
	.set _ZN7rocprim17ROCPRIM_400000_NS6detail17trampoline_kernelINS0_14default_configENS1_35radix_sort_onesweep_config_selectorIiNS0_10empty_typeEEEZNS1_34radix_sort_onesweep_global_offsetsIS3_Lb0EN6thrust23THRUST_200600_302600_NS6detail15normal_iteratorINS9_10device_ptrIiEEEEPS5_jNS0_19identity_decomposerEEE10hipError_tT1_T2_PT3_SK_jT4_jjP12ihipStream_tbEUlT_E_NS1_11comp_targetILNS1_3genE4ELNS1_11target_archE910ELNS1_3gpuE8ELNS1_3repE0EEENS1_52radix_sort_onesweep_histogram_config_static_selectorELNS0_4arch9wavefront6targetE1EEEvSI_.has_recursion, 0
	.set _ZN7rocprim17ROCPRIM_400000_NS6detail17trampoline_kernelINS0_14default_configENS1_35radix_sort_onesweep_config_selectorIiNS0_10empty_typeEEEZNS1_34radix_sort_onesweep_global_offsetsIS3_Lb0EN6thrust23THRUST_200600_302600_NS6detail15normal_iteratorINS9_10device_ptrIiEEEEPS5_jNS0_19identity_decomposerEEE10hipError_tT1_T2_PT3_SK_jT4_jjP12ihipStream_tbEUlT_E_NS1_11comp_targetILNS1_3genE4ELNS1_11target_archE910ELNS1_3gpuE8ELNS1_3repE0EEENS1_52radix_sort_onesweep_histogram_config_static_selectorELNS0_4arch9wavefront6targetE1EEEvSI_.has_indirect_call, 0
	.section	.AMDGPU.csdata,"",@progbits
; Kernel info:
; codeLenInByte = 0
; TotalNumSgprs: 6
; NumVgprs: 0
; NumAgprs: 0
; TotalNumVgprs: 0
; ScratchSize: 0
; MemoryBound: 0
; FloatMode: 240
; IeeeMode: 1
; LDSByteSize: 0 bytes/workgroup (compile time only)
; SGPRBlocks: 0
; VGPRBlocks: 0
; NumSGPRsForWavesPerEU: 6
; NumVGPRsForWavesPerEU: 1
; AccumOffset: 4
; Occupancy: 8
; WaveLimiterHint : 0
; COMPUTE_PGM_RSRC2:SCRATCH_EN: 0
; COMPUTE_PGM_RSRC2:USER_SGPR: 2
; COMPUTE_PGM_RSRC2:TRAP_HANDLER: 0
; COMPUTE_PGM_RSRC2:TGID_X_EN: 1
; COMPUTE_PGM_RSRC2:TGID_Y_EN: 0
; COMPUTE_PGM_RSRC2:TGID_Z_EN: 0
; COMPUTE_PGM_RSRC2:TIDIG_COMP_CNT: 0
; COMPUTE_PGM_RSRC3_GFX90A:ACCUM_OFFSET: 0
; COMPUTE_PGM_RSRC3_GFX90A:TG_SPLIT: 0
	.section	.text._ZN7rocprim17ROCPRIM_400000_NS6detail17trampoline_kernelINS0_14default_configENS1_35radix_sort_onesweep_config_selectorIiNS0_10empty_typeEEEZNS1_34radix_sort_onesweep_global_offsetsIS3_Lb0EN6thrust23THRUST_200600_302600_NS6detail15normal_iteratorINS9_10device_ptrIiEEEEPS5_jNS0_19identity_decomposerEEE10hipError_tT1_T2_PT3_SK_jT4_jjP12ihipStream_tbEUlT_E_NS1_11comp_targetILNS1_3genE3ELNS1_11target_archE908ELNS1_3gpuE7ELNS1_3repE0EEENS1_52radix_sort_onesweep_histogram_config_static_selectorELNS0_4arch9wavefront6targetE1EEEvSI_,"axG",@progbits,_ZN7rocprim17ROCPRIM_400000_NS6detail17trampoline_kernelINS0_14default_configENS1_35radix_sort_onesweep_config_selectorIiNS0_10empty_typeEEEZNS1_34radix_sort_onesweep_global_offsetsIS3_Lb0EN6thrust23THRUST_200600_302600_NS6detail15normal_iteratorINS9_10device_ptrIiEEEEPS5_jNS0_19identity_decomposerEEE10hipError_tT1_T2_PT3_SK_jT4_jjP12ihipStream_tbEUlT_E_NS1_11comp_targetILNS1_3genE3ELNS1_11target_archE908ELNS1_3gpuE7ELNS1_3repE0EEENS1_52radix_sort_onesweep_histogram_config_static_selectorELNS0_4arch9wavefront6targetE1EEEvSI_,comdat
	.protected	_ZN7rocprim17ROCPRIM_400000_NS6detail17trampoline_kernelINS0_14default_configENS1_35radix_sort_onesweep_config_selectorIiNS0_10empty_typeEEEZNS1_34radix_sort_onesweep_global_offsetsIS3_Lb0EN6thrust23THRUST_200600_302600_NS6detail15normal_iteratorINS9_10device_ptrIiEEEEPS5_jNS0_19identity_decomposerEEE10hipError_tT1_T2_PT3_SK_jT4_jjP12ihipStream_tbEUlT_E_NS1_11comp_targetILNS1_3genE3ELNS1_11target_archE908ELNS1_3gpuE7ELNS1_3repE0EEENS1_52radix_sort_onesweep_histogram_config_static_selectorELNS0_4arch9wavefront6targetE1EEEvSI_ ; -- Begin function _ZN7rocprim17ROCPRIM_400000_NS6detail17trampoline_kernelINS0_14default_configENS1_35radix_sort_onesweep_config_selectorIiNS0_10empty_typeEEEZNS1_34radix_sort_onesweep_global_offsetsIS3_Lb0EN6thrust23THRUST_200600_302600_NS6detail15normal_iteratorINS9_10device_ptrIiEEEEPS5_jNS0_19identity_decomposerEEE10hipError_tT1_T2_PT3_SK_jT4_jjP12ihipStream_tbEUlT_E_NS1_11comp_targetILNS1_3genE3ELNS1_11target_archE908ELNS1_3gpuE7ELNS1_3repE0EEENS1_52radix_sort_onesweep_histogram_config_static_selectorELNS0_4arch9wavefront6targetE1EEEvSI_
	.globl	_ZN7rocprim17ROCPRIM_400000_NS6detail17trampoline_kernelINS0_14default_configENS1_35radix_sort_onesweep_config_selectorIiNS0_10empty_typeEEEZNS1_34radix_sort_onesweep_global_offsetsIS3_Lb0EN6thrust23THRUST_200600_302600_NS6detail15normal_iteratorINS9_10device_ptrIiEEEEPS5_jNS0_19identity_decomposerEEE10hipError_tT1_T2_PT3_SK_jT4_jjP12ihipStream_tbEUlT_E_NS1_11comp_targetILNS1_3genE3ELNS1_11target_archE908ELNS1_3gpuE7ELNS1_3repE0EEENS1_52radix_sort_onesweep_histogram_config_static_selectorELNS0_4arch9wavefront6targetE1EEEvSI_
	.p2align	8
	.type	_ZN7rocprim17ROCPRIM_400000_NS6detail17trampoline_kernelINS0_14default_configENS1_35radix_sort_onesweep_config_selectorIiNS0_10empty_typeEEEZNS1_34radix_sort_onesweep_global_offsetsIS3_Lb0EN6thrust23THRUST_200600_302600_NS6detail15normal_iteratorINS9_10device_ptrIiEEEEPS5_jNS0_19identity_decomposerEEE10hipError_tT1_T2_PT3_SK_jT4_jjP12ihipStream_tbEUlT_E_NS1_11comp_targetILNS1_3genE3ELNS1_11target_archE908ELNS1_3gpuE7ELNS1_3repE0EEENS1_52radix_sort_onesweep_histogram_config_static_selectorELNS0_4arch9wavefront6targetE1EEEvSI_,@function
_ZN7rocprim17ROCPRIM_400000_NS6detail17trampoline_kernelINS0_14default_configENS1_35radix_sort_onesweep_config_selectorIiNS0_10empty_typeEEEZNS1_34radix_sort_onesweep_global_offsetsIS3_Lb0EN6thrust23THRUST_200600_302600_NS6detail15normal_iteratorINS9_10device_ptrIiEEEEPS5_jNS0_19identity_decomposerEEE10hipError_tT1_T2_PT3_SK_jT4_jjP12ihipStream_tbEUlT_E_NS1_11comp_targetILNS1_3genE3ELNS1_11target_archE908ELNS1_3gpuE7ELNS1_3repE0EEENS1_52radix_sort_onesweep_histogram_config_static_selectorELNS0_4arch9wavefront6targetE1EEEvSI_: ; @_ZN7rocprim17ROCPRIM_400000_NS6detail17trampoline_kernelINS0_14default_configENS1_35radix_sort_onesweep_config_selectorIiNS0_10empty_typeEEEZNS1_34radix_sort_onesweep_global_offsetsIS3_Lb0EN6thrust23THRUST_200600_302600_NS6detail15normal_iteratorINS9_10device_ptrIiEEEEPS5_jNS0_19identity_decomposerEEE10hipError_tT1_T2_PT3_SK_jT4_jjP12ihipStream_tbEUlT_E_NS1_11comp_targetILNS1_3genE3ELNS1_11target_archE908ELNS1_3gpuE7ELNS1_3repE0EEENS1_52radix_sort_onesweep_histogram_config_static_selectorELNS0_4arch9wavefront6targetE1EEEvSI_
; %bb.0:
	.section	.rodata,"a",@progbits
	.p2align	6, 0x0
	.amdhsa_kernel _ZN7rocprim17ROCPRIM_400000_NS6detail17trampoline_kernelINS0_14default_configENS1_35radix_sort_onesweep_config_selectorIiNS0_10empty_typeEEEZNS1_34radix_sort_onesweep_global_offsetsIS3_Lb0EN6thrust23THRUST_200600_302600_NS6detail15normal_iteratorINS9_10device_ptrIiEEEEPS5_jNS0_19identity_decomposerEEE10hipError_tT1_T2_PT3_SK_jT4_jjP12ihipStream_tbEUlT_E_NS1_11comp_targetILNS1_3genE3ELNS1_11target_archE908ELNS1_3gpuE7ELNS1_3repE0EEENS1_52radix_sort_onesweep_histogram_config_static_selectorELNS0_4arch9wavefront6targetE1EEEvSI_
		.amdhsa_group_segment_fixed_size 0
		.amdhsa_private_segment_fixed_size 0
		.amdhsa_kernarg_size 40
		.amdhsa_user_sgpr_count 2
		.amdhsa_user_sgpr_dispatch_ptr 0
		.amdhsa_user_sgpr_queue_ptr 0
		.amdhsa_user_sgpr_kernarg_segment_ptr 1
		.amdhsa_user_sgpr_dispatch_id 0
		.amdhsa_user_sgpr_kernarg_preload_length 0
		.amdhsa_user_sgpr_kernarg_preload_offset 0
		.amdhsa_user_sgpr_private_segment_size 0
		.amdhsa_uses_dynamic_stack 0
		.amdhsa_enable_private_segment 0
		.amdhsa_system_sgpr_workgroup_id_x 1
		.amdhsa_system_sgpr_workgroup_id_y 0
		.amdhsa_system_sgpr_workgroup_id_z 0
		.amdhsa_system_sgpr_workgroup_info 0
		.amdhsa_system_vgpr_workitem_id 0
		.amdhsa_next_free_vgpr 1
		.amdhsa_next_free_sgpr 0
		.amdhsa_accum_offset 4
		.amdhsa_reserve_vcc 0
		.amdhsa_float_round_mode_32 0
		.amdhsa_float_round_mode_16_64 0
		.amdhsa_float_denorm_mode_32 3
		.amdhsa_float_denorm_mode_16_64 3
		.amdhsa_dx10_clamp 1
		.amdhsa_ieee_mode 1
		.amdhsa_fp16_overflow 0
		.amdhsa_tg_split 0
		.amdhsa_exception_fp_ieee_invalid_op 0
		.amdhsa_exception_fp_denorm_src 0
		.amdhsa_exception_fp_ieee_div_zero 0
		.amdhsa_exception_fp_ieee_overflow 0
		.amdhsa_exception_fp_ieee_underflow 0
		.amdhsa_exception_fp_ieee_inexact 0
		.amdhsa_exception_int_div_zero 0
	.end_amdhsa_kernel
	.section	.text._ZN7rocprim17ROCPRIM_400000_NS6detail17trampoline_kernelINS0_14default_configENS1_35radix_sort_onesweep_config_selectorIiNS0_10empty_typeEEEZNS1_34radix_sort_onesweep_global_offsetsIS3_Lb0EN6thrust23THRUST_200600_302600_NS6detail15normal_iteratorINS9_10device_ptrIiEEEEPS5_jNS0_19identity_decomposerEEE10hipError_tT1_T2_PT3_SK_jT4_jjP12ihipStream_tbEUlT_E_NS1_11comp_targetILNS1_3genE3ELNS1_11target_archE908ELNS1_3gpuE7ELNS1_3repE0EEENS1_52radix_sort_onesweep_histogram_config_static_selectorELNS0_4arch9wavefront6targetE1EEEvSI_,"axG",@progbits,_ZN7rocprim17ROCPRIM_400000_NS6detail17trampoline_kernelINS0_14default_configENS1_35radix_sort_onesweep_config_selectorIiNS0_10empty_typeEEEZNS1_34radix_sort_onesweep_global_offsetsIS3_Lb0EN6thrust23THRUST_200600_302600_NS6detail15normal_iteratorINS9_10device_ptrIiEEEEPS5_jNS0_19identity_decomposerEEE10hipError_tT1_T2_PT3_SK_jT4_jjP12ihipStream_tbEUlT_E_NS1_11comp_targetILNS1_3genE3ELNS1_11target_archE908ELNS1_3gpuE7ELNS1_3repE0EEENS1_52radix_sort_onesweep_histogram_config_static_selectorELNS0_4arch9wavefront6targetE1EEEvSI_,comdat
.Lfunc_end137:
	.size	_ZN7rocprim17ROCPRIM_400000_NS6detail17trampoline_kernelINS0_14default_configENS1_35radix_sort_onesweep_config_selectorIiNS0_10empty_typeEEEZNS1_34radix_sort_onesweep_global_offsetsIS3_Lb0EN6thrust23THRUST_200600_302600_NS6detail15normal_iteratorINS9_10device_ptrIiEEEEPS5_jNS0_19identity_decomposerEEE10hipError_tT1_T2_PT3_SK_jT4_jjP12ihipStream_tbEUlT_E_NS1_11comp_targetILNS1_3genE3ELNS1_11target_archE908ELNS1_3gpuE7ELNS1_3repE0EEENS1_52radix_sort_onesweep_histogram_config_static_selectorELNS0_4arch9wavefront6targetE1EEEvSI_, .Lfunc_end137-_ZN7rocprim17ROCPRIM_400000_NS6detail17trampoline_kernelINS0_14default_configENS1_35radix_sort_onesweep_config_selectorIiNS0_10empty_typeEEEZNS1_34radix_sort_onesweep_global_offsetsIS3_Lb0EN6thrust23THRUST_200600_302600_NS6detail15normal_iteratorINS9_10device_ptrIiEEEEPS5_jNS0_19identity_decomposerEEE10hipError_tT1_T2_PT3_SK_jT4_jjP12ihipStream_tbEUlT_E_NS1_11comp_targetILNS1_3genE3ELNS1_11target_archE908ELNS1_3gpuE7ELNS1_3repE0EEENS1_52radix_sort_onesweep_histogram_config_static_selectorELNS0_4arch9wavefront6targetE1EEEvSI_
                                        ; -- End function
	.set _ZN7rocprim17ROCPRIM_400000_NS6detail17trampoline_kernelINS0_14default_configENS1_35radix_sort_onesweep_config_selectorIiNS0_10empty_typeEEEZNS1_34radix_sort_onesweep_global_offsetsIS3_Lb0EN6thrust23THRUST_200600_302600_NS6detail15normal_iteratorINS9_10device_ptrIiEEEEPS5_jNS0_19identity_decomposerEEE10hipError_tT1_T2_PT3_SK_jT4_jjP12ihipStream_tbEUlT_E_NS1_11comp_targetILNS1_3genE3ELNS1_11target_archE908ELNS1_3gpuE7ELNS1_3repE0EEENS1_52radix_sort_onesweep_histogram_config_static_selectorELNS0_4arch9wavefront6targetE1EEEvSI_.num_vgpr, 0
	.set _ZN7rocprim17ROCPRIM_400000_NS6detail17trampoline_kernelINS0_14default_configENS1_35radix_sort_onesweep_config_selectorIiNS0_10empty_typeEEEZNS1_34radix_sort_onesweep_global_offsetsIS3_Lb0EN6thrust23THRUST_200600_302600_NS6detail15normal_iteratorINS9_10device_ptrIiEEEEPS5_jNS0_19identity_decomposerEEE10hipError_tT1_T2_PT3_SK_jT4_jjP12ihipStream_tbEUlT_E_NS1_11comp_targetILNS1_3genE3ELNS1_11target_archE908ELNS1_3gpuE7ELNS1_3repE0EEENS1_52radix_sort_onesweep_histogram_config_static_selectorELNS0_4arch9wavefront6targetE1EEEvSI_.num_agpr, 0
	.set _ZN7rocprim17ROCPRIM_400000_NS6detail17trampoline_kernelINS0_14default_configENS1_35radix_sort_onesweep_config_selectorIiNS0_10empty_typeEEEZNS1_34radix_sort_onesweep_global_offsetsIS3_Lb0EN6thrust23THRUST_200600_302600_NS6detail15normal_iteratorINS9_10device_ptrIiEEEEPS5_jNS0_19identity_decomposerEEE10hipError_tT1_T2_PT3_SK_jT4_jjP12ihipStream_tbEUlT_E_NS1_11comp_targetILNS1_3genE3ELNS1_11target_archE908ELNS1_3gpuE7ELNS1_3repE0EEENS1_52radix_sort_onesweep_histogram_config_static_selectorELNS0_4arch9wavefront6targetE1EEEvSI_.numbered_sgpr, 0
	.set _ZN7rocprim17ROCPRIM_400000_NS6detail17trampoline_kernelINS0_14default_configENS1_35radix_sort_onesweep_config_selectorIiNS0_10empty_typeEEEZNS1_34radix_sort_onesweep_global_offsetsIS3_Lb0EN6thrust23THRUST_200600_302600_NS6detail15normal_iteratorINS9_10device_ptrIiEEEEPS5_jNS0_19identity_decomposerEEE10hipError_tT1_T2_PT3_SK_jT4_jjP12ihipStream_tbEUlT_E_NS1_11comp_targetILNS1_3genE3ELNS1_11target_archE908ELNS1_3gpuE7ELNS1_3repE0EEENS1_52radix_sort_onesweep_histogram_config_static_selectorELNS0_4arch9wavefront6targetE1EEEvSI_.num_named_barrier, 0
	.set _ZN7rocprim17ROCPRIM_400000_NS6detail17trampoline_kernelINS0_14default_configENS1_35radix_sort_onesweep_config_selectorIiNS0_10empty_typeEEEZNS1_34radix_sort_onesweep_global_offsetsIS3_Lb0EN6thrust23THRUST_200600_302600_NS6detail15normal_iteratorINS9_10device_ptrIiEEEEPS5_jNS0_19identity_decomposerEEE10hipError_tT1_T2_PT3_SK_jT4_jjP12ihipStream_tbEUlT_E_NS1_11comp_targetILNS1_3genE3ELNS1_11target_archE908ELNS1_3gpuE7ELNS1_3repE0EEENS1_52radix_sort_onesweep_histogram_config_static_selectorELNS0_4arch9wavefront6targetE1EEEvSI_.private_seg_size, 0
	.set _ZN7rocprim17ROCPRIM_400000_NS6detail17trampoline_kernelINS0_14default_configENS1_35radix_sort_onesweep_config_selectorIiNS0_10empty_typeEEEZNS1_34radix_sort_onesweep_global_offsetsIS3_Lb0EN6thrust23THRUST_200600_302600_NS6detail15normal_iteratorINS9_10device_ptrIiEEEEPS5_jNS0_19identity_decomposerEEE10hipError_tT1_T2_PT3_SK_jT4_jjP12ihipStream_tbEUlT_E_NS1_11comp_targetILNS1_3genE3ELNS1_11target_archE908ELNS1_3gpuE7ELNS1_3repE0EEENS1_52radix_sort_onesweep_histogram_config_static_selectorELNS0_4arch9wavefront6targetE1EEEvSI_.uses_vcc, 0
	.set _ZN7rocprim17ROCPRIM_400000_NS6detail17trampoline_kernelINS0_14default_configENS1_35radix_sort_onesweep_config_selectorIiNS0_10empty_typeEEEZNS1_34radix_sort_onesweep_global_offsetsIS3_Lb0EN6thrust23THRUST_200600_302600_NS6detail15normal_iteratorINS9_10device_ptrIiEEEEPS5_jNS0_19identity_decomposerEEE10hipError_tT1_T2_PT3_SK_jT4_jjP12ihipStream_tbEUlT_E_NS1_11comp_targetILNS1_3genE3ELNS1_11target_archE908ELNS1_3gpuE7ELNS1_3repE0EEENS1_52radix_sort_onesweep_histogram_config_static_selectorELNS0_4arch9wavefront6targetE1EEEvSI_.uses_flat_scratch, 0
	.set _ZN7rocprim17ROCPRIM_400000_NS6detail17trampoline_kernelINS0_14default_configENS1_35radix_sort_onesweep_config_selectorIiNS0_10empty_typeEEEZNS1_34radix_sort_onesweep_global_offsetsIS3_Lb0EN6thrust23THRUST_200600_302600_NS6detail15normal_iteratorINS9_10device_ptrIiEEEEPS5_jNS0_19identity_decomposerEEE10hipError_tT1_T2_PT3_SK_jT4_jjP12ihipStream_tbEUlT_E_NS1_11comp_targetILNS1_3genE3ELNS1_11target_archE908ELNS1_3gpuE7ELNS1_3repE0EEENS1_52radix_sort_onesweep_histogram_config_static_selectorELNS0_4arch9wavefront6targetE1EEEvSI_.has_dyn_sized_stack, 0
	.set _ZN7rocprim17ROCPRIM_400000_NS6detail17trampoline_kernelINS0_14default_configENS1_35radix_sort_onesweep_config_selectorIiNS0_10empty_typeEEEZNS1_34radix_sort_onesweep_global_offsetsIS3_Lb0EN6thrust23THRUST_200600_302600_NS6detail15normal_iteratorINS9_10device_ptrIiEEEEPS5_jNS0_19identity_decomposerEEE10hipError_tT1_T2_PT3_SK_jT4_jjP12ihipStream_tbEUlT_E_NS1_11comp_targetILNS1_3genE3ELNS1_11target_archE908ELNS1_3gpuE7ELNS1_3repE0EEENS1_52radix_sort_onesweep_histogram_config_static_selectorELNS0_4arch9wavefront6targetE1EEEvSI_.has_recursion, 0
	.set _ZN7rocprim17ROCPRIM_400000_NS6detail17trampoline_kernelINS0_14default_configENS1_35radix_sort_onesweep_config_selectorIiNS0_10empty_typeEEEZNS1_34radix_sort_onesweep_global_offsetsIS3_Lb0EN6thrust23THRUST_200600_302600_NS6detail15normal_iteratorINS9_10device_ptrIiEEEEPS5_jNS0_19identity_decomposerEEE10hipError_tT1_T2_PT3_SK_jT4_jjP12ihipStream_tbEUlT_E_NS1_11comp_targetILNS1_3genE3ELNS1_11target_archE908ELNS1_3gpuE7ELNS1_3repE0EEENS1_52radix_sort_onesweep_histogram_config_static_selectorELNS0_4arch9wavefront6targetE1EEEvSI_.has_indirect_call, 0
	.section	.AMDGPU.csdata,"",@progbits
; Kernel info:
; codeLenInByte = 0
; TotalNumSgprs: 6
; NumVgprs: 0
; NumAgprs: 0
; TotalNumVgprs: 0
; ScratchSize: 0
; MemoryBound: 0
; FloatMode: 240
; IeeeMode: 1
; LDSByteSize: 0 bytes/workgroup (compile time only)
; SGPRBlocks: 0
; VGPRBlocks: 0
; NumSGPRsForWavesPerEU: 6
; NumVGPRsForWavesPerEU: 1
; AccumOffset: 4
; Occupancy: 8
; WaveLimiterHint : 0
; COMPUTE_PGM_RSRC2:SCRATCH_EN: 0
; COMPUTE_PGM_RSRC2:USER_SGPR: 2
; COMPUTE_PGM_RSRC2:TRAP_HANDLER: 0
; COMPUTE_PGM_RSRC2:TGID_X_EN: 1
; COMPUTE_PGM_RSRC2:TGID_Y_EN: 0
; COMPUTE_PGM_RSRC2:TGID_Z_EN: 0
; COMPUTE_PGM_RSRC2:TIDIG_COMP_CNT: 0
; COMPUTE_PGM_RSRC3_GFX90A:ACCUM_OFFSET: 0
; COMPUTE_PGM_RSRC3_GFX90A:TG_SPLIT: 0
	.section	.text._ZN7rocprim17ROCPRIM_400000_NS6detail17trampoline_kernelINS0_14default_configENS1_35radix_sort_onesweep_config_selectorIiNS0_10empty_typeEEEZNS1_34radix_sort_onesweep_global_offsetsIS3_Lb0EN6thrust23THRUST_200600_302600_NS6detail15normal_iteratorINS9_10device_ptrIiEEEEPS5_jNS0_19identity_decomposerEEE10hipError_tT1_T2_PT3_SK_jT4_jjP12ihipStream_tbEUlT_E_NS1_11comp_targetILNS1_3genE10ELNS1_11target_archE1201ELNS1_3gpuE5ELNS1_3repE0EEENS1_52radix_sort_onesweep_histogram_config_static_selectorELNS0_4arch9wavefront6targetE1EEEvSI_,"axG",@progbits,_ZN7rocprim17ROCPRIM_400000_NS6detail17trampoline_kernelINS0_14default_configENS1_35radix_sort_onesweep_config_selectorIiNS0_10empty_typeEEEZNS1_34radix_sort_onesweep_global_offsetsIS3_Lb0EN6thrust23THRUST_200600_302600_NS6detail15normal_iteratorINS9_10device_ptrIiEEEEPS5_jNS0_19identity_decomposerEEE10hipError_tT1_T2_PT3_SK_jT4_jjP12ihipStream_tbEUlT_E_NS1_11comp_targetILNS1_3genE10ELNS1_11target_archE1201ELNS1_3gpuE5ELNS1_3repE0EEENS1_52radix_sort_onesweep_histogram_config_static_selectorELNS0_4arch9wavefront6targetE1EEEvSI_,comdat
	.protected	_ZN7rocprim17ROCPRIM_400000_NS6detail17trampoline_kernelINS0_14default_configENS1_35radix_sort_onesweep_config_selectorIiNS0_10empty_typeEEEZNS1_34radix_sort_onesweep_global_offsetsIS3_Lb0EN6thrust23THRUST_200600_302600_NS6detail15normal_iteratorINS9_10device_ptrIiEEEEPS5_jNS0_19identity_decomposerEEE10hipError_tT1_T2_PT3_SK_jT4_jjP12ihipStream_tbEUlT_E_NS1_11comp_targetILNS1_3genE10ELNS1_11target_archE1201ELNS1_3gpuE5ELNS1_3repE0EEENS1_52radix_sort_onesweep_histogram_config_static_selectorELNS0_4arch9wavefront6targetE1EEEvSI_ ; -- Begin function _ZN7rocprim17ROCPRIM_400000_NS6detail17trampoline_kernelINS0_14default_configENS1_35radix_sort_onesweep_config_selectorIiNS0_10empty_typeEEEZNS1_34radix_sort_onesweep_global_offsetsIS3_Lb0EN6thrust23THRUST_200600_302600_NS6detail15normal_iteratorINS9_10device_ptrIiEEEEPS5_jNS0_19identity_decomposerEEE10hipError_tT1_T2_PT3_SK_jT4_jjP12ihipStream_tbEUlT_E_NS1_11comp_targetILNS1_3genE10ELNS1_11target_archE1201ELNS1_3gpuE5ELNS1_3repE0EEENS1_52radix_sort_onesweep_histogram_config_static_selectorELNS0_4arch9wavefront6targetE1EEEvSI_
	.globl	_ZN7rocprim17ROCPRIM_400000_NS6detail17trampoline_kernelINS0_14default_configENS1_35radix_sort_onesweep_config_selectorIiNS0_10empty_typeEEEZNS1_34radix_sort_onesweep_global_offsetsIS3_Lb0EN6thrust23THRUST_200600_302600_NS6detail15normal_iteratorINS9_10device_ptrIiEEEEPS5_jNS0_19identity_decomposerEEE10hipError_tT1_T2_PT3_SK_jT4_jjP12ihipStream_tbEUlT_E_NS1_11comp_targetILNS1_3genE10ELNS1_11target_archE1201ELNS1_3gpuE5ELNS1_3repE0EEENS1_52radix_sort_onesweep_histogram_config_static_selectorELNS0_4arch9wavefront6targetE1EEEvSI_
	.p2align	8
	.type	_ZN7rocprim17ROCPRIM_400000_NS6detail17trampoline_kernelINS0_14default_configENS1_35radix_sort_onesweep_config_selectorIiNS0_10empty_typeEEEZNS1_34radix_sort_onesweep_global_offsetsIS3_Lb0EN6thrust23THRUST_200600_302600_NS6detail15normal_iteratorINS9_10device_ptrIiEEEEPS5_jNS0_19identity_decomposerEEE10hipError_tT1_T2_PT3_SK_jT4_jjP12ihipStream_tbEUlT_E_NS1_11comp_targetILNS1_3genE10ELNS1_11target_archE1201ELNS1_3gpuE5ELNS1_3repE0EEENS1_52radix_sort_onesweep_histogram_config_static_selectorELNS0_4arch9wavefront6targetE1EEEvSI_,@function
_ZN7rocprim17ROCPRIM_400000_NS6detail17trampoline_kernelINS0_14default_configENS1_35radix_sort_onesweep_config_selectorIiNS0_10empty_typeEEEZNS1_34radix_sort_onesweep_global_offsetsIS3_Lb0EN6thrust23THRUST_200600_302600_NS6detail15normal_iteratorINS9_10device_ptrIiEEEEPS5_jNS0_19identity_decomposerEEE10hipError_tT1_T2_PT3_SK_jT4_jjP12ihipStream_tbEUlT_E_NS1_11comp_targetILNS1_3genE10ELNS1_11target_archE1201ELNS1_3gpuE5ELNS1_3repE0EEENS1_52radix_sort_onesweep_histogram_config_static_selectorELNS0_4arch9wavefront6targetE1EEEvSI_: ; @_ZN7rocprim17ROCPRIM_400000_NS6detail17trampoline_kernelINS0_14default_configENS1_35radix_sort_onesweep_config_selectorIiNS0_10empty_typeEEEZNS1_34radix_sort_onesweep_global_offsetsIS3_Lb0EN6thrust23THRUST_200600_302600_NS6detail15normal_iteratorINS9_10device_ptrIiEEEEPS5_jNS0_19identity_decomposerEEE10hipError_tT1_T2_PT3_SK_jT4_jjP12ihipStream_tbEUlT_E_NS1_11comp_targetILNS1_3genE10ELNS1_11target_archE1201ELNS1_3gpuE5ELNS1_3repE0EEENS1_52radix_sort_onesweep_histogram_config_static_selectorELNS0_4arch9wavefront6targetE1EEEvSI_
; %bb.0:
	.section	.rodata,"a",@progbits
	.p2align	6, 0x0
	.amdhsa_kernel _ZN7rocprim17ROCPRIM_400000_NS6detail17trampoline_kernelINS0_14default_configENS1_35radix_sort_onesweep_config_selectorIiNS0_10empty_typeEEEZNS1_34radix_sort_onesweep_global_offsetsIS3_Lb0EN6thrust23THRUST_200600_302600_NS6detail15normal_iteratorINS9_10device_ptrIiEEEEPS5_jNS0_19identity_decomposerEEE10hipError_tT1_T2_PT3_SK_jT4_jjP12ihipStream_tbEUlT_E_NS1_11comp_targetILNS1_3genE10ELNS1_11target_archE1201ELNS1_3gpuE5ELNS1_3repE0EEENS1_52radix_sort_onesweep_histogram_config_static_selectorELNS0_4arch9wavefront6targetE1EEEvSI_
		.amdhsa_group_segment_fixed_size 0
		.amdhsa_private_segment_fixed_size 0
		.amdhsa_kernarg_size 40
		.amdhsa_user_sgpr_count 2
		.amdhsa_user_sgpr_dispatch_ptr 0
		.amdhsa_user_sgpr_queue_ptr 0
		.amdhsa_user_sgpr_kernarg_segment_ptr 1
		.amdhsa_user_sgpr_dispatch_id 0
		.amdhsa_user_sgpr_kernarg_preload_length 0
		.amdhsa_user_sgpr_kernarg_preload_offset 0
		.amdhsa_user_sgpr_private_segment_size 0
		.amdhsa_uses_dynamic_stack 0
		.amdhsa_enable_private_segment 0
		.amdhsa_system_sgpr_workgroup_id_x 1
		.amdhsa_system_sgpr_workgroup_id_y 0
		.amdhsa_system_sgpr_workgroup_id_z 0
		.amdhsa_system_sgpr_workgroup_info 0
		.amdhsa_system_vgpr_workitem_id 0
		.amdhsa_next_free_vgpr 1
		.amdhsa_next_free_sgpr 0
		.amdhsa_accum_offset 4
		.amdhsa_reserve_vcc 0
		.amdhsa_float_round_mode_32 0
		.amdhsa_float_round_mode_16_64 0
		.amdhsa_float_denorm_mode_32 3
		.amdhsa_float_denorm_mode_16_64 3
		.amdhsa_dx10_clamp 1
		.amdhsa_ieee_mode 1
		.amdhsa_fp16_overflow 0
		.amdhsa_tg_split 0
		.amdhsa_exception_fp_ieee_invalid_op 0
		.amdhsa_exception_fp_denorm_src 0
		.amdhsa_exception_fp_ieee_div_zero 0
		.amdhsa_exception_fp_ieee_overflow 0
		.amdhsa_exception_fp_ieee_underflow 0
		.amdhsa_exception_fp_ieee_inexact 0
		.amdhsa_exception_int_div_zero 0
	.end_amdhsa_kernel
	.section	.text._ZN7rocprim17ROCPRIM_400000_NS6detail17trampoline_kernelINS0_14default_configENS1_35radix_sort_onesweep_config_selectorIiNS0_10empty_typeEEEZNS1_34radix_sort_onesweep_global_offsetsIS3_Lb0EN6thrust23THRUST_200600_302600_NS6detail15normal_iteratorINS9_10device_ptrIiEEEEPS5_jNS0_19identity_decomposerEEE10hipError_tT1_T2_PT3_SK_jT4_jjP12ihipStream_tbEUlT_E_NS1_11comp_targetILNS1_3genE10ELNS1_11target_archE1201ELNS1_3gpuE5ELNS1_3repE0EEENS1_52radix_sort_onesweep_histogram_config_static_selectorELNS0_4arch9wavefront6targetE1EEEvSI_,"axG",@progbits,_ZN7rocprim17ROCPRIM_400000_NS6detail17trampoline_kernelINS0_14default_configENS1_35radix_sort_onesweep_config_selectorIiNS0_10empty_typeEEEZNS1_34radix_sort_onesweep_global_offsetsIS3_Lb0EN6thrust23THRUST_200600_302600_NS6detail15normal_iteratorINS9_10device_ptrIiEEEEPS5_jNS0_19identity_decomposerEEE10hipError_tT1_T2_PT3_SK_jT4_jjP12ihipStream_tbEUlT_E_NS1_11comp_targetILNS1_3genE10ELNS1_11target_archE1201ELNS1_3gpuE5ELNS1_3repE0EEENS1_52radix_sort_onesweep_histogram_config_static_selectorELNS0_4arch9wavefront6targetE1EEEvSI_,comdat
.Lfunc_end138:
	.size	_ZN7rocprim17ROCPRIM_400000_NS6detail17trampoline_kernelINS0_14default_configENS1_35radix_sort_onesweep_config_selectorIiNS0_10empty_typeEEEZNS1_34radix_sort_onesweep_global_offsetsIS3_Lb0EN6thrust23THRUST_200600_302600_NS6detail15normal_iteratorINS9_10device_ptrIiEEEEPS5_jNS0_19identity_decomposerEEE10hipError_tT1_T2_PT3_SK_jT4_jjP12ihipStream_tbEUlT_E_NS1_11comp_targetILNS1_3genE10ELNS1_11target_archE1201ELNS1_3gpuE5ELNS1_3repE0EEENS1_52radix_sort_onesweep_histogram_config_static_selectorELNS0_4arch9wavefront6targetE1EEEvSI_, .Lfunc_end138-_ZN7rocprim17ROCPRIM_400000_NS6detail17trampoline_kernelINS0_14default_configENS1_35radix_sort_onesweep_config_selectorIiNS0_10empty_typeEEEZNS1_34radix_sort_onesweep_global_offsetsIS3_Lb0EN6thrust23THRUST_200600_302600_NS6detail15normal_iteratorINS9_10device_ptrIiEEEEPS5_jNS0_19identity_decomposerEEE10hipError_tT1_T2_PT3_SK_jT4_jjP12ihipStream_tbEUlT_E_NS1_11comp_targetILNS1_3genE10ELNS1_11target_archE1201ELNS1_3gpuE5ELNS1_3repE0EEENS1_52radix_sort_onesweep_histogram_config_static_selectorELNS0_4arch9wavefront6targetE1EEEvSI_
                                        ; -- End function
	.set _ZN7rocprim17ROCPRIM_400000_NS6detail17trampoline_kernelINS0_14default_configENS1_35radix_sort_onesweep_config_selectorIiNS0_10empty_typeEEEZNS1_34radix_sort_onesweep_global_offsetsIS3_Lb0EN6thrust23THRUST_200600_302600_NS6detail15normal_iteratorINS9_10device_ptrIiEEEEPS5_jNS0_19identity_decomposerEEE10hipError_tT1_T2_PT3_SK_jT4_jjP12ihipStream_tbEUlT_E_NS1_11comp_targetILNS1_3genE10ELNS1_11target_archE1201ELNS1_3gpuE5ELNS1_3repE0EEENS1_52radix_sort_onesweep_histogram_config_static_selectorELNS0_4arch9wavefront6targetE1EEEvSI_.num_vgpr, 0
	.set _ZN7rocprim17ROCPRIM_400000_NS6detail17trampoline_kernelINS0_14default_configENS1_35radix_sort_onesweep_config_selectorIiNS0_10empty_typeEEEZNS1_34radix_sort_onesweep_global_offsetsIS3_Lb0EN6thrust23THRUST_200600_302600_NS6detail15normal_iteratorINS9_10device_ptrIiEEEEPS5_jNS0_19identity_decomposerEEE10hipError_tT1_T2_PT3_SK_jT4_jjP12ihipStream_tbEUlT_E_NS1_11comp_targetILNS1_3genE10ELNS1_11target_archE1201ELNS1_3gpuE5ELNS1_3repE0EEENS1_52radix_sort_onesweep_histogram_config_static_selectorELNS0_4arch9wavefront6targetE1EEEvSI_.num_agpr, 0
	.set _ZN7rocprim17ROCPRIM_400000_NS6detail17trampoline_kernelINS0_14default_configENS1_35radix_sort_onesweep_config_selectorIiNS0_10empty_typeEEEZNS1_34radix_sort_onesweep_global_offsetsIS3_Lb0EN6thrust23THRUST_200600_302600_NS6detail15normal_iteratorINS9_10device_ptrIiEEEEPS5_jNS0_19identity_decomposerEEE10hipError_tT1_T2_PT3_SK_jT4_jjP12ihipStream_tbEUlT_E_NS1_11comp_targetILNS1_3genE10ELNS1_11target_archE1201ELNS1_3gpuE5ELNS1_3repE0EEENS1_52radix_sort_onesweep_histogram_config_static_selectorELNS0_4arch9wavefront6targetE1EEEvSI_.numbered_sgpr, 0
	.set _ZN7rocprim17ROCPRIM_400000_NS6detail17trampoline_kernelINS0_14default_configENS1_35radix_sort_onesweep_config_selectorIiNS0_10empty_typeEEEZNS1_34radix_sort_onesweep_global_offsetsIS3_Lb0EN6thrust23THRUST_200600_302600_NS6detail15normal_iteratorINS9_10device_ptrIiEEEEPS5_jNS0_19identity_decomposerEEE10hipError_tT1_T2_PT3_SK_jT4_jjP12ihipStream_tbEUlT_E_NS1_11comp_targetILNS1_3genE10ELNS1_11target_archE1201ELNS1_3gpuE5ELNS1_3repE0EEENS1_52radix_sort_onesweep_histogram_config_static_selectorELNS0_4arch9wavefront6targetE1EEEvSI_.num_named_barrier, 0
	.set _ZN7rocprim17ROCPRIM_400000_NS6detail17trampoline_kernelINS0_14default_configENS1_35radix_sort_onesweep_config_selectorIiNS0_10empty_typeEEEZNS1_34radix_sort_onesweep_global_offsetsIS3_Lb0EN6thrust23THRUST_200600_302600_NS6detail15normal_iteratorINS9_10device_ptrIiEEEEPS5_jNS0_19identity_decomposerEEE10hipError_tT1_T2_PT3_SK_jT4_jjP12ihipStream_tbEUlT_E_NS1_11comp_targetILNS1_3genE10ELNS1_11target_archE1201ELNS1_3gpuE5ELNS1_3repE0EEENS1_52radix_sort_onesweep_histogram_config_static_selectorELNS0_4arch9wavefront6targetE1EEEvSI_.private_seg_size, 0
	.set _ZN7rocprim17ROCPRIM_400000_NS6detail17trampoline_kernelINS0_14default_configENS1_35radix_sort_onesweep_config_selectorIiNS0_10empty_typeEEEZNS1_34radix_sort_onesweep_global_offsetsIS3_Lb0EN6thrust23THRUST_200600_302600_NS6detail15normal_iteratorINS9_10device_ptrIiEEEEPS5_jNS0_19identity_decomposerEEE10hipError_tT1_T2_PT3_SK_jT4_jjP12ihipStream_tbEUlT_E_NS1_11comp_targetILNS1_3genE10ELNS1_11target_archE1201ELNS1_3gpuE5ELNS1_3repE0EEENS1_52radix_sort_onesweep_histogram_config_static_selectorELNS0_4arch9wavefront6targetE1EEEvSI_.uses_vcc, 0
	.set _ZN7rocprim17ROCPRIM_400000_NS6detail17trampoline_kernelINS0_14default_configENS1_35radix_sort_onesweep_config_selectorIiNS0_10empty_typeEEEZNS1_34radix_sort_onesweep_global_offsetsIS3_Lb0EN6thrust23THRUST_200600_302600_NS6detail15normal_iteratorINS9_10device_ptrIiEEEEPS5_jNS0_19identity_decomposerEEE10hipError_tT1_T2_PT3_SK_jT4_jjP12ihipStream_tbEUlT_E_NS1_11comp_targetILNS1_3genE10ELNS1_11target_archE1201ELNS1_3gpuE5ELNS1_3repE0EEENS1_52radix_sort_onesweep_histogram_config_static_selectorELNS0_4arch9wavefront6targetE1EEEvSI_.uses_flat_scratch, 0
	.set _ZN7rocprim17ROCPRIM_400000_NS6detail17trampoline_kernelINS0_14default_configENS1_35radix_sort_onesweep_config_selectorIiNS0_10empty_typeEEEZNS1_34radix_sort_onesweep_global_offsetsIS3_Lb0EN6thrust23THRUST_200600_302600_NS6detail15normal_iteratorINS9_10device_ptrIiEEEEPS5_jNS0_19identity_decomposerEEE10hipError_tT1_T2_PT3_SK_jT4_jjP12ihipStream_tbEUlT_E_NS1_11comp_targetILNS1_3genE10ELNS1_11target_archE1201ELNS1_3gpuE5ELNS1_3repE0EEENS1_52radix_sort_onesweep_histogram_config_static_selectorELNS0_4arch9wavefront6targetE1EEEvSI_.has_dyn_sized_stack, 0
	.set _ZN7rocprim17ROCPRIM_400000_NS6detail17trampoline_kernelINS0_14default_configENS1_35radix_sort_onesweep_config_selectorIiNS0_10empty_typeEEEZNS1_34radix_sort_onesweep_global_offsetsIS3_Lb0EN6thrust23THRUST_200600_302600_NS6detail15normal_iteratorINS9_10device_ptrIiEEEEPS5_jNS0_19identity_decomposerEEE10hipError_tT1_T2_PT3_SK_jT4_jjP12ihipStream_tbEUlT_E_NS1_11comp_targetILNS1_3genE10ELNS1_11target_archE1201ELNS1_3gpuE5ELNS1_3repE0EEENS1_52radix_sort_onesweep_histogram_config_static_selectorELNS0_4arch9wavefront6targetE1EEEvSI_.has_recursion, 0
	.set _ZN7rocprim17ROCPRIM_400000_NS6detail17trampoline_kernelINS0_14default_configENS1_35radix_sort_onesweep_config_selectorIiNS0_10empty_typeEEEZNS1_34radix_sort_onesweep_global_offsetsIS3_Lb0EN6thrust23THRUST_200600_302600_NS6detail15normal_iteratorINS9_10device_ptrIiEEEEPS5_jNS0_19identity_decomposerEEE10hipError_tT1_T2_PT3_SK_jT4_jjP12ihipStream_tbEUlT_E_NS1_11comp_targetILNS1_3genE10ELNS1_11target_archE1201ELNS1_3gpuE5ELNS1_3repE0EEENS1_52radix_sort_onesweep_histogram_config_static_selectorELNS0_4arch9wavefront6targetE1EEEvSI_.has_indirect_call, 0
	.section	.AMDGPU.csdata,"",@progbits
; Kernel info:
; codeLenInByte = 0
; TotalNumSgprs: 6
; NumVgprs: 0
; NumAgprs: 0
; TotalNumVgprs: 0
; ScratchSize: 0
; MemoryBound: 0
; FloatMode: 240
; IeeeMode: 1
; LDSByteSize: 0 bytes/workgroup (compile time only)
; SGPRBlocks: 0
; VGPRBlocks: 0
; NumSGPRsForWavesPerEU: 6
; NumVGPRsForWavesPerEU: 1
; AccumOffset: 4
; Occupancy: 8
; WaveLimiterHint : 0
; COMPUTE_PGM_RSRC2:SCRATCH_EN: 0
; COMPUTE_PGM_RSRC2:USER_SGPR: 2
; COMPUTE_PGM_RSRC2:TRAP_HANDLER: 0
; COMPUTE_PGM_RSRC2:TGID_X_EN: 1
; COMPUTE_PGM_RSRC2:TGID_Y_EN: 0
; COMPUTE_PGM_RSRC2:TGID_Z_EN: 0
; COMPUTE_PGM_RSRC2:TIDIG_COMP_CNT: 0
; COMPUTE_PGM_RSRC3_GFX90A:ACCUM_OFFSET: 0
; COMPUTE_PGM_RSRC3_GFX90A:TG_SPLIT: 0
	.section	.text._ZN7rocprim17ROCPRIM_400000_NS6detail17trampoline_kernelINS0_14default_configENS1_35radix_sort_onesweep_config_selectorIiNS0_10empty_typeEEEZNS1_34radix_sort_onesweep_global_offsetsIS3_Lb0EN6thrust23THRUST_200600_302600_NS6detail15normal_iteratorINS9_10device_ptrIiEEEEPS5_jNS0_19identity_decomposerEEE10hipError_tT1_T2_PT3_SK_jT4_jjP12ihipStream_tbEUlT_E_NS1_11comp_targetILNS1_3genE9ELNS1_11target_archE1100ELNS1_3gpuE3ELNS1_3repE0EEENS1_52radix_sort_onesweep_histogram_config_static_selectorELNS0_4arch9wavefront6targetE1EEEvSI_,"axG",@progbits,_ZN7rocprim17ROCPRIM_400000_NS6detail17trampoline_kernelINS0_14default_configENS1_35radix_sort_onesweep_config_selectorIiNS0_10empty_typeEEEZNS1_34radix_sort_onesweep_global_offsetsIS3_Lb0EN6thrust23THRUST_200600_302600_NS6detail15normal_iteratorINS9_10device_ptrIiEEEEPS5_jNS0_19identity_decomposerEEE10hipError_tT1_T2_PT3_SK_jT4_jjP12ihipStream_tbEUlT_E_NS1_11comp_targetILNS1_3genE9ELNS1_11target_archE1100ELNS1_3gpuE3ELNS1_3repE0EEENS1_52radix_sort_onesweep_histogram_config_static_selectorELNS0_4arch9wavefront6targetE1EEEvSI_,comdat
	.protected	_ZN7rocprim17ROCPRIM_400000_NS6detail17trampoline_kernelINS0_14default_configENS1_35radix_sort_onesweep_config_selectorIiNS0_10empty_typeEEEZNS1_34radix_sort_onesweep_global_offsetsIS3_Lb0EN6thrust23THRUST_200600_302600_NS6detail15normal_iteratorINS9_10device_ptrIiEEEEPS5_jNS0_19identity_decomposerEEE10hipError_tT1_T2_PT3_SK_jT4_jjP12ihipStream_tbEUlT_E_NS1_11comp_targetILNS1_3genE9ELNS1_11target_archE1100ELNS1_3gpuE3ELNS1_3repE0EEENS1_52radix_sort_onesweep_histogram_config_static_selectorELNS0_4arch9wavefront6targetE1EEEvSI_ ; -- Begin function _ZN7rocprim17ROCPRIM_400000_NS6detail17trampoline_kernelINS0_14default_configENS1_35radix_sort_onesweep_config_selectorIiNS0_10empty_typeEEEZNS1_34radix_sort_onesweep_global_offsetsIS3_Lb0EN6thrust23THRUST_200600_302600_NS6detail15normal_iteratorINS9_10device_ptrIiEEEEPS5_jNS0_19identity_decomposerEEE10hipError_tT1_T2_PT3_SK_jT4_jjP12ihipStream_tbEUlT_E_NS1_11comp_targetILNS1_3genE9ELNS1_11target_archE1100ELNS1_3gpuE3ELNS1_3repE0EEENS1_52radix_sort_onesweep_histogram_config_static_selectorELNS0_4arch9wavefront6targetE1EEEvSI_
	.globl	_ZN7rocprim17ROCPRIM_400000_NS6detail17trampoline_kernelINS0_14default_configENS1_35radix_sort_onesweep_config_selectorIiNS0_10empty_typeEEEZNS1_34radix_sort_onesweep_global_offsetsIS3_Lb0EN6thrust23THRUST_200600_302600_NS6detail15normal_iteratorINS9_10device_ptrIiEEEEPS5_jNS0_19identity_decomposerEEE10hipError_tT1_T2_PT3_SK_jT4_jjP12ihipStream_tbEUlT_E_NS1_11comp_targetILNS1_3genE9ELNS1_11target_archE1100ELNS1_3gpuE3ELNS1_3repE0EEENS1_52radix_sort_onesweep_histogram_config_static_selectorELNS0_4arch9wavefront6targetE1EEEvSI_
	.p2align	8
	.type	_ZN7rocprim17ROCPRIM_400000_NS6detail17trampoline_kernelINS0_14default_configENS1_35radix_sort_onesweep_config_selectorIiNS0_10empty_typeEEEZNS1_34radix_sort_onesweep_global_offsetsIS3_Lb0EN6thrust23THRUST_200600_302600_NS6detail15normal_iteratorINS9_10device_ptrIiEEEEPS5_jNS0_19identity_decomposerEEE10hipError_tT1_T2_PT3_SK_jT4_jjP12ihipStream_tbEUlT_E_NS1_11comp_targetILNS1_3genE9ELNS1_11target_archE1100ELNS1_3gpuE3ELNS1_3repE0EEENS1_52radix_sort_onesweep_histogram_config_static_selectorELNS0_4arch9wavefront6targetE1EEEvSI_,@function
_ZN7rocprim17ROCPRIM_400000_NS6detail17trampoline_kernelINS0_14default_configENS1_35radix_sort_onesweep_config_selectorIiNS0_10empty_typeEEEZNS1_34radix_sort_onesweep_global_offsetsIS3_Lb0EN6thrust23THRUST_200600_302600_NS6detail15normal_iteratorINS9_10device_ptrIiEEEEPS5_jNS0_19identity_decomposerEEE10hipError_tT1_T2_PT3_SK_jT4_jjP12ihipStream_tbEUlT_E_NS1_11comp_targetILNS1_3genE9ELNS1_11target_archE1100ELNS1_3gpuE3ELNS1_3repE0EEENS1_52radix_sort_onesweep_histogram_config_static_selectorELNS0_4arch9wavefront6targetE1EEEvSI_: ; @_ZN7rocprim17ROCPRIM_400000_NS6detail17trampoline_kernelINS0_14default_configENS1_35radix_sort_onesweep_config_selectorIiNS0_10empty_typeEEEZNS1_34radix_sort_onesweep_global_offsetsIS3_Lb0EN6thrust23THRUST_200600_302600_NS6detail15normal_iteratorINS9_10device_ptrIiEEEEPS5_jNS0_19identity_decomposerEEE10hipError_tT1_T2_PT3_SK_jT4_jjP12ihipStream_tbEUlT_E_NS1_11comp_targetILNS1_3genE9ELNS1_11target_archE1100ELNS1_3gpuE3ELNS1_3repE0EEENS1_52radix_sort_onesweep_histogram_config_static_selectorELNS0_4arch9wavefront6targetE1EEEvSI_
; %bb.0:
	.section	.rodata,"a",@progbits
	.p2align	6, 0x0
	.amdhsa_kernel _ZN7rocprim17ROCPRIM_400000_NS6detail17trampoline_kernelINS0_14default_configENS1_35radix_sort_onesweep_config_selectorIiNS0_10empty_typeEEEZNS1_34radix_sort_onesweep_global_offsetsIS3_Lb0EN6thrust23THRUST_200600_302600_NS6detail15normal_iteratorINS9_10device_ptrIiEEEEPS5_jNS0_19identity_decomposerEEE10hipError_tT1_T2_PT3_SK_jT4_jjP12ihipStream_tbEUlT_E_NS1_11comp_targetILNS1_3genE9ELNS1_11target_archE1100ELNS1_3gpuE3ELNS1_3repE0EEENS1_52radix_sort_onesweep_histogram_config_static_selectorELNS0_4arch9wavefront6targetE1EEEvSI_
		.amdhsa_group_segment_fixed_size 0
		.amdhsa_private_segment_fixed_size 0
		.amdhsa_kernarg_size 40
		.amdhsa_user_sgpr_count 2
		.amdhsa_user_sgpr_dispatch_ptr 0
		.amdhsa_user_sgpr_queue_ptr 0
		.amdhsa_user_sgpr_kernarg_segment_ptr 1
		.amdhsa_user_sgpr_dispatch_id 0
		.amdhsa_user_sgpr_kernarg_preload_length 0
		.amdhsa_user_sgpr_kernarg_preload_offset 0
		.amdhsa_user_sgpr_private_segment_size 0
		.amdhsa_uses_dynamic_stack 0
		.amdhsa_enable_private_segment 0
		.amdhsa_system_sgpr_workgroup_id_x 1
		.amdhsa_system_sgpr_workgroup_id_y 0
		.amdhsa_system_sgpr_workgroup_id_z 0
		.amdhsa_system_sgpr_workgroup_info 0
		.amdhsa_system_vgpr_workitem_id 0
		.amdhsa_next_free_vgpr 1
		.amdhsa_next_free_sgpr 0
		.amdhsa_accum_offset 4
		.amdhsa_reserve_vcc 0
		.amdhsa_float_round_mode_32 0
		.amdhsa_float_round_mode_16_64 0
		.amdhsa_float_denorm_mode_32 3
		.amdhsa_float_denorm_mode_16_64 3
		.amdhsa_dx10_clamp 1
		.amdhsa_ieee_mode 1
		.amdhsa_fp16_overflow 0
		.amdhsa_tg_split 0
		.amdhsa_exception_fp_ieee_invalid_op 0
		.amdhsa_exception_fp_denorm_src 0
		.amdhsa_exception_fp_ieee_div_zero 0
		.amdhsa_exception_fp_ieee_overflow 0
		.amdhsa_exception_fp_ieee_underflow 0
		.amdhsa_exception_fp_ieee_inexact 0
		.amdhsa_exception_int_div_zero 0
	.end_amdhsa_kernel
	.section	.text._ZN7rocprim17ROCPRIM_400000_NS6detail17trampoline_kernelINS0_14default_configENS1_35radix_sort_onesweep_config_selectorIiNS0_10empty_typeEEEZNS1_34radix_sort_onesweep_global_offsetsIS3_Lb0EN6thrust23THRUST_200600_302600_NS6detail15normal_iteratorINS9_10device_ptrIiEEEEPS5_jNS0_19identity_decomposerEEE10hipError_tT1_T2_PT3_SK_jT4_jjP12ihipStream_tbEUlT_E_NS1_11comp_targetILNS1_3genE9ELNS1_11target_archE1100ELNS1_3gpuE3ELNS1_3repE0EEENS1_52radix_sort_onesweep_histogram_config_static_selectorELNS0_4arch9wavefront6targetE1EEEvSI_,"axG",@progbits,_ZN7rocprim17ROCPRIM_400000_NS6detail17trampoline_kernelINS0_14default_configENS1_35radix_sort_onesweep_config_selectorIiNS0_10empty_typeEEEZNS1_34radix_sort_onesweep_global_offsetsIS3_Lb0EN6thrust23THRUST_200600_302600_NS6detail15normal_iteratorINS9_10device_ptrIiEEEEPS5_jNS0_19identity_decomposerEEE10hipError_tT1_T2_PT3_SK_jT4_jjP12ihipStream_tbEUlT_E_NS1_11comp_targetILNS1_3genE9ELNS1_11target_archE1100ELNS1_3gpuE3ELNS1_3repE0EEENS1_52radix_sort_onesweep_histogram_config_static_selectorELNS0_4arch9wavefront6targetE1EEEvSI_,comdat
.Lfunc_end139:
	.size	_ZN7rocprim17ROCPRIM_400000_NS6detail17trampoline_kernelINS0_14default_configENS1_35radix_sort_onesweep_config_selectorIiNS0_10empty_typeEEEZNS1_34radix_sort_onesweep_global_offsetsIS3_Lb0EN6thrust23THRUST_200600_302600_NS6detail15normal_iteratorINS9_10device_ptrIiEEEEPS5_jNS0_19identity_decomposerEEE10hipError_tT1_T2_PT3_SK_jT4_jjP12ihipStream_tbEUlT_E_NS1_11comp_targetILNS1_3genE9ELNS1_11target_archE1100ELNS1_3gpuE3ELNS1_3repE0EEENS1_52radix_sort_onesweep_histogram_config_static_selectorELNS0_4arch9wavefront6targetE1EEEvSI_, .Lfunc_end139-_ZN7rocprim17ROCPRIM_400000_NS6detail17trampoline_kernelINS0_14default_configENS1_35radix_sort_onesweep_config_selectorIiNS0_10empty_typeEEEZNS1_34radix_sort_onesweep_global_offsetsIS3_Lb0EN6thrust23THRUST_200600_302600_NS6detail15normal_iteratorINS9_10device_ptrIiEEEEPS5_jNS0_19identity_decomposerEEE10hipError_tT1_T2_PT3_SK_jT4_jjP12ihipStream_tbEUlT_E_NS1_11comp_targetILNS1_3genE9ELNS1_11target_archE1100ELNS1_3gpuE3ELNS1_3repE0EEENS1_52radix_sort_onesweep_histogram_config_static_selectorELNS0_4arch9wavefront6targetE1EEEvSI_
                                        ; -- End function
	.set _ZN7rocprim17ROCPRIM_400000_NS6detail17trampoline_kernelINS0_14default_configENS1_35radix_sort_onesweep_config_selectorIiNS0_10empty_typeEEEZNS1_34radix_sort_onesweep_global_offsetsIS3_Lb0EN6thrust23THRUST_200600_302600_NS6detail15normal_iteratorINS9_10device_ptrIiEEEEPS5_jNS0_19identity_decomposerEEE10hipError_tT1_T2_PT3_SK_jT4_jjP12ihipStream_tbEUlT_E_NS1_11comp_targetILNS1_3genE9ELNS1_11target_archE1100ELNS1_3gpuE3ELNS1_3repE0EEENS1_52radix_sort_onesweep_histogram_config_static_selectorELNS0_4arch9wavefront6targetE1EEEvSI_.num_vgpr, 0
	.set _ZN7rocprim17ROCPRIM_400000_NS6detail17trampoline_kernelINS0_14default_configENS1_35radix_sort_onesweep_config_selectorIiNS0_10empty_typeEEEZNS1_34radix_sort_onesweep_global_offsetsIS3_Lb0EN6thrust23THRUST_200600_302600_NS6detail15normal_iteratorINS9_10device_ptrIiEEEEPS5_jNS0_19identity_decomposerEEE10hipError_tT1_T2_PT3_SK_jT4_jjP12ihipStream_tbEUlT_E_NS1_11comp_targetILNS1_3genE9ELNS1_11target_archE1100ELNS1_3gpuE3ELNS1_3repE0EEENS1_52radix_sort_onesweep_histogram_config_static_selectorELNS0_4arch9wavefront6targetE1EEEvSI_.num_agpr, 0
	.set _ZN7rocprim17ROCPRIM_400000_NS6detail17trampoline_kernelINS0_14default_configENS1_35radix_sort_onesweep_config_selectorIiNS0_10empty_typeEEEZNS1_34radix_sort_onesweep_global_offsetsIS3_Lb0EN6thrust23THRUST_200600_302600_NS6detail15normal_iteratorINS9_10device_ptrIiEEEEPS5_jNS0_19identity_decomposerEEE10hipError_tT1_T2_PT3_SK_jT4_jjP12ihipStream_tbEUlT_E_NS1_11comp_targetILNS1_3genE9ELNS1_11target_archE1100ELNS1_3gpuE3ELNS1_3repE0EEENS1_52radix_sort_onesweep_histogram_config_static_selectorELNS0_4arch9wavefront6targetE1EEEvSI_.numbered_sgpr, 0
	.set _ZN7rocprim17ROCPRIM_400000_NS6detail17trampoline_kernelINS0_14default_configENS1_35radix_sort_onesweep_config_selectorIiNS0_10empty_typeEEEZNS1_34radix_sort_onesweep_global_offsetsIS3_Lb0EN6thrust23THRUST_200600_302600_NS6detail15normal_iteratorINS9_10device_ptrIiEEEEPS5_jNS0_19identity_decomposerEEE10hipError_tT1_T2_PT3_SK_jT4_jjP12ihipStream_tbEUlT_E_NS1_11comp_targetILNS1_3genE9ELNS1_11target_archE1100ELNS1_3gpuE3ELNS1_3repE0EEENS1_52radix_sort_onesweep_histogram_config_static_selectorELNS0_4arch9wavefront6targetE1EEEvSI_.num_named_barrier, 0
	.set _ZN7rocprim17ROCPRIM_400000_NS6detail17trampoline_kernelINS0_14default_configENS1_35radix_sort_onesweep_config_selectorIiNS0_10empty_typeEEEZNS1_34radix_sort_onesweep_global_offsetsIS3_Lb0EN6thrust23THRUST_200600_302600_NS6detail15normal_iteratorINS9_10device_ptrIiEEEEPS5_jNS0_19identity_decomposerEEE10hipError_tT1_T2_PT3_SK_jT4_jjP12ihipStream_tbEUlT_E_NS1_11comp_targetILNS1_3genE9ELNS1_11target_archE1100ELNS1_3gpuE3ELNS1_3repE0EEENS1_52radix_sort_onesweep_histogram_config_static_selectorELNS0_4arch9wavefront6targetE1EEEvSI_.private_seg_size, 0
	.set _ZN7rocprim17ROCPRIM_400000_NS6detail17trampoline_kernelINS0_14default_configENS1_35radix_sort_onesweep_config_selectorIiNS0_10empty_typeEEEZNS1_34radix_sort_onesweep_global_offsetsIS3_Lb0EN6thrust23THRUST_200600_302600_NS6detail15normal_iteratorINS9_10device_ptrIiEEEEPS5_jNS0_19identity_decomposerEEE10hipError_tT1_T2_PT3_SK_jT4_jjP12ihipStream_tbEUlT_E_NS1_11comp_targetILNS1_3genE9ELNS1_11target_archE1100ELNS1_3gpuE3ELNS1_3repE0EEENS1_52radix_sort_onesweep_histogram_config_static_selectorELNS0_4arch9wavefront6targetE1EEEvSI_.uses_vcc, 0
	.set _ZN7rocprim17ROCPRIM_400000_NS6detail17trampoline_kernelINS0_14default_configENS1_35radix_sort_onesweep_config_selectorIiNS0_10empty_typeEEEZNS1_34radix_sort_onesweep_global_offsetsIS3_Lb0EN6thrust23THRUST_200600_302600_NS6detail15normal_iteratorINS9_10device_ptrIiEEEEPS5_jNS0_19identity_decomposerEEE10hipError_tT1_T2_PT3_SK_jT4_jjP12ihipStream_tbEUlT_E_NS1_11comp_targetILNS1_3genE9ELNS1_11target_archE1100ELNS1_3gpuE3ELNS1_3repE0EEENS1_52radix_sort_onesweep_histogram_config_static_selectorELNS0_4arch9wavefront6targetE1EEEvSI_.uses_flat_scratch, 0
	.set _ZN7rocprim17ROCPRIM_400000_NS6detail17trampoline_kernelINS0_14default_configENS1_35radix_sort_onesweep_config_selectorIiNS0_10empty_typeEEEZNS1_34radix_sort_onesweep_global_offsetsIS3_Lb0EN6thrust23THRUST_200600_302600_NS6detail15normal_iteratorINS9_10device_ptrIiEEEEPS5_jNS0_19identity_decomposerEEE10hipError_tT1_T2_PT3_SK_jT4_jjP12ihipStream_tbEUlT_E_NS1_11comp_targetILNS1_3genE9ELNS1_11target_archE1100ELNS1_3gpuE3ELNS1_3repE0EEENS1_52radix_sort_onesweep_histogram_config_static_selectorELNS0_4arch9wavefront6targetE1EEEvSI_.has_dyn_sized_stack, 0
	.set _ZN7rocprim17ROCPRIM_400000_NS6detail17trampoline_kernelINS0_14default_configENS1_35radix_sort_onesweep_config_selectorIiNS0_10empty_typeEEEZNS1_34radix_sort_onesweep_global_offsetsIS3_Lb0EN6thrust23THRUST_200600_302600_NS6detail15normal_iteratorINS9_10device_ptrIiEEEEPS5_jNS0_19identity_decomposerEEE10hipError_tT1_T2_PT3_SK_jT4_jjP12ihipStream_tbEUlT_E_NS1_11comp_targetILNS1_3genE9ELNS1_11target_archE1100ELNS1_3gpuE3ELNS1_3repE0EEENS1_52radix_sort_onesweep_histogram_config_static_selectorELNS0_4arch9wavefront6targetE1EEEvSI_.has_recursion, 0
	.set _ZN7rocprim17ROCPRIM_400000_NS6detail17trampoline_kernelINS0_14default_configENS1_35radix_sort_onesweep_config_selectorIiNS0_10empty_typeEEEZNS1_34radix_sort_onesweep_global_offsetsIS3_Lb0EN6thrust23THRUST_200600_302600_NS6detail15normal_iteratorINS9_10device_ptrIiEEEEPS5_jNS0_19identity_decomposerEEE10hipError_tT1_T2_PT3_SK_jT4_jjP12ihipStream_tbEUlT_E_NS1_11comp_targetILNS1_3genE9ELNS1_11target_archE1100ELNS1_3gpuE3ELNS1_3repE0EEENS1_52radix_sort_onesweep_histogram_config_static_selectorELNS0_4arch9wavefront6targetE1EEEvSI_.has_indirect_call, 0
	.section	.AMDGPU.csdata,"",@progbits
; Kernel info:
; codeLenInByte = 0
; TotalNumSgprs: 6
; NumVgprs: 0
; NumAgprs: 0
; TotalNumVgprs: 0
; ScratchSize: 0
; MemoryBound: 0
; FloatMode: 240
; IeeeMode: 1
; LDSByteSize: 0 bytes/workgroup (compile time only)
; SGPRBlocks: 0
; VGPRBlocks: 0
; NumSGPRsForWavesPerEU: 6
; NumVGPRsForWavesPerEU: 1
; AccumOffset: 4
; Occupancy: 8
; WaveLimiterHint : 0
; COMPUTE_PGM_RSRC2:SCRATCH_EN: 0
; COMPUTE_PGM_RSRC2:USER_SGPR: 2
; COMPUTE_PGM_RSRC2:TRAP_HANDLER: 0
; COMPUTE_PGM_RSRC2:TGID_X_EN: 1
; COMPUTE_PGM_RSRC2:TGID_Y_EN: 0
; COMPUTE_PGM_RSRC2:TGID_Z_EN: 0
; COMPUTE_PGM_RSRC2:TIDIG_COMP_CNT: 0
; COMPUTE_PGM_RSRC3_GFX90A:ACCUM_OFFSET: 0
; COMPUTE_PGM_RSRC3_GFX90A:TG_SPLIT: 0
	.section	.text._ZN7rocprim17ROCPRIM_400000_NS6detail17trampoline_kernelINS0_14default_configENS1_35radix_sort_onesweep_config_selectorIiNS0_10empty_typeEEEZNS1_34radix_sort_onesweep_global_offsetsIS3_Lb0EN6thrust23THRUST_200600_302600_NS6detail15normal_iteratorINS9_10device_ptrIiEEEEPS5_jNS0_19identity_decomposerEEE10hipError_tT1_T2_PT3_SK_jT4_jjP12ihipStream_tbEUlT_E_NS1_11comp_targetILNS1_3genE8ELNS1_11target_archE1030ELNS1_3gpuE2ELNS1_3repE0EEENS1_52radix_sort_onesweep_histogram_config_static_selectorELNS0_4arch9wavefront6targetE1EEEvSI_,"axG",@progbits,_ZN7rocprim17ROCPRIM_400000_NS6detail17trampoline_kernelINS0_14default_configENS1_35radix_sort_onesweep_config_selectorIiNS0_10empty_typeEEEZNS1_34radix_sort_onesweep_global_offsetsIS3_Lb0EN6thrust23THRUST_200600_302600_NS6detail15normal_iteratorINS9_10device_ptrIiEEEEPS5_jNS0_19identity_decomposerEEE10hipError_tT1_T2_PT3_SK_jT4_jjP12ihipStream_tbEUlT_E_NS1_11comp_targetILNS1_3genE8ELNS1_11target_archE1030ELNS1_3gpuE2ELNS1_3repE0EEENS1_52radix_sort_onesweep_histogram_config_static_selectorELNS0_4arch9wavefront6targetE1EEEvSI_,comdat
	.protected	_ZN7rocprim17ROCPRIM_400000_NS6detail17trampoline_kernelINS0_14default_configENS1_35radix_sort_onesweep_config_selectorIiNS0_10empty_typeEEEZNS1_34radix_sort_onesweep_global_offsetsIS3_Lb0EN6thrust23THRUST_200600_302600_NS6detail15normal_iteratorINS9_10device_ptrIiEEEEPS5_jNS0_19identity_decomposerEEE10hipError_tT1_T2_PT3_SK_jT4_jjP12ihipStream_tbEUlT_E_NS1_11comp_targetILNS1_3genE8ELNS1_11target_archE1030ELNS1_3gpuE2ELNS1_3repE0EEENS1_52radix_sort_onesweep_histogram_config_static_selectorELNS0_4arch9wavefront6targetE1EEEvSI_ ; -- Begin function _ZN7rocprim17ROCPRIM_400000_NS6detail17trampoline_kernelINS0_14default_configENS1_35radix_sort_onesweep_config_selectorIiNS0_10empty_typeEEEZNS1_34radix_sort_onesweep_global_offsetsIS3_Lb0EN6thrust23THRUST_200600_302600_NS6detail15normal_iteratorINS9_10device_ptrIiEEEEPS5_jNS0_19identity_decomposerEEE10hipError_tT1_T2_PT3_SK_jT4_jjP12ihipStream_tbEUlT_E_NS1_11comp_targetILNS1_3genE8ELNS1_11target_archE1030ELNS1_3gpuE2ELNS1_3repE0EEENS1_52radix_sort_onesweep_histogram_config_static_selectorELNS0_4arch9wavefront6targetE1EEEvSI_
	.globl	_ZN7rocprim17ROCPRIM_400000_NS6detail17trampoline_kernelINS0_14default_configENS1_35radix_sort_onesweep_config_selectorIiNS0_10empty_typeEEEZNS1_34radix_sort_onesweep_global_offsetsIS3_Lb0EN6thrust23THRUST_200600_302600_NS6detail15normal_iteratorINS9_10device_ptrIiEEEEPS5_jNS0_19identity_decomposerEEE10hipError_tT1_T2_PT3_SK_jT4_jjP12ihipStream_tbEUlT_E_NS1_11comp_targetILNS1_3genE8ELNS1_11target_archE1030ELNS1_3gpuE2ELNS1_3repE0EEENS1_52radix_sort_onesweep_histogram_config_static_selectorELNS0_4arch9wavefront6targetE1EEEvSI_
	.p2align	8
	.type	_ZN7rocprim17ROCPRIM_400000_NS6detail17trampoline_kernelINS0_14default_configENS1_35radix_sort_onesweep_config_selectorIiNS0_10empty_typeEEEZNS1_34radix_sort_onesweep_global_offsetsIS3_Lb0EN6thrust23THRUST_200600_302600_NS6detail15normal_iteratorINS9_10device_ptrIiEEEEPS5_jNS0_19identity_decomposerEEE10hipError_tT1_T2_PT3_SK_jT4_jjP12ihipStream_tbEUlT_E_NS1_11comp_targetILNS1_3genE8ELNS1_11target_archE1030ELNS1_3gpuE2ELNS1_3repE0EEENS1_52radix_sort_onesweep_histogram_config_static_selectorELNS0_4arch9wavefront6targetE1EEEvSI_,@function
_ZN7rocprim17ROCPRIM_400000_NS6detail17trampoline_kernelINS0_14default_configENS1_35radix_sort_onesweep_config_selectorIiNS0_10empty_typeEEEZNS1_34radix_sort_onesweep_global_offsetsIS3_Lb0EN6thrust23THRUST_200600_302600_NS6detail15normal_iteratorINS9_10device_ptrIiEEEEPS5_jNS0_19identity_decomposerEEE10hipError_tT1_T2_PT3_SK_jT4_jjP12ihipStream_tbEUlT_E_NS1_11comp_targetILNS1_3genE8ELNS1_11target_archE1030ELNS1_3gpuE2ELNS1_3repE0EEENS1_52radix_sort_onesweep_histogram_config_static_selectorELNS0_4arch9wavefront6targetE1EEEvSI_: ; @_ZN7rocprim17ROCPRIM_400000_NS6detail17trampoline_kernelINS0_14default_configENS1_35radix_sort_onesweep_config_selectorIiNS0_10empty_typeEEEZNS1_34radix_sort_onesweep_global_offsetsIS3_Lb0EN6thrust23THRUST_200600_302600_NS6detail15normal_iteratorINS9_10device_ptrIiEEEEPS5_jNS0_19identity_decomposerEEE10hipError_tT1_T2_PT3_SK_jT4_jjP12ihipStream_tbEUlT_E_NS1_11comp_targetILNS1_3genE8ELNS1_11target_archE1030ELNS1_3gpuE2ELNS1_3repE0EEENS1_52radix_sort_onesweep_histogram_config_static_selectorELNS0_4arch9wavefront6targetE1EEEvSI_
; %bb.0:
	.section	.rodata,"a",@progbits
	.p2align	6, 0x0
	.amdhsa_kernel _ZN7rocprim17ROCPRIM_400000_NS6detail17trampoline_kernelINS0_14default_configENS1_35radix_sort_onesweep_config_selectorIiNS0_10empty_typeEEEZNS1_34radix_sort_onesweep_global_offsetsIS3_Lb0EN6thrust23THRUST_200600_302600_NS6detail15normal_iteratorINS9_10device_ptrIiEEEEPS5_jNS0_19identity_decomposerEEE10hipError_tT1_T2_PT3_SK_jT4_jjP12ihipStream_tbEUlT_E_NS1_11comp_targetILNS1_3genE8ELNS1_11target_archE1030ELNS1_3gpuE2ELNS1_3repE0EEENS1_52radix_sort_onesweep_histogram_config_static_selectorELNS0_4arch9wavefront6targetE1EEEvSI_
		.amdhsa_group_segment_fixed_size 0
		.amdhsa_private_segment_fixed_size 0
		.amdhsa_kernarg_size 40
		.amdhsa_user_sgpr_count 2
		.amdhsa_user_sgpr_dispatch_ptr 0
		.amdhsa_user_sgpr_queue_ptr 0
		.amdhsa_user_sgpr_kernarg_segment_ptr 1
		.amdhsa_user_sgpr_dispatch_id 0
		.amdhsa_user_sgpr_kernarg_preload_length 0
		.amdhsa_user_sgpr_kernarg_preload_offset 0
		.amdhsa_user_sgpr_private_segment_size 0
		.amdhsa_uses_dynamic_stack 0
		.amdhsa_enable_private_segment 0
		.amdhsa_system_sgpr_workgroup_id_x 1
		.amdhsa_system_sgpr_workgroup_id_y 0
		.amdhsa_system_sgpr_workgroup_id_z 0
		.amdhsa_system_sgpr_workgroup_info 0
		.amdhsa_system_vgpr_workitem_id 0
		.amdhsa_next_free_vgpr 1
		.amdhsa_next_free_sgpr 0
		.amdhsa_accum_offset 4
		.amdhsa_reserve_vcc 0
		.amdhsa_float_round_mode_32 0
		.amdhsa_float_round_mode_16_64 0
		.amdhsa_float_denorm_mode_32 3
		.amdhsa_float_denorm_mode_16_64 3
		.amdhsa_dx10_clamp 1
		.amdhsa_ieee_mode 1
		.amdhsa_fp16_overflow 0
		.amdhsa_tg_split 0
		.amdhsa_exception_fp_ieee_invalid_op 0
		.amdhsa_exception_fp_denorm_src 0
		.amdhsa_exception_fp_ieee_div_zero 0
		.amdhsa_exception_fp_ieee_overflow 0
		.amdhsa_exception_fp_ieee_underflow 0
		.amdhsa_exception_fp_ieee_inexact 0
		.amdhsa_exception_int_div_zero 0
	.end_amdhsa_kernel
	.section	.text._ZN7rocprim17ROCPRIM_400000_NS6detail17trampoline_kernelINS0_14default_configENS1_35radix_sort_onesweep_config_selectorIiNS0_10empty_typeEEEZNS1_34radix_sort_onesweep_global_offsetsIS3_Lb0EN6thrust23THRUST_200600_302600_NS6detail15normal_iteratorINS9_10device_ptrIiEEEEPS5_jNS0_19identity_decomposerEEE10hipError_tT1_T2_PT3_SK_jT4_jjP12ihipStream_tbEUlT_E_NS1_11comp_targetILNS1_3genE8ELNS1_11target_archE1030ELNS1_3gpuE2ELNS1_3repE0EEENS1_52radix_sort_onesweep_histogram_config_static_selectorELNS0_4arch9wavefront6targetE1EEEvSI_,"axG",@progbits,_ZN7rocprim17ROCPRIM_400000_NS6detail17trampoline_kernelINS0_14default_configENS1_35radix_sort_onesweep_config_selectorIiNS0_10empty_typeEEEZNS1_34radix_sort_onesweep_global_offsetsIS3_Lb0EN6thrust23THRUST_200600_302600_NS6detail15normal_iteratorINS9_10device_ptrIiEEEEPS5_jNS0_19identity_decomposerEEE10hipError_tT1_T2_PT3_SK_jT4_jjP12ihipStream_tbEUlT_E_NS1_11comp_targetILNS1_3genE8ELNS1_11target_archE1030ELNS1_3gpuE2ELNS1_3repE0EEENS1_52radix_sort_onesweep_histogram_config_static_selectorELNS0_4arch9wavefront6targetE1EEEvSI_,comdat
.Lfunc_end140:
	.size	_ZN7rocprim17ROCPRIM_400000_NS6detail17trampoline_kernelINS0_14default_configENS1_35radix_sort_onesweep_config_selectorIiNS0_10empty_typeEEEZNS1_34radix_sort_onesweep_global_offsetsIS3_Lb0EN6thrust23THRUST_200600_302600_NS6detail15normal_iteratorINS9_10device_ptrIiEEEEPS5_jNS0_19identity_decomposerEEE10hipError_tT1_T2_PT3_SK_jT4_jjP12ihipStream_tbEUlT_E_NS1_11comp_targetILNS1_3genE8ELNS1_11target_archE1030ELNS1_3gpuE2ELNS1_3repE0EEENS1_52radix_sort_onesweep_histogram_config_static_selectorELNS0_4arch9wavefront6targetE1EEEvSI_, .Lfunc_end140-_ZN7rocprim17ROCPRIM_400000_NS6detail17trampoline_kernelINS0_14default_configENS1_35radix_sort_onesweep_config_selectorIiNS0_10empty_typeEEEZNS1_34radix_sort_onesweep_global_offsetsIS3_Lb0EN6thrust23THRUST_200600_302600_NS6detail15normal_iteratorINS9_10device_ptrIiEEEEPS5_jNS0_19identity_decomposerEEE10hipError_tT1_T2_PT3_SK_jT4_jjP12ihipStream_tbEUlT_E_NS1_11comp_targetILNS1_3genE8ELNS1_11target_archE1030ELNS1_3gpuE2ELNS1_3repE0EEENS1_52radix_sort_onesweep_histogram_config_static_selectorELNS0_4arch9wavefront6targetE1EEEvSI_
                                        ; -- End function
	.set _ZN7rocprim17ROCPRIM_400000_NS6detail17trampoline_kernelINS0_14default_configENS1_35radix_sort_onesweep_config_selectorIiNS0_10empty_typeEEEZNS1_34radix_sort_onesweep_global_offsetsIS3_Lb0EN6thrust23THRUST_200600_302600_NS6detail15normal_iteratorINS9_10device_ptrIiEEEEPS5_jNS0_19identity_decomposerEEE10hipError_tT1_T2_PT3_SK_jT4_jjP12ihipStream_tbEUlT_E_NS1_11comp_targetILNS1_3genE8ELNS1_11target_archE1030ELNS1_3gpuE2ELNS1_3repE0EEENS1_52radix_sort_onesweep_histogram_config_static_selectorELNS0_4arch9wavefront6targetE1EEEvSI_.num_vgpr, 0
	.set _ZN7rocprim17ROCPRIM_400000_NS6detail17trampoline_kernelINS0_14default_configENS1_35radix_sort_onesweep_config_selectorIiNS0_10empty_typeEEEZNS1_34radix_sort_onesweep_global_offsetsIS3_Lb0EN6thrust23THRUST_200600_302600_NS6detail15normal_iteratorINS9_10device_ptrIiEEEEPS5_jNS0_19identity_decomposerEEE10hipError_tT1_T2_PT3_SK_jT4_jjP12ihipStream_tbEUlT_E_NS1_11comp_targetILNS1_3genE8ELNS1_11target_archE1030ELNS1_3gpuE2ELNS1_3repE0EEENS1_52radix_sort_onesweep_histogram_config_static_selectorELNS0_4arch9wavefront6targetE1EEEvSI_.num_agpr, 0
	.set _ZN7rocprim17ROCPRIM_400000_NS6detail17trampoline_kernelINS0_14default_configENS1_35radix_sort_onesweep_config_selectorIiNS0_10empty_typeEEEZNS1_34radix_sort_onesweep_global_offsetsIS3_Lb0EN6thrust23THRUST_200600_302600_NS6detail15normal_iteratorINS9_10device_ptrIiEEEEPS5_jNS0_19identity_decomposerEEE10hipError_tT1_T2_PT3_SK_jT4_jjP12ihipStream_tbEUlT_E_NS1_11comp_targetILNS1_3genE8ELNS1_11target_archE1030ELNS1_3gpuE2ELNS1_3repE0EEENS1_52radix_sort_onesweep_histogram_config_static_selectorELNS0_4arch9wavefront6targetE1EEEvSI_.numbered_sgpr, 0
	.set _ZN7rocprim17ROCPRIM_400000_NS6detail17trampoline_kernelINS0_14default_configENS1_35radix_sort_onesweep_config_selectorIiNS0_10empty_typeEEEZNS1_34radix_sort_onesweep_global_offsetsIS3_Lb0EN6thrust23THRUST_200600_302600_NS6detail15normal_iteratorINS9_10device_ptrIiEEEEPS5_jNS0_19identity_decomposerEEE10hipError_tT1_T2_PT3_SK_jT4_jjP12ihipStream_tbEUlT_E_NS1_11comp_targetILNS1_3genE8ELNS1_11target_archE1030ELNS1_3gpuE2ELNS1_3repE0EEENS1_52radix_sort_onesweep_histogram_config_static_selectorELNS0_4arch9wavefront6targetE1EEEvSI_.num_named_barrier, 0
	.set _ZN7rocprim17ROCPRIM_400000_NS6detail17trampoline_kernelINS0_14default_configENS1_35radix_sort_onesweep_config_selectorIiNS0_10empty_typeEEEZNS1_34radix_sort_onesweep_global_offsetsIS3_Lb0EN6thrust23THRUST_200600_302600_NS6detail15normal_iteratorINS9_10device_ptrIiEEEEPS5_jNS0_19identity_decomposerEEE10hipError_tT1_T2_PT3_SK_jT4_jjP12ihipStream_tbEUlT_E_NS1_11comp_targetILNS1_3genE8ELNS1_11target_archE1030ELNS1_3gpuE2ELNS1_3repE0EEENS1_52radix_sort_onesweep_histogram_config_static_selectorELNS0_4arch9wavefront6targetE1EEEvSI_.private_seg_size, 0
	.set _ZN7rocprim17ROCPRIM_400000_NS6detail17trampoline_kernelINS0_14default_configENS1_35radix_sort_onesweep_config_selectorIiNS0_10empty_typeEEEZNS1_34radix_sort_onesweep_global_offsetsIS3_Lb0EN6thrust23THRUST_200600_302600_NS6detail15normal_iteratorINS9_10device_ptrIiEEEEPS5_jNS0_19identity_decomposerEEE10hipError_tT1_T2_PT3_SK_jT4_jjP12ihipStream_tbEUlT_E_NS1_11comp_targetILNS1_3genE8ELNS1_11target_archE1030ELNS1_3gpuE2ELNS1_3repE0EEENS1_52radix_sort_onesweep_histogram_config_static_selectorELNS0_4arch9wavefront6targetE1EEEvSI_.uses_vcc, 0
	.set _ZN7rocprim17ROCPRIM_400000_NS6detail17trampoline_kernelINS0_14default_configENS1_35radix_sort_onesweep_config_selectorIiNS0_10empty_typeEEEZNS1_34radix_sort_onesweep_global_offsetsIS3_Lb0EN6thrust23THRUST_200600_302600_NS6detail15normal_iteratorINS9_10device_ptrIiEEEEPS5_jNS0_19identity_decomposerEEE10hipError_tT1_T2_PT3_SK_jT4_jjP12ihipStream_tbEUlT_E_NS1_11comp_targetILNS1_3genE8ELNS1_11target_archE1030ELNS1_3gpuE2ELNS1_3repE0EEENS1_52radix_sort_onesweep_histogram_config_static_selectorELNS0_4arch9wavefront6targetE1EEEvSI_.uses_flat_scratch, 0
	.set _ZN7rocprim17ROCPRIM_400000_NS6detail17trampoline_kernelINS0_14default_configENS1_35radix_sort_onesweep_config_selectorIiNS0_10empty_typeEEEZNS1_34radix_sort_onesweep_global_offsetsIS3_Lb0EN6thrust23THRUST_200600_302600_NS6detail15normal_iteratorINS9_10device_ptrIiEEEEPS5_jNS0_19identity_decomposerEEE10hipError_tT1_T2_PT3_SK_jT4_jjP12ihipStream_tbEUlT_E_NS1_11comp_targetILNS1_3genE8ELNS1_11target_archE1030ELNS1_3gpuE2ELNS1_3repE0EEENS1_52radix_sort_onesweep_histogram_config_static_selectorELNS0_4arch9wavefront6targetE1EEEvSI_.has_dyn_sized_stack, 0
	.set _ZN7rocprim17ROCPRIM_400000_NS6detail17trampoline_kernelINS0_14default_configENS1_35radix_sort_onesweep_config_selectorIiNS0_10empty_typeEEEZNS1_34radix_sort_onesweep_global_offsetsIS3_Lb0EN6thrust23THRUST_200600_302600_NS6detail15normal_iteratorINS9_10device_ptrIiEEEEPS5_jNS0_19identity_decomposerEEE10hipError_tT1_T2_PT3_SK_jT4_jjP12ihipStream_tbEUlT_E_NS1_11comp_targetILNS1_3genE8ELNS1_11target_archE1030ELNS1_3gpuE2ELNS1_3repE0EEENS1_52radix_sort_onesweep_histogram_config_static_selectorELNS0_4arch9wavefront6targetE1EEEvSI_.has_recursion, 0
	.set _ZN7rocprim17ROCPRIM_400000_NS6detail17trampoline_kernelINS0_14default_configENS1_35radix_sort_onesweep_config_selectorIiNS0_10empty_typeEEEZNS1_34radix_sort_onesweep_global_offsetsIS3_Lb0EN6thrust23THRUST_200600_302600_NS6detail15normal_iteratorINS9_10device_ptrIiEEEEPS5_jNS0_19identity_decomposerEEE10hipError_tT1_T2_PT3_SK_jT4_jjP12ihipStream_tbEUlT_E_NS1_11comp_targetILNS1_3genE8ELNS1_11target_archE1030ELNS1_3gpuE2ELNS1_3repE0EEENS1_52radix_sort_onesweep_histogram_config_static_selectorELNS0_4arch9wavefront6targetE1EEEvSI_.has_indirect_call, 0
	.section	.AMDGPU.csdata,"",@progbits
; Kernel info:
; codeLenInByte = 0
; TotalNumSgprs: 6
; NumVgprs: 0
; NumAgprs: 0
; TotalNumVgprs: 0
; ScratchSize: 0
; MemoryBound: 0
; FloatMode: 240
; IeeeMode: 1
; LDSByteSize: 0 bytes/workgroup (compile time only)
; SGPRBlocks: 0
; VGPRBlocks: 0
; NumSGPRsForWavesPerEU: 6
; NumVGPRsForWavesPerEU: 1
; AccumOffset: 4
; Occupancy: 8
; WaveLimiterHint : 0
; COMPUTE_PGM_RSRC2:SCRATCH_EN: 0
; COMPUTE_PGM_RSRC2:USER_SGPR: 2
; COMPUTE_PGM_RSRC2:TRAP_HANDLER: 0
; COMPUTE_PGM_RSRC2:TGID_X_EN: 1
; COMPUTE_PGM_RSRC2:TGID_Y_EN: 0
; COMPUTE_PGM_RSRC2:TGID_Z_EN: 0
; COMPUTE_PGM_RSRC2:TIDIG_COMP_CNT: 0
; COMPUTE_PGM_RSRC3_GFX90A:ACCUM_OFFSET: 0
; COMPUTE_PGM_RSRC3_GFX90A:TG_SPLIT: 0
	.section	.text._ZN7rocprim17ROCPRIM_400000_NS6detail17trampoline_kernelINS0_14default_configENS1_35radix_sort_onesweep_config_selectorIiNS0_10empty_typeEEEZNS1_34radix_sort_onesweep_global_offsetsIS3_Lb0EN6thrust23THRUST_200600_302600_NS6detail15normal_iteratorINS9_10device_ptrIiEEEEPS5_jNS0_19identity_decomposerEEE10hipError_tT1_T2_PT3_SK_jT4_jjP12ihipStream_tbEUlT_E0_NS1_11comp_targetILNS1_3genE0ELNS1_11target_archE4294967295ELNS1_3gpuE0ELNS1_3repE0EEENS1_52radix_sort_onesweep_histogram_config_static_selectorELNS0_4arch9wavefront6targetE1EEEvSI_,"axG",@progbits,_ZN7rocprim17ROCPRIM_400000_NS6detail17trampoline_kernelINS0_14default_configENS1_35radix_sort_onesweep_config_selectorIiNS0_10empty_typeEEEZNS1_34radix_sort_onesweep_global_offsetsIS3_Lb0EN6thrust23THRUST_200600_302600_NS6detail15normal_iteratorINS9_10device_ptrIiEEEEPS5_jNS0_19identity_decomposerEEE10hipError_tT1_T2_PT3_SK_jT4_jjP12ihipStream_tbEUlT_E0_NS1_11comp_targetILNS1_3genE0ELNS1_11target_archE4294967295ELNS1_3gpuE0ELNS1_3repE0EEENS1_52radix_sort_onesweep_histogram_config_static_selectorELNS0_4arch9wavefront6targetE1EEEvSI_,comdat
	.protected	_ZN7rocprim17ROCPRIM_400000_NS6detail17trampoline_kernelINS0_14default_configENS1_35radix_sort_onesweep_config_selectorIiNS0_10empty_typeEEEZNS1_34radix_sort_onesweep_global_offsetsIS3_Lb0EN6thrust23THRUST_200600_302600_NS6detail15normal_iteratorINS9_10device_ptrIiEEEEPS5_jNS0_19identity_decomposerEEE10hipError_tT1_T2_PT3_SK_jT4_jjP12ihipStream_tbEUlT_E0_NS1_11comp_targetILNS1_3genE0ELNS1_11target_archE4294967295ELNS1_3gpuE0ELNS1_3repE0EEENS1_52radix_sort_onesweep_histogram_config_static_selectorELNS0_4arch9wavefront6targetE1EEEvSI_ ; -- Begin function _ZN7rocprim17ROCPRIM_400000_NS6detail17trampoline_kernelINS0_14default_configENS1_35radix_sort_onesweep_config_selectorIiNS0_10empty_typeEEEZNS1_34radix_sort_onesweep_global_offsetsIS3_Lb0EN6thrust23THRUST_200600_302600_NS6detail15normal_iteratorINS9_10device_ptrIiEEEEPS5_jNS0_19identity_decomposerEEE10hipError_tT1_T2_PT3_SK_jT4_jjP12ihipStream_tbEUlT_E0_NS1_11comp_targetILNS1_3genE0ELNS1_11target_archE4294967295ELNS1_3gpuE0ELNS1_3repE0EEENS1_52radix_sort_onesweep_histogram_config_static_selectorELNS0_4arch9wavefront6targetE1EEEvSI_
	.globl	_ZN7rocprim17ROCPRIM_400000_NS6detail17trampoline_kernelINS0_14default_configENS1_35radix_sort_onesweep_config_selectorIiNS0_10empty_typeEEEZNS1_34radix_sort_onesweep_global_offsetsIS3_Lb0EN6thrust23THRUST_200600_302600_NS6detail15normal_iteratorINS9_10device_ptrIiEEEEPS5_jNS0_19identity_decomposerEEE10hipError_tT1_T2_PT3_SK_jT4_jjP12ihipStream_tbEUlT_E0_NS1_11comp_targetILNS1_3genE0ELNS1_11target_archE4294967295ELNS1_3gpuE0ELNS1_3repE0EEENS1_52radix_sort_onesweep_histogram_config_static_selectorELNS0_4arch9wavefront6targetE1EEEvSI_
	.p2align	8
	.type	_ZN7rocprim17ROCPRIM_400000_NS6detail17trampoline_kernelINS0_14default_configENS1_35radix_sort_onesweep_config_selectorIiNS0_10empty_typeEEEZNS1_34radix_sort_onesweep_global_offsetsIS3_Lb0EN6thrust23THRUST_200600_302600_NS6detail15normal_iteratorINS9_10device_ptrIiEEEEPS5_jNS0_19identity_decomposerEEE10hipError_tT1_T2_PT3_SK_jT4_jjP12ihipStream_tbEUlT_E0_NS1_11comp_targetILNS1_3genE0ELNS1_11target_archE4294967295ELNS1_3gpuE0ELNS1_3repE0EEENS1_52radix_sort_onesweep_histogram_config_static_selectorELNS0_4arch9wavefront6targetE1EEEvSI_,@function
_ZN7rocprim17ROCPRIM_400000_NS6detail17trampoline_kernelINS0_14default_configENS1_35radix_sort_onesweep_config_selectorIiNS0_10empty_typeEEEZNS1_34radix_sort_onesweep_global_offsetsIS3_Lb0EN6thrust23THRUST_200600_302600_NS6detail15normal_iteratorINS9_10device_ptrIiEEEEPS5_jNS0_19identity_decomposerEEE10hipError_tT1_T2_PT3_SK_jT4_jjP12ihipStream_tbEUlT_E0_NS1_11comp_targetILNS1_3genE0ELNS1_11target_archE4294967295ELNS1_3gpuE0ELNS1_3repE0EEENS1_52radix_sort_onesweep_histogram_config_static_selectorELNS0_4arch9wavefront6targetE1EEEvSI_: ; @_ZN7rocprim17ROCPRIM_400000_NS6detail17trampoline_kernelINS0_14default_configENS1_35radix_sort_onesweep_config_selectorIiNS0_10empty_typeEEEZNS1_34radix_sort_onesweep_global_offsetsIS3_Lb0EN6thrust23THRUST_200600_302600_NS6detail15normal_iteratorINS9_10device_ptrIiEEEEPS5_jNS0_19identity_decomposerEEE10hipError_tT1_T2_PT3_SK_jT4_jjP12ihipStream_tbEUlT_E0_NS1_11comp_targetILNS1_3genE0ELNS1_11target_archE4294967295ELNS1_3gpuE0ELNS1_3repE0EEENS1_52radix_sort_onesweep_histogram_config_static_selectorELNS0_4arch9wavefront6targetE1EEEvSI_
; %bb.0:
	.section	.rodata,"a",@progbits
	.p2align	6, 0x0
	.amdhsa_kernel _ZN7rocprim17ROCPRIM_400000_NS6detail17trampoline_kernelINS0_14default_configENS1_35radix_sort_onesweep_config_selectorIiNS0_10empty_typeEEEZNS1_34radix_sort_onesweep_global_offsetsIS3_Lb0EN6thrust23THRUST_200600_302600_NS6detail15normal_iteratorINS9_10device_ptrIiEEEEPS5_jNS0_19identity_decomposerEEE10hipError_tT1_T2_PT3_SK_jT4_jjP12ihipStream_tbEUlT_E0_NS1_11comp_targetILNS1_3genE0ELNS1_11target_archE4294967295ELNS1_3gpuE0ELNS1_3repE0EEENS1_52radix_sort_onesweep_histogram_config_static_selectorELNS0_4arch9wavefront6targetE1EEEvSI_
		.amdhsa_group_segment_fixed_size 0
		.amdhsa_private_segment_fixed_size 0
		.amdhsa_kernarg_size 8
		.amdhsa_user_sgpr_count 2
		.amdhsa_user_sgpr_dispatch_ptr 0
		.amdhsa_user_sgpr_queue_ptr 0
		.amdhsa_user_sgpr_kernarg_segment_ptr 1
		.amdhsa_user_sgpr_dispatch_id 0
		.amdhsa_user_sgpr_kernarg_preload_length 0
		.amdhsa_user_sgpr_kernarg_preload_offset 0
		.amdhsa_user_sgpr_private_segment_size 0
		.amdhsa_uses_dynamic_stack 0
		.amdhsa_enable_private_segment 0
		.amdhsa_system_sgpr_workgroup_id_x 1
		.amdhsa_system_sgpr_workgroup_id_y 0
		.amdhsa_system_sgpr_workgroup_id_z 0
		.amdhsa_system_sgpr_workgroup_info 0
		.amdhsa_system_vgpr_workitem_id 0
		.amdhsa_next_free_vgpr 1
		.amdhsa_next_free_sgpr 0
		.amdhsa_accum_offset 4
		.amdhsa_reserve_vcc 0
		.amdhsa_float_round_mode_32 0
		.amdhsa_float_round_mode_16_64 0
		.amdhsa_float_denorm_mode_32 3
		.amdhsa_float_denorm_mode_16_64 3
		.amdhsa_dx10_clamp 1
		.amdhsa_ieee_mode 1
		.amdhsa_fp16_overflow 0
		.amdhsa_tg_split 0
		.amdhsa_exception_fp_ieee_invalid_op 0
		.amdhsa_exception_fp_denorm_src 0
		.amdhsa_exception_fp_ieee_div_zero 0
		.amdhsa_exception_fp_ieee_overflow 0
		.amdhsa_exception_fp_ieee_underflow 0
		.amdhsa_exception_fp_ieee_inexact 0
		.amdhsa_exception_int_div_zero 0
	.end_amdhsa_kernel
	.section	.text._ZN7rocprim17ROCPRIM_400000_NS6detail17trampoline_kernelINS0_14default_configENS1_35radix_sort_onesweep_config_selectorIiNS0_10empty_typeEEEZNS1_34radix_sort_onesweep_global_offsetsIS3_Lb0EN6thrust23THRUST_200600_302600_NS6detail15normal_iteratorINS9_10device_ptrIiEEEEPS5_jNS0_19identity_decomposerEEE10hipError_tT1_T2_PT3_SK_jT4_jjP12ihipStream_tbEUlT_E0_NS1_11comp_targetILNS1_3genE0ELNS1_11target_archE4294967295ELNS1_3gpuE0ELNS1_3repE0EEENS1_52radix_sort_onesweep_histogram_config_static_selectorELNS0_4arch9wavefront6targetE1EEEvSI_,"axG",@progbits,_ZN7rocprim17ROCPRIM_400000_NS6detail17trampoline_kernelINS0_14default_configENS1_35radix_sort_onesweep_config_selectorIiNS0_10empty_typeEEEZNS1_34radix_sort_onesweep_global_offsetsIS3_Lb0EN6thrust23THRUST_200600_302600_NS6detail15normal_iteratorINS9_10device_ptrIiEEEEPS5_jNS0_19identity_decomposerEEE10hipError_tT1_T2_PT3_SK_jT4_jjP12ihipStream_tbEUlT_E0_NS1_11comp_targetILNS1_3genE0ELNS1_11target_archE4294967295ELNS1_3gpuE0ELNS1_3repE0EEENS1_52radix_sort_onesweep_histogram_config_static_selectorELNS0_4arch9wavefront6targetE1EEEvSI_,comdat
.Lfunc_end141:
	.size	_ZN7rocprim17ROCPRIM_400000_NS6detail17trampoline_kernelINS0_14default_configENS1_35radix_sort_onesweep_config_selectorIiNS0_10empty_typeEEEZNS1_34radix_sort_onesweep_global_offsetsIS3_Lb0EN6thrust23THRUST_200600_302600_NS6detail15normal_iteratorINS9_10device_ptrIiEEEEPS5_jNS0_19identity_decomposerEEE10hipError_tT1_T2_PT3_SK_jT4_jjP12ihipStream_tbEUlT_E0_NS1_11comp_targetILNS1_3genE0ELNS1_11target_archE4294967295ELNS1_3gpuE0ELNS1_3repE0EEENS1_52radix_sort_onesweep_histogram_config_static_selectorELNS0_4arch9wavefront6targetE1EEEvSI_, .Lfunc_end141-_ZN7rocprim17ROCPRIM_400000_NS6detail17trampoline_kernelINS0_14default_configENS1_35radix_sort_onesweep_config_selectorIiNS0_10empty_typeEEEZNS1_34radix_sort_onesweep_global_offsetsIS3_Lb0EN6thrust23THRUST_200600_302600_NS6detail15normal_iteratorINS9_10device_ptrIiEEEEPS5_jNS0_19identity_decomposerEEE10hipError_tT1_T2_PT3_SK_jT4_jjP12ihipStream_tbEUlT_E0_NS1_11comp_targetILNS1_3genE0ELNS1_11target_archE4294967295ELNS1_3gpuE0ELNS1_3repE0EEENS1_52radix_sort_onesweep_histogram_config_static_selectorELNS0_4arch9wavefront6targetE1EEEvSI_
                                        ; -- End function
	.set _ZN7rocprim17ROCPRIM_400000_NS6detail17trampoline_kernelINS0_14default_configENS1_35radix_sort_onesweep_config_selectorIiNS0_10empty_typeEEEZNS1_34radix_sort_onesweep_global_offsetsIS3_Lb0EN6thrust23THRUST_200600_302600_NS6detail15normal_iteratorINS9_10device_ptrIiEEEEPS5_jNS0_19identity_decomposerEEE10hipError_tT1_T2_PT3_SK_jT4_jjP12ihipStream_tbEUlT_E0_NS1_11comp_targetILNS1_3genE0ELNS1_11target_archE4294967295ELNS1_3gpuE0ELNS1_3repE0EEENS1_52radix_sort_onesweep_histogram_config_static_selectorELNS0_4arch9wavefront6targetE1EEEvSI_.num_vgpr, 0
	.set _ZN7rocprim17ROCPRIM_400000_NS6detail17trampoline_kernelINS0_14default_configENS1_35radix_sort_onesweep_config_selectorIiNS0_10empty_typeEEEZNS1_34radix_sort_onesweep_global_offsetsIS3_Lb0EN6thrust23THRUST_200600_302600_NS6detail15normal_iteratorINS9_10device_ptrIiEEEEPS5_jNS0_19identity_decomposerEEE10hipError_tT1_T2_PT3_SK_jT4_jjP12ihipStream_tbEUlT_E0_NS1_11comp_targetILNS1_3genE0ELNS1_11target_archE4294967295ELNS1_3gpuE0ELNS1_3repE0EEENS1_52radix_sort_onesweep_histogram_config_static_selectorELNS0_4arch9wavefront6targetE1EEEvSI_.num_agpr, 0
	.set _ZN7rocprim17ROCPRIM_400000_NS6detail17trampoline_kernelINS0_14default_configENS1_35radix_sort_onesweep_config_selectorIiNS0_10empty_typeEEEZNS1_34radix_sort_onesweep_global_offsetsIS3_Lb0EN6thrust23THRUST_200600_302600_NS6detail15normal_iteratorINS9_10device_ptrIiEEEEPS5_jNS0_19identity_decomposerEEE10hipError_tT1_T2_PT3_SK_jT4_jjP12ihipStream_tbEUlT_E0_NS1_11comp_targetILNS1_3genE0ELNS1_11target_archE4294967295ELNS1_3gpuE0ELNS1_3repE0EEENS1_52radix_sort_onesweep_histogram_config_static_selectorELNS0_4arch9wavefront6targetE1EEEvSI_.numbered_sgpr, 0
	.set _ZN7rocprim17ROCPRIM_400000_NS6detail17trampoline_kernelINS0_14default_configENS1_35radix_sort_onesweep_config_selectorIiNS0_10empty_typeEEEZNS1_34radix_sort_onesweep_global_offsetsIS3_Lb0EN6thrust23THRUST_200600_302600_NS6detail15normal_iteratorINS9_10device_ptrIiEEEEPS5_jNS0_19identity_decomposerEEE10hipError_tT1_T2_PT3_SK_jT4_jjP12ihipStream_tbEUlT_E0_NS1_11comp_targetILNS1_3genE0ELNS1_11target_archE4294967295ELNS1_3gpuE0ELNS1_3repE0EEENS1_52radix_sort_onesweep_histogram_config_static_selectorELNS0_4arch9wavefront6targetE1EEEvSI_.num_named_barrier, 0
	.set _ZN7rocprim17ROCPRIM_400000_NS6detail17trampoline_kernelINS0_14default_configENS1_35radix_sort_onesweep_config_selectorIiNS0_10empty_typeEEEZNS1_34radix_sort_onesweep_global_offsetsIS3_Lb0EN6thrust23THRUST_200600_302600_NS6detail15normal_iteratorINS9_10device_ptrIiEEEEPS5_jNS0_19identity_decomposerEEE10hipError_tT1_T2_PT3_SK_jT4_jjP12ihipStream_tbEUlT_E0_NS1_11comp_targetILNS1_3genE0ELNS1_11target_archE4294967295ELNS1_3gpuE0ELNS1_3repE0EEENS1_52radix_sort_onesweep_histogram_config_static_selectorELNS0_4arch9wavefront6targetE1EEEvSI_.private_seg_size, 0
	.set _ZN7rocprim17ROCPRIM_400000_NS6detail17trampoline_kernelINS0_14default_configENS1_35radix_sort_onesweep_config_selectorIiNS0_10empty_typeEEEZNS1_34radix_sort_onesweep_global_offsetsIS3_Lb0EN6thrust23THRUST_200600_302600_NS6detail15normal_iteratorINS9_10device_ptrIiEEEEPS5_jNS0_19identity_decomposerEEE10hipError_tT1_T2_PT3_SK_jT4_jjP12ihipStream_tbEUlT_E0_NS1_11comp_targetILNS1_3genE0ELNS1_11target_archE4294967295ELNS1_3gpuE0ELNS1_3repE0EEENS1_52radix_sort_onesweep_histogram_config_static_selectorELNS0_4arch9wavefront6targetE1EEEvSI_.uses_vcc, 0
	.set _ZN7rocprim17ROCPRIM_400000_NS6detail17trampoline_kernelINS0_14default_configENS1_35radix_sort_onesweep_config_selectorIiNS0_10empty_typeEEEZNS1_34radix_sort_onesweep_global_offsetsIS3_Lb0EN6thrust23THRUST_200600_302600_NS6detail15normal_iteratorINS9_10device_ptrIiEEEEPS5_jNS0_19identity_decomposerEEE10hipError_tT1_T2_PT3_SK_jT4_jjP12ihipStream_tbEUlT_E0_NS1_11comp_targetILNS1_3genE0ELNS1_11target_archE4294967295ELNS1_3gpuE0ELNS1_3repE0EEENS1_52radix_sort_onesweep_histogram_config_static_selectorELNS0_4arch9wavefront6targetE1EEEvSI_.uses_flat_scratch, 0
	.set _ZN7rocprim17ROCPRIM_400000_NS6detail17trampoline_kernelINS0_14default_configENS1_35radix_sort_onesweep_config_selectorIiNS0_10empty_typeEEEZNS1_34radix_sort_onesweep_global_offsetsIS3_Lb0EN6thrust23THRUST_200600_302600_NS6detail15normal_iteratorINS9_10device_ptrIiEEEEPS5_jNS0_19identity_decomposerEEE10hipError_tT1_T2_PT3_SK_jT4_jjP12ihipStream_tbEUlT_E0_NS1_11comp_targetILNS1_3genE0ELNS1_11target_archE4294967295ELNS1_3gpuE0ELNS1_3repE0EEENS1_52radix_sort_onesweep_histogram_config_static_selectorELNS0_4arch9wavefront6targetE1EEEvSI_.has_dyn_sized_stack, 0
	.set _ZN7rocprim17ROCPRIM_400000_NS6detail17trampoline_kernelINS0_14default_configENS1_35radix_sort_onesweep_config_selectorIiNS0_10empty_typeEEEZNS1_34radix_sort_onesweep_global_offsetsIS3_Lb0EN6thrust23THRUST_200600_302600_NS6detail15normal_iteratorINS9_10device_ptrIiEEEEPS5_jNS0_19identity_decomposerEEE10hipError_tT1_T2_PT3_SK_jT4_jjP12ihipStream_tbEUlT_E0_NS1_11comp_targetILNS1_3genE0ELNS1_11target_archE4294967295ELNS1_3gpuE0ELNS1_3repE0EEENS1_52radix_sort_onesweep_histogram_config_static_selectorELNS0_4arch9wavefront6targetE1EEEvSI_.has_recursion, 0
	.set _ZN7rocprim17ROCPRIM_400000_NS6detail17trampoline_kernelINS0_14default_configENS1_35radix_sort_onesweep_config_selectorIiNS0_10empty_typeEEEZNS1_34radix_sort_onesweep_global_offsetsIS3_Lb0EN6thrust23THRUST_200600_302600_NS6detail15normal_iteratorINS9_10device_ptrIiEEEEPS5_jNS0_19identity_decomposerEEE10hipError_tT1_T2_PT3_SK_jT4_jjP12ihipStream_tbEUlT_E0_NS1_11comp_targetILNS1_3genE0ELNS1_11target_archE4294967295ELNS1_3gpuE0ELNS1_3repE0EEENS1_52radix_sort_onesweep_histogram_config_static_selectorELNS0_4arch9wavefront6targetE1EEEvSI_.has_indirect_call, 0
	.section	.AMDGPU.csdata,"",@progbits
; Kernel info:
; codeLenInByte = 0
; TotalNumSgprs: 6
; NumVgprs: 0
; NumAgprs: 0
; TotalNumVgprs: 0
; ScratchSize: 0
; MemoryBound: 0
; FloatMode: 240
; IeeeMode: 1
; LDSByteSize: 0 bytes/workgroup (compile time only)
; SGPRBlocks: 0
; VGPRBlocks: 0
; NumSGPRsForWavesPerEU: 6
; NumVGPRsForWavesPerEU: 1
; AccumOffset: 4
; Occupancy: 8
; WaveLimiterHint : 0
; COMPUTE_PGM_RSRC2:SCRATCH_EN: 0
; COMPUTE_PGM_RSRC2:USER_SGPR: 2
; COMPUTE_PGM_RSRC2:TRAP_HANDLER: 0
; COMPUTE_PGM_RSRC2:TGID_X_EN: 1
; COMPUTE_PGM_RSRC2:TGID_Y_EN: 0
; COMPUTE_PGM_RSRC2:TGID_Z_EN: 0
; COMPUTE_PGM_RSRC2:TIDIG_COMP_CNT: 0
; COMPUTE_PGM_RSRC3_GFX90A:ACCUM_OFFSET: 0
; COMPUTE_PGM_RSRC3_GFX90A:TG_SPLIT: 0
	.section	.text._ZN7rocprim17ROCPRIM_400000_NS6detail17trampoline_kernelINS0_14default_configENS1_35radix_sort_onesweep_config_selectorIiNS0_10empty_typeEEEZNS1_34radix_sort_onesweep_global_offsetsIS3_Lb0EN6thrust23THRUST_200600_302600_NS6detail15normal_iteratorINS9_10device_ptrIiEEEEPS5_jNS0_19identity_decomposerEEE10hipError_tT1_T2_PT3_SK_jT4_jjP12ihipStream_tbEUlT_E0_NS1_11comp_targetILNS1_3genE6ELNS1_11target_archE950ELNS1_3gpuE13ELNS1_3repE0EEENS1_52radix_sort_onesweep_histogram_config_static_selectorELNS0_4arch9wavefront6targetE1EEEvSI_,"axG",@progbits,_ZN7rocprim17ROCPRIM_400000_NS6detail17trampoline_kernelINS0_14default_configENS1_35radix_sort_onesweep_config_selectorIiNS0_10empty_typeEEEZNS1_34radix_sort_onesweep_global_offsetsIS3_Lb0EN6thrust23THRUST_200600_302600_NS6detail15normal_iteratorINS9_10device_ptrIiEEEEPS5_jNS0_19identity_decomposerEEE10hipError_tT1_T2_PT3_SK_jT4_jjP12ihipStream_tbEUlT_E0_NS1_11comp_targetILNS1_3genE6ELNS1_11target_archE950ELNS1_3gpuE13ELNS1_3repE0EEENS1_52radix_sort_onesweep_histogram_config_static_selectorELNS0_4arch9wavefront6targetE1EEEvSI_,comdat
	.protected	_ZN7rocprim17ROCPRIM_400000_NS6detail17trampoline_kernelINS0_14default_configENS1_35radix_sort_onesweep_config_selectorIiNS0_10empty_typeEEEZNS1_34radix_sort_onesweep_global_offsetsIS3_Lb0EN6thrust23THRUST_200600_302600_NS6detail15normal_iteratorINS9_10device_ptrIiEEEEPS5_jNS0_19identity_decomposerEEE10hipError_tT1_T2_PT3_SK_jT4_jjP12ihipStream_tbEUlT_E0_NS1_11comp_targetILNS1_3genE6ELNS1_11target_archE950ELNS1_3gpuE13ELNS1_3repE0EEENS1_52radix_sort_onesweep_histogram_config_static_selectorELNS0_4arch9wavefront6targetE1EEEvSI_ ; -- Begin function _ZN7rocprim17ROCPRIM_400000_NS6detail17trampoline_kernelINS0_14default_configENS1_35radix_sort_onesweep_config_selectorIiNS0_10empty_typeEEEZNS1_34radix_sort_onesweep_global_offsetsIS3_Lb0EN6thrust23THRUST_200600_302600_NS6detail15normal_iteratorINS9_10device_ptrIiEEEEPS5_jNS0_19identity_decomposerEEE10hipError_tT1_T2_PT3_SK_jT4_jjP12ihipStream_tbEUlT_E0_NS1_11comp_targetILNS1_3genE6ELNS1_11target_archE950ELNS1_3gpuE13ELNS1_3repE0EEENS1_52radix_sort_onesweep_histogram_config_static_selectorELNS0_4arch9wavefront6targetE1EEEvSI_
	.globl	_ZN7rocprim17ROCPRIM_400000_NS6detail17trampoline_kernelINS0_14default_configENS1_35radix_sort_onesweep_config_selectorIiNS0_10empty_typeEEEZNS1_34radix_sort_onesweep_global_offsetsIS3_Lb0EN6thrust23THRUST_200600_302600_NS6detail15normal_iteratorINS9_10device_ptrIiEEEEPS5_jNS0_19identity_decomposerEEE10hipError_tT1_T2_PT3_SK_jT4_jjP12ihipStream_tbEUlT_E0_NS1_11comp_targetILNS1_3genE6ELNS1_11target_archE950ELNS1_3gpuE13ELNS1_3repE0EEENS1_52radix_sort_onesweep_histogram_config_static_selectorELNS0_4arch9wavefront6targetE1EEEvSI_
	.p2align	8
	.type	_ZN7rocprim17ROCPRIM_400000_NS6detail17trampoline_kernelINS0_14default_configENS1_35radix_sort_onesweep_config_selectorIiNS0_10empty_typeEEEZNS1_34radix_sort_onesweep_global_offsetsIS3_Lb0EN6thrust23THRUST_200600_302600_NS6detail15normal_iteratorINS9_10device_ptrIiEEEEPS5_jNS0_19identity_decomposerEEE10hipError_tT1_T2_PT3_SK_jT4_jjP12ihipStream_tbEUlT_E0_NS1_11comp_targetILNS1_3genE6ELNS1_11target_archE950ELNS1_3gpuE13ELNS1_3repE0EEENS1_52radix_sort_onesweep_histogram_config_static_selectorELNS0_4arch9wavefront6targetE1EEEvSI_,@function
_ZN7rocprim17ROCPRIM_400000_NS6detail17trampoline_kernelINS0_14default_configENS1_35radix_sort_onesweep_config_selectorIiNS0_10empty_typeEEEZNS1_34radix_sort_onesweep_global_offsetsIS3_Lb0EN6thrust23THRUST_200600_302600_NS6detail15normal_iteratorINS9_10device_ptrIiEEEEPS5_jNS0_19identity_decomposerEEE10hipError_tT1_T2_PT3_SK_jT4_jjP12ihipStream_tbEUlT_E0_NS1_11comp_targetILNS1_3genE6ELNS1_11target_archE950ELNS1_3gpuE13ELNS1_3repE0EEENS1_52radix_sort_onesweep_histogram_config_static_selectorELNS0_4arch9wavefront6targetE1EEEvSI_: ; @_ZN7rocprim17ROCPRIM_400000_NS6detail17trampoline_kernelINS0_14default_configENS1_35radix_sort_onesweep_config_selectorIiNS0_10empty_typeEEEZNS1_34radix_sort_onesweep_global_offsetsIS3_Lb0EN6thrust23THRUST_200600_302600_NS6detail15normal_iteratorINS9_10device_ptrIiEEEEPS5_jNS0_19identity_decomposerEEE10hipError_tT1_T2_PT3_SK_jT4_jjP12ihipStream_tbEUlT_E0_NS1_11comp_targetILNS1_3genE6ELNS1_11target_archE950ELNS1_3gpuE13ELNS1_3repE0EEENS1_52radix_sort_onesweep_histogram_config_static_selectorELNS0_4arch9wavefront6targetE1EEEvSI_
; %bb.0:
	s_load_dwordx2 s[0:1], s[0:1], 0x0
	s_lshl_b32 s2, s2, 8
	s_mov_b32 s3, 0
	s_lshl_b64 s[2:3], s[2:3], 2
	v_lshlrev_b32_e32 v1, 2, v0
	s_waitcnt lgkmcnt(0)
	s_add_u32 s10, s0, s2
	s_movk_i32 s0, 0x100
	s_addc_u32 s11, s1, s3
	v_cmp_gt_u32_e32 vcc, s0, v0
                                        ; implicit-def: $vgpr3
	s_and_saveexec_b64 s[0:1], vcc
	s_cbranch_execz .LBB142_2
; %bb.1:
	global_load_dword v3, v1, s[10:11]
.LBB142_2:
	s_or_b64 exec, exec, s[0:1]
	v_mbcnt_lo_u32_b32 v2, -1, 0
	v_mbcnt_hi_u32_b32 v2, -1, v2
	v_and_b32_e32 v4, 15, v2
	s_waitcnt vmcnt(0)
	v_mov_b32_dpp v5, v3 row_shr:1 row_mask:0xf bank_mask:0xf
	v_cmp_eq_u32_e64 s[0:1], 0, v4
	v_cmp_lt_u32_e64 s[2:3], 1, v4
	v_cmp_lt_u32_e64 s[4:5], 3, v4
	v_cndmask_b32_e64 v5, v5, 0, s[0:1]
	v_add_u32_e32 v3, v5, v3
	v_cmp_lt_u32_e64 s[6:7], 7, v4
	v_cmp_lt_u32_e64 s[8:9], 31, v2
	v_mov_b32_dpp v5, v3 row_shr:2 row_mask:0xf bank_mask:0xf
	v_cndmask_b32_e64 v5, 0, v5, s[2:3]
	v_add_u32_e32 v3, v3, v5
	s_nop 1
	v_mov_b32_dpp v5, v3 row_shr:4 row_mask:0xf bank_mask:0xf
	v_cndmask_b32_e64 v5, 0, v5, s[4:5]
	v_add_u32_e32 v3, v3, v5
	s_nop 1
	v_mov_b32_dpp v5, v3 row_shr:8 row_mask:0xf bank_mask:0xf
	v_cndmask_b32_e64 v4, 0, v5, s[6:7]
	v_add_u32_e32 v3, v3, v4
	v_bfe_i32 v5, v2, 4, 1
	s_nop 0
	v_mov_b32_dpp v4, v3 row_bcast:15 row_mask:0xf bank_mask:0xf
	v_and_b32_e32 v4, v5, v4
	v_add_u32_e32 v3, v3, v4
	v_and_b32_e32 v5, 63, v0
	s_nop 0
	v_mov_b32_dpp v4, v3 row_bcast:31 row_mask:0xf bank_mask:0xf
	v_cndmask_b32_e64 v4, 0, v4, s[8:9]
	v_add_u32_e32 v3, v3, v4
	v_lshrrev_b32_e32 v4, 6, v0
	v_cmp_eq_u32_e64 s[8:9], 63, v5
	s_and_saveexec_b64 s[12:13], s[8:9]
; %bb.3:
	v_lshlrev_b32_e32 v5, 2, v4
	ds_write_b32 v5, v3
; %bb.4:
	s_or_b64 exec, exec, s[12:13]
	v_cmp_gt_u32_e64 s[8:9], 16, v0
	s_waitcnt lgkmcnt(0)
	s_barrier
	s_and_saveexec_b64 s[12:13], s[8:9]
	s_cbranch_execz .LBB142_6
; %bb.5:
	ds_read_b32 v5, v1
	s_waitcnt lgkmcnt(0)
	s_nop 0
	v_mov_b32_dpp v6, v5 row_shr:1 row_mask:0xf bank_mask:0xf
	v_cndmask_b32_e64 v6, v6, 0, s[0:1]
	v_add_u32_e32 v5, v6, v5
	s_nop 1
	v_mov_b32_dpp v6, v5 row_shr:2 row_mask:0xf bank_mask:0xf
	v_cndmask_b32_e64 v6, 0, v6, s[2:3]
	v_add_u32_e32 v5, v5, v6
	;; [unrolled: 4-line block ×4, first 2 shown]
	ds_write_b32 v1, v5
.LBB142_6:
	s_or_b64 exec, exec, s[12:13]
	v_cmp_lt_u32_e64 s[0:1], 63, v0
	v_mov_b32_e32 v0, 0
	s_waitcnt lgkmcnt(0)
	s_barrier
	s_and_saveexec_b64 s[2:3], s[0:1]
; %bb.7:
	v_lshl_add_u32 v0, v4, 2, -4
	ds_read_b32 v0, v0
; %bb.8:
	s_or_b64 exec, exec, s[2:3]
	v_add_u32_e32 v4, -1, v2
	v_and_b32_e32 v5, 64, v2
	v_cmp_lt_i32_e64 s[0:1], v4, v5
	s_waitcnt lgkmcnt(0)
	v_add_u32_e32 v3, v0, v3
	v_cndmask_b32_e64 v4, v4, v2, s[0:1]
	v_lshlrev_b32_e32 v4, 2, v4
	ds_bpermute_b32 v3, v4, v3
	s_and_saveexec_b64 s[0:1], vcc
	s_cbranch_execz .LBB142_10
; %bb.9:
	v_cmp_eq_u32_e32 vcc, 0, v2
	s_waitcnt lgkmcnt(0)
	s_nop 0
	v_cndmask_b32_e32 v0, v3, v0, vcc
	global_store_dword v1, v0, s[10:11]
.LBB142_10:
	s_endpgm
	.section	.rodata,"a",@progbits
	.p2align	6, 0x0
	.amdhsa_kernel _ZN7rocprim17ROCPRIM_400000_NS6detail17trampoline_kernelINS0_14default_configENS1_35radix_sort_onesweep_config_selectorIiNS0_10empty_typeEEEZNS1_34radix_sort_onesweep_global_offsetsIS3_Lb0EN6thrust23THRUST_200600_302600_NS6detail15normal_iteratorINS9_10device_ptrIiEEEEPS5_jNS0_19identity_decomposerEEE10hipError_tT1_T2_PT3_SK_jT4_jjP12ihipStream_tbEUlT_E0_NS1_11comp_targetILNS1_3genE6ELNS1_11target_archE950ELNS1_3gpuE13ELNS1_3repE0EEENS1_52radix_sort_onesweep_histogram_config_static_selectorELNS0_4arch9wavefront6targetE1EEEvSI_
		.amdhsa_group_segment_fixed_size 64
		.amdhsa_private_segment_fixed_size 0
		.amdhsa_kernarg_size 8
		.amdhsa_user_sgpr_count 2
		.amdhsa_user_sgpr_dispatch_ptr 0
		.amdhsa_user_sgpr_queue_ptr 0
		.amdhsa_user_sgpr_kernarg_segment_ptr 1
		.amdhsa_user_sgpr_dispatch_id 0
		.amdhsa_user_sgpr_kernarg_preload_length 0
		.amdhsa_user_sgpr_kernarg_preload_offset 0
		.amdhsa_user_sgpr_private_segment_size 0
		.amdhsa_uses_dynamic_stack 0
		.amdhsa_enable_private_segment 0
		.amdhsa_system_sgpr_workgroup_id_x 1
		.amdhsa_system_sgpr_workgroup_id_y 0
		.amdhsa_system_sgpr_workgroup_id_z 0
		.amdhsa_system_sgpr_workgroup_info 0
		.amdhsa_system_vgpr_workitem_id 0
		.amdhsa_next_free_vgpr 7
		.amdhsa_next_free_sgpr 14
		.amdhsa_accum_offset 8
		.amdhsa_reserve_vcc 1
		.amdhsa_float_round_mode_32 0
		.amdhsa_float_round_mode_16_64 0
		.amdhsa_float_denorm_mode_32 3
		.amdhsa_float_denorm_mode_16_64 3
		.amdhsa_dx10_clamp 1
		.amdhsa_ieee_mode 1
		.amdhsa_fp16_overflow 0
		.amdhsa_tg_split 0
		.amdhsa_exception_fp_ieee_invalid_op 0
		.amdhsa_exception_fp_denorm_src 0
		.amdhsa_exception_fp_ieee_div_zero 0
		.amdhsa_exception_fp_ieee_overflow 0
		.amdhsa_exception_fp_ieee_underflow 0
		.amdhsa_exception_fp_ieee_inexact 0
		.amdhsa_exception_int_div_zero 0
	.end_amdhsa_kernel
	.section	.text._ZN7rocprim17ROCPRIM_400000_NS6detail17trampoline_kernelINS0_14default_configENS1_35radix_sort_onesweep_config_selectorIiNS0_10empty_typeEEEZNS1_34radix_sort_onesweep_global_offsetsIS3_Lb0EN6thrust23THRUST_200600_302600_NS6detail15normal_iteratorINS9_10device_ptrIiEEEEPS5_jNS0_19identity_decomposerEEE10hipError_tT1_T2_PT3_SK_jT4_jjP12ihipStream_tbEUlT_E0_NS1_11comp_targetILNS1_3genE6ELNS1_11target_archE950ELNS1_3gpuE13ELNS1_3repE0EEENS1_52radix_sort_onesweep_histogram_config_static_selectorELNS0_4arch9wavefront6targetE1EEEvSI_,"axG",@progbits,_ZN7rocprim17ROCPRIM_400000_NS6detail17trampoline_kernelINS0_14default_configENS1_35radix_sort_onesweep_config_selectorIiNS0_10empty_typeEEEZNS1_34radix_sort_onesweep_global_offsetsIS3_Lb0EN6thrust23THRUST_200600_302600_NS6detail15normal_iteratorINS9_10device_ptrIiEEEEPS5_jNS0_19identity_decomposerEEE10hipError_tT1_T2_PT3_SK_jT4_jjP12ihipStream_tbEUlT_E0_NS1_11comp_targetILNS1_3genE6ELNS1_11target_archE950ELNS1_3gpuE13ELNS1_3repE0EEENS1_52radix_sort_onesweep_histogram_config_static_selectorELNS0_4arch9wavefront6targetE1EEEvSI_,comdat
.Lfunc_end142:
	.size	_ZN7rocprim17ROCPRIM_400000_NS6detail17trampoline_kernelINS0_14default_configENS1_35radix_sort_onesweep_config_selectorIiNS0_10empty_typeEEEZNS1_34radix_sort_onesweep_global_offsetsIS3_Lb0EN6thrust23THRUST_200600_302600_NS6detail15normal_iteratorINS9_10device_ptrIiEEEEPS5_jNS0_19identity_decomposerEEE10hipError_tT1_T2_PT3_SK_jT4_jjP12ihipStream_tbEUlT_E0_NS1_11comp_targetILNS1_3genE6ELNS1_11target_archE950ELNS1_3gpuE13ELNS1_3repE0EEENS1_52radix_sort_onesweep_histogram_config_static_selectorELNS0_4arch9wavefront6targetE1EEEvSI_, .Lfunc_end142-_ZN7rocprim17ROCPRIM_400000_NS6detail17trampoline_kernelINS0_14default_configENS1_35radix_sort_onesweep_config_selectorIiNS0_10empty_typeEEEZNS1_34radix_sort_onesweep_global_offsetsIS3_Lb0EN6thrust23THRUST_200600_302600_NS6detail15normal_iteratorINS9_10device_ptrIiEEEEPS5_jNS0_19identity_decomposerEEE10hipError_tT1_T2_PT3_SK_jT4_jjP12ihipStream_tbEUlT_E0_NS1_11comp_targetILNS1_3genE6ELNS1_11target_archE950ELNS1_3gpuE13ELNS1_3repE0EEENS1_52radix_sort_onesweep_histogram_config_static_selectorELNS0_4arch9wavefront6targetE1EEEvSI_
                                        ; -- End function
	.set _ZN7rocprim17ROCPRIM_400000_NS6detail17trampoline_kernelINS0_14default_configENS1_35radix_sort_onesweep_config_selectorIiNS0_10empty_typeEEEZNS1_34radix_sort_onesweep_global_offsetsIS3_Lb0EN6thrust23THRUST_200600_302600_NS6detail15normal_iteratorINS9_10device_ptrIiEEEEPS5_jNS0_19identity_decomposerEEE10hipError_tT1_T2_PT3_SK_jT4_jjP12ihipStream_tbEUlT_E0_NS1_11comp_targetILNS1_3genE6ELNS1_11target_archE950ELNS1_3gpuE13ELNS1_3repE0EEENS1_52radix_sort_onesweep_histogram_config_static_selectorELNS0_4arch9wavefront6targetE1EEEvSI_.num_vgpr, 7
	.set _ZN7rocprim17ROCPRIM_400000_NS6detail17trampoline_kernelINS0_14default_configENS1_35radix_sort_onesweep_config_selectorIiNS0_10empty_typeEEEZNS1_34radix_sort_onesweep_global_offsetsIS3_Lb0EN6thrust23THRUST_200600_302600_NS6detail15normal_iteratorINS9_10device_ptrIiEEEEPS5_jNS0_19identity_decomposerEEE10hipError_tT1_T2_PT3_SK_jT4_jjP12ihipStream_tbEUlT_E0_NS1_11comp_targetILNS1_3genE6ELNS1_11target_archE950ELNS1_3gpuE13ELNS1_3repE0EEENS1_52radix_sort_onesweep_histogram_config_static_selectorELNS0_4arch9wavefront6targetE1EEEvSI_.num_agpr, 0
	.set _ZN7rocprim17ROCPRIM_400000_NS6detail17trampoline_kernelINS0_14default_configENS1_35radix_sort_onesweep_config_selectorIiNS0_10empty_typeEEEZNS1_34radix_sort_onesweep_global_offsetsIS3_Lb0EN6thrust23THRUST_200600_302600_NS6detail15normal_iteratorINS9_10device_ptrIiEEEEPS5_jNS0_19identity_decomposerEEE10hipError_tT1_T2_PT3_SK_jT4_jjP12ihipStream_tbEUlT_E0_NS1_11comp_targetILNS1_3genE6ELNS1_11target_archE950ELNS1_3gpuE13ELNS1_3repE0EEENS1_52radix_sort_onesweep_histogram_config_static_selectorELNS0_4arch9wavefront6targetE1EEEvSI_.numbered_sgpr, 14
	.set _ZN7rocprim17ROCPRIM_400000_NS6detail17trampoline_kernelINS0_14default_configENS1_35radix_sort_onesweep_config_selectorIiNS0_10empty_typeEEEZNS1_34radix_sort_onesweep_global_offsetsIS3_Lb0EN6thrust23THRUST_200600_302600_NS6detail15normal_iteratorINS9_10device_ptrIiEEEEPS5_jNS0_19identity_decomposerEEE10hipError_tT1_T2_PT3_SK_jT4_jjP12ihipStream_tbEUlT_E0_NS1_11comp_targetILNS1_3genE6ELNS1_11target_archE950ELNS1_3gpuE13ELNS1_3repE0EEENS1_52radix_sort_onesweep_histogram_config_static_selectorELNS0_4arch9wavefront6targetE1EEEvSI_.num_named_barrier, 0
	.set _ZN7rocprim17ROCPRIM_400000_NS6detail17trampoline_kernelINS0_14default_configENS1_35radix_sort_onesweep_config_selectorIiNS0_10empty_typeEEEZNS1_34radix_sort_onesweep_global_offsetsIS3_Lb0EN6thrust23THRUST_200600_302600_NS6detail15normal_iteratorINS9_10device_ptrIiEEEEPS5_jNS0_19identity_decomposerEEE10hipError_tT1_T2_PT3_SK_jT4_jjP12ihipStream_tbEUlT_E0_NS1_11comp_targetILNS1_3genE6ELNS1_11target_archE950ELNS1_3gpuE13ELNS1_3repE0EEENS1_52radix_sort_onesweep_histogram_config_static_selectorELNS0_4arch9wavefront6targetE1EEEvSI_.private_seg_size, 0
	.set _ZN7rocprim17ROCPRIM_400000_NS6detail17trampoline_kernelINS0_14default_configENS1_35radix_sort_onesweep_config_selectorIiNS0_10empty_typeEEEZNS1_34radix_sort_onesweep_global_offsetsIS3_Lb0EN6thrust23THRUST_200600_302600_NS6detail15normal_iteratorINS9_10device_ptrIiEEEEPS5_jNS0_19identity_decomposerEEE10hipError_tT1_T2_PT3_SK_jT4_jjP12ihipStream_tbEUlT_E0_NS1_11comp_targetILNS1_3genE6ELNS1_11target_archE950ELNS1_3gpuE13ELNS1_3repE0EEENS1_52radix_sort_onesweep_histogram_config_static_selectorELNS0_4arch9wavefront6targetE1EEEvSI_.uses_vcc, 1
	.set _ZN7rocprim17ROCPRIM_400000_NS6detail17trampoline_kernelINS0_14default_configENS1_35radix_sort_onesweep_config_selectorIiNS0_10empty_typeEEEZNS1_34radix_sort_onesweep_global_offsetsIS3_Lb0EN6thrust23THRUST_200600_302600_NS6detail15normal_iteratorINS9_10device_ptrIiEEEEPS5_jNS0_19identity_decomposerEEE10hipError_tT1_T2_PT3_SK_jT4_jjP12ihipStream_tbEUlT_E0_NS1_11comp_targetILNS1_3genE6ELNS1_11target_archE950ELNS1_3gpuE13ELNS1_3repE0EEENS1_52radix_sort_onesweep_histogram_config_static_selectorELNS0_4arch9wavefront6targetE1EEEvSI_.uses_flat_scratch, 0
	.set _ZN7rocprim17ROCPRIM_400000_NS6detail17trampoline_kernelINS0_14default_configENS1_35radix_sort_onesweep_config_selectorIiNS0_10empty_typeEEEZNS1_34radix_sort_onesweep_global_offsetsIS3_Lb0EN6thrust23THRUST_200600_302600_NS6detail15normal_iteratorINS9_10device_ptrIiEEEEPS5_jNS0_19identity_decomposerEEE10hipError_tT1_T2_PT3_SK_jT4_jjP12ihipStream_tbEUlT_E0_NS1_11comp_targetILNS1_3genE6ELNS1_11target_archE950ELNS1_3gpuE13ELNS1_3repE0EEENS1_52radix_sort_onesweep_histogram_config_static_selectorELNS0_4arch9wavefront6targetE1EEEvSI_.has_dyn_sized_stack, 0
	.set _ZN7rocprim17ROCPRIM_400000_NS6detail17trampoline_kernelINS0_14default_configENS1_35radix_sort_onesweep_config_selectorIiNS0_10empty_typeEEEZNS1_34radix_sort_onesweep_global_offsetsIS3_Lb0EN6thrust23THRUST_200600_302600_NS6detail15normal_iteratorINS9_10device_ptrIiEEEEPS5_jNS0_19identity_decomposerEEE10hipError_tT1_T2_PT3_SK_jT4_jjP12ihipStream_tbEUlT_E0_NS1_11comp_targetILNS1_3genE6ELNS1_11target_archE950ELNS1_3gpuE13ELNS1_3repE0EEENS1_52radix_sort_onesweep_histogram_config_static_selectorELNS0_4arch9wavefront6targetE1EEEvSI_.has_recursion, 0
	.set _ZN7rocprim17ROCPRIM_400000_NS6detail17trampoline_kernelINS0_14default_configENS1_35radix_sort_onesweep_config_selectorIiNS0_10empty_typeEEEZNS1_34radix_sort_onesweep_global_offsetsIS3_Lb0EN6thrust23THRUST_200600_302600_NS6detail15normal_iteratorINS9_10device_ptrIiEEEEPS5_jNS0_19identity_decomposerEEE10hipError_tT1_T2_PT3_SK_jT4_jjP12ihipStream_tbEUlT_E0_NS1_11comp_targetILNS1_3genE6ELNS1_11target_archE950ELNS1_3gpuE13ELNS1_3repE0EEENS1_52radix_sort_onesweep_histogram_config_static_selectorELNS0_4arch9wavefront6targetE1EEEvSI_.has_indirect_call, 0
	.section	.AMDGPU.csdata,"",@progbits
; Kernel info:
; codeLenInByte = 572
; TotalNumSgprs: 20
; NumVgprs: 7
; NumAgprs: 0
; TotalNumVgprs: 7
; ScratchSize: 0
; MemoryBound: 0
; FloatMode: 240
; IeeeMode: 1
; LDSByteSize: 64 bytes/workgroup (compile time only)
; SGPRBlocks: 2
; VGPRBlocks: 0
; NumSGPRsForWavesPerEU: 20
; NumVGPRsForWavesPerEU: 7
; AccumOffset: 8
; Occupancy: 8
; WaveLimiterHint : 0
; COMPUTE_PGM_RSRC2:SCRATCH_EN: 0
; COMPUTE_PGM_RSRC2:USER_SGPR: 2
; COMPUTE_PGM_RSRC2:TRAP_HANDLER: 0
; COMPUTE_PGM_RSRC2:TGID_X_EN: 1
; COMPUTE_PGM_RSRC2:TGID_Y_EN: 0
; COMPUTE_PGM_RSRC2:TGID_Z_EN: 0
; COMPUTE_PGM_RSRC2:TIDIG_COMP_CNT: 0
; COMPUTE_PGM_RSRC3_GFX90A:ACCUM_OFFSET: 1
; COMPUTE_PGM_RSRC3_GFX90A:TG_SPLIT: 0
	.section	.text._ZN7rocprim17ROCPRIM_400000_NS6detail17trampoline_kernelINS0_14default_configENS1_35radix_sort_onesweep_config_selectorIiNS0_10empty_typeEEEZNS1_34radix_sort_onesweep_global_offsetsIS3_Lb0EN6thrust23THRUST_200600_302600_NS6detail15normal_iteratorINS9_10device_ptrIiEEEEPS5_jNS0_19identity_decomposerEEE10hipError_tT1_T2_PT3_SK_jT4_jjP12ihipStream_tbEUlT_E0_NS1_11comp_targetILNS1_3genE5ELNS1_11target_archE942ELNS1_3gpuE9ELNS1_3repE0EEENS1_52radix_sort_onesweep_histogram_config_static_selectorELNS0_4arch9wavefront6targetE1EEEvSI_,"axG",@progbits,_ZN7rocprim17ROCPRIM_400000_NS6detail17trampoline_kernelINS0_14default_configENS1_35radix_sort_onesweep_config_selectorIiNS0_10empty_typeEEEZNS1_34radix_sort_onesweep_global_offsetsIS3_Lb0EN6thrust23THRUST_200600_302600_NS6detail15normal_iteratorINS9_10device_ptrIiEEEEPS5_jNS0_19identity_decomposerEEE10hipError_tT1_T2_PT3_SK_jT4_jjP12ihipStream_tbEUlT_E0_NS1_11comp_targetILNS1_3genE5ELNS1_11target_archE942ELNS1_3gpuE9ELNS1_3repE0EEENS1_52radix_sort_onesweep_histogram_config_static_selectorELNS0_4arch9wavefront6targetE1EEEvSI_,comdat
	.protected	_ZN7rocprim17ROCPRIM_400000_NS6detail17trampoline_kernelINS0_14default_configENS1_35radix_sort_onesweep_config_selectorIiNS0_10empty_typeEEEZNS1_34radix_sort_onesweep_global_offsetsIS3_Lb0EN6thrust23THRUST_200600_302600_NS6detail15normal_iteratorINS9_10device_ptrIiEEEEPS5_jNS0_19identity_decomposerEEE10hipError_tT1_T2_PT3_SK_jT4_jjP12ihipStream_tbEUlT_E0_NS1_11comp_targetILNS1_3genE5ELNS1_11target_archE942ELNS1_3gpuE9ELNS1_3repE0EEENS1_52radix_sort_onesweep_histogram_config_static_selectorELNS0_4arch9wavefront6targetE1EEEvSI_ ; -- Begin function _ZN7rocprim17ROCPRIM_400000_NS6detail17trampoline_kernelINS0_14default_configENS1_35radix_sort_onesweep_config_selectorIiNS0_10empty_typeEEEZNS1_34radix_sort_onesweep_global_offsetsIS3_Lb0EN6thrust23THRUST_200600_302600_NS6detail15normal_iteratorINS9_10device_ptrIiEEEEPS5_jNS0_19identity_decomposerEEE10hipError_tT1_T2_PT3_SK_jT4_jjP12ihipStream_tbEUlT_E0_NS1_11comp_targetILNS1_3genE5ELNS1_11target_archE942ELNS1_3gpuE9ELNS1_3repE0EEENS1_52radix_sort_onesweep_histogram_config_static_selectorELNS0_4arch9wavefront6targetE1EEEvSI_
	.globl	_ZN7rocprim17ROCPRIM_400000_NS6detail17trampoline_kernelINS0_14default_configENS1_35radix_sort_onesweep_config_selectorIiNS0_10empty_typeEEEZNS1_34radix_sort_onesweep_global_offsetsIS3_Lb0EN6thrust23THRUST_200600_302600_NS6detail15normal_iteratorINS9_10device_ptrIiEEEEPS5_jNS0_19identity_decomposerEEE10hipError_tT1_T2_PT3_SK_jT4_jjP12ihipStream_tbEUlT_E0_NS1_11comp_targetILNS1_3genE5ELNS1_11target_archE942ELNS1_3gpuE9ELNS1_3repE0EEENS1_52radix_sort_onesweep_histogram_config_static_selectorELNS0_4arch9wavefront6targetE1EEEvSI_
	.p2align	8
	.type	_ZN7rocprim17ROCPRIM_400000_NS6detail17trampoline_kernelINS0_14default_configENS1_35radix_sort_onesweep_config_selectorIiNS0_10empty_typeEEEZNS1_34radix_sort_onesweep_global_offsetsIS3_Lb0EN6thrust23THRUST_200600_302600_NS6detail15normal_iteratorINS9_10device_ptrIiEEEEPS5_jNS0_19identity_decomposerEEE10hipError_tT1_T2_PT3_SK_jT4_jjP12ihipStream_tbEUlT_E0_NS1_11comp_targetILNS1_3genE5ELNS1_11target_archE942ELNS1_3gpuE9ELNS1_3repE0EEENS1_52radix_sort_onesweep_histogram_config_static_selectorELNS0_4arch9wavefront6targetE1EEEvSI_,@function
_ZN7rocprim17ROCPRIM_400000_NS6detail17trampoline_kernelINS0_14default_configENS1_35radix_sort_onesweep_config_selectorIiNS0_10empty_typeEEEZNS1_34radix_sort_onesweep_global_offsetsIS3_Lb0EN6thrust23THRUST_200600_302600_NS6detail15normal_iteratorINS9_10device_ptrIiEEEEPS5_jNS0_19identity_decomposerEEE10hipError_tT1_T2_PT3_SK_jT4_jjP12ihipStream_tbEUlT_E0_NS1_11comp_targetILNS1_3genE5ELNS1_11target_archE942ELNS1_3gpuE9ELNS1_3repE0EEENS1_52radix_sort_onesweep_histogram_config_static_selectorELNS0_4arch9wavefront6targetE1EEEvSI_: ; @_ZN7rocprim17ROCPRIM_400000_NS6detail17trampoline_kernelINS0_14default_configENS1_35radix_sort_onesweep_config_selectorIiNS0_10empty_typeEEEZNS1_34radix_sort_onesweep_global_offsetsIS3_Lb0EN6thrust23THRUST_200600_302600_NS6detail15normal_iteratorINS9_10device_ptrIiEEEEPS5_jNS0_19identity_decomposerEEE10hipError_tT1_T2_PT3_SK_jT4_jjP12ihipStream_tbEUlT_E0_NS1_11comp_targetILNS1_3genE5ELNS1_11target_archE942ELNS1_3gpuE9ELNS1_3repE0EEENS1_52radix_sort_onesweep_histogram_config_static_selectorELNS0_4arch9wavefront6targetE1EEEvSI_
; %bb.0:
	.section	.rodata,"a",@progbits
	.p2align	6, 0x0
	.amdhsa_kernel _ZN7rocprim17ROCPRIM_400000_NS6detail17trampoline_kernelINS0_14default_configENS1_35radix_sort_onesweep_config_selectorIiNS0_10empty_typeEEEZNS1_34radix_sort_onesweep_global_offsetsIS3_Lb0EN6thrust23THRUST_200600_302600_NS6detail15normal_iteratorINS9_10device_ptrIiEEEEPS5_jNS0_19identity_decomposerEEE10hipError_tT1_T2_PT3_SK_jT4_jjP12ihipStream_tbEUlT_E0_NS1_11comp_targetILNS1_3genE5ELNS1_11target_archE942ELNS1_3gpuE9ELNS1_3repE0EEENS1_52radix_sort_onesweep_histogram_config_static_selectorELNS0_4arch9wavefront6targetE1EEEvSI_
		.amdhsa_group_segment_fixed_size 0
		.amdhsa_private_segment_fixed_size 0
		.amdhsa_kernarg_size 8
		.amdhsa_user_sgpr_count 2
		.amdhsa_user_sgpr_dispatch_ptr 0
		.amdhsa_user_sgpr_queue_ptr 0
		.amdhsa_user_sgpr_kernarg_segment_ptr 1
		.amdhsa_user_sgpr_dispatch_id 0
		.amdhsa_user_sgpr_kernarg_preload_length 0
		.amdhsa_user_sgpr_kernarg_preload_offset 0
		.amdhsa_user_sgpr_private_segment_size 0
		.amdhsa_uses_dynamic_stack 0
		.amdhsa_enable_private_segment 0
		.amdhsa_system_sgpr_workgroup_id_x 1
		.amdhsa_system_sgpr_workgroup_id_y 0
		.amdhsa_system_sgpr_workgroup_id_z 0
		.amdhsa_system_sgpr_workgroup_info 0
		.amdhsa_system_vgpr_workitem_id 0
		.amdhsa_next_free_vgpr 1
		.amdhsa_next_free_sgpr 0
		.amdhsa_accum_offset 4
		.amdhsa_reserve_vcc 0
		.amdhsa_float_round_mode_32 0
		.amdhsa_float_round_mode_16_64 0
		.amdhsa_float_denorm_mode_32 3
		.amdhsa_float_denorm_mode_16_64 3
		.amdhsa_dx10_clamp 1
		.amdhsa_ieee_mode 1
		.amdhsa_fp16_overflow 0
		.amdhsa_tg_split 0
		.amdhsa_exception_fp_ieee_invalid_op 0
		.amdhsa_exception_fp_denorm_src 0
		.amdhsa_exception_fp_ieee_div_zero 0
		.amdhsa_exception_fp_ieee_overflow 0
		.amdhsa_exception_fp_ieee_underflow 0
		.amdhsa_exception_fp_ieee_inexact 0
		.amdhsa_exception_int_div_zero 0
	.end_amdhsa_kernel
	.section	.text._ZN7rocprim17ROCPRIM_400000_NS6detail17trampoline_kernelINS0_14default_configENS1_35radix_sort_onesweep_config_selectorIiNS0_10empty_typeEEEZNS1_34radix_sort_onesweep_global_offsetsIS3_Lb0EN6thrust23THRUST_200600_302600_NS6detail15normal_iteratorINS9_10device_ptrIiEEEEPS5_jNS0_19identity_decomposerEEE10hipError_tT1_T2_PT3_SK_jT4_jjP12ihipStream_tbEUlT_E0_NS1_11comp_targetILNS1_3genE5ELNS1_11target_archE942ELNS1_3gpuE9ELNS1_3repE0EEENS1_52radix_sort_onesweep_histogram_config_static_selectorELNS0_4arch9wavefront6targetE1EEEvSI_,"axG",@progbits,_ZN7rocprim17ROCPRIM_400000_NS6detail17trampoline_kernelINS0_14default_configENS1_35radix_sort_onesweep_config_selectorIiNS0_10empty_typeEEEZNS1_34radix_sort_onesweep_global_offsetsIS3_Lb0EN6thrust23THRUST_200600_302600_NS6detail15normal_iteratorINS9_10device_ptrIiEEEEPS5_jNS0_19identity_decomposerEEE10hipError_tT1_T2_PT3_SK_jT4_jjP12ihipStream_tbEUlT_E0_NS1_11comp_targetILNS1_3genE5ELNS1_11target_archE942ELNS1_3gpuE9ELNS1_3repE0EEENS1_52radix_sort_onesweep_histogram_config_static_selectorELNS0_4arch9wavefront6targetE1EEEvSI_,comdat
.Lfunc_end143:
	.size	_ZN7rocprim17ROCPRIM_400000_NS6detail17trampoline_kernelINS0_14default_configENS1_35radix_sort_onesweep_config_selectorIiNS0_10empty_typeEEEZNS1_34radix_sort_onesweep_global_offsetsIS3_Lb0EN6thrust23THRUST_200600_302600_NS6detail15normal_iteratorINS9_10device_ptrIiEEEEPS5_jNS0_19identity_decomposerEEE10hipError_tT1_T2_PT3_SK_jT4_jjP12ihipStream_tbEUlT_E0_NS1_11comp_targetILNS1_3genE5ELNS1_11target_archE942ELNS1_3gpuE9ELNS1_3repE0EEENS1_52radix_sort_onesweep_histogram_config_static_selectorELNS0_4arch9wavefront6targetE1EEEvSI_, .Lfunc_end143-_ZN7rocprim17ROCPRIM_400000_NS6detail17trampoline_kernelINS0_14default_configENS1_35radix_sort_onesweep_config_selectorIiNS0_10empty_typeEEEZNS1_34radix_sort_onesweep_global_offsetsIS3_Lb0EN6thrust23THRUST_200600_302600_NS6detail15normal_iteratorINS9_10device_ptrIiEEEEPS5_jNS0_19identity_decomposerEEE10hipError_tT1_T2_PT3_SK_jT4_jjP12ihipStream_tbEUlT_E0_NS1_11comp_targetILNS1_3genE5ELNS1_11target_archE942ELNS1_3gpuE9ELNS1_3repE0EEENS1_52radix_sort_onesweep_histogram_config_static_selectorELNS0_4arch9wavefront6targetE1EEEvSI_
                                        ; -- End function
	.set _ZN7rocprim17ROCPRIM_400000_NS6detail17trampoline_kernelINS0_14default_configENS1_35radix_sort_onesweep_config_selectorIiNS0_10empty_typeEEEZNS1_34radix_sort_onesweep_global_offsetsIS3_Lb0EN6thrust23THRUST_200600_302600_NS6detail15normal_iteratorINS9_10device_ptrIiEEEEPS5_jNS0_19identity_decomposerEEE10hipError_tT1_T2_PT3_SK_jT4_jjP12ihipStream_tbEUlT_E0_NS1_11comp_targetILNS1_3genE5ELNS1_11target_archE942ELNS1_3gpuE9ELNS1_3repE0EEENS1_52radix_sort_onesweep_histogram_config_static_selectorELNS0_4arch9wavefront6targetE1EEEvSI_.num_vgpr, 0
	.set _ZN7rocprim17ROCPRIM_400000_NS6detail17trampoline_kernelINS0_14default_configENS1_35radix_sort_onesweep_config_selectorIiNS0_10empty_typeEEEZNS1_34radix_sort_onesweep_global_offsetsIS3_Lb0EN6thrust23THRUST_200600_302600_NS6detail15normal_iteratorINS9_10device_ptrIiEEEEPS5_jNS0_19identity_decomposerEEE10hipError_tT1_T2_PT3_SK_jT4_jjP12ihipStream_tbEUlT_E0_NS1_11comp_targetILNS1_3genE5ELNS1_11target_archE942ELNS1_3gpuE9ELNS1_3repE0EEENS1_52radix_sort_onesweep_histogram_config_static_selectorELNS0_4arch9wavefront6targetE1EEEvSI_.num_agpr, 0
	.set _ZN7rocprim17ROCPRIM_400000_NS6detail17trampoline_kernelINS0_14default_configENS1_35radix_sort_onesweep_config_selectorIiNS0_10empty_typeEEEZNS1_34radix_sort_onesweep_global_offsetsIS3_Lb0EN6thrust23THRUST_200600_302600_NS6detail15normal_iteratorINS9_10device_ptrIiEEEEPS5_jNS0_19identity_decomposerEEE10hipError_tT1_T2_PT3_SK_jT4_jjP12ihipStream_tbEUlT_E0_NS1_11comp_targetILNS1_3genE5ELNS1_11target_archE942ELNS1_3gpuE9ELNS1_3repE0EEENS1_52radix_sort_onesweep_histogram_config_static_selectorELNS0_4arch9wavefront6targetE1EEEvSI_.numbered_sgpr, 0
	.set _ZN7rocprim17ROCPRIM_400000_NS6detail17trampoline_kernelINS0_14default_configENS1_35radix_sort_onesweep_config_selectorIiNS0_10empty_typeEEEZNS1_34radix_sort_onesweep_global_offsetsIS3_Lb0EN6thrust23THRUST_200600_302600_NS6detail15normal_iteratorINS9_10device_ptrIiEEEEPS5_jNS0_19identity_decomposerEEE10hipError_tT1_T2_PT3_SK_jT4_jjP12ihipStream_tbEUlT_E0_NS1_11comp_targetILNS1_3genE5ELNS1_11target_archE942ELNS1_3gpuE9ELNS1_3repE0EEENS1_52radix_sort_onesweep_histogram_config_static_selectorELNS0_4arch9wavefront6targetE1EEEvSI_.num_named_barrier, 0
	.set _ZN7rocprim17ROCPRIM_400000_NS6detail17trampoline_kernelINS0_14default_configENS1_35radix_sort_onesweep_config_selectorIiNS0_10empty_typeEEEZNS1_34radix_sort_onesweep_global_offsetsIS3_Lb0EN6thrust23THRUST_200600_302600_NS6detail15normal_iteratorINS9_10device_ptrIiEEEEPS5_jNS0_19identity_decomposerEEE10hipError_tT1_T2_PT3_SK_jT4_jjP12ihipStream_tbEUlT_E0_NS1_11comp_targetILNS1_3genE5ELNS1_11target_archE942ELNS1_3gpuE9ELNS1_3repE0EEENS1_52radix_sort_onesweep_histogram_config_static_selectorELNS0_4arch9wavefront6targetE1EEEvSI_.private_seg_size, 0
	.set _ZN7rocprim17ROCPRIM_400000_NS6detail17trampoline_kernelINS0_14default_configENS1_35radix_sort_onesweep_config_selectorIiNS0_10empty_typeEEEZNS1_34radix_sort_onesweep_global_offsetsIS3_Lb0EN6thrust23THRUST_200600_302600_NS6detail15normal_iteratorINS9_10device_ptrIiEEEEPS5_jNS0_19identity_decomposerEEE10hipError_tT1_T2_PT3_SK_jT4_jjP12ihipStream_tbEUlT_E0_NS1_11comp_targetILNS1_3genE5ELNS1_11target_archE942ELNS1_3gpuE9ELNS1_3repE0EEENS1_52radix_sort_onesweep_histogram_config_static_selectorELNS0_4arch9wavefront6targetE1EEEvSI_.uses_vcc, 0
	.set _ZN7rocprim17ROCPRIM_400000_NS6detail17trampoline_kernelINS0_14default_configENS1_35radix_sort_onesweep_config_selectorIiNS0_10empty_typeEEEZNS1_34radix_sort_onesweep_global_offsetsIS3_Lb0EN6thrust23THRUST_200600_302600_NS6detail15normal_iteratorINS9_10device_ptrIiEEEEPS5_jNS0_19identity_decomposerEEE10hipError_tT1_T2_PT3_SK_jT4_jjP12ihipStream_tbEUlT_E0_NS1_11comp_targetILNS1_3genE5ELNS1_11target_archE942ELNS1_3gpuE9ELNS1_3repE0EEENS1_52radix_sort_onesweep_histogram_config_static_selectorELNS0_4arch9wavefront6targetE1EEEvSI_.uses_flat_scratch, 0
	.set _ZN7rocprim17ROCPRIM_400000_NS6detail17trampoline_kernelINS0_14default_configENS1_35radix_sort_onesweep_config_selectorIiNS0_10empty_typeEEEZNS1_34radix_sort_onesweep_global_offsetsIS3_Lb0EN6thrust23THRUST_200600_302600_NS6detail15normal_iteratorINS9_10device_ptrIiEEEEPS5_jNS0_19identity_decomposerEEE10hipError_tT1_T2_PT3_SK_jT4_jjP12ihipStream_tbEUlT_E0_NS1_11comp_targetILNS1_3genE5ELNS1_11target_archE942ELNS1_3gpuE9ELNS1_3repE0EEENS1_52radix_sort_onesweep_histogram_config_static_selectorELNS0_4arch9wavefront6targetE1EEEvSI_.has_dyn_sized_stack, 0
	.set _ZN7rocprim17ROCPRIM_400000_NS6detail17trampoline_kernelINS0_14default_configENS1_35radix_sort_onesweep_config_selectorIiNS0_10empty_typeEEEZNS1_34radix_sort_onesweep_global_offsetsIS3_Lb0EN6thrust23THRUST_200600_302600_NS6detail15normal_iteratorINS9_10device_ptrIiEEEEPS5_jNS0_19identity_decomposerEEE10hipError_tT1_T2_PT3_SK_jT4_jjP12ihipStream_tbEUlT_E0_NS1_11comp_targetILNS1_3genE5ELNS1_11target_archE942ELNS1_3gpuE9ELNS1_3repE0EEENS1_52radix_sort_onesweep_histogram_config_static_selectorELNS0_4arch9wavefront6targetE1EEEvSI_.has_recursion, 0
	.set _ZN7rocprim17ROCPRIM_400000_NS6detail17trampoline_kernelINS0_14default_configENS1_35radix_sort_onesweep_config_selectorIiNS0_10empty_typeEEEZNS1_34radix_sort_onesweep_global_offsetsIS3_Lb0EN6thrust23THRUST_200600_302600_NS6detail15normal_iteratorINS9_10device_ptrIiEEEEPS5_jNS0_19identity_decomposerEEE10hipError_tT1_T2_PT3_SK_jT4_jjP12ihipStream_tbEUlT_E0_NS1_11comp_targetILNS1_3genE5ELNS1_11target_archE942ELNS1_3gpuE9ELNS1_3repE0EEENS1_52radix_sort_onesweep_histogram_config_static_selectorELNS0_4arch9wavefront6targetE1EEEvSI_.has_indirect_call, 0
	.section	.AMDGPU.csdata,"",@progbits
; Kernel info:
; codeLenInByte = 0
; TotalNumSgprs: 6
; NumVgprs: 0
; NumAgprs: 0
; TotalNumVgprs: 0
; ScratchSize: 0
; MemoryBound: 0
; FloatMode: 240
; IeeeMode: 1
; LDSByteSize: 0 bytes/workgroup (compile time only)
; SGPRBlocks: 0
; VGPRBlocks: 0
; NumSGPRsForWavesPerEU: 6
; NumVGPRsForWavesPerEU: 1
; AccumOffset: 4
; Occupancy: 8
; WaveLimiterHint : 0
; COMPUTE_PGM_RSRC2:SCRATCH_EN: 0
; COMPUTE_PGM_RSRC2:USER_SGPR: 2
; COMPUTE_PGM_RSRC2:TRAP_HANDLER: 0
; COMPUTE_PGM_RSRC2:TGID_X_EN: 1
; COMPUTE_PGM_RSRC2:TGID_Y_EN: 0
; COMPUTE_PGM_RSRC2:TGID_Z_EN: 0
; COMPUTE_PGM_RSRC2:TIDIG_COMP_CNT: 0
; COMPUTE_PGM_RSRC3_GFX90A:ACCUM_OFFSET: 0
; COMPUTE_PGM_RSRC3_GFX90A:TG_SPLIT: 0
	.section	.text._ZN7rocprim17ROCPRIM_400000_NS6detail17trampoline_kernelINS0_14default_configENS1_35radix_sort_onesweep_config_selectorIiNS0_10empty_typeEEEZNS1_34radix_sort_onesweep_global_offsetsIS3_Lb0EN6thrust23THRUST_200600_302600_NS6detail15normal_iteratorINS9_10device_ptrIiEEEEPS5_jNS0_19identity_decomposerEEE10hipError_tT1_T2_PT3_SK_jT4_jjP12ihipStream_tbEUlT_E0_NS1_11comp_targetILNS1_3genE2ELNS1_11target_archE906ELNS1_3gpuE6ELNS1_3repE0EEENS1_52radix_sort_onesweep_histogram_config_static_selectorELNS0_4arch9wavefront6targetE1EEEvSI_,"axG",@progbits,_ZN7rocprim17ROCPRIM_400000_NS6detail17trampoline_kernelINS0_14default_configENS1_35radix_sort_onesweep_config_selectorIiNS0_10empty_typeEEEZNS1_34radix_sort_onesweep_global_offsetsIS3_Lb0EN6thrust23THRUST_200600_302600_NS6detail15normal_iteratorINS9_10device_ptrIiEEEEPS5_jNS0_19identity_decomposerEEE10hipError_tT1_T2_PT3_SK_jT4_jjP12ihipStream_tbEUlT_E0_NS1_11comp_targetILNS1_3genE2ELNS1_11target_archE906ELNS1_3gpuE6ELNS1_3repE0EEENS1_52radix_sort_onesweep_histogram_config_static_selectorELNS0_4arch9wavefront6targetE1EEEvSI_,comdat
	.protected	_ZN7rocprim17ROCPRIM_400000_NS6detail17trampoline_kernelINS0_14default_configENS1_35radix_sort_onesweep_config_selectorIiNS0_10empty_typeEEEZNS1_34radix_sort_onesweep_global_offsetsIS3_Lb0EN6thrust23THRUST_200600_302600_NS6detail15normal_iteratorINS9_10device_ptrIiEEEEPS5_jNS0_19identity_decomposerEEE10hipError_tT1_T2_PT3_SK_jT4_jjP12ihipStream_tbEUlT_E0_NS1_11comp_targetILNS1_3genE2ELNS1_11target_archE906ELNS1_3gpuE6ELNS1_3repE0EEENS1_52radix_sort_onesweep_histogram_config_static_selectorELNS0_4arch9wavefront6targetE1EEEvSI_ ; -- Begin function _ZN7rocprim17ROCPRIM_400000_NS6detail17trampoline_kernelINS0_14default_configENS1_35radix_sort_onesweep_config_selectorIiNS0_10empty_typeEEEZNS1_34radix_sort_onesweep_global_offsetsIS3_Lb0EN6thrust23THRUST_200600_302600_NS6detail15normal_iteratorINS9_10device_ptrIiEEEEPS5_jNS0_19identity_decomposerEEE10hipError_tT1_T2_PT3_SK_jT4_jjP12ihipStream_tbEUlT_E0_NS1_11comp_targetILNS1_3genE2ELNS1_11target_archE906ELNS1_3gpuE6ELNS1_3repE0EEENS1_52radix_sort_onesweep_histogram_config_static_selectorELNS0_4arch9wavefront6targetE1EEEvSI_
	.globl	_ZN7rocprim17ROCPRIM_400000_NS6detail17trampoline_kernelINS0_14default_configENS1_35radix_sort_onesweep_config_selectorIiNS0_10empty_typeEEEZNS1_34radix_sort_onesweep_global_offsetsIS3_Lb0EN6thrust23THRUST_200600_302600_NS6detail15normal_iteratorINS9_10device_ptrIiEEEEPS5_jNS0_19identity_decomposerEEE10hipError_tT1_T2_PT3_SK_jT4_jjP12ihipStream_tbEUlT_E0_NS1_11comp_targetILNS1_3genE2ELNS1_11target_archE906ELNS1_3gpuE6ELNS1_3repE0EEENS1_52radix_sort_onesweep_histogram_config_static_selectorELNS0_4arch9wavefront6targetE1EEEvSI_
	.p2align	8
	.type	_ZN7rocprim17ROCPRIM_400000_NS6detail17trampoline_kernelINS0_14default_configENS1_35radix_sort_onesweep_config_selectorIiNS0_10empty_typeEEEZNS1_34radix_sort_onesweep_global_offsetsIS3_Lb0EN6thrust23THRUST_200600_302600_NS6detail15normal_iteratorINS9_10device_ptrIiEEEEPS5_jNS0_19identity_decomposerEEE10hipError_tT1_T2_PT3_SK_jT4_jjP12ihipStream_tbEUlT_E0_NS1_11comp_targetILNS1_3genE2ELNS1_11target_archE906ELNS1_3gpuE6ELNS1_3repE0EEENS1_52radix_sort_onesweep_histogram_config_static_selectorELNS0_4arch9wavefront6targetE1EEEvSI_,@function
_ZN7rocprim17ROCPRIM_400000_NS6detail17trampoline_kernelINS0_14default_configENS1_35radix_sort_onesweep_config_selectorIiNS0_10empty_typeEEEZNS1_34radix_sort_onesweep_global_offsetsIS3_Lb0EN6thrust23THRUST_200600_302600_NS6detail15normal_iteratorINS9_10device_ptrIiEEEEPS5_jNS0_19identity_decomposerEEE10hipError_tT1_T2_PT3_SK_jT4_jjP12ihipStream_tbEUlT_E0_NS1_11comp_targetILNS1_3genE2ELNS1_11target_archE906ELNS1_3gpuE6ELNS1_3repE0EEENS1_52radix_sort_onesweep_histogram_config_static_selectorELNS0_4arch9wavefront6targetE1EEEvSI_: ; @_ZN7rocprim17ROCPRIM_400000_NS6detail17trampoline_kernelINS0_14default_configENS1_35radix_sort_onesweep_config_selectorIiNS0_10empty_typeEEEZNS1_34radix_sort_onesweep_global_offsetsIS3_Lb0EN6thrust23THRUST_200600_302600_NS6detail15normal_iteratorINS9_10device_ptrIiEEEEPS5_jNS0_19identity_decomposerEEE10hipError_tT1_T2_PT3_SK_jT4_jjP12ihipStream_tbEUlT_E0_NS1_11comp_targetILNS1_3genE2ELNS1_11target_archE906ELNS1_3gpuE6ELNS1_3repE0EEENS1_52radix_sort_onesweep_histogram_config_static_selectorELNS0_4arch9wavefront6targetE1EEEvSI_
; %bb.0:
	.section	.rodata,"a",@progbits
	.p2align	6, 0x0
	.amdhsa_kernel _ZN7rocprim17ROCPRIM_400000_NS6detail17trampoline_kernelINS0_14default_configENS1_35radix_sort_onesweep_config_selectorIiNS0_10empty_typeEEEZNS1_34radix_sort_onesweep_global_offsetsIS3_Lb0EN6thrust23THRUST_200600_302600_NS6detail15normal_iteratorINS9_10device_ptrIiEEEEPS5_jNS0_19identity_decomposerEEE10hipError_tT1_T2_PT3_SK_jT4_jjP12ihipStream_tbEUlT_E0_NS1_11comp_targetILNS1_3genE2ELNS1_11target_archE906ELNS1_3gpuE6ELNS1_3repE0EEENS1_52radix_sort_onesweep_histogram_config_static_selectorELNS0_4arch9wavefront6targetE1EEEvSI_
		.amdhsa_group_segment_fixed_size 0
		.amdhsa_private_segment_fixed_size 0
		.amdhsa_kernarg_size 8
		.amdhsa_user_sgpr_count 2
		.amdhsa_user_sgpr_dispatch_ptr 0
		.amdhsa_user_sgpr_queue_ptr 0
		.amdhsa_user_sgpr_kernarg_segment_ptr 1
		.amdhsa_user_sgpr_dispatch_id 0
		.amdhsa_user_sgpr_kernarg_preload_length 0
		.amdhsa_user_sgpr_kernarg_preload_offset 0
		.amdhsa_user_sgpr_private_segment_size 0
		.amdhsa_uses_dynamic_stack 0
		.amdhsa_enable_private_segment 0
		.amdhsa_system_sgpr_workgroup_id_x 1
		.amdhsa_system_sgpr_workgroup_id_y 0
		.amdhsa_system_sgpr_workgroup_id_z 0
		.amdhsa_system_sgpr_workgroup_info 0
		.amdhsa_system_vgpr_workitem_id 0
		.amdhsa_next_free_vgpr 1
		.amdhsa_next_free_sgpr 0
		.amdhsa_accum_offset 4
		.amdhsa_reserve_vcc 0
		.amdhsa_float_round_mode_32 0
		.amdhsa_float_round_mode_16_64 0
		.amdhsa_float_denorm_mode_32 3
		.amdhsa_float_denorm_mode_16_64 3
		.amdhsa_dx10_clamp 1
		.amdhsa_ieee_mode 1
		.amdhsa_fp16_overflow 0
		.amdhsa_tg_split 0
		.amdhsa_exception_fp_ieee_invalid_op 0
		.amdhsa_exception_fp_denorm_src 0
		.amdhsa_exception_fp_ieee_div_zero 0
		.amdhsa_exception_fp_ieee_overflow 0
		.amdhsa_exception_fp_ieee_underflow 0
		.amdhsa_exception_fp_ieee_inexact 0
		.amdhsa_exception_int_div_zero 0
	.end_amdhsa_kernel
	.section	.text._ZN7rocprim17ROCPRIM_400000_NS6detail17trampoline_kernelINS0_14default_configENS1_35radix_sort_onesweep_config_selectorIiNS0_10empty_typeEEEZNS1_34radix_sort_onesweep_global_offsetsIS3_Lb0EN6thrust23THRUST_200600_302600_NS6detail15normal_iteratorINS9_10device_ptrIiEEEEPS5_jNS0_19identity_decomposerEEE10hipError_tT1_T2_PT3_SK_jT4_jjP12ihipStream_tbEUlT_E0_NS1_11comp_targetILNS1_3genE2ELNS1_11target_archE906ELNS1_3gpuE6ELNS1_3repE0EEENS1_52radix_sort_onesweep_histogram_config_static_selectorELNS0_4arch9wavefront6targetE1EEEvSI_,"axG",@progbits,_ZN7rocprim17ROCPRIM_400000_NS6detail17trampoline_kernelINS0_14default_configENS1_35radix_sort_onesweep_config_selectorIiNS0_10empty_typeEEEZNS1_34radix_sort_onesweep_global_offsetsIS3_Lb0EN6thrust23THRUST_200600_302600_NS6detail15normal_iteratorINS9_10device_ptrIiEEEEPS5_jNS0_19identity_decomposerEEE10hipError_tT1_T2_PT3_SK_jT4_jjP12ihipStream_tbEUlT_E0_NS1_11comp_targetILNS1_3genE2ELNS1_11target_archE906ELNS1_3gpuE6ELNS1_3repE0EEENS1_52radix_sort_onesweep_histogram_config_static_selectorELNS0_4arch9wavefront6targetE1EEEvSI_,comdat
.Lfunc_end144:
	.size	_ZN7rocprim17ROCPRIM_400000_NS6detail17trampoline_kernelINS0_14default_configENS1_35radix_sort_onesweep_config_selectorIiNS0_10empty_typeEEEZNS1_34radix_sort_onesweep_global_offsetsIS3_Lb0EN6thrust23THRUST_200600_302600_NS6detail15normal_iteratorINS9_10device_ptrIiEEEEPS5_jNS0_19identity_decomposerEEE10hipError_tT1_T2_PT3_SK_jT4_jjP12ihipStream_tbEUlT_E0_NS1_11comp_targetILNS1_3genE2ELNS1_11target_archE906ELNS1_3gpuE6ELNS1_3repE0EEENS1_52radix_sort_onesweep_histogram_config_static_selectorELNS0_4arch9wavefront6targetE1EEEvSI_, .Lfunc_end144-_ZN7rocprim17ROCPRIM_400000_NS6detail17trampoline_kernelINS0_14default_configENS1_35radix_sort_onesweep_config_selectorIiNS0_10empty_typeEEEZNS1_34radix_sort_onesweep_global_offsetsIS3_Lb0EN6thrust23THRUST_200600_302600_NS6detail15normal_iteratorINS9_10device_ptrIiEEEEPS5_jNS0_19identity_decomposerEEE10hipError_tT1_T2_PT3_SK_jT4_jjP12ihipStream_tbEUlT_E0_NS1_11comp_targetILNS1_3genE2ELNS1_11target_archE906ELNS1_3gpuE6ELNS1_3repE0EEENS1_52radix_sort_onesweep_histogram_config_static_selectorELNS0_4arch9wavefront6targetE1EEEvSI_
                                        ; -- End function
	.set _ZN7rocprim17ROCPRIM_400000_NS6detail17trampoline_kernelINS0_14default_configENS1_35radix_sort_onesweep_config_selectorIiNS0_10empty_typeEEEZNS1_34radix_sort_onesweep_global_offsetsIS3_Lb0EN6thrust23THRUST_200600_302600_NS6detail15normal_iteratorINS9_10device_ptrIiEEEEPS5_jNS0_19identity_decomposerEEE10hipError_tT1_T2_PT3_SK_jT4_jjP12ihipStream_tbEUlT_E0_NS1_11comp_targetILNS1_3genE2ELNS1_11target_archE906ELNS1_3gpuE6ELNS1_3repE0EEENS1_52radix_sort_onesweep_histogram_config_static_selectorELNS0_4arch9wavefront6targetE1EEEvSI_.num_vgpr, 0
	.set _ZN7rocprim17ROCPRIM_400000_NS6detail17trampoline_kernelINS0_14default_configENS1_35radix_sort_onesweep_config_selectorIiNS0_10empty_typeEEEZNS1_34radix_sort_onesweep_global_offsetsIS3_Lb0EN6thrust23THRUST_200600_302600_NS6detail15normal_iteratorINS9_10device_ptrIiEEEEPS5_jNS0_19identity_decomposerEEE10hipError_tT1_T2_PT3_SK_jT4_jjP12ihipStream_tbEUlT_E0_NS1_11comp_targetILNS1_3genE2ELNS1_11target_archE906ELNS1_3gpuE6ELNS1_3repE0EEENS1_52radix_sort_onesweep_histogram_config_static_selectorELNS0_4arch9wavefront6targetE1EEEvSI_.num_agpr, 0
	.set _ZN7rocprim17ROCPRIM_400000_NS6detail17trampoline_kernelINS0_14default_configENS1_35radix_sort_onesweep_config_selectorIiNS0_10empty_typeEEEZNS1_34radix_sort_onesweep_global_offsetsIS3_Lb0EN6thrust23THRUST_200600_302600_NS6detail15normal_iteratorINS9_10device_ptrIiEEEEPS5_jNS0_19identity_decomposerEEE10hipError_tT1_T2_PT3_SK_jT4_jjP12ihipStream_tbEUlT_E0_NS1_11comp_targetILNS1_3genE2ELNS1_11target_archE906ELNS1_3gpuE6ELNS1_3repE0EEENS1_52radix_sort_onesweep_histogram_config_static_selectorELNS0_4arch9wavefront6targetE1EEEvSI_.numbered_sgpr, 0
	.set _ZN7rocprim17ROCPRIM_400000_NS6detail17trampoline_kernelINS0_14default_configENS1_35radix_sort_onesweep_config_selectorIiNS0_10empty_typeEEEZNS1_34radix_sort_onesweep_global_offsetsIS3_Lb0EN6thrust23THRUST_200600_302600_NS6detail15normal_iteratorINS9_10device_ptrIiEEEEPS5_jNS0_19identity_decomposerEEE10hipError_tT1_T2_PT3_SK_jT4_jjP12ihipStream_tbEUlT_E0_NS1_11comp_targetILNS1_3genE2ELNS1_11target_archE906ELNS1_3gpuE6ELNS1_3repE0EEENS1_52radix_sort_onesweep_histogram_config_static_selectorELNS0_4arch9wavefront6targetE1EEEvSI_.num_named_barrier, 0
	.set _ZN7rocprim17ROCPRIM_400000_NS6detail17trampoline_kernelINS0_14default_configENS1_35radix_sort_onesweep_config_selectorIiNS0_10empty_typeEEEZNS1_34radix_sort_onesweep_global_offsetsIS3_Lb0EN6thrust23THRUST_200600_302600_NS6detail15normal_iteratorINS9_10device_ptrIiEEEEPS5_jNS0_19identity_decomposerEEE10hipError_tT1_T2_PT3_SK_jT4_jjP12ihipStream_tbEUlT_E0_NS1_11comp_targetILNS1_3genE2ELNS1_11target_archE906ELNS1_3gpuE6ELNS1_3repE0EEENS1_52radix_sort_onesweep_histogram_config_static_selectorELNS0_4arch9wavefront6targetE1EEEvSI_.private_seg_size, 0
	.set _ZN7rocprim17ROCPRIM_400000_NS6detail17trampoline_kernelINS0_14default_configENS1_35radix_sort_onesweep_config_selectorIiNS0_10empty_typeEEEZNS1_34radix_sort_onesweep_global_offsetsIS3_Lb0EN6thrust23THRUST_200600_302600_NS6detail15normal_iteratorINS9_10device_ptrIiEEEEPS5_jNS0_19identity_decomposerEEE10hipError_tT1_T2_PT3_SK_jT4_jjP12ihipStream_tbEUlT_E0_NS1_11comp_targetILNS1_3genE2ELNS1_11target_archE906ELNS1_3gpuE6ELNS1_3repE0EEENS1_52radix_sort_onesweep_histogram_config_static_selectorELNS0_4arch9wavefront6targetE1EEEvSI_.uses_vcc, 0
	.set _ZN7rocprim17ROCPRIM_400000_NS6detail17trampoline_kernelINS0_14default_configENS1_35radix_sort_onesweep_config_selectorIiNS0_10empty_typeEEEZNS1_34radix_sort_onesweep_global_offsetsIS3_Lb0EN6thrust23THRUST_200600_302600_NS6detail15normal_iteratorINS9_10device_ptrIiEEEEPS5_jNS0_19identity_decomposerEEE10hipError_tT1_T2_PT3_SK_jT4_jjP12ihipStream_tbEUlT_E0_NS1_11comp_targetILNS1_3genE2ELNS1_11target_archE906ELNS1_3gpuE6ELNS1_3repE0EEENS1_52radix_sort_onesweep_histogram_config_static_selectorELNS0_4arch9wavefront6targetE1EEEvSI_.uses_flat_scratch, 0
	.set _ZN7rocprim17ROCPRIM_400000_NS6detail17trampoline_kernelINS0_14default_configENS1_35radix_sort_onesweep_config_selectorIiNS0_10empty_typeEEEZNS1_34radix_sort_onesweep_global_offsetsIS3_Lb0EN6thrust23THRUST_200600_302600_NS6detail15normal_iteratorINS9_10device_ptrIiEEEEPS5_jNS0_19identity_decomposerEEE10hipError_tT1_T2_PT3_SK_jT4_jjP12ihipStream_tbEUlT_E0_NS1_11comp_targetILNS1_3genE2ELNS1_11target_archE906ELNS1_3gpuE6ELNS1_3repE0EEENS1_52radix_sort_onesweep_histogram_config_static_selectorELNS0_4arch9wavefront6targetE1EEEvSI_.has_dyn_sized_stack, 0
	.set _ZN7rocprim17ROCPRIM_400000_NS6detail17trampoline_kernelINS0_14default_configENS1_35radix_sort_onesweep_config_selectorIiNS0_10empty_typeEEEZNS1_34radix_sort_onesweep_global_offsetsIS3_Lb0EN6thrust23THRUST_200600_302600_NS6detail15normal_iteratorINS9_10device_ptrIiEEEEPS5_jNS0_19identity_decomposerEEE10hipError_tT1_T2_PT3_SK_jT4_jjP12ihipStream_tbEUlT_E0_NS1_11comp_targetILNS1_3genE2ELNS1_11target_archE906ELNS1_3gpuE6ELNS1_3repE0EEENS1_52radix_sort_onesweep_histogram_config_static_selectorELNS0_4arch9wavefront6targetE1EEEvSI_.has_recursion, 0
	.set _ZN7rocprim17ROCPRIM_400000_NS6detail17trampoline_kernelINS0_14default_configENS1_35radix_sort_onesweep_config_selectorIiNS0_10empty_typeEEEZNS1_34radix_sort_onesweep_global_offsetsIS3_Lb0EN6thrust23THRUST_200600_302600_NS6detail15normal_iteratorINS9_10device_ptrIiEEEEPS5_jNS0_19identity_decomposerEEE10hipError_tT1_T2_PT3_SK_jT4_jjP12ihipStream_tbEUlT_E0_NS1_11comp_targetILNS1_3genE2ELNS1_11target_archE906ELNS1_3gpuE6ELNS1_3repE0EEENS1_52radix_sort_onesweep_histogram_config_static_selectorELNS0_4arch9wavefront6targetE1EEEvSI_.has_indirect_call, 0
	.section	.AMDGPU.csdata,"",@progbits
; Kernel info:
; codeLenInByte = 0
; TotalNumSgprs: 6
; NumVgprs: 0
; NumAgprs: 0
; TotalNumVgprs: 0
; ScratchSize: 0
; MemoryBound: 0
; FloatMode: 240
; IeeeMode: 1
; LDSByteSize: 0 bytes/workgroup (compile time only)
; SGPRBlocks: 0
; VGPRBlocks: 0
; NumSGPRsForWavesPerEU: 6
; NumVGPRsForWavesPerEU: 1
; AccumOffset: 4
; Occupancy: 8
; WaveLimiterHint : 0
; COMPUTE_PGM_RSRC2:SCRATCH_EN: 0
; COMPUTE_PGM_RSRC2:USER_SGPR: 2
; COMPUTE_PGM_RSRC2:TRAP_HANDLER: 0
; COMPUTE_PGM_RSRC2:TGID_X_EN: 1
; COMPUTE_PGM_RSRC2:TGID_Y_EN: 0
; COMPUTE_PGM_RSRC2:TGID_Z_EN: 0
; COMPUTE_PGM_RSRC2:TIDIG_COMP_CNT: 0
; COMPUTE_PGM_RSRC3_GFX90A:ACCUM_OFFSET: 0
; COMPUTE_PGM_RSRC3_GFX90A:TG_SPLIT: 0
	.section	.text._ZN7rocprim17ROCPRIM_400000_NS6detail17trampoline_kernelINS0_14default_configENS1_35radix_sort_onesweep_config_selectorIiNS0_10empty_typeEEEZNS1_34radix_sort_onesweep_global_offsetsIS3_Lb0EN6thrust23THRUST_200600_302600_NS6detail15normal_iteratorINS9_10device_ptrIiEEEEPS5_jNS0_19identity_decomposerEEE10hipError_tT1_T2_PT3_SK_jT4_jjP12ihipStream_tbEUlT_E0_NS1_11comp_targetILNS1_3genE4ELNS1_11target_archE910ELNS1_3gpuE8ELNS1_3repE0EEENS1_52radix_sort_onesweep_histogram_config_static_selectorELNS0_4arch9wavefront6targetE1EEEvSI_,"axG",@progbits,_ZN7rocprim17ROCPRIM_400000_NS6detail17trampoline_kernelINS0_14default_configENS1_35radix_sort_onesweep_config_selectorIiNS0_10empty_typeEEEZNS1_34radix_sort_onesweep_global_offsetsIS3_Lb0EN6thrust23THRUST_200600_302600_NS6detail15normal_iteratorINS9_10device_ptrIiEEEEPS5_jNS0_19identity_decomposerEEE10hipError_tT1_T2_PT3_SK_jT4_jjP12ihipStream_tbEUlT_E0_NS1_11comp_targetILNS1_3genE4ELNS1_11target_archE910ELNS1_3gpuE8ELNS1_3repE0EEENS1_52radix_sort_onesweep_histogram_config_static_selectorELNS0_4arch9wavefront6targetE1EEEvSI_,comdat
	.protected	_ZN7rocprim17ROCPRIM_400000_NS6detail17trampoline_kernelINS0_14default_configENS1_35radix_sort_onesweep_config_selectorIiNS0_10empty_typeEEEZNS1_34radix_sort_onesweep_global_offsetsIS3_Lb0EN6thrust23THRUST_200600_302600_NS6detail15normal_iteratorINS9_10device_ptrIiEEEEPS5_jNS0_19identity_decomposerEEE10hipError_tT1_T2_PT3_SK_jT4_jjP12ihipStream_tbEUlT_E0_NS1_11comp_targetILNS1_3genE4ELNS1_11target_archE910ELNS1_3gpuE8ELNS1_3repE0EEENS1_52radix_sort_onesweep_histogram_config_static_selectorELNS0_4arch9wavefront6targetE1EEEvSI_ ; -- Begin function _ZN7rocprim17ROCPRIM_400000_NS6detail17trampoline_kernelINS0_14default_configENS1_35radix_sort_onesweep_config_selectorIiNS0_10empty_typeEEEZNS1_34radix_sort_onesweep_global_offsetsIS3_Lb0EN6thrust23THRUST_200600_302600_NS6detail15normal_iteratorINS9_10device_ptrIiEEEEPS5_jNS0_19identity_decomposerEEE10hipError_tT1_T2_PT3_SK_jT4_jjP12ihipStream_tbEUlT_E0_NS1_11comp_targetILNS1_3genE4ELNS1_11target_archE910ELNS1_3gpuE8ELNS1_3repE0EEENS1_52radix_sort_onesweep_histogram_config_static_selectorELNS0_4arch9wavefront6targetE1EEEvSI_
	.globl	_ZN7rocprim17ROCPRIM_400000_NS6detail17trampoline_kernelINS0_14default_configENS1_35radix_sort_onesweep_config_selectorIiNS0_10empty_typeEEEZNS1_34radix_sort_onesweep_global_offsetsIS3_Lb0EN6thrust23THRUST_200600_302600_NS6detail15normal_iteratorINS9_10device_ptrIiEEEEPS5_jNS0_19identity_decomposerEEE10hipError_tT1_T2_PT3_SK_jT4_jjP12ihipStream_tbEUlT_E0_NS1_11comp_targetILNS1_3genE4ELNS1_11target_archE910ELNS1_3gpuE8ELNS1_3repE0EEENS1_52radix_sort_onesweep_histogram_config_static_selectorELNS0_4arch9wavefront6targetE1EEEvSI_
	.p2align	8
	.type	_ZN7rocprim17ROCPRIM_400000_NS6detail17trampoline_kernelINS0_14default_configENS1_35radix_sort_onesweep_config_selectorIiNS0_10empty_typeEEEZNS1_34radix_sort_onesweep_global_offsetsIS3_Lb0EN6thrust23THRUST_200600_302600_NS6detail15normal_iteratorINS9_10device_ptrIiEEEEPS5_jNS0_19identity_decomposerEEE10hipError_tT1_T2_PT3_SK_jT4_jjP12ihipStream_tbEUlT_E0_NS1_11comp_targetILNS1_3genE4ELNS1_11target_archE910ELNS1_3gpuE8ELNS1_3repE0EEENS1_52radix_sort_onesweep_histogram_config_static_selectorELNS0_4arch9wavefront6targetE1EEEvSI_,@function
_ZN7rocprim17ROCPRIM_400000_NS6detail17trampoline_kernelINS0_14default_configENS1_35radix_sort_onesweep_config_selectorIiNS0_10empty_typeEEEZNS1_34radix_sort_onesweep_global_offsetsIS3_Lb0EN6thrust23THRUST_200600_302600_NS6detail15normal_iteratorINS9_10device_ptrIiEEEEPS5_jNS0_19identity_decomposerEEE10hipError_tT1_T2_PT3_SK_jT4_jjP12ihipStream_tbEUlT_E0_NS1_11comp_targetILNS1_3genE4ELNS1_11target_archE910ELNS1_3gpuE8ELNS1_3repE0EEENS1_52radix_sort_onesweep_histogram_config_static_selectorELNS0_4arch9wavefront6targetE1EEEvSI_: ; @_ZN7rocprim17ROCPRIM_400000_NS6detail17trampoline_kernelINS0_14default_configENS1_35radix_sort_onesweep_config_selectorIiNS0_10empty_typeEEEZNS1_34radix_sort_onesweep_global_offsetsIS3_Lb0EN6thrust23THRUST_200600_302600_NS6detail15normal_iteratorINS9_10device_ptrIiEEEEPS5_jNS0_19identity_decomposerEEE10hipError_tT1_T2_PT3_SK_jT4_jjP12ihipStream_tbEUlT_E0_NS1_11comp_targetILNS1_3genE4ELNS1_11target_archE910ELNS1_3gpuE8ELNS1_3repE0EEENS1_52radix_sort_onesweep_histogram_config_static_selectorELNS0_4arch9wavefront6targetE1EEEvSI_
; %bb.0:
	.section	.rodata,"a",@progbits
	.p2align	6, 0x0
	.amdhsa_kernel _ZN7rocprim17ROCPRIM_400000_NS6detail17trampoline_kernelINS0_14default_configENS1_35radix_sort_onesweep_config_selectorIiNS0_10empty_typeEEEZNS1_34radix_sort_onesweep_global_offsetsIS3_Lb0EN6thrust23THRUST_200600_302600_NS6detail15normal_iteratorINS9_10device_ptrIiEEEEPS5_jNS0_19identity_decomposerEEE10hipError_tT1_T2_PT3_SK_jT4_jjP12ihipStream_tbEUlT_E0_NS1_11comp_targetILNS1_3genE4ELNS1_11target_archE910ELNS1_3gpuE8ELNS1_3repE0EEENS1_52radix_sort_onesweep_histogram_config_static_selectorELNS0_4arch9wavefront6targetE1EEEvSI_
		.amdhsa_group_segment_fixed_size 0
		.amdhsa_private_segment_fixed_size 0
		.amdhsa_kernarg_size 8
		.amdhsa_user_sgpr_count 2
		.amdhsa_user_sgpr_dispatch_ptr 0
		.amdhsa_user_sgpr_queue_ptr 0
		.amdhsa_user_sgpr_kernarg_segment_ptr 1
		.amdhsa_user_sgpr_dispatch_id 0
		.amdhsa_user_sgpr_kernarg_preload_length 0
		.amdhsa_user_sgpr_kernarg_preload_offset 0
		.amdhsa_user_sgpr_private_segment_size 0
		.amdhsa_uses_dynamic_stack 0
		.amdhsa_enable_private_segment 0
		.amdhsa_system_sgpr_workgroup_id_x 1
		.amdhsa_system_sgpr_workgroup_id_y 0
		.amdhsa_system_sgpr_workgroup_id_z 0
		.amdhsa_system_sgpr_workgroup_info 0
		.amdhsa_system_vgpr_workitem_id 0
		.amdhsa_next_free_vgpr 1
		.amdhsa_next_free_sgpr 0
		.amdhsa_accum_offset 4
		.amdhsa_reserve_vcc 0
		.amdhsa_float_round_mode_32 0
		.amdhsa_float_round_mode_16_64 0
		.amdhsa_float_denorm_mode_32 3
		.amdhsa_float_denorm_mode_16_64 3
		.amdhsa_dx10_clamp 1
		.amdhsa_ieee_mode 1
		.amdhsa_fp16_overflow 0
		.amdhsa_tg_split 0
		.amdhsa_exception_fp_ieee_invalid_op 0
		.amdhsa_exception_fp_denorm_src 0
		.amdhsa_exception_fp_ieee_div_zero 0
		.amdhsa_exception_fp_ieee_overflow 0
		.amdhsa_exception_fp_ieee_underflow 0
		.amdhsa_exception_fp_ieee_inexact 0
		.amdhsa_exception_int_div_zero 0
	.end_amdhsa_kernel
	.section	.text._ZN7rocprim17ROCPRIM_400000_NS6detail17trampoline_kernelINS0_14default_configENS1_35radix_sort_onesweep_config_selectorIiNS0_10empty_typeEEEZNS1_34radix_sort_onesweep_global_offsetsIS3_Lb0EN6thrust23THRUST_200600_302600_NS6detail15normal_iteratorINS9_10device_ptrIiEEEEPS5_jNS0_19identity_decomposerEEE10hipError_tT1_T2_PT3_SK_jT4_jjP12ihipStream_tbEUlT_E0_NS1_11comp_targetILNS1_3genE4ELNS1_11target_archE910ELNS1_3gpuE8ELNS1_3repE0EEENS1_52radix_sort_onesweep_histogram_config_static_selectorELNS0_4arch9wavefront6targetE1EEEvSI_,"axG",@progbits,_ZN7rocprim17ROCPRIM_400000_NS6detail17trampoline_kernelINS0_14default_configENS1_35radix_sort_onesweep_config_selectorIiNS0_10empty_typeEEEZNS1_34radix_sort_onesweep_global_offsetsIS3_Lb0EN6thrust23THRUST_200600_302600_NS6detail15normal_iteratorINS9_10device_ptrIiEEEEPS5_jNS0_19identity_decomposerEEE10hipError_tT1_T2_PT3_SK_jT4_jjP12ihipStream_tbEUlT_E0_NS1_11comp_targetILNS1_3genE4ELNS1_11target_archE910ELNS1_3gpuE8ELNS1_3repE0EEENS1_52radix_sort_onesweep_histogram_config_static_selectorELNS0_4arch9wavefront6targetE1EEEvSI_,comdat
.Lfunc_end145:
	.size	_ZN7rocprim17ROCPRIM_400000_NS6detail17trampoline_kernelINS0_14default_configENS1_35radix_sort_onesweep_config_selectorIiNS0_10empty_typeEEEZNS1_34radix_sort_onesweep_global_offsetsIS3_Lb0EN6thrust23THRUST_200600_302600_NS6detail15normal_iteratorINS9_10device_ptrIiEEEEPS5_jNS0_19identity_decomposerEEE10hipError_tT1_T2_PT3_SK_jT4_jjP12ihipStream_tbEUlT_E0_NS1_11comp_targetILNS1_3genE4ELNS1_11target_archE910ELNS1_3gpuE8ELNS1_3repE0EEENS1_52radix_sort_onesweep_histogram_config_static_selectorELNS0_4arch9wavefront6targetE1EEEvSI_, .Lfunc_end145-_ZN7rocprim17ROCPRIM_400000_NS6detail17trampoline_kernelINS0_14default_configENS1_35radix_sort_onesweep_config_selectorIiNS0_10empty_typeEEEZNS1_34radix_sort_onesweep_global_offsetsIS3_Lb0EN6thrust23THRUST_200600_302600_NS6detail15normal_iteratorINS9_10device_ptrIiEEEEPS5_jNS0_19identity_decomposerEEE10hipError_tT1_T2_PT3_SK_jT4_jjP12ihipStream_tbEUlT_E0_NS1_11comp_targetILNS1_3genE4ELNS1_11target_archE910ELNS1_3gpuE8ELNS1_3repE0EEENS1_52radix_sort_onesweep_histogram_config_static_selectorELNS0_4arch9wavefront6targetE1EEEvSI_
                                        ; -- End function
	.set _ZN7rocprim17ROCPRIM_400000_NS6detail17trampoline_kernelINS0_14default_configENS1_35radix_sort_onesweep_config_selectorIiNS0_10empty_typeEEEZNS1_34radix_sort_onesweep_global_offsetsIS3_Lb0EN6thrust23THRUST_200600_302600_NS6detail15normal_iteratorINS9_10device_ptrIiEEEEPS5_jNS0_19identity_decomposerEEE10hipError_tT1_T2_PT3_SK_jT4_jjP12ihipStream_tbEUlT_E0_NS1_11comp_targetILNS1_3genE4ELNS1_11target_archE910ELNS1_3gpuE8ELNS1_3repE0EEENS1_52radix_sort_onesweep_histogram_config_static_selectorELNS0_4arch9wavefront6targetE1EEEvSI_.num_vgpr, 0
	.set _ZN7rocprim17ROCPRIM_400000_NS6detail17trampoline_kernelINS0_14default_configENS1_35radix_sort_onesweep_config_selectorIiNS0_10empty_typeEEEZNS1_34radix_sort_onesweep_global_offsetsIS3_Lb0EN6thrust23THRUST_200600_302600_NS6detail15normal_iteratorINS9_10device_ptrIiEEEEPS5_jNS0_19identity_decomposerEEE10hipError_tT1_T2_PT3_SK_jT4_jjP12ihipStream_tbEUlT_E0_NS1_11comp_targetILNS1_3genE4ELNS1_11target_archE910ELNS1_3gpuE8ELNS1_3repE0EEENS1_52radix_sort_onesweep_histogram_config_static_selectorELNS0_4arch9wavefront6targetE1EEEvSI_.num_agpr, 0
	.set _ZN7rocprim17ROCPRIM_400000_NS6detail17trampoline_kernelINS0_14default_configENS1_35radix_sort_onesweep_config_selectorIiNS0_10empty_typeEEEZNS1_34radix_sort_onesweep_global_offsetsIS3_Lb0EN6thrust23THRUST_200600_302600_NS6detail15normal_iteratorINS9_10device_ptrIiEEEEPS5_jNS0_19identity_decomposerEEE10hipError_tT1_T2_PT3_SK_jT4_jjP12ihipStream_tbEUlT_E0_NS1_11comp_targetILNS1_3genE4ELNS1_11target_archE910ELNS1_3gpuE8ELNS1_3repE0EEENS1_52radix_sort_onesweep_histogram_config_static_selectorELNS0_4arch9wavefront6targetE1EEEvSI_.numbered_sgpr, 0
	.set _ZN7rocprim17ROCPRIM_400000_NS6detail17trampoline_kernelINS0_14default_configENS1_35radix_sort_onesweep_config_selectorIiNS0_10empty_typeEEEZNS1_34radix_sort_onesweep_global_offsetsIS3_Lb0EN6thrust23THRUST_200600_302600_NS6detail15normal_iteratorINS9_10device_ptrIiEEEEPS5_jNS0_19identity_decomposerEEE10hipError_tT1_T2_PT3_SK_jT4_jjP12ihipStream_tbEUlT_E0_NS1_11comp_targetILNS1_3genE4ELNS1_11target_archE910ELNS1_3gpuE8ELNS1_3repE0EEENS1_52radix_sort_onesweep_histogram_config_static_selectorELNS0_4arch9wavefront6targetE1EEEvSI_.num_named_barrier, 0
	.set _ZN7rocprim17ROCPRIM_400000_NS6detail17trampoline_kernelINS0_14default_configENS1_35radix_sort_onesweep_config_selectorIiNS0_10empty_typeEEEZNS1_34radix_sort_onesweep_global_offsetsIS3_Lb0EN6thrust23THRUST_200600_302600_NS6detail15normal_iteratorINS9_10device_ptrIiEEEEPS5_jNS0_19identity_decomposerEEE10hipError_tT1_T2_PT3_SK_jT4_jjP12ihipStream_tbEUlT_E0_NS1_11comp_targetILNS1_3genE4ELNS1_11target_archE910ELNS1_3gpuE8ELNS1_3repE0EEENS1_52radix_sort_onesweep_histogram_config_static_selectorELNS0_4arch9wavefront6targetE1EEEvSI_.private_seg_size, 0
	.set _ZN7rocprim17ROCPRIM_400000_NS6detail17trampoline_kernelINS0_14default_configENS1_35radix_sort_onesweep_config_selectorIiNS0_10empty_typeEEEZNS1_34radix_sort_onesweep_global_offsetsIS3_Lb0EN6thrust23THRUST_200600_302600_NS6detail15normal_iteratorINS9_10device_ptrIiEEEEPS5_jNS0_19identity_decomposerEEE10hipError_tT1_T2_PT3_SK_jT4_jjP12ihipStream_tbEUlT_E0_NS1_11comp_targetILNS1_3genE4ELNS1_11target_archE910ELNS1_3gpuE8ELNS1_3repE0EEENS1_52radix_sort_onesweep_histogram_config_static_selectorELNS0_4arch9wavefront6targetE1EEEvSI_.uses_vcc, 0
	.set _ZN7rocprim17ROCPRIM_400000_NS6detail17trampoline_kernelINS0_14default_configENS1_35radix_sort_onesweep_config_selectorIiNS0_10empty_typeEEEZNS1_34radix_sort_onesweep_global_offsetsIS3_Lb0EN6thrust23THRUST_200600_302600_NS6detail15normal_iteratorINS9_10device_ptrIiEEEEPS5_jNS0_19identity_decomposerEEE10hipError_tT1_T2_PT3_SK_jT4_jjP12ihipStream_tbEUlT_E0_NS1_11comp_targetILNS1_3genE4ELNS1_11target_archE910ELNS1_3gpuE8ELNS1_3repE0EEENS1_52radix_sort_onesweep_histogram_config_static_selectorELNS0_4arch9wavefront6targetE1EEEvSI_.uses_flat_scratch, 0
	.set _ZN7rocprim17ROCPRIM_400000_NS6detail17trampoline_kernelINS0_14default_configENS1_35radix_sort_onesweep_config_selectorIiNS0_10empty_typeEEEZNS1_34radix_sort_onesweep_global_offsetsIS3_Lb0EN6thrust23THRUST_200600_302600_NS6detail15normal_iteratorINS9_10device_ptrIiEEEEPS5_jNS0_19identity_decomposerEEE10hipError_tT1_T2_PT3_SK_jT4_jjP12ihipStream_tbEUlT_E0_NS1_11comp_targetILNS1_3genE4ELNS1_11target_archE910ELNS1_3gpuE8ELNS1_3repE0EEENS1_52radix_sort_onesweep_histogram_config_static_selectorELNS0_4arch9wavefront6targetE1EEEvSI_.has_dyn_sized_stack, 0
	.set _ZN7rocprim17ROCPRIM_400000_NS6detail17trampoline_kernelINS0_14default_configENS1_35radix_sort_onesweep_config_selectorIiNS0_10empty_typeEEEZNS1_34radix_sort_onesweep_global_offsetsIS3_Lb0EN6thrust23THRUST_200600_302600_NS6detail15normal_iteratorINS9_10device_ptrIiEEEEPS5_jNS0_19identity_decomposerEEE10hipError_tT1_T2_PT3_SK_jT4_jjP12ihipStream_tbEUlT_E0_NS1_11comp_targetILNS1_3genE4ELNS1_11target_archE910ELNS1_3gpuE8ELNS1_3repE0EEENS1_52radix_sort_onesweep_histogram_config_static_selectorELNS0_4arch9wavefront6targetE1EEEvSI_.has_recursion, 0
	.set _ZN7rocprim17ROCPRIM_400000_NS6detail17trampoline_kernelINS0_14default_configENS1_35radix_sort_onesweep_config_selectorIiNS0_10empty_typeEEEZNS1_34radix_sort_onesweep_global_offsetsIS3_Lb0EN6thrust23THRUST_200600_302600_NS6detail15normal_iteratorINS9_10device_ptrIiEEEEPS5_jNS0_19identity_decomposerEEE10hipError_tT1_T2_PT3_SK_jT4_jjP12ihipStream_tbEUlT_E0_NS1_11comp_targetILNS1_3genE4ELNS1_11target_archE910ELNS1_3gpuE8ELNS1_3repE0EEENS1_52radix_sort_onesweep_histogram_config_static_selectorELNS0_4arch9wavefront6targetE1EEEvSI_.has_indirect_call, 0
	.section	.AMDGPU.csdata,"",@progbits
; Kernel info:
; codeLenInByte = 0
; TotalNumSgprs: 6
; NumVgprs: 0
; NumAgprs: 0
; TotalNumVgprs: 0
; ScratchSize: 0
; MemoryBound: 0
; FloatMode: 240
; IeeeMode: 1
; LDSByteSize: 0 bytes/workgroup (compile time only)
; SGPRBlocks: 0
; VGPRBlocks: 0
; NumSGPRsForWavesPerEU: 6
; NumVGPRsForWavesPerEU: 1
; AccumOffset: 4
; Occupancy: 8
; WaveLimiterHint : 0
; COMPUTE_PGM_RSRC2:SCRATCH_EN: 0
; COMPUTE_PGM_RSRC2:USER_SGPR: 2
; COMPUTE_PGM_RSRC2:TRAP_HANDLER: 0
; COMPUTE_PGM_RSRC2:TGID_X_EN: 1
; COMPUTE_PGM_RSRC2:TGID_Y_EN: 0
; COMPUTE_PGM_RSRC2:TGID_Z_EN: 0
; COMPUTE_PGM_RSRC2:TIDIG_COMP_CNT: 0
; COMPUTE_PGM_RSRC3_GFX90A:ACCUM_OFFSET: 0
; COMPUTE_PGM_RSRC3_GFX90A:TG_SPLIT: 0
	.section	.text._ZN7rocprim17ROCPRIM_400000_NS6detail17trampoline_kernelINS0_14default_configENS1_35radix_sort_onesweep_config_selectorIiNS0_10empty_typeEEEZNS1_34radix_sort_onesweep_global_offsetsIS3_Lb0EN6thrust23THRUST_200600_302600_NS6detail15normal_iteratorINS9_10device_ptrIiEEEEPS5_jNS0_19identity_decomposerEEE10hipError_tT1_T2_PT3_SK_jT4_jjP12ihipStream_tbEUlT_E0_NS1_11comp_targetILNS1_3genE3ELNS1_11target_archE908ELNS1_3gpuE7ELNS1_3repE0EEENS1_52radix_sort_onesweep_histogram_config_static_selectorELNS0_4arch9wavefront6targetE1EEEvSI_,"axG",@progbits,_ZN7rocprim17ROCPRIM_400000_NS6detail17trampoline_kernelINS0_14default_configENS1_35radix_sort_onesweep_config_selectorIiNS0_10empty_typeEEEZNS1_34radix_sort_onesweep_global_offsetsIS3_Lb0EN6thrust23THRUST_200600_302600_NS6detail15normal_iteratorINS9_10device_ptrIiEEEEPS5_jNS0_19identity_decomposerEEE10hipError_tT1_T2_PT3_SK_jT4_jjP12ihipStream_tbEUlT_E0_NS1_11comp_targetILNS1_3genE3ELNS1_11target_archE908ELNS1_3gpuE7ELNS1_3repE0EEENS1_52radix_sort_onesweep_histogram_config_static_selectorELNS0_4arch9wavefront6targetE1EEEvSI_,comdat
	.protected	_ZN7rocprim17ROCPRIM_400000_NS6detail17trampoline_kernelINS0_14default_configENS1_35radix_sort_onesweep_config_selectorIiNS0_10empty_typeEEEZNS1_34radix_sort_onesweep_global_offsetsIS3_Lb0EN6thrust23THRUST_200600_302600_NS6detail15normal_iteratorINS9_10device_ptrIiEEEEPS5_jNS0_19identity_decomposerEEE10hipError_tT1_T2_PT3_SK_jT4_jjP12ihipStream_tbEUlT_E0_NS1_11comp_targetILNS1_3genE3ELNS1_11target_archE908ELNS1_3gpuE7ELNS1_3repE0EEENS1_52radix_sort_onesweep_histogram_config_static_selectorELNS0_4arch9wavefront6targetE1EEEvSI_ ; -- Begin function _ZN7rocprim17ROCPRIM_400000_NS6detail17trampoline_kernelINS0_14default_configENS1_35radix_sort_onesweep_config_selectorIiNS0_10empty_typeEEEZNS1_34radix_sort_onesweep_global_offsetsIS3_Lb0EN6thrust23THRUST_200600_302600_NS6detail15normal_iteratorINS9_10device_ptrIiEEEEPS5_jNS0_19identity_decomposerEEE10hipError_tT1_T2_PT3_SK_jT4_jjP12ihipStream_tbEUlT_E0_NS1_11comp_targetILNS1_3genE3ELNS1_11target_archE908ELNS1_3gpuE7ELNS1_3repE0EEENS1_52radix_sort_onesweep_histogram_config_static_selectorELNS0_4arch9wavefront6targetE1EEEvSI_
	.globl	_ZN7rocprim17ROCPRIM_400000_NS6detail17trampoline_kernelINS0_14default_configENS1_35radix_sort_onesweep_config_selectorIiNS0_10empty_typeEEEZNS1_34radix_sort_onesweep_global_offsetsIS3_Lb0EN6thrust23THRUST_200600_302600_NS6detail15normal_iteratorINS9_10device_ptrIiEEEEPS5_jNS0_19identity_decomposerEEE10hipError_tT1_T2_PT3_SK_jT4_jjP12ihipStream_tbEUlT_E0_NS1_11comp_targetILNS1_3genE3ELNS1_11target_archE908ELNS1_3gpuE7ELNS1_3repE0EEENS1_52radix_sort_onesweep_histogram_config_static_selectorELNS0_4arch9wavefront6targetE1EEEvSI_
	.p2align	8
	.type	_ZN7rocprim17ROCPRIM_400000_NS6detail17trampoline_kernelINS0_14default_configENS1_35radix_sort_onesweep_config_selectorIiNS0_10empty_typeEEEZNS1_34radix_sort_onesweep_global_offsetsIS3_Lb0EN6thrust23THRUST_200600_302600_NS6detail15normal_iteratorINS9_10device_ptrIiEEEEPS5_jNS0_19identity_decomposerEEE10hipError_tT1_T2_PT3_SK_jT4_jjP12ihipStream_tbEUlT_E0_NS1_11comp_targetILNS1_3genE3ELNS1_11target_archE908ELNS1_3gpuE7ELNS1_3repE0EEENS1_52radix_sort_onesweep_histogram_config_static_selectorELNS0_4arch9wavefront6targetE1EEEvSI_,@function
_ZN7rocprim17ROCPRIM_400000_NS6detail17trampoline_kernelINS0_14default_configENS1_35radix_sort_onesweep_config_selectorIiNS0_10empty_typeEEEZNS1_34radix_sort_onesweep_global_offsetsIS3_Lb0EN6thrust23THRUST_200600_302600_NS6detail15normal_iteratorINS9_10device_ptrIiEEEEPS5_jNS0_19identity_decomposerEEE10hipError_tT1_T2_PT3_SK_jT4_jjP12ihipStream_tbEUlT_E0_NS1_11comp_targetILNS1_3genE3ELNS1_11target_archE908ELNS1_3gpuE7ELNS1_3repE0EEENS1_52radix_sort_onesweep_histogram_config_static_selectorELNS0_4arch9wavefront6targetE1EEEvSI_: ; @_ZN7rocprim17ROCPRIM_400000_NS6detail17trampoline_kernelINS0_14default_configENS1_35radix_sort_onesweep_config_selectorIiNS0_10empty_typeEEEZNS1_34radix_sort_onesweep_global_offsetsIS3_Lb0EN6thrust23THRUST_200600_302600_NS6detail15normal_iteratorINS9_10device_ptrIiEEEEPS5_jNS0_19identity_decomposerEEE10hipError_tT1_T2_PT3_SK_jT4_jjP12ihipStream_tbEUlT_E0_NS1_11comp_targetILNS1_3genE3ELNS1_11target_archE908ELNS1_3gpuE7ELNS1_3repE0EEENS1_52radix_sort_onesweep_histogram_config_static_selectorELNS0_4arch9wavefront6targetE1EEEvSI_
; %bb.0:
	.section	.rodata,"a",@progbits
	.p2align	6, 0x0
	.amdhsa_kernel _ZN7rocprim17ROCPRIM_400000_NS6detail17trampoline_kernelINS0_14default_configENS1_35radix_sort_onesweep_config_selectorIiNS0_10empty_typeEEEZNS1_34radix_sort_onesweep_global_offsetsIS3_Lb0EN6thrust23THRUST_200600_302600_NS6detail15normal_iteratorINS9_10device_ptrIiEEEEPS5_jNS0_19identity_decomposerEEE10hipError_tT1_T2_PT3_SK_jT4_jjP12ihipStream_tbEUlT_E0_NS1_11comp_targetILNS1_3genE3ELNS1_11target_archE908ELNS1_3gpuE7ELNS1_3repE0EEENS1_52radix_sort_onesweep_histogram_config_static_selectorELNS0_4arch9wavefront6targetE1EEEvSI_
		.amdhsa_group_segment_fixed_size 0
		.amdhsa_private_segment_fixed_size 0
		.amdhsa_kernarg_size 8
		.amdhsa_user_sgpr_count 2
		.amdhsa_user_sgpr_dispatch_ptr 0
		.amdhsa_user_sgpr_queue_ptr 0
		.amdhsa_user_sgpr_kernarg_segment_ptr 1
		.amdhsa_user_sgpr_dispatch_id 0
		.amdhsa_user_sgpr_kernarg_preload_length 0
		.amdhsa_user_sgpr_kernarg_preload_offset 0
		.amdhsa_user_sgpr_private_segment_size 0
		.amdhsa_uses_dynamic_stack 0
		.amdhsa_enable_private_segment 0
		.amdhsa_system_sgpr_workgroup_id_x 1
		.amdhsa_system_sgpr_workgroup_id_y 0
		.amdhsa_system_sgpr_workgroup_id_z 0
		.amdhsa_system_sgpr_workgroup_info 0
		.amdhsa_system_vgpr_workitem_id 0
		.amdhsa_next_free_vgpr 1
		.amdhsa_next_free_sgpr 0
		.amdhsa_accum_offset 4
		.amdhsa_reserve_vcc 0
		.amdhsa_float_round_mode_32 0
		.amdhsa_float_round_mode_16_64 0
		.amdhsa_float_denorm_mode_32 3
		.amdhsa_float_denorm_mode_16_64 3
		.amdhsa_dx10_clamp 1
		.amdhsa_ieee_mode 1
		.amdhsa_fp16_overflow 0
		.amdhsa_tg_split 0
		.amdhsa_exception_fp_ieee_invalid_op 0
		.amdhsa_exception_fp_denorm_src 0
		.amdhsa_exception_fp_ieee_div_zero 0
		.amdhsa_exception_fp_ieee_overflow 0
		.amdhsa_exception_fp_ieee_underflow 0
		.amdhsa_exception_fp_ieee_inexact 0
		.amdhsa_exception_int_div_zero 0
	.end_amdhsa_kernel
	.section	.text._ZN7rocprim17ROCPRIM_400000_NS6detail17trampoline_kernelINS0_14default_configENS1_35radix_sort_onesweep_config_selectorIiNS0_10empty_typeEEEZNS1_34radix_sort_onesweep_global_offsetsIS3_Lb0EN6thrust23THRUST_200600_302600_NS6detail15normal_iteratorINS9_10device_ptrIiEEEEPS5_jNS0_19identity_decomposerEEE10hipError_tT1_T2_PT3_SK_jT4_jjP12ihipStream_tbEUlT_E0_NS1_11comp_targetILNS1_3genE3ELNS1_11target_archE908ELNS1_3gpuE7ELNS1_3repE0EEENS1_52radix_sort_onesweep_histogram_config_static_selectorELNS0_4arch9wavefront6targetE1EEEvSI_,"axG",@progbits,_ZN7rocprim17ROCPRIM_400000_NS6detail17trampoline_kernelINS0_14default_configENS1_35radix_sort_onesweep_config_selectorIiNS0_10empty_typeEEEZNS1_34radix_sort_onesweep_global_offsetsIS3_Lb0EN6thrust23THRUST_200600_302600_NS6detail15normal_iteratorINS9_10device_ptrIiEEEEPS5_jNS0_19identity_decomposerEEE10hipError_tT1_T2_PT3_SK_jT4_jjP12ihipStream_tbEUlT_E0_NS1_11comp_targetILNS1_3genE3ELNS1_11target_archE908ELNS1_3gpuE7ELNS1_3repE0EEENS1_52radix_sort_onesweep_histogram_config_static_selectorELNS0_4arch9wavefront6targetE1EEEvSI_,comdat
.Lfunc_end146:
	.size	_ZN7rocprim17ROCPRIM_400000_NS6detail17trampoline_kernelINS0_14default_configENS1_35radix_sort_onesweep_config_selectorIiNS0_10empty_typeEEEZNS1_34radix_sort_onesweep_global_offsetsIS3_Lb0EN6thrust23THRUST_200600_302600_NS6detail15normal_iteratorINS9_10device_ptrIiEEEEPS5_jNS0_19identity_decomposerEEE10hipError_tT1_T2_PT3_SK_jT4_jjP12ihipStream_tbEUlT_E0_NS1_11comp_targetILNS1_3genE3ELNS1_11target_archE908ELNS1_3gpuE7ELNS1_3repE0EEENS1_52radix_sort_onesweep_histogram_config_static_selectorELNS0_4arch9wavefront6targetE1EEEvSI_, .Lfunc_end146-_ZN7rocprim17ROCPRIM_400000_NS6detail17trampoline_kernelINS0_14default_configENS1_35radix_sort_onesweep_config_selectorIiNS0_10empty_typeEEEZNS1_34radix_sort_onesweep_global_offsetsIS3_Lb0EN6thrust23THRUST_200600_302600_NS6detail15normal_iteratorINS9_10device_ptrIiEEEEPS5_jNS0_19identity_decomposerEEE10hipError_tT1_T2_PT3_SK_jT4_jjP12ihipStream_tbEUlT_E0_NS1_11comp_targetILNS1_3genE3ELNS1_11target_archE908ELNS1_3gpuE7ELNS1_3repE0EEENS1_52radix_sort_onesweep_histogram_config_static_selectorELNS0_4arch9wavefront6targetE1EEEvSI_
                                        ; -- End function
	.set _ZN7rocprim17ROCPRIM_400000_NS6detail17trampoline_kernelINS0_14default_configENS1_35radix_sort_onesweep_config_selectorIiNS0_10empty_typeEEEZNS1_34radix_sort_onesweep_global_offsetsIS3_Lb0EN6thrust23THRUST_200600_302600_NS6detail15normal_iteratorINS9_10device_ptrIiEEEEPS5_jNS0_19identity_decomposerEEE10hipError_tT1_T2_PT3_SK_jT4_jjP12ihipStream_tbEUlT_E0_NS1_11comp_targetILNS1_3genE3ELNS1_11target_archE908ELNS1_3gpuE7ELNS1_3repE0EEENS1_52radix_sort_onesweep_histogram_config_static_selectorELNS0_4arch9wavefront6targetE1EEEvSI_.num_vgpr, 0
	.set _ZN7rocprim17ROCPRIM_400000_NS6detail17trampoline_kernelINS0_14default_configENS1_35radix_sort_onesweep_config_selectorIiNS0_10empty_typeEEEZNS1_34radix_sort_onesweep_global_offsetsIS3_Lb0EN6thrust23THRUST_200600_302600_NS6detail15normal_iteratorINS9_10device_ptrIiEEEEPS5_jNS0_19identity_decomposerEEE10hipError_tT1_T2_PT3_SK_jT4_jjP12ihipStream_tbEUlT_E0_NS1_11comp_targetILNS1_3genE3ELNS1_11target_archE908ELNS1_3gpuE7ELNS1_3repE0EEENS1_52radix_sort_onesweep_histogram_config_static_selectorELNS0_4arch9wavefront6targetE1EEEvSI_.num_agpr, 0
	.set _ZN7rocprim17ROCPRIM_400000_NS6detail17trampoline_kernelINS0_14default_configENS1_35radix_sort_onesweep_config_selectorIiNS0_10empty_typeEEEZNS1_34radix_sort_onesweep_global_offsetsIS3_Lb0EN6thrust23THRUST_200600_302600_NS6detail15normal_iteratorINS9_10device_ptrIiEEEEPS5_jNS0_19identity_decomposerEEE10hipError_tT1_T2_PT3_SK_jT4_jjP12ihipStream_tbEUlT_E0_NS1_11comp_targetILNS1_3genE3ELNS1_11target_archE908ELNS1_3gpuE7ELNS1_3repE0EEENS1_52radix_sort_onesweep_histogram_config_static_selectorELNS0_4arch9wavefront6targetE1EEEvSI_.numbered_sgpr, 0
	.set _ZN7rocprim17ROCPRIM_400000_NS6detail17trampoline_kernelINS0_14default_configENS1_35radix_sort_onesweep_config_selectorIiNS0_10empty_typeEEEZNS1_34radix_sort_onesweep_global_offsetsIS3_Lb0EN6thrust23THRUST_200600_302600_NS6detail15normal_iteratorINS9_10device_ptrIiEEEEPS5_jNS0_19identity_decomposerEEE10hipError_tT1_T2_PT3_SK_jT4_jjP12ihipStream_tbEUlT_E0_NS1_11comp_targetILNS1_3genE3ELNS1_11target_archE908ELNS1_3gpuE7ELNS1_3repE0EEENS1_52radix_sort_onesweep_histogram_config_static_selectorELNS0_4arch9wavefront6targetE1EEEvSI_.num_named_barrier, 0
	.set _ZN7rocprim17ROCPRIM_400000_NS6detail17trampoline_kernelINS0_14default_configENS1_35radix_sort_onesweep_config_selectorIiNS0_10empty_typeEEEZNS1_34radix_sort_onesweep_global_offsetsIS3_Lb0EN6thrust23THRUST_200600_302600_NS6detail15normal_iteratorINS9_10device_ptrIiEEEEPS5_jNS0_19identity_decomposerEEE10hipError_tT1_T2_PT3_SK_jT4_jjP12ihipStream_tbEUlT_E0_NS1_11comp_targetILNS1_3genE3ELNS1_11target_archE908ELNS1_3gpuE7ELNS1_3repE0EEENS1_52radix_sort_onesweep_histogram_config_static_selectorELNS0_4arch9wavefront6targetE1EEEvSI_.private_seg_size, 0
	.set _ZN7rocprim17ROCPRIM_400000_NS6detail17trampoline_kernelINS0_14default_configENS1_35radix_sort_onesweep_config_selectorIiNS0_10empty_typeEEEZNS1_34radix_sort_onesweep_global_offsetsIS3_Lb0EN6thrust23THRUST_200600_302600_NS6detail15normal_iteratorINS9_10device_ptrIiEEEEPS5_jNS0_19identity_decomposerEEE10hipError_tT1_T2_PT3_SK_jT4_jjP12ihipStream_tbEUlT_E0_NS1_11comp_targetILNS1_3genE3ELNS1_11target_archE908ELNS1_3gpuE7ELNS1_3repE0EEENS1_52radix_sort_onesweep_histogram_config_static_selectorELNS0_4arch9wavefront6targetE1EEEvSI_.uses_vcc, 0
	.set _ZN7rocprim17ROCPRIM_400000_NS6detail17trampoline_kernelINS0_14default_configENS1_35radix_sort_onesweep_config_selectorIiNS0_10empty_typeEEEZNS1_34radix_sort_onesweep_global_offsetsIS3_Lb0EN6thrust23THRUST_200600_302600_NS6detail15normal_iteratorINS9_10device_ptrIiEEEEPS5_jNS0_19identity_decomposerEEE10hipError_tT1_T2_PT3_SK_jT4_jjP12ihipStream_tbEUlT_E0_NS1_11comp_targetILNS1_3genE3ELNS1_11target_archE908ELNS1_3gpuE7ELNS1_3repE0EEENS1_52radix_sort_onesweep_histogram_config_static_selectorELNS0_4arch9wavefront6targetE1EEEvSI_.uses_flat_scratch, 0
	.set _ZN7rocprim17ROCPRIM_400000_NS6detail17trampoline_kernelINS0_14default_configENS1_35radix_sort_onesweep_config_selectorIiNS0_10empty_typeEEEZNS1_34radix_sort_onesweep_global_offsetsIS3_Lb0EN6thrust23THRUST_200600_302600_NS6detail15normal_iteratorINS9_10device_ptrIiEEEEPS5_jNS0_19identity_decomposerEEE10hipError_tT1_T2_PT3_SK_jT4_jjP12ihipStream_tbEUlT_E0_NS1_11comp_targetILNS1_3genE3ELNS1_11target_archE908ELNS1_3gpuE7ELNS1_3repE0EEENS1_52radix_sort_onesweep_histogram_config_static_selectorELNS0_4arch9wavefront6targetE1EEEvSI_.has_dyn_sized_stack, 0
	.set _ZN7rocprim17ROCPRIM_400000_NS6detail17trampoline_kernelINS0_14default_configENS1_35radix_sort_onesweep_config_selectorIiNS0_10empty_typeEEEZNS1_34radix_sort_onesweep_global_offsetsIS3_Lb0EN6thrust23THRUST_200600_302600_NS6detail15normal_iteratorINS9_10device_ptrIiEEEEPS5_jNS0_19identity_decomposerEEE10hipError_tT1_T2_PT3_SK_jT4_jjP12ihipStream_tbEUlT_E0_NS1_11comp_targetILNS1_3genE3ELNS1_11target_archE908ELNS1_3gpuE7ELNS1_3repE0EEENS1_52radix_sort_onesweep_histogram_config_static_selectorELNS0_4arch9wavefront6targetE1EEEvSI_.has_recursion, 0
	.set _ZN7rocprim17ROCPRIM_400000_NS6detail17trampoline_kernelINS0_14default_configENS1_35radix_sort_onesweep_config_selectorIiNS0_10empty_typeEEEZNS1_34radix_sort_onesweep_global_offsetsIS3_Lb0EN6thrust23THRUST_200600_302600_NS6detail15normal_iteratorINS9_10device_ptrIiEEEEPS5_jNS0_19identity_decomposerEEE10hipError_tT1_T2_PT3_SK_jT4_jjP12ihipStream_tbEUlT_E0_NS1_11comp_targetILNS1_3genE3ELNS1_11target_archE908ELNS1_3gpuE7ELNS1_3repE0EEENS1_52radix_sort_onesweep_histogram_config_static_selectorELNS0_4arch9wavefront6targetE1EEEvSI_.has_indirect_call, 0
	.section	.AMDGPU.csdata,"",@progbits
; Kernel info:
; codeLenInByte = 0
; TotalNumSgprs: 6
; NumVgprs: 0
; NumAgprs: 0
; TotalNumVgprs: 0
; ScratchSize: 0
; MemoryBound: 0
; FloatMode: 240
; IeeeMode: 1
; LDSByteSize: 0 bytes/workgroup (compile time only)
; SGPRBlocks: 0
; VGPRBlocks: 0
; NumSGPRsForWavesPerEU: 6
; NumVGPRsForWavesPerEU: 1
; AccumOffset: 4
; Occupancy: 8
; WaveLimiterHint : 0
; COMPUTE_PGM_RSRC2:SCRATCH_EN: 0
; COMPUTE_PGM_RSRC2:USER_SGPR: 2
; COMPUTE_PGM_RSRC2:TRAP_HANDLER: 0
; COMPUTE_PGM_RSRC2:TGID_X_EN: 1
; COMPUTE_PGM_RSRC2:TGID_Y_EN: 0
; COMPUTE_PGM_RSRC2:TGID_Z_EN: 0
; COMPUTE_PGM_RSRC2:TIDIG_COMP_CNT: 0
; COMPUTE_PGM_RSRC3_GFX90A:ACCUM_OFFSET: 0
; COMPUTE_PGM_RSRC3_GFX90A:TG_SPLIT: 0
	.section	.text._ZN7rocprim17ROCPRIM_400000_NS6detail17trampoline_kernelINS0_14default_configENS1_35radix_sort_onesweep_config_selectorIiNS0_10empty_typeEEEZNS1_34radix_sort_onesweep_global_offsetsIS3_Lb0EN6thrust23THRUST_200600_302600_NS6detail15normal_iteratorINS9_10device_ptrIiEEEEPS5_jNS0_19identity_decomposerEEE10hipError_tT1_T2_PT3_SK_jT4_jjP12ihipStream_tbEUlT_E0_NS1_11comp_targetILNS1_3genE10ELNS1_11target_archE1201ELNS1_3gpuE5ELNS1_3repE0EEENS1_52radix_sort_onesweep_histogram_config_static_selectorELNS0_4arch9wavefront6targetE1EEEvSI_,"axG",@progbits,_ZN7rocprim17ROCPRIM_400000_NS6detail17trampoline_kernelINS0_14default_configENS1_35radix_sort_onesweep_config_selectorIiNS0_10empty_typeEEEZNS1_34radix_sort_onesweep_global_offsetsIS3_Lb0EN6thrust23THRUST_200600_302600_NS6detail15normal_iteratorINS9_10device_ptrIiEEEEPS5_jNS0_19identity_decomposerEEE10hipError_tT1_T2_PT3_SK_jT4_jjP12ihipStream_tbEUlT_E0_NS1_11comp_targetILNS1_3genE10ELNS1_11target_archE1201ELNS1_3gpuE5ELNS1_3repE0EEENS1_52radix_sort_onesweep_histogram_config_static_selectorELNS0_4arch9wavefront6targetE1EEEvSI_,comdat
	.protected	_ZN7rocprim17ROCPRIM_400000_NS6detail17trampoline_kernelINS0_14default_configENS1_35radix_sort_onesweep_config_selectorIiNS0_10empty_typeEEEZNS1_34radix_sort_onesweep_global_offsetsIS3_Lb0EN6thrust23THRUST_200600_302600_NS6detail15normal_iteratorINS9_10device_ptrIiEEEEPS5_jNS0_19identity_decomposerEEE10hipError_tT1_T2_PT3_SK_jT4_jjP12ihipStream_tbEUlT_E0_NS1_11comp_targetILNS1_3genE10ELNS1_11target_archE1201ELNS1_3gpuE5ELNS1_3repE0EEENS1_52radix_sort_onesweep_histogram_config_static_selectorELNS0_4arch9wavefront6targetE1EEEvSI_ ; -- Begin function _ZN7rocprim17ROCPRIM_400000_NS6detail17trampoline_kernelINS0_14default_configENS1_35radix_sort_onesweep_config_selectorIiNS0_10empty_typeEEEZNS1_34radix_sort_onesweep_global_offsetsIS3_Lb0EN6thrust23THRUST_200600_302600_NS6detail15normal_iteratorINS9_10device_ptrIiEEEEPS5_jNS0_19identity_decomposerEEE10hipError_tT1_T2_PT3_SK_jT4_jjP12ihipStream_tbEUlT_E0_NS1_11comp_targetILNS1_3genE10ELNS1_11target_archE1201ELNS1_3gpuE5ELNS1_3repE0EEENS1_52radix_sort_onesweep_histogram_config_static_selectorELNS0_4arch9wavefront6targetE1EEEvSI_
	.globl	_ZN7rocprim17ROCPRIM_400000_NS6detail17trampoline_kernelINS0_14default_configENS1_35radix_sort_onesweep_config_selectorIiNS0_10empty_typeEEEZNS1_34radix_sort_onesweep_global_offsetsIS3_Lb0EN6thrust23THRUST_200600_302600_NS6detail15normal_iteratorINS9_10device_ptrIiEEEEPS5_jNS0_19identity_decomposerEEE10hipError_tT1_T2_PT3_SK_jT4_jjP12ihipStream_tbEUlT_E0_NS1_11comp_targetILNS1_3genE10ELNS1_11target_archE1201ELNS1_3gpuE5ELNS1_3repE0EEENS1_52radix_sort_onesweep_histogram_config_static_selectorELNS0_4arch9wavefront6targetE1EEEvSI_
	.p2align	8
	.type	_ZN7rocprim17ROCPRIM_400000_NS6detail17trampoline_kernelINS0_14default_configENS1_35radix_sort_onesweep_config_selectorIiNS0_10empty_typeEEEZNS1_34radix_sort_onesweep_global_offsetsIS3_Lb0EN6thrust23THRUST_200600_302600_NS6detail15normal_iteratorINS9_10device_ptrIiEEEEPS5_jNS0_19identity_decomposerEEE10hipError_tT1_T2_PT3_SK_jT4_jjP12ihipStream_tbEUlT_E0_NS1_11comp_targetILNS1_3genE10ELNS1_11target_archE1201ELNS1_3gpuE5ELNS1_3repE0EEENS1_52radix_sort_onesweep_histogram_config_static_selectorELNS0_4arch9wavefront6targetE1EEEvSI_,@function
_ZN7rocprim17ROCPRIM_400000_NS6detail17trampoline_kernelINS0_14default_configENS1_35radix_sort_onesweep_config_selectorIiNS0_10empty_typeEEEZNS1_34radix_sort_onesweep_global_offsetsIS3_Lb0EN6thrust23THRUST_200600_302600_NS6detail15normal_iteratorINS9_10device_ptrIiEEEEPS5_jNS0_19identity_decomposerEEE10hipError_tT1_T2_PT3_SK_jT4_jjP12ihipStream_tbEUlT_E0_NS1_11comp_targetILNS1_3genE10ELNS1_11target_archE1201ELNS1_3gpuE5ELNS1_3repE0EEENS1_52radix_sort_onesweep_histogram_config_static_selectorELNS0_4arch9wavefront6targetE1EEEvSI_: ; @_ZN7rocprim17ROCPRIM_400000_NS6detail17trampoline_kernelINS0_14default_configENS1_35radix_sort_onesweep_config_selectorIiNS0_10empty_typeEEEZNS1_34radix_sort_onesweep_global_offsetsIS3_Lb0EN6thrust23THRUST_200600_302600_NS6detail15normal_iteratorINS9_10device_ptrIiEEEEPS5_jNS0_19identity_decomposerEEE10hipError_tT1_T2_PT3_SK_jT4_jjP12ihipStream_tbEUlT_E0_NS1_11comp_targetILNS1_3genE10ELNS1_11target_archE1201ELNS1_3gpuE5ELNS1_3repE0EEENS1_52radix_sort_onesweep_histogram_config_static_selectorELNS0_4arch9wavefront6targetE1EEEvSI_
; %bb.0:
	.section	.rodata,"a",@progbits
	.p2align	6, 0x0
	.amdhsa_kernel _ZN7rocprim17ROCPRIM_400000_NS6detail17trampoline_kernelINS0_14default_configENS1_35radix_sort_onesweep_config_selectorIiNS0_10empty_typeEEEZNS1_34radix_sort_onesweep_global_offsetsIS3_Lb0EN6thrust23THRUST_200600_302600_NS6detail15normal_iteratorINS9_10device_ptrIiEEEEPS5_jNS0_19identity_decomposerEEE10hipError_tT1_T2_PT3_SK_jT4_jjP12ihipStream_tbEUlT_E0_NS1_11comp_targetILNS1_3genE10ELNS1_11target_archE1201ELNS1_3gpuE5ELNS1_3repE0EEENS1_52radix_sort_onesweep_histogram_config_static_selectorELNS0_4arch9wavefront6targetE1EEEvSI_
		.amdhsa_group_segment_fixed_size 0
		.amdhsa_private_segment_fixed_size 0
		.amdhsa_kernarg_size 8
		.amdhsa_user_sgpr_count 2
		.amdhsa_user_sgpr_dispatch_ptr 0
		.amdhsa_user_sgpr_queue_ptr 0
		.amdhsa_user_sgpr_kernarg_segment_ptr 1
		.amdhsa_user_sgpr_dispatch_id 0
		.amdhsa_user_sgpr_kernarg_preload_length 0
		.amdhsa_user_sgpr_kernarg_preload_offset 0
		.amdhsa_user_sgpr_private_segment_size 0
		.amdhsa_uses_dynamic_stack 0
		.amdhsa_enable_private_segment 0
		.amdhsa_system_sgpr_workgroup_id_x 1
		.amdhsa_system_sgpr_workgroup_id_y 0
		.amdhsa_system_sgpr_workgroup_id_z 0
		.amdhsa_system_sgpr_workgroup_info 0
		.amdhsa_system_vgpr_workitem_id 0
		.amdhsa_next_free_vgpr 1
		.amdhsa_next_free_sgpr 0
		.amdhsa_accum_offset 4
		.amdhsa_reserve_vcc 0
		.amdhsa_float_round_mode_32 0
		.amdhsa_float_round_mode_16_64 0
		.amdhsa_float_denorm_mode_32 3
		.amdhsa_float_denorm_mode_16_64 3
		.amdhsa_dx10_clamp 1
		.amdhsa_ieee_mode 1
		.amdhsa_fp16_overflow 0
		.amdhsa_tg_split 0
		.amdhsa_exception_fp_ieee_invalid_op 0
		.amdhsa_exception_fp_denorm_src 0
		.amdhsa_exception_fp_ieee_div_zero 0
		.amdhsa_exception_fp_ieee_overflow 0
		.amdhsa_exception_fp_ieee_underflow 0
		.amdhsa_exception_fp_ieee_inexact 0
		.amdhsa_exception_int_div_zero 0
	.end_amdhsa_kernel
	.section	.text._ZN7rocprim17ROCPRIM_400000_NS6detail17trampoline_kernelINS0_14default_configENS1_35radix_sort_onesweep_config_selectorIiNS0_10empty_typeEEEZNS1_34radix_sort_onesweep_global_offsetsIS3_Lb0EN6thrust23THRUST_200600_302600_NS6detail15normal_iteratorINS9_10device_ptrIiEEEEPS5_jNS0_19identity_decomposerEEE10hipError_tT1_T2_PT3_SK_jT4_jjP12ihipStream_tbEUlT_E0_NS1_11comp_targetILNS1_3genE10ELNS1_11target_archE1201ELNS1_3gpuE5ELNS1_3repE0EEENS1_52radix_sort_onesweep_histogram_config_static_selectorELNS0_4arch9wavefront6targetE1EEEvSI_,"axG",@progbits,_ZN7rocprim17ROCPRIM_400000_NS6detail17trampoline_kernelINS0_14default_configENS1_35radix_sort_onesweep_config_selectorIiNS0_10empty_typeEEEZNS1_34radix_sort_onesweep_global_offsetsIS3_Lb0EN6thrust23THRUST_200600_302600_NS6detail15normal_iteratorINS9_10device_ptrIiEEEEPS5_jNS0_19identity_decomposerEEE10hipError_tT1_T2_PT3_SK_jT4_jjP12ihipStream_tbEUlT_E0_NS1_11comp_targetILNS1_3genE10ELNS1_11target_archE1201ELNS1_3gpuE5ELNS1_3repE0EEENS1_52radix_sort_onesweep_histogram_config_static_selectorELNS0_4arch9wavefront6targetE1EEEvSI_,comdat
.Lfunc_end147:
	.size	_ZN7rocprim17ROCPRIM_400000_NS6detail17trampoline_kernelINS0_14default_configENS1_35radix_sort_onesweep_config_selectorIiNS0_10empty_typeEEEZNS1_34radix_sort_onesweep_global_offsetsIS3_Lb0EN6thrust23THRUST_200600_302600_NS6detail15normal_iteratorINS9_10device_ptrIiEEEEPS5_jNS0_19identity_decomposerEEE10hipError_tT1_T2_PT3_SK_jT4_jjP12ihipStream_tbEUlT_E0_NS1_11comp_targetILNS1_3genE10ELNS1_11target_archE1201ELNS1_3gpuE5ELNS1_3repE0EEENS1_52radix_sort_onesweep_histogram_config_static_selectorELNS0_4arch9wavefront6targetE1EEEvSI_, .Lfunc_end147-_ZN7rocprim17ROCPRIM_400000_NS6detail17trampoline_kernelINS0_14default_configENS1_35radix_sort_onesweep_config_selectorIiNS0_10empty_typeEEEZNS1_34radix_sort_onesweep_global_offsetsIS3_Lb0EN6thrust23THRUST_200600_302600_NS6detail15normal_iteratorINS9_10device_ptrIiEEEEPS5_jNS0_19identity_decomposerEEE10hipError_tT1_T2_PT3_SK_jT4_jjP12ihipStream_tbEUlT_E0_NS1_11comp_targetILNS1_3genE10ELNS1_11target_archE1201ELNS1_3gpuE5ELNS1_3repE0EEENS1_52radix_sort_onesweep_histogram_config_static_selectorELNS0_4arch9wavefront6targetE1EEEvSI_
                                        ; -- End function
	.set _ZN7rocprim17ROCPRIM_400000_NS6detail17trampoline_kernelINS0_14default_configENS1_35radix_sort_onesweep_config_selectorIiNS0_10empty_typeEEEZNS1_34radix_sort_onesweep_global_offsetsIS3_Lb0EN6thrust23THRUST_200600_302600_NS6detail15normal_iteratorINS9_10device_ptrIiEEEEPS5_jNS0_19identity_decomposerEEE10hipError_tT1_T2_PT3_SK_jT4_jjP12ihipStream_tbEUlT_E0_NS1_11comp_targetILNS1_3genE10ELNS1_11target_archE1201ELNS1_3gpuE5ELNS1_3repE0EEENS1_52radix_sort_onesweep_histogram_config_static_selectorELNS0_4arch9wavefront6targetE1EEEvSI_.num_vgpr, 0
	.set _ZN7rocprim17ROCPRIM_400000_NS6detail17trampoline_kernelINS0_14default_configENS1_35radix_sort_onesweep_config_selectorIiNS0_10empty_typeEEEZNS1_34radix_sort_onesweep_global_offsetsIS3_Lb0EN6thrust23THRUST_200600_302600_NS6detail15normal_iteratorINS9_10device_ptrIiEEEEPS5_jNS0_19identity_decomposerEEE10hipError_tT1_T2_PT3_SK_jT4_jjP12ihipStream_tbEUlT_E0_NS1_11comp_targetILNS1_3genE10ELNS1_11target_archE1201ELNS1_3gpuE5ELNS1_3repE0EEENS1_52radix_sort_onesweep_histogram_config_static_selectorELNS0_4arch9wavefront6targetE1EEEvSI_.num_agpr, 0
	.set _ZN7rocprim17ROCPRIM_400000_NS6detail17trampoline_kernelINS0_14default_configENS1_35radix_sort_onesweep_config_selectorIiNS0_10empty_typeEEEZNS1_34radix_sort_onesweep_global_offsetsIS3_Lb0EN6thrust23THRUST_200600_302600_NS6detail15normal_iteratorINS9_10device_ptrIiEEEEPS5_jNS0_19identity_decomposerEEE10hipError_tT1_T2_PT3_SK_jT4_jjP12ihipStream_tbEUlT_E0_NS1_11comp_targetILNS1_3genE10ELNS1_11target_archE1201ELNS1_3gpuE5ELNS1_3repE0EEENS1_52radix_sort_onesweep_histogram_config_static_selectorELNS0_4arch9wavefront6targetE1EEEvSI_.numbered_sgpr, 0
	.set _ZN7rocprim17ROCPRIM_400000_NS6detail17trampoline_kernelINS0_14default_configENS1_35radix_sort_onesweep_config_selectorIiNS0_10empty_typeEEEZNS1_34radix_sort_onesweep_global_offsetsIS3_Lb0EN6thrust23THRUST_200600_302600_NS6detail15normal_iteratorINS9_10device_ptrIiEEEEPS5_jNS0_19identity_decomposerEEE10hipError_tT1_T2_PT3_SK_jT4_jjP12ihipStream_tbEUlT_E0_NS1_11comp_targetILNS1_3genE10ELNS1_11target_archE1201ELNS1_3gpuE5ELNS1_3repE0EEENS1_52radix_sort_onesweep_histogram_config_static_selectorELNS0_4arch9wavefront6targetE1EEEvSI_.num_named_barrier, 0
	.set _ZN7rocprim17ROCPRIM_400000_NS6detail17trampoline_kernelINS0_14default_configENS1_35radix_sort_onesweep_config_selectorIiNS0_10empty_typeEEEZNS1_34radix_sort_onesweep_global_offsetsIS3_Lb0EN6thrust23THRUST_200600_302600_NS6detail15normal_iteratorINS9_10device_ptrIiEEEEPS5_jNS0_19identity_decomposerEEE10hipError_tT1_T2_PT3_SK_jT4_jjP12ihipStream_tbEUlT_E0_NS1_11comp_targetILNS1_3genE10ELNS1_11target_archE1201ELNS1_3gpuE5ELNS1_3repE0EEENS1_52radix_sort_onesweep_histogram_config_static_selectorELNS0_4arch9wavefront6targetE1EEEvSI_.private_seg_size, 0
	.set _ZN7rocprim17ROCPRIM_400000_NS6detail17trampoline_kernelINS0_14default_configENS1_35radix_sort_onesweep_config_selectorIiNS0_10empty_typeEEEZNS1_34radix_sort_onesweep_global_offsetsIS3_Lb0EN6thrust23THRUST_200600_302600_NS6detail15normal_iteratorINS9_10device_ptrIiEEEEPS5_jNS0_19identity_decomposerEEE10hipError_tT1_T2_PT3_SK_jT4_jjP12ihipStream_tbEUlT_E0_NS1_11comp_targetILNS1_3genE10ELNS1_11target_archE1201ELNS1_3gpuE5ELNS1_3repE0EEENS1_52radix_sort_onesweep_histogram_config_static_selectorELNS0_4arch9wavefront6targetE1EEEvSI_.uses_vcc, 0
	.set _ZN7rocprim17ROCPRIM_400000_NS6detail17trampoline_kernelINS0_14default_configENS1_35radix_sort_onesweep_config_selectorIiNS0_10empty_typeEEEZNS1_34radix_sort_onesweep_global_offsetsIS3_Lb0EN6thrust23THRUST_200600_302600_NS6detail15normal_iteratorINS9_10device_ptrIiEEEEPS5_jNS0_19identity_decomposerEEE10hipError_tT1_T2_PT3_SK_jT4_jjP12ihipStream_tbEUlT_E0_NS1_11comp_targetILNS1_3genE10ELNS1_11target_archE1201ELNS1_3gpuE5ELNS1_3repE0EEENS1_52radix_sort_onesweep_histogram_config_static_selectorELNS0_4arch9wavefront6targetE1EEEvSI_.uses_flat_scratch, 0
	.set _ZN7rocprim17ROCPRIM_400000_NS6detail17trampoline_kernelINS0_14default_configENS1_35radix_sort_onesweep_config_selectorIiNS0_10empty_typeEEEZNS1_34radix_sort_onesweep_global_offsetsIS3_Lb0EN6thrust23THRUST_200600_302600_NS6detail15normal_iteratorINS9_10device_ptrIiEEEEPS5_jNS0_19identity_decomposerEEE10hipError_tT1_T2_PT3_SK_jT4_jjP12ihipStream_tbEUlT_E0_NS1_11comp_targetILNS1_3genE10ELNS1_11target_archE1201ELNS1_3gpuE5ELNS1_3repE0EEENS1_52radix_sort_onesweep_histogram_config_static_selectorELNS0_4arch9wavefront6targetE1EEEvSI_.has_dyn_sized_stack, 0
	.set _ZN7rocprim17ROCPRIM_400000_NS6detail17trampoline_kernelINS0_14default_configENS1_35radix_sort_onesweep_config_selectorIiNS0_10empty_typeEEEZNS1_34radix_sort_onesweep_global_offsetsIS3_Lb0EN6thrust23THRUST_200600_302600_NS6detail15normal_iteratorINS9_10device_ptrIiEEEEPS5_jNS0_19identity_decomposerEEE10hipError_tT1_T2_PT3_SK_jT4_jjP12ihipStream_tbEUlT_E0_NS1_11comp_targetILNS1_3genE10ELNS1_11target_archE1201ELNS1_3gpuE5ELNS1_3repE0EEENS1_52radix_sort_onesweep_histogram_config_static_selectorELNS0_4arch9wavefront6targetE1EEEvSI_.has_recursion, 0
	.set _ZN7rocprim17ROCPRIM_400000_NS6detail17trampoline_kernelINS0_14default_configENS1_35radix_sort_onesweep_config_selectorIiNS0_10empty_typeEEEZNS1_34radix_sort_onesweep_global_offsetsIS3_Lb0EN6thrust23THRUST_200600_302600_NS6detail15normal_iteratorINS9_10device_ptrIiEEEEPS5_jNS0_19identity_decomposerEEE10hipError_tT1_T2_PT3_SK_jT4_jjP12ihipStream_tbEUlT_E0_NS1_11comp_targetILNS1_3genE10ELNS1_11target_archE1201ELNS1_3gpuE5ELNS1_3repE0EEENS1_52radix_sort_onesweep_histogram_config_static_selectorELNS0_4arch9wavefront6targetE1EEEvSI_.has_indirect_call, 0
	.section	.AMDGPU.csdata,"",@progbits
; Kernel info:
; codeLenInByte = 0
; TotalNumSgprs: 6
; NumVgprs: 0
; NumAgprs: 0
; TotalNumVgprs: 0
; ScratchSize: 0
; MemoryBound: 0
; FloatMode: 240
; IeeeMode: 1
; LDSByteSize: 0 bytes/workgroup (compile time only)
; SGPRBlocks: 0
; VGPRBlocks: 0
; NumSGPRsForWavesPerEU: 6
; NumVGPRsForWavesPerEU: 1
; AccumOffset: 4
; Occupancy: 8
; WaveLimiterHint : 0
; COMPUTE_PGM_RSRC2:SCRATCH_EN: 0
; COMPUTE_PGM_RSRC2:USER_SGPR: 2
; COMPUTE_PGM_RSRC2:TRAP_HANDLER: 0
; COMPUTE_PGM_RSRC2:TGID_X_EN: 1
; COMPUTE_PGM_RSRC2:TGID_Y_EN: 0
; COMPUTE_PGM_RSRC2:TGID_Z_EN: 0
; COMPUTE_PGM_RSRC2:TIDIG_COMP_CNT: 0
; COMPUTE_PGM_RSRC3_GFX90A:ACCUM_OFFSET: 0
; COMPUTE_PGM_RSRC3_GFX90A:TG_SPLIT: 0
	.section	.text._ZN7rocprim17ROCPRIM_400000_NS6detail17trampoline_kernelINS0_14default_configENS1_35radix_sort_onesweep_config_selectorIiNS0_10empty_typeEEEZNS1_34radix_sort_onesweep_global_offsetsIS3_Lb0EN6thrust23THRUST_200600_302600_NS6detail15normal_iteratorINS9_10device_ptrIiEEEEPS5_jNS0_19identity_decomposerEEE10hipError_tT1_T2_PT3_SK_jT4_jjP12ihipStream_tbEUlT_E0_NS1_11comp_targetILNS1_3genE9ELNS1_11target_archE1100ELNS1_3gpuE3ELNS1_3repE0EEENS1_52radix_sort_onesweep_histogram_config_static_selectorELNS0_4arch9wavefront6targetE1EEEvSI_,"axG",@progbits,_ZN7rocprim17ROCPRIM_400000_NS6detail17trampoline_kernelINS0_14default_configENS1_35radix_sort_onesweep_config_selectorIiNS0_10empty_typeEEEZNS1_34radix_sort_onesweep_global_offsetsIS3_Lb0EN6thrust23THRUST_200600_302600_NS6detail15normal_iteratorINS9_10device_ptrIiEEEEPS5_jNS0_19identity_decomposerEEE10hipError_tT1_T2_PT3_SK_jT4_jjP12ihipStream_tbEUlT_E0_NS1_11comp_targetILNS1_3genE9ELNS1_11target_archE1100ELNS1_3gpuE3ELNS1_3repE0EEENS1_52radix_sort_onesweep_histogram_config_static_selectorELNS0_4arch9wavefront6targetE1EEEvSI_,comdat
	.protected	_ZN7rocprim17ROCPRIM_400000_NS6detail17trampoline_kernelINS0_14default_configENS1_35radix_sort_onesweep_config_selectorIiNS0_10empty_typeEEEZNS1_34radix_sort_onesweep_global_offsetsIS3_Lb0EN6thrust23THRUST_200600_302600_NS6detail15normal_iteratorINS9_10device_ptrIiEEEEPS5_jNS0_19identity_decomposerEEE10hipError_tT1_T2_PT3_SK_jT4_jjP12ihipStream_tbEUlT_E0_NS1_11comp_targetILNS1_3genE9ELNS1_11target_archE1100ELNS1_3gpuE3ELNS1_3repE0EEENS1_52radix_sort_onesweep_histogram_config_static_selectorELNS0_4arch9wavefront6targetE1EEEvSI_ ; -- Begin function _ZN7rocprim17ROCPRIM_400000_NS6detail17trampoline_kernelINS0_14default_configENS1_35radix_sort_onesweep_config_selectorIiNS0_10empty_typeEEEZNS1_34radix_sort_onesweep_global_offsetsIS3_Lb0EN6thrust23THRUST_200600_302600_NS6detail15normal_iteratorINS9_10device_ptrIiEEEEPS5_jNS0_19identity_decomposerEEE10hipError_tT1_T2_PT3_SK_jT4_jjP12ihipStream_tbEUlT_E0_NS1_11comp_targetILNS1_3genE9ELNS1_11target_archE1100ELNS1_3gpuE3ELNS1_3repE0EEENS1_52radix_sort_onesweep_histogram_config_static_selectorELNS0_4arch9wavefront6targetE1EEEvSI_
	.globl	_ZN7rocprim17ROCPRIM_400000_NS6detail17trampoline_kernelINS0_14default_configENS1_35radix_sort_onesweep_config_selectorIiNS0_10empty_typeEEEZNS1_34radix_sort_onesweep_global_offsetsIS3_Lb0EN6thrust23THRUST_200600_302600_NS6detail15normal_iteratorINS9_10device_ptrIiEEEEPS5_jNS0_19identity_decomposerEEE10hipError_tT1_T2_PT3_SK_jT4_jjP12ihipStream_tbEUlT_E0_NS1_11comp_targetILNS1_3genE9ELNS1_11target_archE1100ELNS1_3gpuE3ELNS1_3repE0EEENS1_52radix_sort_onesweep_histogram_config_static_selectorELNS0_4arch9wavefront6targetE1EEEvSI_
	.p2align	8
	.type	_ZN7rocprim17ROCPRIM_400000_NS6detail17trampoline_kernelINS0_14default_configENS1_35radix_sort_onesweep_config_selectorIiNS0_10empty_typeEEEZNS1_34radix_sort_onesweep_global_offsetsIS3_Lb0EN6thrust23THRUST_200600_302600_NS6detail15normal_iteratorINS9_10device_ptrIiEEEEPS5_jNS0_19identity_decomposerEEE10hipError_tT1_T2_PT3_SK_jT4_jjP12ihipStream_tbEUlT_E0_NS1_11comp_targetILNS1_3genE9ELNS1_11target_archE1100ELNS1_3gpuE3ELNS1_3repE0EEENS1_52radix_sort_onesweep_histogram_config_static_selectorELNS0_4arch9wavefront6targetE1EEEvSI_,@function
_ZN7rocprim17ROCPRIM_400000_NS6detail17trampoline_kernelINS0_14default_configENS1_35radix_sort_onesweep_config_selectorIiNS0_10empty_typeEEEZNS1_34radix_sort_onesweep_global_offsetsIS3_Lb0EN6thrust23THRUST_200600_302600_NS6detail15normal_iteratorINS9_10device_ptrIiEEEEPS5_jNS0_19identity_decomposerEEE10hipError_tT1_T2_PT3_SK_jT4_jjP12ihipStream_tbEUlT_E0_NS1_11comp_targetILNS1_3genE9ELNS1_11target_archE1100ELNS1_3gpuE3ELNS1_3repE0EEENS1_52radix_sort_onesweep_histogram_config_static_selectorELNS0_4arch9wavefront6targetE1EEEvSI_: ; @_ZN7rocprim17ROCPRIM_400000_NS6detail17trampoline_kernelINS0_14default_configENS1_35radix_sort_onesweep_config_selectorIiNS0_10empty_typeEEEZNS1_34radix_sort_onesweep_global_offsetsIS3_Lb0EN6thrust23THRUST_200600_302600_NS6detail15normal_iteratorINS9_10device_ptrIiEEEEPS5_jNS0_19identity_decomposerEEE10hipError_tT1_T2_PT3_SK_jT4_jjP12ihipStream_tbEUlT_E0_NS1_11comp_targetILNS1_3genE9ELNS1_11target_archE1100ELNS1_3gpuE3ELNS1_3repE0EEENS1_52radix_sort_onesweep_histogram_config_static_selectorELNS0_4arch9wavefront6targetE1EEEvSI_
; %bb.0:
	.section	.rodata,"a",@progbits
	.p2align	6, 0x0
	.amdhsa_kernel _ZN7rocprim17ROCPRIM_400000_NS6detail17trampoline_kernelINS0_14default_configENS1_35radix_sort_onesweep_config_selectorIiNS0_10empty_typeEEEZNS1_34radix_sort_onesweep_global_offsetsIS3_Lb0EN6thrust23THRUST_200600_302600_NS6detail15normal_iteratorINS9_10device_ptrIiEEEEPS5_jNS0_19identity_decomposerEEE10hipError_tT1_T2_PT3_SK_jT4_jjP12ihipStream_tbEUlT_E0_NS1_11comp_targetILNS1_3genE9ELNS1_11target_archE1100ELNS1_3gpuE3ELNS1_3repE0EEENS1_52radix_sort_onesweep_histogram_config_static_selectorELNS0_4arch9wavefront6targetE1EEEvSI_
		.amdhsa_group_segment_fixed_size 0
		.amdhsa_private_segment_fixed_size 0
		.amdhsa_kernarg_size 8
		.amdhsa_user_sgpr_count 2
		.amdhsa_user_sgpr_dispatch_ptr 0
		.amdhsa_user_sgpr_queue_ptr 0
		.amdhsa_user_sgpr_kernarg_segment_ptr 1
		.amdhsa_user_sgpr_dispatch_id 0
		.amdhsa_user_sgpr_kernarg_preload_length 0
		.amdhsa_user_sgpr_kernarg_preload_offset 0
		.amdhsa_user_sgpr_private_segment_size 0
		.amdhsa_uses_dynamic_stack 0
		.amdhsa_enable_private_segment 0
		.amdhsa_system_sgpr_workgroup_id_x 1
		.amdhsa_system_sgpr_workgroup_id_y 0
		.amdhsa_system_sgpr_workgroup_id_z 0
		.amdhsa_system_sgpr_workgroup_info 0
		.amdhsa_system_vgpr_workitem_id 0
		.amdhsa_next_free_vgpr 1
		.amdhsa_next_free_sgpr 0
		.amdhsa_accum_offset 4
		.amdhsa_reserve_vcc 0
		.amdhsa_float_round_mode_32 0
		.amdhsa_float_round_mode_16_64 0
		.amdhsa_float_denorm_mode_32 3
		.amdhsa_float_denorm_mode_16_64 3
		.amdhsa_dx10_clamp 1
		.amdhsa_ieee_mode 1
		.amdhsa_fp16_overflow 0
		.amdhsa_tg_split 0
		.amdhsa_exception_fp_ieee_invalid_op 0
		.amdhsa_exception_fp_denorm_src 0
		.amdhsa_exception_fp_ieee_div_zero 0
		.amdhsa_exception_fp_ieee_overflow 0
		.amdhsa_exception_fp_ieee_underflow 0
		.amdhsa_exception_fp_ieee_inexact 0
		.amdhsa_exception_int_div_zero 0
	.end_amdhsa_kernel
	.section	.text._ZN7rocprim17ROCPRIM_400000_NS6detail17trampoline_kernelINS0_14default_configENS1_35radix_sort_onesweep_config_selectorIiNS0_10empty_typeEEEZNS1_34radix_sort_onesweep_global_offsetsIS3_Lb0EN6thrust23THRUST_200600_302600_NS6detail15normal_iteratorINS9_10device_ptrIiEEEEPS5_jNS0_19identity_decomposerEEE10hipError_tT1_T2_PT3_SK_jT4_jjP12ihipStream_tbEUlT_E0_NS1_11comp_targetILNS1_3genE9ELNS1_11target_archE1100ELNS1_3gpuE3ELNS1_3repE0EEENS1_52radix_sort_onesweep_histogram_config_static_selectorELNS0_4arch9wavefront6targetE1EEEvSI_,"axG",@progbits,_ZN7rocprim17ROCPRIM_400000_NS6detail17trampoline_kernelINS0_14default_configENS1_35radix_sort_onesweep_config_selectorIiNS0_10empty_typeEEEZNS1_34radix_sort_onesweep_global_offsetsIS3_Lb0EN6thrust23THRUST_200600_302600_NS6detail15normal_iteratorINS9_10device_ptrIiEEEEPS5_jNS0_19identity_decomposerEEE10hipError_tT1_T2_PT3_SK_jT4_jjP12ihipStream_tbEUlT_E0_NS1_11comp_targetILNS1_3genE9ELNS1_11target_archE1100ELNS1_3gpuE3ELNS1_3repE0EEENS1_52radix_sort_onesweep_histogram_config_static_selectorELNS0_4arch9wavefront6targetE1EEEvSI_,comdat
.Lfunc_end148:
	.size	_ZN7rocprim17ROCPRIM_400000_NS6detail17trampoline_kernelINS0_14default_configENS1_35radix_sort_onesweep_config_selectorIiNS0_10empty_typeEEEZNS1_34radix_sort_onesweep_global_offsetsIS3_Lb0EN6thrust23THRUST_200600_302600_NS6detail15normal_iteratorINS9_10device_ptrIiEEEEPS5_jNS0_19identity_decomposerEEE10hipError_tT1_T2_PT3_SK_jT4_jjP12ihipStream_tbEUlT_E0_NS1_11comp_targetILNS1_3genE9ELNS1_11target_archE1100ELNS1_3gpuE3ELNS1_3repE0EEENS1_52radix_sort_onesweep_histogram_config_static_selectorELNS0_4arch9wavefront6targetE1EEEvSI_, .Lfunc_end148-_ZN7rocprim17ROCPRIM_400000_NS6detail17trampoline_kernelINS0_14default_configENS1_35radix_sort_onesweep_config_selectorIiNS0_10empty_typeEEEZNS1_34radix_sort_onesweep_global_offsetsIS3_Lb0EN6thrust23THRUST_200600_302600_NS6detail15normal_iteratorINS9_10device_ptrIiEEEEPS5_jNS0_19identity_decomposerEEE10hipError_tT1_T2_PT3_SK_jT4_jjP12ihipStream_tbEUlT_E0_NS1_11comp_targetILNS1_3genE9ELNS1_11target_archE1100ELNS1_3gpuE3ELNS1_3repE0EEENS1_52radix_sort_onesweep_histogram_config_static_selectorELNS0_4arch9wavefront6targetE1EEEvSI_
                                        ; -- End function
	.set _ZN7rocprim17ROCPRIM_400000_NS6detail17trampoline_kernelINS0_14default_configENS1_35radix_sort_onesweep_config_selectorIiNS0_10empty_typeEEEZNS1_34radix_sort_onesweep_global_offsetsIS3_Lb0EN6thrust23THRUST_200600_302600_NS6detail15normal_iteratorINS9_10device_ptrIiEEEEPS5_jNS0_19identity_decomposerEEE10hipError_tT1_T2_PT3_SK_jT4_jjP12ihipStream_tbEUlT_E0_NS1_11comp_targetILNS1_3genE9ELNS1_11target_archE1100ELNS1_3gpuE3ELNS1_3repE0EEENS1_52radix_sort_onesweep_histogram_config_static_selectorELNS0_4arch9wavefront6targetE1EEEvSI_.num_vgpr, 0
	.set _ZN7rocprim17ROCPRIM_400000_NS6detail17trampoline_kernelINS0_14default_configENS1_35radix_sort_onesweep_config_selectorIiNS0_10empty_typeEEEZNS1_34radix_sort_onesweep_global_offsetsIS3_Lb0EN6thrust23THRUST_200600_302600_NS6detail15normal_iteratorINS9_10device_ptrIiEEEEPS5_jNS0_19identity_decomposerEEE10hipError_tT1_T2_PT3_SK_jT4_jjP12ihipStream_tbEUlT_E0_NS1_11comp_targetILNS1_3genE9ELNS1_11target_archE1100ELNS1_3gpuE3ELNS1_3repE0EEENS1_52radix_sort_onesweep_histogram_config_static_selectorELNS0_4arch9wavefront6targetE1EEEvSI_.num_agpr, 0
	.set _ZN7rocprim17ROCPRIM_400000_NS6detail17trampoline_kernelINS0_14default_configENS1_35radix_sort_onesweep_config_selectorIiNS0_10empty_typeEEEZNS1_34radix_sort_onesweep_global_offsetsIS3_Lb0EN6thrust23THRUST_200600_302600_NS6detail15normal_iteratorINS9_10device_ptrIiEEEEPS5_jNS0_19identity_decomposerEEE10hipError_tT1_T2_PT3_SK_jT4_jjP12ihipStream_tbEUlT_E0_NS1_11comp_targetILNS1_3genE9ELNS1_11target_archE1100ELNS1_3gpuE3ELNS1_3repE0EEENS1_52radix_sort_onesweep_histogram_config_static_selectorELNS0_4arch9wavefront6targetE1EEEvSI_.numbered_sgpr, 0
	.set _ZN7rocprim17ROCPRIM_400000_NS6detail17trampoline_kernelINS0_14default_configENS1_35radix_sort_onesweep_config_selectorIiNS0_10empty_typeEEEZNS1_34radix_sort_onesweep_global_offsetsIS3_Lb0EN6thrust23THRUST_200600_302600_NS6detail15normal_iteratorINS9_10device_ptrIiEEEEPS5_jNS0_19identity_decomposerEEE10hipError_tT1_T2_PT3_SK_jT4_jjP12ihipStream_tbEUlT_E0_NS1_11comp_targetILNS1_3genE9ELNS1_11target_archE1100ELNS1_3gpuE3ELNS1_3repE0EEENS1_52radix_sort_onesweep_histogram_config_static_selectorELNS0_4arch9wavefront6targetE1EEEvSI_.num_named_barrier, 0
	.set _ZN7rocprim17ROCPRIM_400000_NS6detail17trampoline_kernelINS0_14default_configENS1_35radix_sort_onesweep_config_selectorIiNS0_10empty_typeEEEZNS1_34radix_sort_onesweep_global_offsetsIS3_Lb0EN6thrust23THRUST_200600_302600_NS6detail15normal_iteratorINS9_10device_ptrIiEEEEPS5_jNS0_19identity_decomposerEEE10hipError_tT1_T2_PT3_SK_jT4_jjP12ihipStream_tbEUlT_E0_NS1_11comp_targetILNS1_3genE9ELNS1_11target_archE1100ELNS1_3gpuE3ELNS1_3repE0EEENS1_52radix_sort_onesweep_histogram_config_static_selectorELNS0_4arch9wavefront6targetE1EEEvSI_.private_seg_size, 0
	.set _ZN7rocprim17ROCPRIM_400000_NS6detail17trampoline_kernelINS0_14default_configENS1_35radix_sort_onesweep_config_selectorIiNS0_10empty_typeEEEZNS1_34radix_sort_onesweep_global_offsetsIS3_Lb0EN6thrust23THRUST_200600_302600_NS6detail15normal_iteratorINS9_10device_ptrIiEEEEPS5_jNS0_19identity_decomposerEEE10hipError_tT1_T2_PT3_SK_jT4_jjP12ihipStream_tbEUlT_E0_NS1_11comp_targetILNS1_3genE9ELNS1_11target_archE1100ELNS1_3gpuE3ELNS1_3repE0EEENS1_52radix_sort_onesweep_histogram_config_static_selectorELNS0_4arch9wavefront6targetE1EEEvSI_.uses_vcc, 0
	.set _ZN7rocprim17ROCPRIM_400000_NS6detail17trampoline_kernelINS0_14default_configENS1_35radix_sort_onesweep_config_selectorIiNS0_10empty_typeEEEZNS1_34radix_sort_onesweep_global_offsetsIS3_Lb0EN6thrust23THRUST_200600_302600_NS6detail15normal_iteratorINS9_10device_ptrIiEEEEPS5_jNS0_19identity_decomposerEEE10hipError_tT1_T2_PT3_SK_jT4_jjP12ihipStream_tbEUlT_E0_NS1_11comp_targetILNS1_3genE9ELNS1_11target_archE1100ELNS1_3gpuE3ELNS1_3repE0EEENS1_52radix_sort_onesweep_histogram_config_static_selectorELNS0_4arch9wavefront6targetE1EEEvSI_.uses_flat_scratch, 0
	.set _ZN7rocprim17ROCPRIM_400000_NS6detail17trampoline_kernelINS0_14default_configENS1_35radix_sort_onesweep_config_selectorIiNS0_10empty_typeEEEZNS1_34radix_sort_onesweep_global_offsetsIS3_Lb0EN6thrust23THRUST_200600_302600_NS6detail15normal_iteratorINS9_10device_ptrIiEEEEPS5_jNS0_19identity_decomposerEEE10hipError_tT1_T2_PT3_SK_jT4_jjP12ihipStream_tbEUlT_E0_NS1_11comp_targetILNS1_3genE9ELNS1_11target_archE1100ELNS1_3gpuE3ELNS1_3repE0EEENS1_52radix_sort_onesweep_histogram_config_static_selectorELNS0_4arch9wavefront6targetE1EEEvSI_.has_dyn_sized_stack, 0
	.set _ZN7rocprim17ROCPRIM_400000_NS6detail17trampoline_kernelINS0_14default_configENS1_35radix_sort_onesweep_config_selectorIiNS0_10empty_typeEEEZNS1_34radix_sort_onesweep_global_offsetsIS3_Lb0EN6thrust23THRUST_200600_302600_NS6detail15normal_iteratorINS9_10device_ptrIiEEEEPS5_jNS0_19identity_decomposerEEE10hipError_tT1_T2_PT3_SK_jT4_jjP12ihipStream_tbEUlT_E0_NS1_11comp_targetILNS1_3genE9ELNS1_11target_archE1100ELNS1_3gpuE3ELNS1_3repE0EEENS1_52radix_sort_onesweep_histogram_config_static_selectorELNS0_4arch9wavefront6targetE1EEEvSI_.has_recursion, 0
	.set _ZN7rocprim17ROCPRIM_400000_NS6detail17trampoline_kernelINS0_14default_configENS1_35radix_sort_onesweep_config_selectorIiNS0_10empty_typeEEEZNS1_34radix_sort_onesweep_global_offsetsIS3_Lb0EN6thrust23THRUST_200600_302600_NS6detail15normal_iteratorINS9_10device_ptrIiEEEEPS5_jNS0_19identity_decomposerEEE10hipError_tT1_T2_PT3_SK_jT4_jjP12ihipStream_tbEUlT_E0_NS1_11comp_targetILNS1_3genE9ELNS1_11target_archE1100ELNS1_3gpuE3ELNS1_3repE0EEENS1_52radix_sort_onesweep_histogram_config_static_selectorELNS0_4arch9wavefront6targetE1EEEvSI_.has_indirect_call, 0
	.section	.AMDGPU.csdata,"",@progbits
; Kernel info:
; codeLenInByte = 0
; TotalNumSgprs: 6
; NumVgprs: 0
; NumAgprs: 0
; TotalNumVgprs: 0
; ScratchSize: 0
; MemoryBound: 0
; FloatMode: 240
; IeeeMode: 1
; LDSByteSize: 0 bytes/workgroup (compile time only)
; SGPRBlocks: 0
; VGPRBlocks: 0
; NumSGPRsForWavesPerEU: 6
; NumVGPRsForWavesPerEU: 1
; AccumOffset: 4
; Occupancy: 8
; WaveLimiterHint : 0
; COMPUTE_PGM_RSRC2:SCRATCH_EN: 0
; COMPUTE_PGM_RSRC2:USER_SGPR: 2
; COMPUTE_PGM_RSRC2:TRAP_HANDLER: 0
; COMPUTE_PGM_RSRC2:TGID_X_EN: 1
; COMPUTE_PGM_RSRC2:TGID_Y_EN: 0
; COMPUTE_PGM_RSRC2:TGID_Z_EN: 0
; COMPUTE_PGM_RSRC2:TIDIG_COMP_CNT: 0
; COMPUTE_PGM_RSRC3_GFX90A:ACCUM_OFFSET: 0
; COMPUTE_PGM_RSRC3_GFX90A:TG_SPLIT: 0
	.section	.text._ZN7rocprim17ROCPRIM_400000_NS6detail17trampoline_kernelINS0_14default_configENS1_35radix_sort_onesweep_config_selectorIiNS0_10empty_typeEEEZNS1_34radix_sort_onesweep_global_offsetsIS3_Lb0EN6thrust23THRUST_200600_302600_NS6detail15normal_iteratorINS9_10device_ptrIiEEEEPS5_jNS0_19identity_decomposerEEE10hipError_tT1_T2_PT3_SK_jT4_jjP12ihipStream_tbEUlT_E0_NS1_11comp_targetILNS1_3genE8ELNS1_11target_archE1030ELNS1_3gpuE2ELNS1_3repE0EEENS1_52radix_sort_onesweep_histogram_config_static_selectorELNS0_4arch9wavefront6targetE1EEEvSI_,"axG",@progbits,_ZN7rocprim17ROCPRIM_400000_NS6detail17trampoline_kernelINS0_14default_configENS1_35radix_sort_onesweep_config_selectorIiNS0_10empty_typeEEEZNS1_34radix_sort_onesweep_global_offsetsIS3_Lb0EN6thrust23THRUST_200600_302600_NS6detail15normal_iteratorINS9_10device_ptrIiEEEEPS5_jNS0_19identity_decomposerEEE10hipError_tT1_T2_PT3_SK_jT4_jjP12ihipStream_tbEUlT_E0_NS1_11comp_targetILNS1_3genE8ELNS1_11target_archE1030ELNS1_3gpuE2ELNS1_3repE0EEENS1_52radix_sort_onesweep_histogram_config_static_selectorELNS0_4arch9wavefront6targetE1EEEvSI_,comdat
	.protected	_ZN7rocprim17ROCPRIM_400000_NS6detail17trampoline_kernelINS0_14default_configENS1_35radix_sort_onesweep_config_selectorIiNS0_10empty_typeEEEZNS1_34radix_sort_onesweep_global_offsetsIS3_Lb0EN6thrust23THRUST_200600_302600_NS6detail15normal_iteratorINS9_10device_ptrIiEEEEPS5_jNS0_19identity_decomposerEEE10hipError_tT1_T2_PT3_SK_jT4_jjP12ihipStream_tbEUlT_E0_NS1_11comp_targetILNS1_3genE8ELNS1_11target_archE1030ELNS1_3gpuE2ELNS1_3repE0EEENS1_52radix_sort_onesweep_histogram_config_static_selectorELNS0_4arch9wavefront6targetE1EEEvSI_ ; -- Begin function _ZN7rocprim17ROCPRIM_400000_NS6detail17trampoline_kernelINS0_14default_configENS1_35radix_sort_onesweep_config_selectorIiNS0_10empty_typeEEEZNS1_34radix_sort_onesweep_global_offsetsIS3_Lb0EN6thrust23THRUST_200600_302600_NS6detail15normal_iteratorINS9_10device_ptrIiEEEEPS5_jNS0_19identity_decomposerEEE10hipError_tT1_T2_PT3_SK_jT4_jjP12ihipStream_tbEUlT_E0_NS1_11comp_targetILNS1_3genE8ELNS1_11target_archE1030ELNS1_3gpuE2ELNS1_3repE0EEENS1_52radix_sort_onesweep_histogram_config_static_selectorELNS0_4arch9wavefront6targetE1EEEvSI_
	.globl	_ZN7rocprim17ROCPRIM_400000_NS6detail17trampoline_kernelINS0_14default_configENS1_35radix_sort_onesweep_config_selectorIiNS0_10empty_typeEEEZNS1_34radix_sort_onesweep_global_offsetsIS3_Lb0EN6thrust23THRUST_200600_302600_NS6detail15normal_iteratorINS9_10device_ptrIiEEEEPS5_jNS0_19identity_decomposerEEE10hipError_tT1_T2_PT3_SK_jT4_jjP12ihipStream_tbEUlT_E0_NS1_11comp_targetILNS1_3genE8ELNS1_11target_archE1030ELNS1_3gpuE2ELNS1_3repE0EEENS1_52radix_sort_onesweep_histogram_config_static_selectorELNS0_4arch9wavefront6targetE1EEEvSI_
	.p2align	8
	.type	_ZN7rocprim17ROCPRIM_400000_NS6detail17trampoline_kernelINS0_14default_configENS1_35radix_sort_onesweep_config_selectorIiNS0_10empty_typeEEEZNS1_34radix_sort_onesweep_global_offsetsIS3_Lb0EN6thrust23THRUST_200600_302600_NS6detail15normal_iteratorINS9_10device_ptrIiEEEEPS5_jNS0_19identity_decomposerEEE10hipError_tT1_T2_PT3_SK_jT4_jjP12ihipStream_tbEUlT_E0_NS1_11comp_targetILNS1_3genE8ELNS1_11target_archE1030ELNS1_3gpuE2ELNS1_3repE0EEENS1_52radix_sort_onesweep_histogram_config_static_selectorELNS0_4arch9wavefront6targetE1EEEvSI_,@function
_ZN7rocprim17ROCPRIM_400000_NS6detail17trampoline_kernelINS0_14default_configENS1_35radix_sort_onesweep_config_selectorIiNS0_10empty_typeEEEZNS1_34radix_sort_onesweep_global_offsetsIS3_Lb0EN6thrust23THRUST_200600_302600_NS6detail15normal_iteratorINS9_10device_ptrIiEEEEPS5_jNS0_19identity_decomposerEEE10hipError_tT1_T2_PT3_SK_jT4_jjP12ihipStream_tbEUlT_E0_NS1_11comp_targetILNS1_3genE8ELNS1_11target_archE1030ELNS1_3gpuE2ELNS1_3repE0EEENS1_52radix_sort_onesweep_histogram_config_static_selectorELNS0_4arch9wavefront6targetE1EEEvSI_: ; @_ZN7rocprim17ROCPRIM_400000_NS6detail17trampoline_kernelINS0_14default_configENS1_35radix_sort_onesweep_config_selectorIiNS0_10empty_typeEEEZNS1_34radix_sort_onesweep_global_offsetsIS3_Lb0EN6thrust23THRUST_200600_302600_NS6detail15normal_iteratorINS9_10device_ptrIiEEEEPS5_jNS0_19identity_decomposerEEE10hipError_tT1_T2_PT3_SK_jT4_jjP12ihipStream_tbEUlT_E0_NS1_11comp_targetILNS1_3genE8ELNS1_11target_archE1030ELNS1_3gpuE2ELNS1_3repE0EEENS1_52radix_sort_onesweep_histogram_config_static_selectorELNS0_4arch9wavefront6targetE1EEEvSI_
; %bb.0:
	.section	.rodata,"a",@progbits
	.p2align	6, 0x0
	.amdhsa_kernel _ZN7rocprim17ROCPRIM_400000_NS6detail17trampoline_kernelINS0_14default_configENS1_35radix_sort_onesweep_config_selectorIiNS0_10empty_typeEEEZNS1_34radix_sort_onesweep_global_offsetsIS3_Lb0EN6thrust23THRUST_200600_302600_NS6detail15normal_iteratorINS9_10device_ptrIiEEEEPS5_jNS0_19identity_decomposerEEE10hipError_tT1_T2_PT3_SK_jT4_jjP12ihipStream_tbEUlT_E0_NS1_11comp_targetILNS1_3genE8ELNS1_11target_archE1030ELNS1_3gpuE2ELNS1_3repE0EEENS1_52radix_sort_onesweep_histogram_config_static_selectorELNS0_4arch9wavefront6targetE1EEEvSI_
		.amdhsa_group_segment_fixed_size 0
		.amdhsa_private_segment_fixed_size 0
		.amdhsa_kernarg_size 8
		.amdhsa_user_sgpr_count 2
		.amdhsa_user_sgpr_dispatch_ptr 0
		.amdhsa_user_sgpr_queue_ptr 0
		.amdhsa_user_sgpr_kernarg_segment_ptr 1
		.amdhsa_user_sgpr_dispatch_id 0
		.amdhsa_user_sgpr_kernarg_preload_length 0
		.amdhsa_user_sgpr_kernarg_preload_offset 0
		.amdhsa_user_sgpr_private_segment_size 0
		.amdhsa_uses_dynamic_stack 0
		.amdhsa_enable_private_segment 0
		.amdhsa_system_sgpr_workgroup_id_x 1
		.amdhsa_system_sgpr_workgroup_id_y 0
		.amdhsa_system_sgpr_workgroup_id_z 0
		.amdhsa_system_sgpr_workgroup_info 0
		.amdhsa_system_vgpr_workitem_id 0
		.amdhsa_next_free_vgpr 1
		.amdhsa_next_free_sgpr 0
		.amdhsa_accum_offset 4
		.amdhsa_reserve_vcc 0
		.amdhsa_float_round_mode_32 0
		.amdhsa_float_round_mode_16_64 0
		.amdhsa_float_denorm_mode_32 3
		.amdhsa_float_denorm_mode_16_64 3
		.amdhsa_dx10_clamp 1
		.amdhsa_ieee_mode 1
		.amdhsa_fp16_overflow 0
		.amdhsa_tg_split 0
		.amdhsa_exception_fp_ieee_invalid_op 0
		.amdhsa_exception_fp_denorm_src 0
		.amdhsa_exception_fp_ieee_div_zero 0
		.amdhsa_exception_fp_ieee_overflow 0
		.amdhsa_exception_fp_ieee_underflow 0
		.amdhsa_exception_fp_ieee_inexact 0
		.amdhsa_exception_int_div_zero 0
	.end_amdhsa_kernel
	.section	.text._ZN7rocprim17ROCPRIM_400000_NS6detail17trampoline_kernelINS0_14default_configENS1_35radix_sort_onesweep_config_selectorIiNS0_10empty_typeEEEZNS1_34radix_sort_onesweep_global_offsetsIS3_Lb0EN6thrust23THRUST_200600_302600_NS6detail15normal_iteratorINS9_10device_ptrIiEEEEPS5_jNS0_19identity_decomposerEEE10hipError_tT1_T2_PT3_SK_jT4_jjP12ihipStream_tbEUlT_E0_NS1_11comp_targetILNS1_3genE8ELNS1_11target_archE1030ELNS1_3gpuE2ELNS1_3repE0EEENS1_52radix_sort_onesweep_histogram_config_static_selectorELNS0_4arch9wavefront6targetE1EEEvSI_,"axG",@progbits,_ZN7rocprim17ROCPRIM_400000_NS6detail17trampoline_kernelINS0_14default_configENS1_35radix_sort_onesweep_config_selectorIiNS0_10empty_typeEEEZNS1_34radix_sort_onesweep_global_offsetsIS3_Lb0EN6thrust23THRUST_200600_302600_NS6detail15normal_iteratorINS9_10device_ptrIiEEEEPS5_jNS0_19identity_decomposerEEE10hipError_tT1_T2_PT3_SK_jT4_jjP12ihipStream_tbEUlT_E0_NS1_11comp_targetILNS1_3genE8ELNS1_11target_archE1030ELNS1_3gpuE2ELNS1_3repE0EEENS1_52radix_sort_onesweep_histogram_config_static_selectorELNS0_4arch9wavefront6targetE1EEEvSI_,comdat
.Lfunc_end149:
	.size	_ZN7rocprim17ROCPRIM_400000_NS6detail17trampoline_kernelINS0_14default_configENS1_35radix_sort_onesweep_config_selectorIiNS0_10empty_typeEEEZNS1_34radix_sort_onesweep_global_offsetsIS3_Lb0EN6thrust23THRUST_200600_302600_NS6detail15normal_iteratorINS9_10device_ptrIiEEEEPS5_jNS0_19identity_decomposerEEE10hipError_tT1_T2_PT3_SK_jT4_jjP12ihipStream_tbEUlT_E0_NS1_11comp_targetILNS1_3genE8ELNS1_11target_archE1030ELNS1_3gpuE2ELNS1_3repE0EEENS1_52radix_sort_onesweep_histogram_config_static_selectorELNS0_4arch9wavefront6targetE1EEEvSI_, .Lfunc_end149-_ZN7rocprim17ROCPRIM_400000_NS6detail17trampoline_kernelINS0_14default_configENS1_35radix_sort_onesweep_config_selectorIiNS0_10empty_typeEEEZNS1_34radix_sort_onesweep_global_offsetsIS3_Lb0EN6thrust23THRUST_200600_302600_NS6detail15normal_iteratorINS9_10device_ptrIiEEEEPS5_jNS0_19identity_decomposerEEE10hipError_tT1_T2_PT3_SK_jT4_jjP12ihipStream_tbEUlT_E0_NS1_11comp_targetILNS1_3genE8ELNS1_11target_archE1030ELNS1_3gpuE2ELNS1_3repE0EEENS1_52radix_sort_onesweep_histogram_config_static_selectorELNS0_4arch9wavefront6targetE1EEEvSI_
                                        ; -- End function
	.set _ZN7rocprim17ROCPRIM_400000_NS6detail17trampoline_kernelINS0_14default_configENS1_35radix_sort_onesweep_config_selectorIiNS0_10empty_typeEEEZNS1_34radix_sort_onesweep_global_offsetsIS3_Lb0EN6thrust23THRUST_200600_302600_NS6detail15normal_iteratorINS9_10device_ptrIiEEEEPS5_jNS0_19identity_decomposerEEE10hipError_tT1_T2_PT3_SK_jT4_jjP12ihipStream_tbEUlT_E0_NS1_11comp_targetILNS1_3genE8ELNS1_11target_archE1030ELNS1_3gpuE2ELNS1_3repE0EEENS1_52radix_sort_onesweep_histogram_config_static_selectorELNS0_4arch9wavefront6targetE1EEEvSI_.num_vgpr, 0
	.set _ZN7rocprim17ROCPRIM_400000_NS6detail17trampoline_kernelINS0_14default_configENS1_35radix_sort_onesweep_config_selectorIiNS0_10empty_typeEEEZNS1_34radix_sort_onesweep_global_offsetsIS3_Lb0EN6thrust23THRUST_200600_302600_NS6detail15normal_iteratorINS9_10device_ptrIiEEEEPS5_jNS0_19identity_decomposerEEE10hipError_tT1_T2_PT3_SK_jT4_jjP12ihipStream_tbEUlT_E0_NS1_11comp_targetILNS1_3genE8ELNS1_11target_archE1030ELNS1_3gpuE2ELNS1_3repE0EEENS1_52radix_sort_onesweep_histogram_config_static_selectorELNS0_4arch9wavefront6targetE1EEEvSI_.num_agpr, 0
	.set _ZN7rocprim17ROCPRIM_400000_NS6detail17trampoline_kernelINS0_14default_configENS1_35radix_sort_onesweep_config_selectorIiNS0_10empty_typeEEEZNS1_34radix_sort_onesweep_global_offsetsIS3_Lb0EN6thrust23THRUST_200600_302600_NS6detail15normal_iteratorINS9_10device_ptrIiEEEEPS5_jNS0_19identity_decomposerEEE10hipError_tT1_T2_PT3_SK_jT4_jjP12ihipStream_tbEUlT_E0_NS1_11comp_targetILNS1_3genE8ELNS1_11target_archE1030ELNS1_3gpuE2ELNS1_3repE0EEENS1_52radix_sort_onesweep_histogram_config_static_selectorELNS0_4arch9wavefront6targetE1EEEvSI_.numbered_sgpr, 0
	.set _ZN7rocprim17ROCPRIM_400000_NS6detail17trampoline_kernelINS0_14default_configENS1_35radix_sort_onesweep_config_selectorIiNS0_10empty_typeEEEZNS1_34radix_sort_onesweep_global_offsetsIS3_Lb0EN6thrust23THRUST_200600_302600_NS6detail15normal_iteratorINS9_10device_ptrIiEEEEPS5_jNS0_19identity_decomposerEEE10hipError_tT1_T2_PT3_SK_jT4_jjP12ihipStream_tbEUlT_E0_NS1_11comp_targetILNS1_3genE8ELNS1_11target_archE1030ELNS1_3gpuE2ELNS1_3repE0EEENS1_52radix_sort_onesweep_histogram_config_static_selectorELNS0_4arch9wavefront6targetE1EEEvSI_.num_named_barrier, 0
	.set _ZN7rocprim17ROCPRIM_400000_NS6detail17trampoline_kernelINS0_14default_configENS1_35radix_sort_onesweep_config_selectorIiNS0_10empty_typeEEEZNS1_34radix_sort_onesweep_global_offsetsIS3_Lb0EN6thrust23THRUST_200600_302600_NS6detail15normal_iteratorINS9_10device_ptrIiEEEEPS5_jNS0_19identity_decomposerEEE10hipError_tT1_T2_PT3_SK_jT4_jjP12ihipStream_tbEUlT_E0_NS1_11comp_targetILNS1_3genE8ELNS1_11target_archE1030ELNS1_3gpuE2ELNS1_3repE0EEENS1_52radix_sort_onesweep_histogram_config_static_selectorELNS0_4arch9wavefront6targetE1EEEvSI_.private_seg_size, 0
	.set _ZN7rocprim17ROCPRIM_400000_NS6detail17trampoline_kernelINS0_14default_configENS1_35radix_sort_onesweep_config_selectorIiNS0_10empty_typeEEEZNS1_34radix_sort_onesweep_global_offsetsIS3_Lb0EN6thrust23THRUST_200600_302600_NS6detail15normal_iteratorINS9_10device_ptrIiEEEEPS5_jNS0_19identity_decomposerEEE10hipError_tT1_T2_PT3_SK_jT4_jjP12ihipStream_tbEUlT_E0_NS1_11comp_targetILNS1_3genE8ELNS1_11target_archE1030ELNS1_3gpuE2ELNS1_3repE0EEENS1_52radix_sort_onesweep_histogram_config_static_selectorELNS0_4arch9wavefront6targetE1EEEvSI_.uses_vcc, 0
	.set _ZN7rocprim17ROCPRIM_400000_NS6detail17trampoline_kernelINS0_14default_configENS1_35radix_sort_onesweep_config_selectorIiNS0_10empty_typeEEEZNS1_34radix_sort_onesweep_global_offsetsIS3_Lb0EN6thrust23THRUST_200600_302600_NS6detail15normal_iteratorINS9_10device_ptrIiEEEEPS5_jNS0_19identity_decomposerEEE10hipError_tT1_T2_PT3_SK_jT4_jjP12ihipStream_tbEUlT_E0_NS1_11comp_targetILNS1_3genE8ELNS1_11target_archE1030ELNS1_3gpuE2ELNS1_3repE0EEENS1_52radix_sort_onesweep_histogram_config_static_selectorELNS0_4arch9wavefront6targetE1EEEvSI_.uses_flat_scratch, 0
	.set _ZN7rocprim17ROCPRIM_400000_NS6detail17trampoline_kernelINS0_14default_configENS1_35radix_sort_onesweep_config_selectorIiNS0_10empty_typeEEEZNS1_34radix_sort_onesweep_global_offsetsIS3_Lb0EN6thrust23THRUST_200600_302600_NS6detail15normal_iteratorINS9_10device_ptrIiEEEEPS5_jNS0_19identity_decomposerEEE10hipError_tT1_T2_PT3_SK_jT4_jjP12ihipStream_tbEUlT_E0_NS1_11comp_targetILNS1_3genE8ELNS1_11target_archE1030ELNS1_3gpuE2ELNS1_3repE0EEENS1_52radix_sort_onesweep_histogram_config_static_selectorELNS0_4arch9wavefront6targetE1EEEvSI_.has_dyn_sized_stack, 0
	.set _ZN7rocprim17ROCPRIM_400000_NS6detail17trampoline_kernelINS0_14default_configENS1_35radix_sort_onesweep_config_selectorIiNS0_10empty_typeEEEZNS1_34radix_sort_onesweep_global_offsetsIS3_Lb0EN6thrust23THRUST_200600_302600_NS6detail15normal_iteratorINS9_10device_ptrIiEEEEPS5_jNS0_19identity_decomposerEEE10hipError_tT1_T2_PT3_SK_jT4_jjP12ihipStream_tbEUlT_E0_NS1_11comp_targetILNS1_3genE8ELNS1_11target_archE1030ELNS1_3gpuE2ELNS1_3repE0EEENS1_52radix_sort_onesweep_histogram_config_static_selectorELNS0_4arch9wavefront6targetE1EEEvSI_.has_recursion, 0
	.set _ZN7rocprim17ROCPRIM_400000_NS6detail17trampoline_kernelINS0_14default_configENS1_35radix_sort_onesweep_config_selectorIiNS0_10empty_typeEEEZNS1_34radix_sort_onesweep_global_offsetsIS3_Lb0EN6thrust23THRUST_200600_302600_NS6detail15normal_iteratorINS9_10device_ptrIiEEEEPS5_jNS0_19identity_decomposerEEE10hipError_tT1_T2_PT3_SK_jT4_jjP12ihipStream_tbEUlT_E0_NS1_11comp_targetILNS1_3genE8ELNS1_11target_archE1030ELNS1_3gpuE2ELNS1_3repE0EEENS1_52radix_sort_onesweep_histogram_config_static_selectorELNS0_4arch9wavefront6targetE1EEEvSI_.has_indirect_call, 0
	.section	.AMDGPU.csdata,"",@progbits
; Kernel info:
; codeLenInByte = 0
; TotalNumSgprs: 6
; NumVgprs: 0
; NumAgprs: 0
; TotalNumVgprs: 0
; ScratchSize: 0
; MemoryBound: 0
; FloatMode: 240
; IeeeMode: 1
; LDSByteSize: 0 bytes/workgroup (compile time only)
; SGPRBlocks: 0
; VGPRBlocks: 0
; NumSGPRsForWavesPerEU: 6
; NumVGPRsForWavesPerEU: 1
; AccumOffset: 4
; Occupancy: 8
; WaveLimiterHint : 0
; COMPUTE_PGM_RSRC2:SCRATCH_EN: 0
; COMPUTE_PGM_RSRC2:USER_SGPR: 2
; COMPUTE_PGM_RSRC2:TRAP_HANDLER: 0
; COMPUTE_PGM_RSRC2:TGID_X_EN: 1
; COMPUTE_PGM_RSRC2:TGID_Y_EN: 0
; COMPUTE_PGM_RSRC2:TGID_Z_EN: 0
; COMPUTE_PGM_RSRC2:TIDIG_COMP_CNT: 0
; COMPUTE_PGM_RSRC3_GFX90A:ACCUM_OFFSET: 0
; COMPUTE_PGM_RSRC3_GFX90A:TG_SPLIT: 0
	.section	.text._ZN7rocprim17ROCPRIM_400000_NS6detail17trampoline_kernelINS0_14default_configENS1_25transform_config_selectorIiLb0EEEZNS1_14transform_implILb0ES3_S5_N6thrust23THRUST_200600_302600_NS6detail15normal_iteratorINS8_10device_ptrIiEEEEPiNS0_8identityIiEEEE10hipError_tT2_T3_mT4_P12ihipStream_tbEUlT_E_NS1_11comp_targetILNS1_3genE0ELNS1_11target_archE4294967295ELNS1_3gpuE0ELNS1_3repE0EEENS1_30default_config_static_selectorELNS0_4arch9wavefront6targetE1EEEvT1_,"axG",@progbits,_ZN7rocprim17ROCPRIM_400000_NS6detail17trampoline_kernelINS0_14default_configENS1_25transform_config_selectorIiLb0EEEZNS1_14transform_implILb0ES3_S5_N6thrust23THRUST_200600_302600_NS6detail15normal_iteratorINS8_10device_ptrIiEEEEPiNS0_8identityIiEEEE10hipError_tT2_T3_mT4_P12ihipStream_tbEUlT_E_NS1_11comp_targetILNS1_3genE0ELNS1_11target_archE4294967295ELNS1_3gpuE0ELNS1_3repE0EEENS1_30default_config_static_selectorELNS0_4arch9wavefront6targetE1EEEvT1_,comdat
	.protected	_ZN7rocprim17ROCPRIM_400000_NS6detail17trampoline_kernelINS0_14default_configENS1_25transform_config_selectorIiLb0EEEZNS1_14transform_implILb0ES3_S5_N6thrust23THRUST_200600_302600_NS6detail15normal_iteratorINS8_10device_ptrIiEEEEPiNS0_8identityIiEEEE10hipError_tT2_T3_mT4_P12ihipStream_tbEUlT_E_NS1_11comp_targetILNS1_3genE0ELNS1_11target_archE4294967295ELNS1_3gpuE0ELNS1_3repE0EEENS1_30default_config_static_selectorELNS0_4arch9wavefront6targetE1EEEvT1_ ; -- Begin function _ZN7rocprim17ROCPRIM_400000_NS6detail17trampoline_kernelINS0_14default_configENS1_25transform_config_selectorIiLb0EEEZNS1_14transform_implILb0ES3_S5_N6thrust23THRUST_200600_302600_NS6detail15normal_iteratorINS8_10device_ptrIiEEEEPiNS0_8identityIiEEEE10hipError_tT2_T3_mT4_P12ihipStream_tbEUlT_E_NS1_11comp_targetILNS1_3genE0ELNS1_11target_archE4294967295ELNS1_3gpuE0ELNS1_3repE0EEENS1_30default_config_static_selectorELNS0_4arch9wavefront6targetE1EEEvT1_
	.globl	_ZN7rocprim17ROCPRIM_400000_NS6detail17trampoline_kernelINS0_14default_configENS1_25transform_config_selectorIiLb0EEEZNS1_14transform_implILb0ES3_S5_N6thrust23THRUST_200600_302600_NS6detail15normal_iteratorINS8_10device_ptrIiEEEEPiNS0_8identityIiEEEE10hipError_tT2_T3_mT4_P12ihipStream_tbEUlT_E_NS1_11comp_targetILNS1_3genE0ELNS1_11target_archE4294967295ELNS1_3gpuE0ELNS1_3repE0EEENS1_30default_config_static_selectorELNS0_4arch9wavefront6targetE1EEEvT1_
	.p2align	8
	.type	_ZN7rocprim17ROCPRIM_400000_NS6detail17trampoline_kernelINS0_14default_configENS1_25transform_config_selectorIiLb0EEEZNS1_14transform_implILb0ES3_S5_N6thrust23THRUST_200600_302600_NS6detail15normal_iteratorINS8_10device_ptrIiEEEEPiNS0_8identityIiEEEE10hipError_tT2_T3_mT4_P12ihipStream_tbEUlT_E_NS1_11comp_targetILNS1_3genE0ELNS1_11target_archE4294967295ELNS1_3gpuE0ELNS1_3repE0EEENS1_30default_config_static_selectorELNS0_4arch9wavefront6targetE1EEEvT1_,@function
_ZN7rocprim17ROCPRIM_400000_NS6detail17trampoline_kernelINS0_14default_configENS1_25transform_config_selectorIiLb0EEEZNS1_14transform_implILb0ES3_S5_N6thrust23THRUST_200600_302600_NS6detail15normal_iteratorINS8_10device_ptrIiEEEEPiNS0_8identityIiEEEE10hipError_tT2_T3_mT4_P12ihipStream_tbEUlT_E_NS1_11comp_targetILNS1_3genE0ELNS1_11target_archE4294967295ELNS1_3gpuE0ELNS1_3repE0EEENS1_30default_config_static_selectorELNS0_4arch9wavefront6targetE1EEEvT1_: ; @_ZN7rocprim17ROCPRIM_400000_NS6detail17trampoline_kernelINS0_14default_configENS1_25transform_config_selectorIiLb0EEEZNS1_14transform_implILb0ES3_S5_N6thrust23THRUST_200600_302600_NS6detail15normal_iteratorINS8_10device_ptrIiEEEEPiNS0_8identityIiEEEE10hipError_tT2_T3_mT4_P12ihipStream_tbEUlT_E_NS1_11comp_targetILNS1_3genE0ELNS1_11target_archE4294967295ELNS1_3gpuE0ELNS1_3repE0EEENS1_30default_config_static_selectorELNS0_4arch9wavefront6targetE1EEEvT1_
; %bb.0:
	s_load_dwordx8 s[4:11], s[0:1], 0x0
	s_load_dword s3, s[0:1], 0x28
	s_waitcnt lgkmcnt(0)
	s_lshl_b64 s[0:1], s[6:7], 2
	s_add_u32 s4, s4, s0
	s_addc_u32 s5, s5, s1
	s_add_u32 s9, s10, s0
	s_addc_u32 s12, s11, s1
	s_lshl_b32 s0, s2, 8
	s_mov_b32 s1, 0
	s_add_i32 s3, s3, -1
	s_lshl_b64 s[6:7], s[0:1], 2
	s_add_u32 s10, s4, s6
	s_addc_u32 s11, s5, s7
	s_cmp_lg_u32 s2, s3
	s_cbranch_scc0 .LBB150_2
; %bb.1:
	v_lshlrev_b32_e32 v2, 2, v0
	v_mov_b32_e32 v3, 0
	v_lshl_add_u64 v[4:5], s[10:11], 0, v[2:3]
	flat_load_dword v6, v[4:5]
	flat_load_dword v1, v[4:5] offset:512
	s_add_u32 s4, s9, s6
	s_addc_u32 s5, s12, s7
	v_lshl_add_u64 v[4:5], s[4:5], 0, v[2:3]
	s_waitcnt vmcnt(0) lgkmcnt(0)
	global_store_dword v2, v6, s[4:5]
	s_mov_b64 s[4:5], -1
	s_cbranch_execz .LBB150_3
	s_branch .LBB150_12
.LBB150_2:
	s_mov_b64 s[4:5], 0
                                        ; implicit-def: $vgpr1
                                        ; implicit-def: $vgpr4_vgpr5
.LBB150_3:
	s_sub_i32 s2, s8, s0
	v_mov_b32_e32 v2, 0
	v_cmp_gt_u32_e32 vcc, s2, v0
	v_mov_b32_e32 v3, v2
	s_and_saveexec_b64 s[0:1], vcc
	s_cbranch_execz .LBB150_5
; %bb.4:
	v_lshlrev_b32_e32 v4, 2, v0
	v_mov_b32_e32 v5, v2
	v_lshl_add_u64 v[4:5], s[10:11], 0, v[4:5]
	flat_load_dword v4, v[4:5]
	v_mov_b32_e32 v5, v2
	s_waitcnt vmcnt(0) lgkmcnt(0)
	v_mov_b64_e32 v[2:3], v[4:5]
.LBB150_5:
	s_or_b64 exec, exec, s[0:1]
	v_or_b32_e32 v1, 0x80, v0
	v_cmp_gt_u32_e64 s[0:1], s2, v1
	v_cmp_le_u32_e64 s[2:3], s2, v1
	s_and_saveexec_b64 s[14:15], s[2:3]
	s_xor_b64 s[2:3], exec, s[14:15]
	s_andn2_saveexec_b64 s[2:3], s[2:3]
	s_cbranch_execz .LBB150_7
; %bb.6:
	v_lshlrev_b32_e32 v4, 2, v0
	v_mov_b32_e32 v5, 0
	v_lshl_add_u64 v[4:5], s[10:11], 0, v[4:5]
	flat_load_dword v3, v[4:5] offset:512
.LBB150_7:
	s_or_b64 exec, exec, s[2:3]
	s_add_u32 s2, s9, s6
	v_mov_b32_e32 v5, 0
	s_addc_u32 s3, s12, s7
	v_lshlrev_b32_e32 v4, 2, v0
	v_cndmask_b32_e32 v1, 0, v2, vcc
	v_lshl_add_u64 v[4:5], s[2:3], 0, v[4:5]
	s_and_saveexec_b64 s[2:3], vcc
	s_cbranch_execz .LBB150_9
; %bb.8:
	global_store_dword v[4:5], v1, off
.LBB150_9:
	s_or_b64 exec, exec, s[2:3]
                                        ; implicit-def: $vgpr1
	s_and_saveexec_b64 s[2:3], s[0:1]
	s_cbranch_execz .LBB150_11
; %bb.10:
	s_waitcnt vmcnt(0) lgkmcnt(0)
	v_cndmask_b32_e64 v1, 0, v3, s[0:1]
	s_or_b64 s[4:5], s[4:5], exec
.LBB150_11:
	s_or_b64 exec, exec, s[2:3]
.LBB150_12:
	s_and_saveexec_b64 s[0:1], s[4:5]
	s_cbranch_execnz .LBB150_14
; %bb.13:
	s_endpgm
.LBB150_14:
	global_store_dword v[4:5], v1, off offset:512
	s_endpgm
	.section	.rodata,"a",@progbits
	.p2align	6, 0x0
	.amdhsa_kernel _ZN7rocprim17ROCPRIM_400000_NS6detail17trampoline_kernelINS0_14default_configENS1_25transform_config_selectorIiLb0EEEZNS1_14transform_implILb0ES3_S5_N6thrust23THRUST_200600_302600_NS6detail15normal_iteratorINS8_10device_ptrIiEEEEPiNS0_8identityIiEEEE10hipError_tT2_T3_mT4_P12ihipStream_tbEUlT_E_NS1_11comp_targetILNS1_3genE0ELNS1_11target_archE4294967295ELNS1_3gpuE0ELNS1_3repE0EEENS1_30default_config_static_selectorELNS0_4arch9wavefront6targetE1EEEvT1_
		.amdhsa_group_segment_fixed_size 0
		.amdhsa_private_segment_fixed_size 0
		.amdhsa_kernarg_size 296
		.amdhsa_user_sgpr_count 2
		.amdhsa_user_sgpr_dispatch_ptr 0
		.amdhsa_user_sgpr_queue_ptr 0
		.amdhsa_user_sgpr_kernarg_segment_ptr 1
		.amdhsa_user_sgpr_dispatch_id 0
		.amdhsa_user_sgpr_kernarg_preload_length 0
		.amdhsa_user_sgpr_kernarg_preload_offset 0
		.amdhsa_user_sgpr_private_segment_size 0
		.amdhsa_uses_dynamic_stack 0
		.amdhsa_enable_private_segment 0
		.amdhsa_system_sgpr_workgroup_id_x 1
		.amdhsa_system_sgpr_workgroup_id_y 0
		.amdhsa_system_sgpr_workgroup_id_z 0
		.amdhsa_system_sgpr_workgroup_info 0
		.amdhsa_system_vgpr_workitem_id 0
		.amdhsa_next_free_vgpr 7
		.amdhsa_next_free_sgpr 16
		.amdhsa_accum_offset 8
		.amdhsa_reserve_vcc 1
		.amdhsa_float_round_mode_32 0
		.amdhsa_float_round_mode_16_64 0
		.amdhsa_float_denorm_mode_32 3
		.amdhsa_float_denorm_mode_16_64 3
		.amdhsa_dx10_clamp 1
		.amdhsa_ieee_mode 1
		.amdhsa_fp16_overflow 0
		.amdhsa_tg_split 0
		.amdhsa_exception_fp_ieee_invalid_op 0
		.amdhsa_exception_fp_denorm_src 0
		.amdhsa_exception_fp_ieee_div_zero 0
		.amdhsa_exception_fp_ieee_overflow 0
		.amdhsa_exception_fp_ieee_underflow 0
		.amdhsa_exception_fp_ieee_inexact 0
		.amdhsa_exception_int_div_zero 0
	.end_amdhsa_kernel
	.section	.text._ZN7rocprim17ROCPRIM_400000_NS6detail17trampoline_kernelINS0_14default_configENS1_25transform_config_selectorIiLb0EEEZNS1_14transform_implILb0ES3_S5_N6thrust23THRUST_200600_302600_NS6detail15normal_iteratorINS8_10device_ptrIiEEEEPiNS0_8identityIiEEEE10hipError_tT2_T3_mT4_P12ihipStream_tbEUlT_E_NS1_11comp_targetILNS1_3genE0ELNS1_11target_archE4294967295ELNS1_3gpuE0ELNS1_3repE0EEENS1_30default_config_static_selectorELNS0_4arch9wavefront6targetE1EEEvT1_,"axG",@progbits,_ZN7rocprim17ROCPRIM_400000_NS6detail17trampoline_kernelINS0_14default_configENS1_25transform_config_selectorIiLb0EEEZNS1_14transform_implILb0ES3_S5_N6thrust23THRUST_200600_302600_NS6detail15normal_iteratorINS8_10device_ptrIiEEEEPiNS0_8identityIiEEEE10hipError_tT2_T3_mT4_P12ihipStream_tbEUlT_E_NS1_11comp_targetILNS1_3genE0ELNS1_11target_archE4294967295ELNS1_3gpuE0ELNS1_3repE0EEENS1_30default_config_static_selectorELNS0_4arch9wavefront6targetE1EEEvT1_,comdat
.Lfunc_end150:
	.size	_ZN7rocprim17ROCPRIM_400000_NS6detail17trampoline_kernelINS0_14default_configENS1_25transform_config_selectorIiLb0EEEZNS1_14transform_implILb0ES3_S5_N6thrust23THRUST_200600_302600_NS6detail15normal_iteratorINS8_10device_ptrIiEEEEPiNS0_8identityIiEEEE10hipError_tT2_T3_mT4_P12ihipStream_tbEUlT_E_NS1_11comp_targetILNS1_3genE0ELNS1_11target_archE4294967295ELNS1_3gpuE0ELNS1_3repE0EEENS1_30default_config_static_selectorELNS0_4arch9wavefront6targetE1EEEvT1_, .Lfunc_end150-_ZN7rocprim17ROCPRIM_400000_NS6detail17trampoline_kernelINS0_14default_configENS1_25transform_config_selectorIiLb0EEEZNS1_14transform_implILb0ES3_S5_N6thrust23THRUST_200600_302600_NS6detail15normal_iteratorINS8_10device_ptrIiEEEEPiNS0_8identityIiEEEE10hipError_tT2_T3_mT4_P12ihipStream_tbEUlT_E_NS1_11comp_targetILNS1_3genE0ELNS1_11target_archE4294967295ELNS1_3gpuE0ELNS1_3repE0EEENS1_30default_config_static_selectorELNS0_4arch9wavefront6targetE1EEEvT1_
                                        ; -- End function
	.set _ZN7rocprim17ROCPRIM_400000_NS6detail17trampoline_kernelINS0_14default_configENS1_25transform_config_selectorIiLb0EEEZNS1_14transform_implILb0ES3_S5_N6thrust23THRUST_200600_302600_NS6detail15normal_iteratorINS8_10device_ptrIiEEEEPiNS0_8identityIiEEEE10hipError_tT2_T3_mT4_P12ihipStream_tbEUlT_E_NS1_11comp_targetILNS1_3genE0ELNS1_11target_archE4294967295ELNS1_3gpuE0ELNS1_3repE0EEENS1_30default_config_static_selectorELNS0_4arch9wavefront6targetE1EEEvT1_.num_vgpr, 7
	.set _ZN7rocprim17ROCPRIM_400000_NS6detail17trampoline_kernelINS0_14default_configENS1_25transform_config_selectorIiLb0EEEZNS1_14transform_implILb0ES3_S5_N6thrust23THRUST_200600_302600_NS6detail15normal_iteratorINS8_10device_ptrIiEEEEPiNS0_8identityIiEEEE10hipError_tT2_T3_mT4_P12ihipStream_tbEUlT_E_NS1_11comp_targetILNS1_3genE0ELNS1_11target_archE4294967295ELNS1_3gpuE0ELNS1_3repE0EEENS1_30default_config_static_selectorELNS0_4arch9wavefront6targetE1EEEvT1_.num_agpr, 0
	.set _ZN7rocprim17ROCPRIM_400000_NS6detail17trampoline_kernelINS0_14default_configENS1_25transform_config_selectorIiLb0EEEZNS1_14transform_implILb0ES3_S5_N6thrust23THRUST_200600_302600_NS6detail15normal_iteratorINS8_10device_ptrIiEEEEPiNS0_8identityIiEEEE10hipError_tT2_T3_mT4_P12ihipStream_tbEUlT_E_NS1_11comp_targetILNS1_3genE0ELNS1_11target_archE4294967295ELNS1_3gpuE0ELNS1_3repE0EEENS1_30default_config_static_selectorELNS0_4arch9wavefront6targetE1EEEvT1_.numbered_sgpr, 16
	.set _ZN7rocprim17ROCPRIM_400000_NS6detail17trampoline_kernelINS0_14default_configENS1_25transform_config_selectorIiLb0EEEZNS1_14transform_implILb0ES3_S5_N6thrust23THRUST_200600_302600_NS6detail15normal_iteratorINS8_10device_ptrIiEEEEPiNS0_8identityIiEEEE10hipError_tT2_T3_mT4_P12ihipStream_tbEUlT_E_NS1_11comp_targetILNS1_3genE0ELNS1_11target_archE4294967295ELNS1_3gpuE0ELNS1_3repE0EEENS1_30default_config_static_selectorELNS0_4arch9wavefront6targetE1EEEvT1_.num_named_barrier, 0
	.set _ZN7rocprim17ROCPRIM_400000_NS6detail17trampoline_kernelINS0_14default_configENS1_25transform_config_selectorIiLb0EEEZNS1_14transform_implILb0ES3_S5_N6thrust23THRUST_200600_302600_NS6detail15normal_iteratorINS8_10device_ptrIiEEEEPiNS0_8identityIiEEEE10hipError_tT2_T3_mT4_P12ihipStream_tbEUlT_E_NS1_11comp_targetILNS1_3genE0ELNS1_11target_archE4294967295ELNS1_3gpuE0ELNS1_3repE0EEENS1_30default_config_static_selectorELNS0_4arch9wavefront6targetE1EEEvT1_.private_seg_size, 0
	.set _ZN7rocprim17ROCPRIM_400000_NS6detail17trampoline_kernelINS0_14default_configENS1_25transform_config_selectorIiLb0EEEZNS1_14transform_implILb0ES3_S5_N6thrust23THRUST_200600_302600_NS6detail15normal_iteratorINS8_10device_ptrIiEEEEPiNS0_8identityIiEEEE10hipError_tT2_T3_mT4_P12ihipStream_tbEUlT_E_NS1_11comp_targetILNS1_3genE0ELNS1_11target_archE4294967295ELNS1_3gpuE0ELNS1_3repE0EEENS1_30default_config_static_selectorELNS0_4arch9wavefront6targetE1EEEvT1_.uses_vcc, 1
	.set _ZN7rocprim17ROCPRIM_400000_NS6detail17trampoline_kernelINS0_14default_configENS1_25transform_config_selectorIiLb0EEEZNS1_14transform_implILb0ES3_S5_N6thrust23THRUST_200600_302600_NS6detail15normal_iteratorINS8_10device_ptrIiEEEEPiNS0_8identityIiEEEE10hipError_tT2_T3_mT4_P12ihipStream_tbEUlT_E_NS1_11comp_targetILNS1_3genE0ELNS1_11target_archE4294967295ELNS1_3gpuE0ELNS1_3repE0EEENS1_30default_config_static_selectorELNS0_4arch9wavefront6targetE1EEEvT1_.uses_flat_scratch, 0
	.set _ZN7rocprim17ROCPRIM_400000_NS6detail17trampoline_kernelINS0_14default_configENS1_25transform_config_selectorIiLb0EEEZNS1_14transform_implILb0ES3_S5_N6thrust23THRUST_200600_302600_NS6detail15normal_iteratorINS8_10device_ptrIiEEEEPiNS0_8identityIiEEEE10hipError_tT2_T3_mT4_P12ihipStream_tbEUlT_E_NS1_11comp_targetILNS1_3genE0ELNS1_11target_archE4294967295ELNS1_3gpuE0ELNS1_3repE0EEENS1_30default_config_static_selectorELNS0_4arch9wavefront6targetE1EEEvT1_.has_dyn_sized_stack, 0
	.set _ZN7rocprim17ROCPRIM_400000_NS6detail17trampoline_kernelINS0_14default_configENS1_25transform_config_selectorIiLb0EEEZNS1_14transform_implILb0ES3_S5_N6thrust23THRUST_200600_302600_NS6detail15normal_iteratorINS8_10device_ptrIiEEEEPiNS0_8identityIiEEEE10hipError_tT2_T3_mT4_P12ihipStream_tbEUlT_E_NS1_11comp_targetILNS1_3genE0ELNS1_11target_archE4294967295ELNS1_3gpuE0ELNS1_3repE0EEENS1_30default_config_static_selectorELNS0_4arch9wavefront6targetE1EEEvT1_.has_recursion, 0
	.set _ZN7rocprim17ROCPRIM_400000_NS6detail17trampoline_kernelINS0_14default_configENS1_25transform_config_selectorIiLb0EEEZNS1_14transform_implILb0ES3_S5_N6thrust23THRUST_200600_302600_NS6detail15normal_iteratorINS8_10device_ptrIiEEEEPiNS0_8identityIiEEEE10hipError_tT2_T3_mT4_P12ihipStream_tbEUlT_E_NS1_11comp_targetILNS1_3genE0ELNS1_11target_archE4294967295ELNS1_3gpuE0ELNS1_3repE0EEENS1_30default_config_static_selectorELNS0_4arch9wavefront6targetE1EEEvT1_.has_indirect_call, 0
	.section	.AMDGPU.csdata,"",@progbits
; Kernel info:
; codeLenInByte = 380
; TotalNumSgprs: 22
; NumVgprs: 7
; NumAgprs: 0
; TotalNumVgprs: 7
; ScratchSize: 0
; MemoryBound: 0
; FloatMode: 240
; IeeeMode: 1
; LDSByteSize: 0 bytes/workgroup (compile time only)
; SGPRBlocks: 2
; VGPRBlocks: 0
; NumSGPRsForWavesPerEU: 22
; NumVGPRsForWavesPerEU: 7
; AccumOffset: 8
; Occupancy: 8
; WaveLimiterHint : 1
; COMPUTE_PGM_RSRC2:SCRATCH_EN: 0
; COMPUTE_PGM_RSRC2:USER_SGPR: 2
; COMPUTE_PGM_RSRC2:TRAP_HANDLER: 0
; COMPUTE_PGM_RSRC2:TGID_X_EN: 1
; COMPUTE_PGM_RSRC2:TGID_Y_EN: 0
; COMPUTE_PGM_RSRC2:TGID_Z_EN: 0
; COMPUTE_PGM_RSRC2:TIDIG_COMP_CNT: 0
; COMPUTE_PGM_RSRC3_GFX90A:ACCUM_OFFSET: 1
; COMPUTE_PGM_RSRC3_GFX90A:TG_SPLIT: 0
	.section	.text._ZN7rocprim17ROCPRIM_400000_NS6detail17trampoline_kernelINS0_14default_configENS1_25transform_config_selectorIiLb0EEEZNS1_14transform_implILb0ES3_S5_N6thrust23THRUST_200600_302600_NS6detail15normal_iteratorINS8_10device_ptrIiEEEEPiNS0_8identityIiEEEE10hipError_tT2_T3_mT4_P12ihipStream_tbEUlT_E_NS1_11comp_targetILNS1_3genE5ELNS1_11target_archE942ELNS1_3gpuE9ELNS1_3repE0EEENS1_30default_config_static_selectorELNS0_4arch9wavefront6targetE1EEEvT1_,"axG",@progbits,_ZN7rocprim17ROCPRIM_400000_NS6detail17trampoline_kernelINS0_14default_configENS1_25transform_config_selectorIiLb0EEEZNS1_14transform_implILb0ES3_S5_N6thrust23THRUST_200600_302600_NS6detail15normal_iteratorINS8_10device_ptrIiEEEEPiNS0_8identityIiEEEE10hipError_tT2_T3_mT4_P12ihipStream_tbEUlT_E_NS1_11comp_targetILNS1_3genE5ELNS1_11target_archE942ELNS1_3gpuE9ELNS1_3repE0EEENS1_30default_config_static_selectorELNS0_4arch9wavefront6targetE1EEEvT1_,comdat
	.protected	_ZN7rocprim17ROCPRIM_400000_NS6detail17trampoline_kernelINS0_14default_configENS1_25transform_config_selectorIiLb0EEEZNS1_14transform_implILb0ES3_S5_N6thrust23THRUST_200600_302600_NS6detail15normal_iteratorINS8_10device_ptrIiEEEEPiNS0_8identityIiEEEE10hipError_tT2_T3_mT4_P12ihipStream_tbEUlT_E_NS1_11comp_targetILNS1_3genE5ELNS1_11target_archE942ELNS1_3gpuE9ELNS1_3repE0EEENS1_30default_config_static_selectorELNS0_4arch9wavefront6targetE1EEEvT1_ ; -- Begin function _ZN7rocprim17ROCPRIM_400000_NS6detail17trampoline_kernelINS0_14default_configENS1_25transform_config_selectorIiLb0EEEZNS1_14transform_implILb0ES3_S5_N6thrust23THRUST_200600_302600_NS6detail15normal_iteratorINS8_10device_ptrIiEEEEPiNS0_8identityIiEEEE10hipError_tT2_T3_mT4_P12ihipStream_tbEUlT_E_NS1_11comp_targetILNS1_3genE5ELNS1_11target_archE942ELNS1_3gpuE9ELNS1_3repE0EEENS1_30default_config_static_selectorELNS0_4arch9wavefront6targetE1EEEvT1_
	.globl	_ZN7rocprim17ROCPRIM_400000_NS6detail17trampoline_kernelINS0_14default_configENS1_25transform_config_selectorIiLb0EEEZNS1_14transform_implILb0ES3_S5_N6thrust23THRUST_200600_302600_NS6detail15normal_iteratorINS8_10device_ptrIiEEEEPiNS0_8identityIiEEEE10hipError_tT2_T3_mT4_P12ihipStream_tbEUlT_E_NS1_11comp_targetILNS1_3genE5ELNS1_11target_archE942ELNS1_3gpuE9ELNS1_3repE0EEENS1_30default_config_static_selectorELNS0_4arch9wavefront6targetE1EEEvT1_
	.p2align	8
	.type	_ZN7rocprim17ROCPRIM_400000_NS6detail17trampoline_kernelINS0_14default_configENS1_25transform_config_selectorIiLb0EEEZNS1_14transform_implILb0ES3_S5_N6thrust23THRUST_200600_302600_NS6detail15normal_iteratorINS8_10device_ptrIiEEEEPiNS0_8identityIiEEEE10hipError_tT2_T3_mT4_P12ihipStream_tbEUlT_E_NS1_11comp_targetILNS1_3genE5ELNS1_11target_archE942ELNS1_3gpuE9ELNS1_3repE0EEENS1_30default_config_static_selectorELNS0_4arch9wavefront6targetE1EEEvT1_,@function
_ZN7rocprim17ROCPRIM_400000_NS6detail17trampoline_kernelINS0_14default_configENS1_25transform_config_selectorIiLb0EEEZNS1_14transform_implILb0ES3_S5_N6thrust23THRUST_200600_302600_NS6detail15normal_iteratorINS8_10device_ptrIiEEEEPiNS0_8identityIiEEEE10hipError_tT2_T3_mT4_P12ihipStream_tbEUlT_E_NS1_11comp_targetILNS1_3genE5ELNS1_11target_archE942ELNS1_3gpuE9ELNS1_3repE0EEENS1_30default_config_static_selectorELNS0_4arch9wavefront6targetE1EEEvT1_: ; @_ZN7rocprim17ROCPRIM_400000_NS6detail17trampoline_kernelINS0_14default_configENS1_25transform_config_selectorIiLb0EEEZNS1_14transform_implILb0ES3_S5_N6thrust23THRUST_200600_302600_NS6detail15normal_iteratorINS8_10device_ptrIiEEEEPiNS0_8identityIiEEEE10hipError_tT2_T3_mT4_P12ihipStream_tbEUlT_E_NS1_11comp_targetILNS1_3genE5ELNS1_11target_archE942ELNS1_3gpuE9ELNS1_3repE0EEENS1_30default_config_static_selectorELNS0_4arch9wavefront6targetE1EEEvT1_
; %bb.0:
	.section	.rodata,"a",@progbits
	.p2align	6, 0x0
	.amdhsa_kernel _ZN7rocprim17ROCPRIM_400000_NS6detail17trampoline_kernelINS0_14default_configENS1_25transform_config_selectorIiLb0EEEZNS1_14transform_implILb0ES3_S5_N6thrust23THRUST_200600_302600_NS6detail15normal_iteratorINS8_10device_ptrIiEEEEPiNS0_8identityIiEEEE10hipError_tT2_T3_mT4_P12ihipStream_tbEUlT_E_NS1_11comp_targetILNS1_3genE5ELNS1_11target_archE942ELNS1_3gpuE9ELNS1_3repE0EEENS1_30default_config_static_selectorELNS0_4arch9wavefront6targetE1EEEvT1_
		.amdhsa_group_segment_fixed_size 0
		.amdhsa_private_segment_fixed_size 0
		.amdhsa_kernarg_size 40
		.amdhsa_user_sgpr_count 2
		.amdhsa_user_sgpr_dispatch_ptr 0
		.amdhsa_user_sgpr_queue_ptr 0
		.amdhsa_user_sgpr_kernarg_segment_ptr 1
		.amdhsa_user_sgpr_dispatch_id 0
		.amdhsa_user_sgpr_kernarg_preload_length 0
		.amdhsa_user_sgpr_kernarg_preload_offset 0
		.amdhsa_user_sgpr_private_segment_size 0
		.amdhsa_uses_dynamic_stack 0
		.amdhsa_enable_private_segment 0
		.amdhsa_system_sgpr_workgroup_id_x 1
		.amdhsa_system_sgpr_workgroup_id_y 0
		.amdhsa_system_sgpr_workgroup_id_z 0
		.amdhsa_system_sgpr_workgroup_info 0
		.amdhsa_system_vgpr_workitem_id 0
		.amdhsa_next_free_vgpr 1
		.amdhsa_next_free_sgpr 0
		.amdhsa_accum_offset 4
		.amdhsa_reserve_vcc 0
		.amdhsa_float_round_mode_32 0
		.amdhsa_float_round_mode_16_64 0
		.amdhsa_float_denorm_mode_32 3
		.amdhsa_float_denorm_mode_16_64 3
		.amdhsa_dx10_clamp 1
		.amdhsa_ieee_mode 1
		.amdhsa_fp16_overflow 0
		.amdhsa_tg_split 0
		.amdhsa_exception_fp_ieee_invalid_op 0
		.amdhsa_exception_fp_denorm_src 0
		.amdhsa_exception_fp_ieee_div_zero 0
		.amdhsa_exception_fp_ieee_overflow 0
		.amdhsa_exception_fp_ieee_underflow 0
		.amdhsa_exception_fp_ieee_inexact 0
		.amdhsa_exception_int_div_zero 0
	.end_amdhsa_kernel
	.section	.text._ZN7rocprim17ROCPRIM_400000_NS6detail17trampoline_kernelINS0_14default_configENS1_25transform_config_selectorIiLb0EEEZNS1_14transform_implILb0ES3_S5_N6thrust23THRUST_200600_302600_NS6detail15normal_iteratorINS8_10device_ptrIiEEEEPiNS0_8identityIiEEEE10hipError_tT2_T3_mT4_P12ihipStream_tbEUlT_E_NS1_11comp_targetILNS1_3genE5ELNS1_11target_archE942ELNS1_3gpuE9ELNS1_3repE0EEENS1_30default_config_static_selectorELNS0_4arch9wavefront6targetE1EEEvT1_,"axG",@progbits,_ZN7rocprim17ROCPRIM_400000_NS6detail17trampoline_kernelINS0_14default_configENS1_25transform_config_selectorIiLb0EEEZNS1_14transform_implILb0ES3_S5_N6thrust23THRUST_200600_302600_NS6detail15normal_iteratorINS8_10device_ptrIiEEEEPiNS0_8identityIiEEEE10hipError_tT2_T3_mT4_P12ihipStream_tbEUlT_E_NS1_11comp_targetILNS1_3genE5ELNS1_11target_archE942ELNS1_3gpuE9ELNS1_3repE0EEENS1_30default_config_static_selectorELNS0_4arch9wavefront6targetE1EEEvT1_,comdat
.Lfunc_end151:
	.size	_ZN7rocprim17ROCPRIM_400000_NS6detail17trampoline_kernelINS0_14default_configENS1_25transform_config_selectorIiLb0EEEZNS1_14transform_implILb0ES3_S5_N6thrust23THRUST_200600_302600_NS6detail15normal_iteratorINS8_10device_ptrIiEEEEPiNS0_8identityIiEEEE10hipError_tT2_T3_mT4_P12ihipStream_tbEUlT_E_NS1_11comp_targetILNS1_3genE5ELNS1_11target_archE942ELNS1_3gpuE9ELNS1_3repE0EEENS1_30default_config_static_selectorELNS0_4arch9wavefront6targetE1EEEvT1_, .Lfunc_end151-_ZN7rocprim17ROCPRIM_400000_NS6detail17trampoline_kernelINS0_14default_configENS1_25transform_config_selectorIiLb0EEEZNS1_14transform_implILb0ES3_S5_N6thrust23THRUST_200600_302600_NS6detail15normal_iteratorINS8_10device_ptrIiEEEEPiNS0_8identityIiEEEE10hipError_tT2_T3_mT4_P12ihipStream_tbEUlT_E_NS1_11comp_targetILNS1_3genE5ELNS1_11target_archE942ELNS1_3gpuE9ELNS1_3repE0EEENS1_30default_config_static_selectorELNS0_4arch9wavefront6targetE1EEEvT1_
                                        ; -- End function
	.set _ZN7rocprim17ROCPRIM_400000_NS6detail17trampoline_kernelINS0_14default_configENS1_25transform_config_selectorIiLb0EEEZNS1_14transform_implILb0ES3_S5_N6thrust23THRUST_200600_302600_NS6detail15normal_iteratorINS8_10device_ptrIiEEEEPiNS0_8identityIiEEEE10hipError_tT2_T3_mT4_P12ihipStream_tbEUlT_E_NS1_11comp_targetILNS1_3genE5ELNS1_11target_archE942ELNS1_3gpuE9ELNS1_3repE0EEENS1_30default_config_static_selectorELNS0_4arch9wavefront6targetE1EEEvT1_.num_vgpr, 0
	.set _ZN7rocprim17ROCPRIM_400000_NS6detail17trampoline_kernelINS0_14default_configENS1_25transform_config_selectorIiLb0EEEZNS1_14transform_implILb0ES3_S5_N6thrust23THRUST_200600_302600_NS6detail15normal_iteratorINS8_10device_ptrIiEEEEPiNS0_8identityIiEEEE10hipError_tT2_T3_mT4_P12ihipStream_tbEUlT_E_NS1_11comp_targetILNS1_3genE5ELNS1_11target_archE942ELNS1_3gpuE9ELNS1_3repE0EEENS1_30default_config_static_selectorELNS0_4arch9wavefront6targetE1EEEvT1_.num_agpr, 0
	.set _ZN7rocprim17ROCPRIM_400000_NS6detail17trampoline_kernelINS0_14default_configENS1_25transform_config_selectorIiLb0EEEZNS1_14transform_implILb0ES3_S5_N6thrust23THRUST_200600_302600_NS6detail15normal_iteratorINS8_10device_ptrIiEEEEPiNS0_8identityIiEEEE10hipError_tT2_T3_mT4_P12ihipStream_tbEUlT_E_NS1_11comp_targetILNS1_3genE5ELNS1_11target_archE942ELNS1_3gpuE9ELNS1_3repE0EEENS1_30default_config_static_selectorELNS0_4arch9wavefront6targetE1EEEvT1_.numbered_sgpr, 0
	.set _ZN7rocprim17ROCPRIM_400000_NS6detail17trampoline_kernelINS0_14default_configENS1_25transform_config_selectorIiLb0EEEZNS1_14transform_implILb0ES3_S5_N6thrust23THRUST_200600_302600_NS6detail15normal_iteratorINS8_10device_ptrIiEEEEPiNS0_8identityIiEEEE10hipError_tT2_T3_mT4_P12ihipStream_tbEUlT_E_NS1_11comp_targetILNS1_3genE5ELNS1_11target_archE942ELNS1_3gpuE9ELNS1_3repE0EEENS1_30default_config_static_selectorELNS0_4arch9wavefront6targetE1EEEvT1_.num_named_barrier, 0
	.set _ZN7rocprim17ROCPRIM_400000_NS6detail17trampoline_kernelINS0_14default_configENS1_25transform_config_selectorIiLb0EEEZNS1_14transform_implILb0ES3_S5_N6thrust23THRUST_200600_302600_NS6detail15normal_iteratorINS8_10device_ptrIiEEEEPiNS0_8identityIiEEEE10hipError_tT2_T3_mT4_P12ihipStream_tbEUlT_E_NS1_11comp_targetILNS1_3genE5ELNS1_11target_archE942ELNS1_3gpuE9ELNS1_3repE0EEENS1_30default_config_static_selectorELNS0_4arch9wavefront6targetE1EEEvT1_.private_seg_size, 0
	.set _ZN7rocprim17ROCPRIM_400000_NS6detail17trampoline_kernelINS0_14default_configENS1_25transform_config_selectorIiLb0EEEZNS1_14transform_implILb0ES3_S5_N6thrust23THRUST_200600_302600_NS6detail15normal_iteratorINS8_10device_ptrIiEEEEPiNS0_8identityIiEEEE10hipError_tT2_T3_mT4_P12ihipStream_tbEUlT_E_NS1_11comp_targetILNS1_3genE5ELNS1_11target_archE942ELNS1_3gpuE9ELNS1_3repE0EEENS1_30default_config_static_selectorELNS0_4arch9wavefront6targetE1EEEvT1_.uses_vcc, 0
	.set _ZN7rocprim17ROCPRIM_400000_NS6detail17trampoline_kernelINS0_14default_configENS1_25transform_config_selectorIiLb0EEEZNS1_14transform_implILb0ES3_S5_N6thrust23THRUST_200600_302600_NS6detail15normal_iteratorINS8_10device_ptrIiEEEEPiNS0_8identityIiEEEE10hipError_tT2_T3_mT4_P12ihipStream_tbEUlT_E_NS1_11comp_targetILNS1_3genE5ELNS1_11target_archE942ELNS1_3gpuE9ELNS1_3repE0EEENS1_30default_config_static_selectorELNS0_4arch9wavefront6targetE1EEEvT1_.uses_flat_scratch, 0
	.set _ZN7rocprim17ROCPRIM_400000_NS6detail17trampoline_kernelINS0_14default_configENS1_25transform_config_selectorIiLb0EEEZNS1_14transform_implILb0ES3_S5_N6thrust23THRUST_200600_302600_NS6detail15normal_iteratorINS8_10device_ptrIiEEEEPiNS0_8identityIiEEEE10hipError_tT2_T3_mT4_P12ihipStream_tbEUlT_E_NS1_11comp_targetILNS1_3genE5ELNS1_11target_archE942ELNS1_3gpuE9ELNS1_3repE0EEENS1_30default_config_static_selectorELNS0_4arch9wavefront6targetE1EEEvT1_.has_dyn_sized_stack, 0
	.set _ZN7rocprim17ROCPRIM_400000_NS6detail17trampoline_kernelINS0_14default_configENS1_25transform_config_selectorIiLb0EEEZNS1_14transform_implILb0ES3_S5_N6thrust23THRUST_200600_302600_NS6detail15normal_iteratorINS8_10device_ptrIiEEEEPiNS0_8identityIiEEEE10hipError_tT2_T3_mT4_P12ihipStream_tbEUlT_E_NS1_11comp_targetILNS1_3genE5ELNS1_11target_archE942ELNS1_3gpuE9ELNS1_3repE0EEENS1_30default_config_static_selectorELNS0_4arch9wavefront6targetE1EEEvT1_.has_recursion, 0
	.set _ZN7rocprim17ROCPRIM_400000_NS6detail17trampoline_kernelINS0_14default_configENS1_25transform_config_selectorIiLb0EEEZNS1_14transform_implILb0ES3_S5_N6thrust23THRUST_200600_302600_NS6detail15normal_iteratorINS8_10device_ptrIiEEEEPiNS0_8identityIiEEEE10hipError_tT2_T3_mT4_P12ihipStream_tbEUlT_E_NS1_11comp_targetILNS1_3genE5ELNS1_11target_archE942ELNS1_3gpuE9ELNS1_3repE0EEENS1_30default_config_static_selectorELNS0_4arch9wavefront6targetE1EEEvT1_.has_indirect_call, 0
	.section	.AMDGPU.csdata,"",@progbits
; Kernel info:
; codeLenInByte = 0
; TotalNumSgprs: 6
; NumVgprs: 0
; NumAgprs: 0
; TotalNumVgprs: 0
; ScratchSize: 0
; MemoryBound: 0
; FloatMode: 240
; IeeeMode: 1
; LDSByteSize: 0 bytes/workgroup (compile time only)
; SGPRBlocks: 0
; VGPRBlocks: 0
; NumSGPRsForWavesPerEU: 6
; NumVGPRsForWavesPerEU: 1
; AccumOffset: 4
; Occupancy: 8
; WaveLimiterHint : 0
; COMPUTE_PGM_RSRC2:SCRATCH_EN: 0
; COMPUTE_PGM_RSRC2:USER_SGPR: 2
; COMPUTE_PGM_RSRC2:TRAP_HANDLER: 0
; COMPUTE_PGM_RSRC2:TGID_X_EN: 1
; COMPUTE_PGM_RSRC2:TGID_Y_EN: 0
; COMPUTE_PGM_RSRC2:TGID_Z_EN: 0
; COMPUTE_PGM_RSRC2:TIDIG_COMP_CNT: 0
; COMPUTE_PGM_RSRC3_GFX90A:ACCUM_OFFSET: 0
; COMPUTE_PGM_RSRC3_GFX90A:TG_SPLIT: 0
	.section	.text._ZN7rocprim17ROCPRIM_400000_NS6detail17trampoline_kernelINS0_14default_configENS1_25transform_config_selectorIiLb0EEEZNS1_14transform_implILb0ES3_S5_N6thrust23THRUST_200600_302600_NS6detail15normal_iteratorINS8_10device_ptrIiEEEEPiNS0_8identityIiEEEE10hipError_tT2_T3_mT4_P12ihipStream_tbEUlT_E_NS1_11comp_targetILNS1_3genE4ELNS1_11target_archE910ELNS1_3gpuE8ELNS1_3repE0EEENS1_30default_config_static_selectorELNS0_4arch9wavefront6targetE1EEEvT1_,"axG",@progbits,_ZN7rocprim17ROCPRIM_400000_NS6detail17trampoline_kernelINS0_14default_configENS1_25transform_config_selectorIiLb0EEEZNS1_14transform_implILb0ES3_S5_N6thrust23THRUST_200600_302600_NS6detail15normal_iteratorINS8_10device_ptrIiEEEEPiNS0_8identityIiEEEE10hipError_tT2_T3_mT4_P12ihipStream_tbEUlT_E_NS1_11comp_targetILNS1_3genE4ELNS1_11target_archE910ELNS1_3gpuE8ELNS1_3repE0EEENS1_30default_config_static_selectorELNS0_4arch9wavefront6targetE1EEEvT1_,comdat
	.protected	_ZN7rocprim17ROCPRIM_400000_NS6detail17trampoline_kernelINS0_14default_configENS1_25transform_config_selectorIiLb0EEEZNS1_14transform_implILb0ES3_S5_N6thrust23THRUST_200600_302600_NS6detail15normal_iteratorINS8_10device_ptrIiEEEEPiNS0_8identityIiEEEE10hipError_tT2_T3_mT4_P12ihipStream_tbEUlT_E_NS1_11comp_targetILNS1_3genE4ELNS1_11target_archE910ELNS1_3gpuE8ELNS1_3repE0EEENS1_30default_config_static_selectorELNS0_4arch9wavefront6targetE1EEEvT1_ ; -- Begin function _ZN7rocprim17ROCPRIM_400000_NS6detail17trampoline_kernelINS0_14default_configENS1_25transform_config_selectorIiLb0EEEZNS1_14transform_implILb0ES3_S5_N6thrust23THRUST_200600_302600_NS6detail15normal_iteratorINS8_10device_ptrIiEEEEPiNS0_8identityIiEEEE10hipError_tT2_T3_mT4_P12ihipStream_tbEUlT_E_NS1_11comp_targetILNS1_3genE4ELNS1_11target_archE910ELNS1_3gpuE8ELNS1_3repE0EEENS1_30default_config_static_selectorELNS0_4arch9wavefront6targetE1EEEvT1_
	.globl	_ZN7rocprim17ROCPRIM_400000_NS6detail17trampoline_kernelINS0_14default_configENS1_25transform_config_selectorIiLb0EEEZNS1_14transform_implILb0ES3_S5_N6thrust23THRUST_200600_302600_NS6detail15normal_iteratorINS8_10device_ptrIiEEEEPiNS0_8identityIiEEEE10hipError_tT2_T3_mT4_P12ihipStream_tbEUlT_E_NS1_11comp_targetILNS1_3genE4ELNS1_11target_archE910ELNS1_3gpuE8ELNS1_3repE0EEENS1_30default_config_static_selectorELNS0_4arch9wavefront6targetE1EEEvT1_
	.p2align	8
	.type	_ZN7rocprim17ROCPRIM_400000_NS6detail17trampoline_kernelINS0_14default_configENS1_25transform_config_selectorIiLb0EEEZNS1_14transform_implILb0ES3_S5_N6thrust23THRUST_200600_302600_NS6detail15normal_iteratorINS8_10device_ptrIiEEEEPiNS0_8identityIiEEEE10hipError_tT2_T3_mT4_P12ihipStream_tbEUlT_E_NS1_11comp_targetILNS1_3genE4ELNS1_11target_archE910ELNS1_3gpuE8ELNS1_3repE0EEENS1_30default_config_static_selectorELNS0_4arch9wavefront6targetE1EEEvT1_,@function
_ZN7rocprim17ROCPRIM_400000_NS6detail17trampoline_kernelINS0_14default_configENS1_25transform_config_selectorIiLb0EEEZNS1_14transform_implILb0ES3_S5_N6thrust23THRUST_200600_302600_NS6detail15normal_iteratorINS8_10device_ptrIiEEEEPiNS0_8identityIiEEEE10hipError_tT2_T3_mT4_P12ihipStream_tbEUlT_E_NS1_11comp_targetILNS1_3genE4ELNS1_11target_archE910ELNS1_3gpuE8ELNS1_3repE0EEENS1_30default_config_static_selectorELNS0_4arch9wavefront6targetE1EEEvT1_: ; @_ZN7rocprim17ROCPRIM_400000_NS6detail17trampoline_kernelINS0_14default_configENS1_25transform_config_selectorIiLb0EEEZNS1_14transform_implILb0ES3_S5_N6thrust23THRUST_200600_302600_NS6detail15normal_iteratorINS8_10device_ptrIiEEEEPiNS0_8identityIiEEEE10hipError_tT2_T3_mT4_P12ihipStream_tbEUlT_E_NS1_11comp_targetILNS1_3genE4ELNS1_11target_archE910ELNS1_3gpuE8ELNS1_3repE0EEENS1_30default_config_static_selectorELNS0_4arch9wavefront6targetE1EEEvT1_
; %bb.0:
	.section	.rodata,"a",@progbits
	.p2align	6, 0x0
	.amdhsa_kernel _ZN7rocprim17ROCPRIM_400000_NS6detail17trampoline_kernelINS0_14default_configENS1_25transform_config_selectorIiLb0EEEZNS1_14transform_implILb0ES3_S5_N6thrust23THRUST_200600_302600_NS6detail15normal_iteratorINS8_10device_ptrIiEEEEPiNS0_8identityIiEEEE10hipError_tT2_T3_mT4_P12ihipStream_tbEUlT_E_NS1_11comp_targetILNS1_3genE4ELNS1_11target_archE910ELNS1_3gpuE8ELNS1_3repE0EEENS1_30default_config_static_selectorELNS0_4arch9wavefront6targetE1EEEvT1_
		.amdhsa_group_segment_fixed_size 0
		.amdhsa_private_segment_fixed_size 0
		.amdhsa_kernarg_size 40
		.amdhsa_user_sgpr_count 2
		.amdhsa_user_sgpr_dispatch_ptr 0
		.amdhsa_user_sgpr_queue_ptr 0
		.amdhsa_user_sgpr_kernarg_segment_ptr 1
		.amdhsa_user_sgpr_dispatch_id 0
		.amdhsa_user_sgpr_kernarg_preload_length 0
		.amdhsa_user_sgpr_kernarg_preload_offset 0
		.amdhsa_user_sgpr_private_segment_size 0
		.amdhsa_uses_dynamic_stack 0
		.amdhsa_enable_private_segment 0
		.amdhsa_system_sgpr_workgroup_id_x 1
		.amdhsa_system_sgpr_workgroup_id_y 0
		.amdhsa_system_sgpr_workgroup_id_z 0
		.amdhsa_system_sgpr_workgroup_info 0
		.amdhsa_system_vgpr_workitem_id 0
		.amdhsa_next_free_vgpr 1
		.amdhsa_next_free_sgpr 0
		.amdhsa_accum_offset 4
		.amdhsa_reserve_vcc 0
		.amdhsa_float_round_mode_32 0
		.amdhsa_float_round_mode_16_64 0
		.amdhsa_float_denorm_mode_32 3
		.amdhsa_float_denorm_mode_16_64 3
		.amdhsa_dx10_clamp 1
		.amdhsa_ieee_mode 1
		.amdhsa_fp16_overflow 0
		.amdhsa_tg_split 0
		.amdhsa_exception_fp_ieee_invalid_op 0
		.amdhsa_exception_fp_denorm_src 0
		.amdhsa_exception_fp_ieee_div_zero 0
		.amdhsa_exception_fp_ieee_overflow 0
		.amdhsa_exception_fp_ieee_underflow 0
		.amdhsa_exception_fp_ieee_inexact 0
		.amdhsa_exception_int_div_zero 0
	.end_amdhsa_kernel
	.section	.text._ZN7rocprim17ROCPRIM_400000_NS6detail17trampoline_kernelINS0_14default_configENS1_25transform_config_selectorIiLb0EEEZNS1_14transform_implILb0ES3_S5_N6thrust23THRUST_200600_302600_NS6detail15normal_iteratorINS8_10device_ptrIiEEEEPiNS0_8identityIiEEEE10hipError_tT2_T3_mT4_P12ihipStream_tbEUlT_E_NS1_11comp_targetILNS1_3genE4ELNS1_11target_archE910ELNS1_3gpuE8ELNS1_3repE0EEENS1_30default_config_static_selectorELNS0_4arch9wavefront6targetE1EEEvT1_,"axG",@progbits,_ZN7rocprim17ROCPRIM_400000_NS6detail17trampoline_kernelINS0_14default_configENS1_25transform_config_selectorIiLb0EEEZNS1_14transform_implILb0ES3_S5_N6thrust23THRUST_200600_302600_NS6detail15normal_iteratorINS8_10device_ptrIiEEEEPiNS0_8identityIiEEEE10hipError_tT2_T3_mT4_P12ihipStream_tbEUlT_E_NS1_11comp_targetILNS1_3genE4ELNS1_11target_archE910ELNS1_3gpuE8ELNS1_3repE0EEENS1_30default_config_static_selectorELNS0_4arch9wavefront6targetE1EEEvT1_,comdat
.Lfunc_end152:
	.size	_ZN7rocprim17ROCPRIM_400000_NS6detail17trampoline_kernelINS0_14default_configENS1_25transform_config_selectorIiLb0EEEZNS1_14transform_implILb0ES3_S5_N6thrust23THRUST_200600_302600_NS6detail15normal_iteratorINS8_10device_ptrIiEEEEPiNS0_8identityIiEEEE10hipError_tT2_T3_mT4_P12ihipStream_tbEUlT_E_NS1_11comp_targetILNS1_3genE4ELNS1_11target_archE910ELNS1_3gpuE8ELNS1_3repE0EEENS1_30default_config_static_selectorELNS0_4arch9wavefront6targetE1EEEvT1_, .Lfunc_end152-_ZN7rocprim17ROCPRIM_400000_NS6detail17trampoline_kernelINS0_14default_configENS1_25transform_config_selectorIiLb0EEEZNS1_14transform_implILb0ES3_S5_N6thrust23THRUST_200600_302600_NS6detail15normal_iteratorINS8_10device_ptrIiEEEEPiNS0_8identityIiEEEE10hipError_tT2_T3_mT4_P12ihipStream_tbEUlT_E_NS1_11comp_targetILNS1_3genE4ELNS1_11target_archE910ELNS1_3gpuE8ELNS1_3repE0EEENS1_30default_config_static_selectorELNS0_4arch9wavefront6targetE1EEEvT1_
                                        ; -- End function
	.set _ZN7rocprim17ROCPRIM_400000_NS6detail17trampoline_kernelINS0_14default_configENS1_25transform_config_selectorIiLb0EEEZNS1_14transform_implILb0ES3_S5_N6thrust23THRUST_200600_302600_NS6detail15normal_iteratorINS8_10device_ptrIiEEEEPiNS0_8identityIiEEEE10hipError_tT2_T3_mT4_P12ihipStream_tbEUlT_E_NS1_11comp_targetILNS1_3genE4ELNS1_11target_archE910ELNS1_3gpuE8ELNS1_3repE0EEENS1_30default_config_static_selectorELNS0_4arch9wavefront6targetE1EEEvT1_.num_vgpr, 0
	.set _ZN7rocprim17ROCPRIM_400000_NS6detail17trampoline_kernelINS0_14default_configENS1_25transform_config_selectorIiLb0EEEZNS1_14transform_implILb0ES3_S5_N6thrust23THRUST_200600_302600_NS6detail15normal_iteratorINS8_10device_ptrIiEEEEPiNS0_8identityIiEEEE10hipError_tT2_T3_mT4_P12ihipStream_tbEUlT_E_NS1_11comp_targetILNS1_3genE4ELNS1_11target_archE910ELNS1_3gpuE8ELNS1_3repE0EEENS1_30default_config_static_selectorELNS0_4arch9wavefront6targetE1EEEvT1_.num_agpr, 0
	.set _ZN7rocprim17ROCPRIM_400000_NS6detail17trampoline_kernelINS0_14default_configENS1_25transform_config_selectorIiLb0EEEZNS1_14transform_implILb0ES3_S5_N6thrust23THRUST_200600_302600_NS6detail15normal_iteratorINS8_10device_ptrIiEEEEPiNS0_8identityIiEEEE10hipError_tT2_T3_mT4_P12ihipStream_tbEUlT_E_NS1_11comp_targetILNS1_3genE4ELNS1_11target_archE910ELNS1_3gpuE8ELNS1_3repE0EEENS1_30default_config_static_selectorELNS0_4arch9wavefront6targetE1EEEvT1_.numbered_sgpr, 0
	.set _ZN7rocprim17ROCPRIM_400000_NS6detail17trampoline_kernelINS0_14default_configENS1_25transform_config_selectorIiLb0EEEZNS1_14transform_implILb0ES3_S5_N6thrust23THRUST_200600_302600_NS6detail15normal_iteratorINS8_10device_ptrIiEEEEPiNS0_8identityIiEEEE10hipError_tT2_T3_mT4_P12ihipStream_tbEUlT_E_NS1_11comp_targetILNS1_3genE4ELNS1_11target_archE910ELNS1_3gpuE8ELNS1_3repE0EEENS1_30default_config_static_selectorELNS0_4arch9wavefront6targetE1EEEvT1_.num_named_barrier, 0
	.set _ZN7rocprim17ROCPRIM_400000_NS6detail17trampoline_kernelINS0_14default_configENS1_25transform_config_selectorIiLb0EEEZNS1_14transform_implILb0ES3_S5_N6thrust23THRUST_200600_302600_NS6detail15normal_iteratorINS8_10device_ptrIiEEEEPiNS0_8identityIiEEEE10hipError_tT2_T3_mT4_P12ihipStream_tbEUlT_E_NS1_11comp_targetILNS1_3genE4ELNS1_11target_archE910ELNS1_3gpuE8ELNS1_3repE0EEENS1_30default_config_static_selectorELNS0_4arch9wavefront6targetE1EEEvT1_.private_seg_size, 0
	.set _ZN7rocprim17ROCPRIM_400000_NS6detail17trampoline_kernelINS0_14default_configENS1_25transform_config_selectorIiLb0EEEZNS1_14transform_implILb0ES3_S5_N6thrust23THRUST_200600_302600_NS6detail15normal_iteratorINS8_10device_ptrIiEEEEPiNS0_8identityIiEEEE10hipError_tT2_T3_mT4_P12ihipStream_tbEUlT_E_NS1_11comp_targetILNS1_3genE4ELNS1_11target_archE910ELNS1_3gpuE8ELNS1_3repE0EEENS1_30default_config_static_selectorELNS0_4arch9wavefront6targetE1EEEvT1_.uses_vcc, 0
	.set _ZN7rocprim17ROCPRIM_400000_NS6detail17trampoline_kernelINS0_14default_configENS1_25transform_config_selectorIiLb0EEEZNS1_14transform_implILb0ES3_S5_N6thrust23THRUST_200600_302600_NS6detail15normal_iteratorINS8_10device_ptrIiEEEEPiNS0_8identityIiEEEE10hipError_tT2_T3_mT4_P12ihipStream_tbEUlT_E_NS1_11comp_targetILNS1_3genE4ELNS1_11target_archE910ELNS1_3gpuE8ELNS1_3repE0EEENS1_30default_config_static_selectorELNS0_4arch9wavefront6targetE1EEEvT1_.uses_flat_scratch, 0
	.set _ZN7rocprim17ROCPRIM_400000_NS6detail17trampoline_kernelINS0_14default_configENS1_25transform_config_selectorIiLb0EEEZNS1_14transform_implILb0ES3_S5_N6thrust23THRUST_200600_302600_NS6detail15normal_iteratorINS8_10device_ptrIiEEEEPiNS0_8identityIiEEEE10hipError_tT2_T3_mT4_P12ihipStream_tbEUlT_E_NS1_11comp_targetILNS1_3genE4ELNS1_11target_archE910ELNS1_3gpuE8ELNS1_3repE0EEENS1_30default_config_static_selectorELNS0_4arch9wavefront6targetE1EEEvT1_.has_dyn_sized_stack, 0
	.set _ZN7rocprim17ROCPRIM_400000_NS6detail17trampoline_kernelINS0_14default_configENS1_25transform_config_selectorIiLb0EEEZNS1_14transform_implILb0ES3_S5_N6thrust23THRUST_200600_302600_NS6detail15normal_iteratorINS8_10device_ptrIiEEEEPiNS0_8identityIiEEEE10hipError_tT2_T3_mT4_P12ihipStream_tbEUlT_E_NS1_11comp_targetILNS1_3genE4ELNS1_11target_archE910ELNS1_3gpuE8ELNS1_3repE0EEENS1_30default_config_static_selectorELNS0_4arch9wavefront6targetE1EEEvT1_.has_recursion, 0
	.set _ZN7rocprim17ROCPRIM_400000_NS6detail17trampoline_kernelINS0_14default_configENS1_25transform_config_selectorIiLb0EEEZNS1_14transform_implILb0ES3_S5_N6thrust23THRUST_200600_302600_NS6detail15normal_iteratorINS8_10device_ptrIiEEEEPiNS0_8identityIiEEEE10hipError_tT2_T3_mT4_P12ihipStream_tbEUlT_E_NS1_11comp_targetILNS1_3genE4ELNS1_11target_archE910ELNS1_3gpuE8ELNS1_3repE0EEENS1_30default_config_static_selectorELNS0_4arch9wavefront6targetE1EEEvT1_.has_indirect_call, 0
	.section	.AMDGPU.csdata,"",@progbits
; Kernel info:
; codeLenInByte = 0
; TotalNumSgprs: 6
; NumVgprs: 0
; NumAgprs: 0
; TotalNumVgprs: 0
; ScratchSize: 0
; MemoryBound: 0
; FloatMode: 240
; IeeeMode: 1
; LDSByteSize: 0 bytes/workgroup (compile time only)
; SGPRBlocks: 0
; VGPRBlocks: 0
; NumSGPRsForWavesPerEU: 6
; NumVGPRsForWavesPerEU: 1
; AccumOffset: 4
; Occupancy: 8
; WaveLimiterHint : 0
; COMPUTE_PGM_RSRC2:SCRATCH_EN: 0
; COMPUTE_PGM_RSRC2:USER_SGPR: 2
; COMPUTE_PGM_RSRC2:TRAP_HANDLER: 0
; COMPUTE_PGM_RSRC2:TGID_X_EN: 1
; COMPUTE_PGM_RSRC2:TGID_Y_EN: 0
; COMPUTE_PGM_RSRC2:TGID_Z_EN: 0
; COMPUTE_PGM_RSRC2:TIDIG_COMP_CNT: 0
; COMPUTE_PGM_RSRC3_GFX90A:ACCUM_OFFSET: 0
; COMPUTE_PGM_RSRC3_GFX90A:TG_SPLIT: 0
	.section	.text._ZN7rocprim17ROCPRIM_400000_NS6detail17trampoline_kernelINS0_14default_configENS1_25transform_config_selectorIiLb0EEEZNS1_14transform_implILb0ES3_S5_N6thrust23THRUST_200600_302600_NS6detail15normal_iteratorINS8_10device_ptrIiEEEEPiNS0_8identityIiEEEE10hipError_tT2_T3_mT4_P12ihipStream_tbEUlT_E_NS1_11comp_targetILNS1_3genE3ELNS1_11target_archE908ELNS1_3gpuE7ELNS1_3repE0EEENS1_30default_config_static_selectorELNS0_4arch9wavefront6targetE1EEEvT1_,"axG",@progbits,_ZN7rocprim17ROCPRIM_400000_NS6detail17trampoline_kernelINS0_14default_configENS1_25transform_config_selectorIiLb0EEEZNS1_14transform_implILb0ES3_S5_N6thrust23THRUST_200600_302600_NS6detail15normal_iteratorINS8_10device_ptrIiEEEEPiNS0_8identityIiEEEE10hipError_tT2_T3_mT4_P12ihipStream_tbEUlT_E_NS1_11comp_targetILNS1_3genE3ELNS1_11target_archE908ELNS1_3gpuE7ELNS1_3repE0EEENS1_30default_config_static_selectorELNS0_4arch9wavefront6targetE1EEEvT1_,comdat
	.protected	_ZN7rocprim17ROCPRIM_400000_NS6detail17trampoline_kernelINS0_14default_configENS1_25transform_config_selectorIiLb0EEEZNS1_14transform_implILb0ES3_S5_N6thrust23THRUST_200600_302600_NS6detail15normal_iteratorINS8_10device_ptrIiEEEEPiNS0_8identityIiEEEE10hipError_tT2_T3_mT4_P12ihipStream_tbEUlT_E_NS1_11comp_targetILNS1_3genE3ELNS1_11target_archE908ELNS1_3gpuE7ELNS1_3repE0EEENS1_30default_config_static_selectorELNS0_4arch9wavefront6targetE1EEEvT1_ ; -- Begin function _ZN7rocprim17ROCPRIM_400000_NS6detail17trampoline_kernelINS0_14default_configENS1_25transform_config_selectorIiLb0EEEZNS1_14transform_implILb0ES3_S5_N6thrust23THRUST_200600_302600_NS6detail15normal_iteratorINS8_10device_ptrIiEEEEPiNS0_8identityIiEEEE10hipError_tT2_T3_mT4_P12ihipStream_tbEUlT_E_NS1_11comp_targetILNS1_3genE3ELNS1_11target_archE908ELNS1_3gpuE7ELNS1_3repE0EEENS1_30default_config_static_selectorELNS0_4arch9wavefront6targetE1EEEvT1_
	.globl	_ZN7rocprim17ROCPRIM_400000_NS6detail17trampoline_kernelINS0_14default_configENS1_25transform_config_selectorIiLb0EEEZNS1_14transform_implILb0ES3_S5_N6thrust23THRUST_200600_302600_NS6detail15normal_iteratorINS8_10device_ptrIiEEEEPiNS0_8identityIiEEEE10hipError_tT2_T3_mT4_P12ihipStream_tbEUlT_E_NS1_11comp_targetILNS1_3genE3ELNS1_11target_archE908ELNS1_3gpuE7ELNS1_3repE0EEENS1_30default_config_static_selectorELNS0_4arch9wavefront6targetE1EEEvT1_
	.p2align	8
	.type	_ZN7rocprim17ROCPRIM_400000_NS6detail17trampoline_kernelINS0_14default_configENS1_25transform_config_selectorIiLb0EEEZNS1_14transform_implILb0ES3_S5_N6thrust23THRUST_200600_302600_NS6detail15normal_iteratorINS8_10device_ptrIiEEEEPiNS0_8identityIiEEEE10hipError_tT2_T3_mT4_P12ihipStream_tbEUlT_E_NS1_11comp_targetILNS1_3genE3ELNS1_11target_archE908ELNS1_3gpuE7ELNS1_3repE0EEENS1_30default_config_static_selectorELNS0_4arch9wavefront6targetE1EEEvT1_,@function
_ZN7rocprim17ROCPRIM_400000_NS6detail17trampoline_kernelINS0_14default_configENS1_25transform_config_selectorIiLb0EEEZNS1_14transform_implILb0ES3_S5_N6thrust23THRUST_200600_302600_NS6detail15normal_iteratorINS8_10device_ptrIiEEEEPiNS0_8identityIiEEEE10hipError_tT2_T3_mT4_P12ihipStream_tbEUlT_E_NS1_11comp_targetILNS1_3genE3ELNS1_11target_archE908ELNS1_3gpuE7ELNS1_3repE0EEENS1_30default_config_static_selectorELNS0_4arch9wavefront6targetE1EEEvT1_: ; @_ZN7rocprim17ROCPRIM_400000_NS6detail17trampoline_kernelINS0_14default_configENS1_25transform_config_selectorIiLb0EEEZNS1_14transform_implILb0ES3_S5_N6thrust23THRUST_200600_302600_NS6detail15normal_iteratorINS8_10device_ptrIiEEEEPiNS0_8identityIiEEEE10hipError_tT2_T3_mT4_P12ihipStream_tbEUlT_E_NS1_11comp_targetILNS1_3genE3ELNS1_11target_archE908ELNS1_3gpuE7ELNS1_3repE0EEENS1_30default_config_static_selectorELNS0_4arch9wavefront6targetE1EEEvT1_
; %bb.0:
	.section	.rodata,"a",@progbits
	.p2align	6, 0x0
	.amdhsa_kernel _ZN7rocprim17ROCPRIM_400000_NS6detail17trampoline_kernelINS0_14default_configENS1_25transform_config_selectorIiLb0EEEZNS1_14transform_implILb0ES3_S5_N6thrust23THRUST_200600_302600_NS6detail15normal_iteratorINS8_10device_ptrIiEEEEPiNS0_8identityIiEEEE10hipError_tT2_T3_mT4_P12ihipStream_tbEUlT_E_NS1_11comp_targetILNS1_3genE3ELNS1_11target_archE908ELNS1_3gpuE7ELNS1_3repE0EEENS1_30default_config_static_selectorELNS0_4arch9wavefront6targetE1EEEvT1_
		.amdhsa_group_segment_fixed_size 0
		.amdhsa_private_segment_fixed_size 0
		.amdhsa_kernarg_size 40
		.amdhsa_user_sgpr_count 2
		.amdhsa_user_sgpr_dispatch_ptr 0
		.amdhsa_user_sgpr_queue_ptr 0
		.amdhsa_user_sgpr_kernarg_segment_ptr 1
		.amdhsa_user_sgpr_dispatch_id 0
		.amdhsa_user_sgpr_kernarg_preload_length 0
		.amdhsa_user_sgpr_kernarg_preload_offset 0
		.amdhsa_user_sgpr_private_segment_size 0
		.amdhsa_uses_dynamic_stack 0
		.amdhsa_enable_private_segment 0
		.amdhsa_system_sgpr_workgroup_id_x 1
		.amdhsa_system_sgpr_workgroup_id_y 0
		.amdhsa_system_sgpr_workgroup_id_z 0
		.amdhsa_system_sgpr_workgroup_info 0
		.amdhsa_system_vgpr_workitem_id 0
		.amdhsa_next_free_vgpr 1
		.amdhsa_next_free_sgpr 0
		.amdhsa_accum_offset 4
		.amdhsa_reserve_vcc 0
		.amdhsa_float_round_mode_32 0
		.amdhsa_float_round_mode_16_64 0
		.amdhsa_float_denorm_mode_32 3
		.amdhsa_float_denorm_mode_16_64 3
		.amdhsa_dx10_clamp 1
		.amdhsa_ieee_mode 1
		.amdhsa_fp16_overflow 0
		.amdhsa_tg_split 0
		.amdhsa_exception_fp_ieee_invalid_op 0
		.amdhsa_exception_fp_denorm_src 0
		.amdhsa_exception_fp_ieee_div_zero 0
		.amdhsa_exception_fp_ieee_overflow 0
		.amdhsa_exception_fp_ieee_underflow 0
		.amdhsa_exception_fp_ieee_inexact 0
		.amdhsa_exception_int_div_zero 0
	.end_amdhsa_kernel
	.section	.text._ZN7rocprim17ROCPRIM_400000_NS6detail17trampoline_kernelINS0_14default_configENS1_25transform_config_selectorIiLb0EEEZNS1_14transform_implILb0ES3_S5_N6thrust23THRUST_200600_302600_NS6detail15normal_iteratorINS8_10device_ptrIiEEEEPiNS0_8identityIiEEEE10hipError_tT2_T3_mT4_P12ihipStream_tbEUlT_E_NS1_11comp_targetILNS1_3genE3ELNS1_11target_archE908ELNS1_3gpuE7ELNS1_3repE0EEENS1_30default_config_static_selectorELNS0_4arch9wavefront6targetE1EEEvT1_,"axG",@progbits,_ZN7rocprim17ROCPRIM_400000_NS6detail17trampoline_kernelINS0_14default_configENS1_25transform_config_selectorIiLb0EEEZNS1_14transform_implILb0ES3_S5_N6thrust23THRUST_200600_302600_NS6detail15normal_iteratorINS8_10device_ptrIiEEEEPiNS0_8identityIiEEEE10hipError_tT2_T3_mT4_P12ihipStream_tbEUlT_E_NS1_11comp_targetILNS1_3genE3ELNS1_11target_archE908ELNS1_3gpuE7ELNS1_3repE0EEENS1_30default_config_static_selectorELNS0_4arch9wavefront6targetE1EEEvT1_,comdat
.Lfunc_end153:
	.size	_ZN7rocprim17ROCPRIM_400000_NS6detail17trampoline_kernelINS0_14default_configENS1_25transform_config_selectorIiLb0EEEZNS1_14transform_implILb0ES3_S5_N6thrust23THRUST_200600_302600_NS6detail15normal_iteratorINS8_10device_ptrIiEEEEPiNS0_8identityIiEEEE10hipError_tT2_T3_mT4_P12ihipStream_tbEUlT_E_NS1_11comp_targetILNS1_3genE3ELNS1_11target_archE908ELNS1_3gpuE7ELNS1_3repE0EEENS1_30default_config_static_selectorELNS0_4arch9wavefront6targetE1EEEvT1_, .Lfunc_end153-_ZN7rocprim17ROCPRIM_400000_NS6detail17trampoline_kernelINS0_14default_configENS1_25transform_config_selectorIiLb0EEEZNS1_14transform_implILb0ES3_S5_N6thrust23THRUST_200600_302600_NS6detail15normal_iteratorINS8_10device_ptrIiEEEEPiNS0_8identityIiEEEE10hipError_tT2_T3_mT4_P12ihipStream_tbEUlT_E_NS1_11comp_targetILNS1_3genE3ELNS1_11target_archE908ELNS1_3gpuE7ELNS1_3repE0EEENS1_30default_config_static_selectorELNS0_4arch9wavefront6targetE1EEEvT1_
                                        ; -- End function
	.set _ZN7rocprim17ROCPRIM_400000_NS6detail17trampoline_kernelINS0_14default_configENS1_25transform_config_selectorIiLb0EEEZNS1_14transform_implILb0ES3_S5_N6thrust23THRUST_200600_302600_NS6detail15normal_iteratorINS8_10device_ptrIiEEEEPiNS0_8identityIiEEEE10hipError_tT2_T3_mT4_P12ihipStream_tbEUlT_E_NS1_11comp_targetILNS1_3genE3ELNS1_11target_archE908ELNS1_3gpuE7ELNS1_3repE0EEENS1_30default_config_static_selectorELNS0_4arch9wavefront6targetE1EEEvT1_.num_vgpr, 0
	.set _ZN7rocprim17ROCPRIM_400000_NS6detail17trampoline_kernelINS0_14default_configENS1_25transform_config_selectorIiLb0EEEZNS1_14transform_implILb0ES3_S5_N6thrust23THRUST_200600_302600_NS6detail15normal_iteratorINS8_10device_ptrIiEEEEPiNS0_8identityIiEEEE10hipError_tT2_T3_mT4_P12ihipStream_tbEUlT_E_NS1_11comp_targetILNS1_3genE3ELNS1_11target_archE908ELNS1_3gpuE7ELNS1_3repE0EEENS1_30default_config_static_selectorELNS0_4arch9wavefront6targetE1EEEvT1_.num_agpr, 0
	.set _ZN7rocprim17ROCPRIM_400000_NS6detail17trampoline_kernelINS0_14default_configENS1_25transform_config_selectorIiLb0EEEZNS1_14transform_implILb0ES3_S5_N6thrust23THRUST_200600_302600_NS6detail15normal_iteratorINS8_10device_ptrIiEEEEPiNS0_8identityIiEEEE10hipError_tT2_T3_mT4_P12ihipStream_tbEUlT_E_NS1_11comp_targetILNS1_3genE3ELNS1_11target_archE908ELNS1_3gpuE7ELNS1_3repE0EEENS1_30default_config_static_selectorELNS0_4arch9wavefront6targetE1EEEvT1_.numbered_sgpr, 0
	.set _ZN7rocprim17ROCPRIM_400000_NS6detail17trampoline_kernelINS0_14default_configENS1_25transform_config_selectorIiLb0EEEZNS1_14transform_implILb0ES3_S5_N6thrust23THRUST_200600_302600_NS6detail15normal_iteratorINS8_10device_ptrIiEEEEPiNS0_8identityIiEEEE10hipError_tT2_T3_mT4_P12ihipStream_tbEUlT_E_NS1_11comp_targetILNS1_3genE3ELNS1_11target_archE908ELNS1_3gpuE7ELNS1_3repE0EEENS1_30default_config_static_selectorELNS0_4arch9wavefront6targetE1EEEvT1_.num_named_barrier, 0
	.set _ZN7rocprim17ROCPRIM_400000_NS6detail17trampoline_kernelINS0_14default_configENS1_25transform_config_selectorIiLb0EEEZNS1_14transform_implILb0ES3_S5_N6thrust23THRUST_200600_302600_NS6detail15normal_iteratorINS8_10device_ptrIiEEEEPiNS0_8identityIiEEEE10hipError_tT2_T3_mT4_P12ihipStream_tbEUlT_E_NS1_11comp_targetILNS1_3genE3ELNS1_11target_archE908ELNS1_3gpuE7ELNS1_3repE0EEENS1_30default_config_static_selectorELNS0_4arch9wavefront6targetE1EEEvT1_.private_seg_size, 0
	.set _ZN7rocprim17ROCPRIM_400000_NS6detail17trampoline_kernelINS0_14default_configENS1_25transform_config_selectorIiLb0EEEZNS1_14transform_implILb0ES3_S5_N6thrust23THRUST_200600_302600_NS6detail15normal_iteratorINS8_10device_ptrIiEEEEPiNS0_8identityIiEEEE10hipError_tT2_T3_mT4_P12ihipStream_tbEUlT_E_NS1_11comp_targetILNS1_3genE3ELNS1_11target_archE908ELNS1_3gpuE7ELNS1_3repE0EEENS1_30default_config_static_selectorELNS0_4arch9wavefront6targetE1EEEvT1_.uses_vcc, 0
	.set _ZN7rocprim17ROCPRIM_400000_NS6detail17trampoline_kernelINS0_14default_configENS1_25transform_config_selectorIiLb0EEEZNS1_14transform_implILb0ES3_S5_N6thrust23THRUST_200600_302600_NS6detail15normal_iteratorINS8_10device_ptrIiEEEEPiNS0_8identityIiEEEE10hipError_tT2_T3_mT4_P12ihipStream_tbEUlT_E_NS1_11comp_targetILNS1_3genE3ELNS1_11target_archE908ELNS1_3gpuE7ELNS1_3repE0EEENS1_30default_config_static_selectorELNS0_4arch9wavefront6targetE1EEEvT1_.uses_flat_scratch, 0
	.set _ZN7rocprim17ROCPRIM_400000_NS6detail17trampoline_kernelINS0_14default_configENS1_25transform_config_selectorIiLb0EEEZNS1_14transform_implILb0ES3_S5_N6thrust23THRUST_200600_302600_NS6detail15normal_iteratorINS8_10device_ptrIiEEEEPiNS0_8identityIiEEEE10hipError_tT2_T3_mT4_P12ihipStream_tbEUlT_E_NS1_11comp_targetILNS1_3genE3ELNS1_11target_archE908ELNS1_3gpuE7ELNS1_3repE0EEENS1_30default_config_static_selectorELNS0_4arch9wavefront6targetE1EEEvT1_.has_dyn_sized_stack, 0
	.set _ZN7rocprim17ROCPRIM_400000_NS6detail17trampoline_kernelINS0_14default_configENS1_25transform_config_selectorIiLb0EEEZNS1_14transform_implILb0ES3_S5_N6thrust23THRUST_200600_302600_NS6detail15normal_iteratorINS8_10device_ptrIiEEEEPiNS0_8identityIiEEEE10hipError_tT2_T3_mT4_P12ihipStream_tbEUlT_E_NS1_11comp_targetILNS1_3genE3ELNS1_11target_archE908ELNS1_3gpuE7ELNS1_3repE0EEENS1_30default_config_static_selectorELNS0_4arch9wavefront6targetE1EEEvT1_.has_recursion, 0
	.set _ZN7rocprim17ROCPRIM_400000_NS6detail17trampoline_kernelINS0_14default_configENS1_25transform_config_selectorIiLb0EEEZNS1_14transform_implILb0ES3_S5_N6thrust23THRUST_200600_302600_NS6detail15normal_iteratorINS8_10device_ptrIiEEEEPiNS0_8identityIiEEEE10hipError_tT2_T3_mT4_P12ihipStream_tbEUlT_E_NS1_11comp_targetILNS1_3genE3ELNS1_11target_archE908ELNS1_3gpuE7ELNS1_3repE0EEENS1_30default_config_static_selectorELNS0_4arch9wavefront6targetE1EEEvT1_.has_indirect_call, 0
	.section	.AMDGPU.csdata,"",@progbits
; Kernel info:
; codeLenInByte = 0
; TotalNumSgprs: 6
; NumVgprs: 0
; NumAgprs: 0
; TotalNumVgprs: 0
; ScratchSize: 0
; MemoryBound: 0
; FloatMode: 240
; IeeeMode: 1
; LDSByteSize: 0 bytes/workgroup (compile time only)
; SGPRBlocks: 0
; VGPRBlocks: 0
; NumSGPRsForWavesPerEU: 6
; NumVGPRsForWavesPerEU: 1
; AccumOffset: 4
; Occupancy: 8
; WaveLimiterHint : 0
; COMPUTE_PGM_RSRC2:SCRATCH_EN: 0
; COMPUTE_PGM_RSRC2:USER_SGPR: 2
; COMPUTE_PGM_RSRC2:TRAP_HANDLER: 0
; COMPUTE_PGM_RSRC2:TGID_X_EN: 1
; COMPUTE_PGM_RSRC2:TGID_Y_EN: 0
; COMPUTE_PGM_RSRC2:TGID_Z_EN: 0
; COMPUTE_PGM_RSRC2:TIDIG_COMP_CNT: 0
; COMPUTE_PGM_RSRC3_GFX90A:ACCUM_OFFSET: 0
; COMPUTE_PGM_RSRC3_GFX90A:TG_SPLIT: 0
	.section	.text._ZN7rocprim17ROCPRIM_400000_NS6detail17trampoline_kernelINS0_14default_configENS1_25transform_config_selectorIiLb0EEEZNS1_14transform_implILb0ES3_S5_N6thrust23THRUST_200600_302600_NS6detail15normal_iteratorINS8_10device_ptrIiEEEEPiNS0_8identityIiEEEE10hipError_tT2_T3_mT4_P12ihipStream_tbEUlT_E_NS1_11comp_targetILNS1_3genE2ELNS1_11target_archE906ELNS1_3gpuE6ELNS1_3repE0EEENS1_30default_config_static_selectorELNS0_4arch9wavefront6targetE1EEEvT1_,"axG",@progbits,_ZN7rocprim17ROCPRIM_400000_NS6detail17trampoline_kernelINS0_14default_configENS1_25transform_config_selectorIiLb0EEEZNS1_14transform_implILb0ES3_S5_N6thrust23THRUST_200600_302600_NS6detail15normal_iteratorINS8_10device_ptrIiEEEEPiNS0_8identityIiEEEE10hipError_tT2_T3_mT4_P12ihipStream_tbEUlT_E_NS1_11comp_targetILNS1_3genE2ELNS1_11target_archE906ELNS1_3gpuE6ELNS1_3repE0EEENS1_30default_config_static_selectorELNS0_4arch9wavefront6targetE1EEEvT1_,comdat
	.protected	_ZN7rocprim17ROCPRIM_400000_NS6detail17trampoline_kernelINS0_14default_configENS1_25transform_config_selectorIiLb0EEEZNS1_14transform_implILb0ES3_S5_N6thrust23THRUST_200600_302600_NS6detail15normal_iteratorINS8_10device_ptrIiEEEEPiNS0_8identityIiEEEE10hipError_tT2_T3_mT4_P12ihipStream_tbEUlT_E_NS1_11comp_targetILNS1_3genE2ELNS1_11target_archE906ELNS1_3gpuE6ELNS1_3repE0EEENS1_30default_config_static_selectorELNS0_4arch9wavefront6targetE1EEEvT1_ ; -- Begin function _ZN7rocprim17ROCPRIM_400000_NS6detail17trampoline_kernelINS0_14default_configENS1_25transform_config_selectorIiLb0EEEZNS1_14transform_implILb0ES3_S5_N6thrust23THRUST_200600_302600_NS6detail15normal_iteratorINS8_10device_ptrIiEEEEPiNS0_8identityIiEEEE10hipError_tT2_T3_mT4_P12ihipStream_tbEUlT_E_NS1_11comp_targetILNS1_3genE2ELNS1_11target_archE906ELNS1_3gpuE6ELNS1_3repE0EEENS1_30default_config_static_selectorELNS0_4arch9wavefront6targetE1EEEvT1_
	.globl	_ZN7rocprim17ROCPRIM_400000_NS6detail17trampoline_kernelINS0_14default_configENS1_25transform_config_selectorIiLb0EEEZNS1_14transform_implILb0ES3_S5_N6thrust23THRUST_200600_302600_NS6detail15normal_iteratorINS8_10device_ptrIiEEEEPiNS0_8identityIiEEEE10hipError_tT2_T3_mT4_P12ihipStream_tbEUlT_E_NS1_11comp_targetILNS1_3genE2ELNS1_11target_archE906ELNS1_3gpuE6ELNS1_3repE0EEENS1_30default_config_static_selectorELNS0_4arch9wavefront6targetE1EEEvT1_
	.p2align	8
	.type	_ZN7rocprim17ROCPRIM_400000_NS6detail17trampoline_kernelINS0_14default_configENS1_25transform_config_selectorIiLb0EEEZNS1_14transform_implILb0ES3_S5_N6thrust23THRUST_200600_302600_NS6detail15normal_iteratorINS8_10device_ptrIiEEEEPiNS0_8identityIiEEEE10hipError_tT2_T3_mT4_P12ihipStream_tbEUlT_E_NS1_11comp_targetILNS1_3genE2ELNS1_11target_archE906ELNS1_3gpuE6ELNS1_3repE0EEENS1_30default_config_static_selectorELNS0_4arch9wavefront6targetE1EEEvT1_,@function
_ZN7rocprim17ROCPRIM_400000_NS6detail17trampoline_kernelINS0_14default_configENS1_25transform_config_selectorIiLb0EEEZNS1_14transform_implILb0ES3_S5_N6thrust23THRUST_200600_302600_NS6detail15normal_iteratorINS8_10device_ptrIiEEEEPiNS0_8identityIiEEEE10hipError_tT2_T3_mT4_P12ihipStream_tbEUlT_E_NS1_11comp_targetILNS1_3genE2ELNS1_11target_archE906ELNS1_3gpuE6ELNS1_3repE0EEENS1_30default_config_static_selectorELNS0_4arch9wavefront6targetE1EEEvT1_: ; @_ZN7rocprim17ROCPRIM_400000_NS6detail17trampoline_kernelINS0_14default_configENS1_25transform_config_selectorIiLb0EEEZNS1_14transform_implILb0ES3_S5_N6thrust23THRUST_200600_302600_NS6detail15normal_iteratorINS8_10device_ptrIiEEEEPiNS0_8identityIiEEEE10hipError_tT2_T3_mT4_P12ihipStream_tbEUlT_E_NS1_11comp_targetILNS1_3genE2ELNS1_11target_archE906ELNS1_3gpuE6ELNS1_3repE0EEENS1_30default_config_static_selectorELNS0_4arch9wavefront6targetE1EEEvT1_
; %bb.0:
	.section	.rodata,"a",@progbits
	.p2align	6, 0x0
	.amdhsa_kernel _ZN7rocprim17ROCPRIM_400000_NS6detail17trampoline_kernelINS0_14default_configENS1_25transform_config_selectorIiLb0EEEZNS1_14transform_implILb0ES3_S5_N6thrust23THRUST_200600_302600_NS6detail15normal_iteratorINS8_10device_ptrIiEEEEPiNS0_8identityIiEEEE10hipError_tT2_T3_mT4_P12ihipStream_tbEUlT_E_NS1_11comp_targetILNS1_3genE2ELNS1_11target_archE906ELNS1_3gpuE6ELNS1_3repE0EEENS1_30default_config_static_selectorELNS0_4arch9wavefront6targetE1EEEvT1_
		.amdhsa_group_segment_fixed_size 0
		.amdhsa_private_segment_fixed_size 0
		.amdhsa_kernarg_size 40
		.amdhsa_user_sgpr_count 2
		.amdhsa_user_sgpr_dispatch_ptr 0
		.amdhsa_user_sgpr_queue_ptr 0
		.amdhsa_user_sgpr_kernarg_segment_ptr 1
		.amdhsa_user_sgpr_dispatch_id 0
		.amdhsa_user_sgpr_kernarg_preload_length 0
		.amdhsa_user_sgpr_kernarg_preload_offset 0
		.amdhsa_user_sgpr_private_segment_size 0
		.amdhsa_uses_dynamic_stack 0
		.amdhsa_enable_private_segment 0
		.amdhsa_system_sgpr_workgroup_id_x 1
		.amdhsa_system_sgpr_workgroup_id_y 0
		.amdhsa_system_sgpr_workgroup_id_z 0
		.amdhsa_system_sgpr_workgroup_info 0
		.amdhsa_system_vgpr_workitem_id 0
		.amdhsa_next_free_vgpr 1
		.amdhsa_next_free_sgpr 0
		.amdhsa_accum_offset 4
		.amdhsa_reserve_vcc 0
		.amdhsa_float_round_mode_32 0
		.amdhsa_float_round_mode_16_64 0
		.amdhsa_float_denorm_mode_32 3
		.amdhsa_float_denorm_mode_16_64 3
		.amdhsa_dx10_clamp 1
		.amdhsa_ieee_mode 1
		.amdhsa_fp16_overflow 0
		.amdhsa_tg_split 0
		.amdhsa_exception_fp_ieee_invalid_op 0
		.amdhsa_exception_fp_denorm_src 0
		.amdhsa_exception_fp_ieee_div_zero 0
		.amdhsa_exception_fp_ieee_overflow 0
		.amdhsa_exception_fp_ieee_underflow 0
		.amdhsa_exception_fp_ieee_inexact 0
		.amdhsa_exception_int_div_zero 0
	.end_amdhsa_kernel
	.section	.text._ZN7rocprim17ROCPRIM_400000_NS6detail17trampoline_kernelINS0_14default_configENS1_25transform_config_selectorIiLb0EEEZNS1_14transform_implILb0ES3_S5_N6thrust23THRUST_200600_302600_NS6detail15normal_iteratorINS8_10device_ptrIiEEEEPiNS0_8identityIiEEEE10hipError_tT2_T3_mT4_P12ihipStream_tbEUlT_E_NS1_11comp_targetILNS1_3genE2ELNS1_11target_archE906ELNS1_3gpuE6ELNS1_3repE0EEENS1_30default_config_static_selectorELNS0_4arch9wavefront6targetE1EEEvT1_,"axG",@progbits,_ZN7rocprim17ROCPRIM_400000_NS6detail17trampoline_kernelINS0_14default_configENS1_25transform_config_selectorIiLb0EEEZNS1_14transform_implILb0ES3_S5_N6thrust23THRUST_200600_302600_NS6detail15normal_iteratorINS8_10device_ptrIiEEEEPiNS0_8identityIiEEEE10hipError_tT2_T3_mT4_P12ihipStream_tbEUlT_E_NS1_11comp_targetILNS1_3genE2ELNS1_11target_archE906ELNS1_3gpuE6ELNS1_3repE0EEENS1_30default_config_static_selectorELNS0_4arch9wavefront6targetE1EEEvT1_,comdat
.Lfunc_end154:
	.size	_ZN7rocprim17ROCPRIM_400000_NS6detail17trampoline_kernelINS0_14default_configENS1_25transform_config_selectorIiLb0EEEZNS1_14transform_implILb0ES3_S5_N6thrust23THRUST_200600_302600_NS6detail15normal_iteratorINS8_10device_ptrIiEEEEPiNS0_8identityIiEEEE10hipError_tT2_T3_mT4_P12ihipStream_tbEUlT_E_NS1_11comp_targetILNS1_3genE2ELNS1_11target_archE906ELNS1_3gpuE6ELNS1_3repE0EEENS1_30default_config_static_selectorELNS0_4arch9wavefront6targetE1EEEvT1_, .Lfunc_end154-_ZN7rocprim17ROCPRIM_400000_NS6detail17trampoline_kernelINS0_14default_configENS1_25transform_config_selectorIiLb0EEEZNS1_14transform_implILb0ES3_S5_N6thrust23THRUST_200600_302600_NS6detail15normal_iteratorINS8_10device_ptrIiEEEEPiNS0_8identityIiEEEE10hipError_tT2_T3_mT4_P12ihipStream_tbEUlT_E_NS1_11comp_targetILNS1_3genE2ELNS1_11target_archE906ELNS1_3gpuE6ELNS1_3repE0EEENS1_30default_config_static_selectorELNS0_4arch9wavefront6targetE1EEEvT1_
                                        ; -- End function
	.set _ZN7rocprim17ROCPRIM_400000_NS6detail17trampoline_kernelINS0_14default_configENS1_25transform_config_selectorIiLb0EEEZNS1_14transform_implILb0ES3_S5_N6thrust23THRUST_200600_302600_NS6detail15normal_iteratorINS8_10device_ptrIiEEEEPiNS0_8identityIiEEEE10hipError_tT2_T3_mT4_P12ihipStream_tbEUlT_E_NS1_11comp_targetILNS1_3genE2ELNS1_11target_archE906ELNS1_3gpuE6ELNS1_3repE0EEENS1_30default_config_static_selectorELNS0_4arch9wavefront6targetE1EEEvT1_.num_vgpr, 0
	.set _ZN7rocprim17ROCPRIM_400000_NS6detail17trampoline_kernelINS0_14default_configENS1_25transform_config_selectorIiLb0EEEZNS1_14transform_implILb0ES3_S5_N6thrust23THRUST_200600_302600_NS6detail15normal_iteratorINS8_10device_ptrIiEEEEPiNS0_8identityIiEEEE10hipError_tT2_T3_mT4_P12ihipStream_tbEUlT_E_NS1_11comp_targetILNS1_3genE2ELNS1_11target_archE906ELNS1_3gpuE6ELNS1_3repE0EEENS1_30default_config_static_selectorELNS0_4arch9wavefront6targetE1EEEvT1_.num_agpr, 0
	.set _ZN7rocprim17ROCPRIM_400000_NS6detail17trampoline_kernelINS0_14default_configENS1_25transform_config_selectorIiLb0EEEZNS1_14transform_implILb0ES3_S5_N6thrust23THRUST_200600_302600_NS6detail15normal_iteratorINS8_10device_ptrIiEEEEPiNS0_8identityIiEEEE10hipError_tT2_T3_mT4_P12ihipStream_tbEUlT_E_NS1_11comp_targetILNS1_3genE2ELNS1_11target_archE906ELNS1_3gpuE6ELNS1_3repE0EEENS1_30default_config_static_selectorELNS0_4arch9wavefront6targetE1EEEvT1_.numbered_sgpr, 0
	.set _ZN7rocprim17ROCPRIM_400000_NS6detail17trampoline_kernelINS0_14default_configENS1_25transform_config_selectorIiLb0EEEZNS1_14transform_implILb0ES3_S5_N6thrust23THRUST_200600_302600_NS6detail15normal_iteratorINS8_10device_ptrIiEEEEPiNS0_8identityIiEEEE10hipError_tT2_T3_mT4_P12ihipStream_tbEUlT_E_NS1_11comp_targetILNS1_3genE2ELNS1_11target_archE906ELNS1_3gpuE6ELNS1_3repE0EEENS1_30default_config_static_selectorELNS0_4arch9wavefront6targetE1EEEvT1_.num_named_barrier, 0
	.set _ZN7rocprim17ROCPRIM_400000_NS6detail17trampoline_kernelINS0_14default_configENS1_25transform_config_selectorIiLb0EEEZNS1_14transform_implILb0ES3_S5_N6thrust23THRUST_200600_302600_NS6detail15normal_iteratorINS8_10device_ptrIiEEEEPiNS0_8identityIiEEEE10hipError_tT2_T3_mT4_P12ihipStream_tbEUlT_E_NS1_11comp_targetILNS1_3genE2ELNS1_11target_archE906ELNS1_3gpuE6ELNS1_3repE0EEENS1_30default_config_static_selectorELNS0_4arch9wavefront6targetE1EEEvT1_.private_seg_size, 0
	.set _ZN7rocprim17ROCPRIM_400000_NS6detail17trampoline_kernelINS0_14default_configENS1_25transform_config_selectorIiLb0EEEZNS1_14transform_implILb0ES3_S5_N6thrust23THRUST_200600_302600_NS6detail15normal_iteratorINS8_10device_ptrIiEEEEPiNS0_8identityIiEEEE10hipError_tT2_T3_mT4_P12ihipStream_tbEUlT_E_NS1_11comp_targetILNS1_3genE2ELNS1_11target_archE906ELNS1_3gpuE6ELNS1_3repE0EEENS1_30default_config_static_selectorELNS0_4arch9wavefront6targetE1EEEvT1_.uses_vcc, 0
	.set _ZN7rocprim17ROCPRIM_400000_NS6detail17trampoline_kernelINS0_14default_configENS1_25transform_config_selectorIiLb0EEEZNS1_14transform_implILb0ES3_S5_N6thrust23THRUST_200600_302600_NS6detail15normal_iteratorINS8_10device_ptrIiEEEEPiNS0_8identityIiEEEE10hipError_tT2_T3_mT4_P12ihipStream_tbEUlT_E_NS1_11comp_targetILNS1_3genE2ELNS1_11target_archE906ELNS1_3gpuE6ELNS1_3repE0EEENS1_30default_config_static_selectorELNS0_4arch9wavefront6targetE1EEEvT1_.uses_flat_scratch, 0
	.set _ZN7rocprim17ROCPRIM_400000_NS6detail17trampoline_kernelINS0_14default_configENS1_25transform_config_selectorIiLb0EEEZNS1_14transform_implILb0ES3_S5_N6thrust23THRUST_200600_302600_NS6detail15normal_iteratorINS8_10device_ptrIiEEEEPiNS0_8identityIiEEEE10hipError_tT2_T3_mT4_P12ihipStream_tbEUlT_E_NS1_11comp_targetILNS1_3genE2ELNS1_11target_archE906ELNS1_3gpuE6ELNS1_3repE0EEENS1_30default_config_static_selectorELNS0_4arch9wavefront6targetE1EEEvT1_.has_dyn_sized_stack, 0
	.set _ZN7rocprim17ROCPRIM_400000_NS6detail17trampoline_kernelINS0_14default_configENS1_25transform_config_selectorIiLb0EEEZNS1_14transform_implILb0ES3_S5_N6thrust23THRUST_200600_302600_NS6detail15normal_iteratorINS8_10device_ptrIiEEEEPiNS0_8identityIiEEEE10hipError_tT2_T3_mT4_P12ihipStream_tbEUlT_E_NS1_11comp_targetILNS1_3genE2ELNS1_11target_archE906ELNS1_3gpuE6ELNS1_3repE0EEENS1_30default_config_static_selectorELNS0_4arch9wavefront6targetE1EEEvT1_.has_recursion, 0
	.set _ZN7rocprim17ROCPRIM_400000_NS6detail17trampoline_kernelINS0_14default_configENS1_25transform_config_selectorIiLb0EEEZNS1_14transform_implILb0ES3_S5_N6thrust23THRUST_200600_302600_NS6detail15normal_iteratorINS8_10device_ptrIiEEEEPiNS0_8identityIiEEEE10hipError_tT2_T3_mT4_P12ihipStream_tbEUlT_E_NS1_11comp_targetILNS1_3genE2ELNS1_11target_archE906ELNS1_3gpuE6ELNS1_3repE0EEENS1_30default_config_static_selectorELNS0_4arch9wavefront6targetE1EEEvT1_.has_indirect_call, 0
	.section	.AMDGPU.csdata,"",@progbits
; Kernel info:
; codeLenInByte = 0
; TotalNumSgprs: 6
; NumVgprs: 0
; NumAgprs: 0
; TotalNumVgprs: 0
; ScratchSize: 0
; MemoryBound: 0
; FloatMode: 240
; IeeeMode: 1
; LDSByteSize: 0 bytes/workgroup (compile time only)
; SGPRBlocks: 0
; VGPRBlocks: 0
; NumSGPRsForWavesPerEU: 6
; NumVGPRsForWavesPerEU: 1
; AccumOffset: 4
; Occupancy: 8
; WaveLimiterHint : 0
; COMPUTE_PGM_RSRC2:SCRATCH_EN: 0
; COMPUTE_PGM_RSRC2:USER_SGPR: 2
; COMPUTE_PGM_RSRC2:TRAP_HANDLER: 0
; COMPUTE_PGM_RSRC2:TGID_X_EN: 1
; COMPUTE_PGM_RSRC2:TGID_Y_EN: 0
; COMPUTE_PGM_RSRC2:TGID_Z_EN: 0
; COMPUTE_PGM_RSRC2:TIDIG_COMP_CNT: 0
; COMPUTE_PGM_RSRC3_GFX90A:ACCUM_OFFSET: 0
; COMPUTE_PGM_RSRC3_GFX90A:TG_SPLIT: 0
	.section	.text._ZN7rocprim17ROCPRIM_400000_NS6detail17trampoline_kernelINS0_14default_configENS1_25transform_config_selectorIiLb0EEEZNS1_14transform_implILb0ES3_S5_N6thrust23THRUST_200600_302600_NS6detail15normal_iteratorINS8_10device_ptrIiEEEEPiNS0_8identityIiEEEE10hipError_tT2_T3_mT4_P12ihipStream_tbEUlT_E_NS1_11comp_targetILNS1_3genE10ELNS1_11target_archE1201ELNS1_3gpuE5ELNS1_3repE0EEENS1_30default_config_static_selectorELNS0_4arch9wavefront6targetE1EEEvT1_,"axG",@progbits,_ZN7rocprim17ROCPRIM_400000_NS6detail17trampoline_kernelINS0_14default_configENS1_25transform_config_selectorIiLb0EEEZNS1_14transform_implILb0ES3_S5_N6thrust23THRUST_200600_302600_NS6detail15normal_iteratorINS8_10device_ptrIiEEEEPiNS0_8identityIiEEEE10hipError_tT2_T3_mT4_P12ihipStream_tbEUlT_E_NS1_11comp_targetILNS1_3genE10ELNS1_11target_archE1201ELNS1_3gpuE5ELNS1_3repE0EEENS1_30default_config_static_selectorELNS0_4arch9wavefront6targetE1EEEvT1_,comdat
	.protected	_ZN7rocprim17ROCPRIM_400000_NS6detail17trampoline_kernelINS0_14default_configENS1_25transform_config_selectorIiLb0EEEZNS1_14transform_implILb0ES3_S5_N6thrust23THRUST_200600_302600_NS6detail15normal_iteratorINS8_10device_ptrIiEEEEPiNS0_8identityIiEEEE10hipError_tT2_T3_mT4_P12ihipStream_tbEUlT_E_NS1_11comp_targetILNS1_3genE10ELNS1_11target_archE1201ELNS1_3gpuE5ELNS1_3repE0EEENS1_30default_config_static_selectorELNS0_4arch9wavefront6targetE1EEEvT1_ ; -- Begin function _ZN7rocprim17ROCPRIM_400000_NS6detail17trampoline_kernelINS0_14default_configENS1_25transform_config_selectorIiLb0EEEZNS1_14transform_implILb0ES3_S5_N6thrust23THRUST_200600_302600_NS6detail15normal_iteratorINS8_10device_ptrIiEEEEPiNS0_8identityIiEEEE10hipError_tT2_T3_mT4_P12ihipStream_tbEUlT_E_NS1_11comp_targetILNS1_3genE10ELNS1_11target_archE1201ELNS1_3gpuE5ELNS1_3repE0EEENS1_30default_config_static_selectorELNS0_4arch9wavefront6targetE1EEEvT1_
	.globl	_ZN7rocprim17ROCPRIM_400000_NS6detail17trampoline_kernelINS0_14default_configENS1_25transform_config_selectorIiLb0EEEZNS1_14transform_implILb0ES3_S5_N6thrust23THRUST_200600_302600_NS6detail15normal_iteratorINS8_10device_ptrIiEEEEPiNS0_8identityIiEEEE10hipError_tT2_T3_mT4_P12ihipStream_tbEUlT_E_NS1_11comp_targetILNS1_3genE10ELNS1_11target_archE1201ELNS1_3gpuE5ELNS1_3repE0EEENS1_30default_config_static_selectorELNS0_4arch9wavefront6targetE1EEEvT1_
	.p2align	8
	.type	_ZN7rocprim17ROCPRIM_400000_NS6detail17trampoline_kernelINS0_14default_configENS1_25transform_config_selectorIiLb0EEEZNS1_14transform_implILb0ES3_S5_N6thrust23THRUST_200600_302600_NS6detail15normal_iteratorINS8_10device_ptrIiEEEEPiNS0_8identityIiEEEE10hipError_tT2_T3_mT4_P12ihipStream_tbEUlT_E_NS1_11comp_targetILNS1_3genE10ELNS1_11target_archE1201ELNS1_3gpuE5ELNS1_3repE0EEENS1_30default_config_static_selectorELNS0_4arch9wavefront6targetE1EEEvT1_,@function
_ZN7rocprim17ROCPRIM_400000_NS6detail17trampoline_kernelINS0_14default_configENS1_25transform_config_selectorIiLb0EEEZNS1_14transform_implILb0ES3_S5_N6thrust23THRUST_200600_302600_NS6detail15normal_iteratorINS8_10device_ptrIiEEEEPiNS0_8identityIiEEEE10hipError_tT2_T3_mT4_P12ihipStream_tbEUlT_E_NS1_11comp_targetILNS1_3genE10ELNS1_11target_archE1201ELNS1_3gpuE5ELNS1_3repE0EEENS1_30default_config_static_selectorELNS0_4arch9wavefront6targetE1EEEvT1_: ; @_ZN7rocprim17ROCPRIM_400000_NS6detail17trampoline_kernelINS0_14default_configENS1_25transform_config_selectorIiLb0EEEZNS1_14transform_implILb0ES3_S5_N6thrust23THRUST_200600_302600_NS6detail15normal_iteratorINS8_10device_ptrIiEEEEPiNS0_8identityIiEEEE10hipError_tT2_T3_mT4_P12ihipStream_tbEUlT_E_NS1_11comp_targetILNS1_3genE10ELNS1_11target_archE1201ELNS1_3gpuE5ELNS1_3repE0EEENS1_30default_config_static_selectorELNS0_4arch9wavefront6targetE1EEEvT1_
; %bb.0:
	.section	.rodata,"a",@progbits
	.p2align	6, 0x0
	.amdhsa_kernel _ZN7rocprim17ROCPRIM_400000_NS6detail17trampoline_kernelINS0_14default_configENS1_25transform_config_selectorIiLb0EEEZNS1_14transform_implILb0ES3_S5_N6thrust23THRUST_200600_302600_NS6detail15normal_iteratorINS8_10device_ptrIiEEEEPiNS0_8identityIiEEEE10hipError_tT2_T3_mT4_P12ihipStream_tbEUlT_E_NS1_11comp_targetILNS1_3genE10ELNS1_11target_archE1201ELNS1_3gpuE5ELNS1_3repE0EEENS1_30default_config_static_selectorELNS0_4arch9wavefront6targetE1EEEvT1_
		.amdhsa_group_segment_fixed_size 0
		.amdhsa_private_segment_fixed_size 0
		.amdhsa_kernarg_size 40
		.amdhsa_user_sgpr_count 2
		.amdhsa_user_sgpr_dispatch_ptr 0
		.amdhsa_user_sgpr_queue_ptr 0
		.amdhsa_user_sgpr_kernarg_segment_ptr 1
		.amdhsa_user_sgpr_dispatch_id 0
		.amdhsa_user_sgpr_kernarg_preload_length 0
		.amdhsa_user_sgpr_kernarg_preload_offset 0
		.amdhsa_user_sgpr_private_segment_size 0
		.amdhsa_uses_dynamic_stack 0
		.amdhsa_enable_private_segment 0
		.amdhsa_system_sgpr_workgroup_id_x 1
		.amdhsa_system_sgpr_workgroup_id_y 0
		.amdhsa_system_sgpr_workgroup_id_z 0
		.amdhsa_system_sgpr_workgroup_info 0
		.amdhsa_system_vgpr_workitem_id 0
		.amdhsa_next_free_vgpr 1
		.amdhsa_next_free_sgpr 0
		.amdhsa_accum_offset 4
		.amdhsa_reserve_vcc 0
		.amdhsa_float_round_mode_32 0
		.amdhsa_float_round_mode_16_64 0
		.amdhsa_float_denorm_mode_32 3
		.amdhsa_float_denorm_mode_16_64 3
		.amdhsa_dx10_clamp 1
		.amdhsa_ieee_mode 1
		.amdhsa_fp16_overflow 0
		.amdhsa_tg_split 0
		.amdhsa_exception_fp_ieee_invalid_op 0
		.amdhsa_exception_fp_denorm_src 0
		.amdhsa_exception_fp_ieee_div_zero 0
		.amdhsa_exception_fp_ieee_overflow 0
		.amdhsa_exception_fp_ieee_underflow 0
		.amdhsa_exception_fp_ieee_inexact 0
		.amdhsa_exception_int_div_zero 0
	.end_amdhsa_kernel
	.section	.text._ZN7rocprim17ROCPRIM_400000_NS6detail17trampoline_kernelINS0_14default_configENS1_25transform_config_selectorIiLb0EEEZNS1_14transform_implILb0ES3_S5_N6thrust23THRUST_200600_302600_NS6detail15normal_iteratorINS8_10device_ptrIiEEEEPiNS0_8identityIiEEEE10hipError_tT2_T3_mT4_P12ihipStream_tbEUlT_E_NS1_11comp_targetILNS1_3genE10ELNS1_11target_archE1201ELNS1_3gpuE5ELNS1_3repE0EEENS1_30default_config_static_selectorELNS0_4arch9wavefront6targetE1EEEvT1_,"axG",@progbits,_ZN7rocprim17ROCPRIM_400000_NS6detail17trampoline_kernelINS0_14default_configENS1_25transform_config_selectorIiLb0EEEZNS1_14transform_implILb0ES3_S5_N6thrust23THRUST_200600_302600_NS6detail15normal_iteratorINS8_10device_ptrIiEEEEPiNS0_8identityIiEEEE10hipError_tT2_T3_mT4_P12ihipStream_tbEUlT_E_NS1_11comp_targetILNS1_3genE10ELNS1_11target_archE1201ELNS1_3gpuE5ELNS1_3repE0EEENS1_30default_config_static_selectorELNS0_4arch9wavefront6targetE1EEEvT1_,comdat
.Lfunc_end155:
	.size	_ZN7rocprim17ROCPRIM_400000_NS6detail17trampoline_kernelINS0_14default_configENS1_25transform_config_selectorIiLb0EEEZNS1_14transform_implILb0ES3_S5_N6thrust23THRUST_200600_302600_NS6detail15normal_iteratorINS8_10device_ptrIiEEEEPiNS0_8identityIiEEEE10hipError_tT2_T3_mT4_P12ihipStream_tbEUlT_E_NS1_11comp_targetILNS1_3genE10ELNS1_11target_archE1201ELNS1_3gpuE5ELNS1_3repE0EEENS1_30default_config_static_selectorELNS0_4arch9wavefront6targetE1EEEvT1_, .Lfunc_end155-_ZN7rocprim17ROCPRIM_400000_NS6detail17trampoline_kernelINS0_14default_configENS1_25transform_config_selectorIiLb0EEEZNS1_14transform_implILb0ES3_S5_N6thrust23THRUST_200600_302600_NS6detail15normal_iteratorINS8_10device_ptrIiEEEEPiNS0_8identityIiEEEE10hipError_tT2_T3_mT4_P12ihipStream_tbEUlT_E_NS1_11comp_targetILNS1_3genE10ELNS1_11target_archE1201ELNS1_3gpuE5ELNS1_3repE0EEENS1_30default_config_static_selectorELNS0_4arch9wavefront6targetE1EEEvT1_
                                        ; -- End function
	.set _ZN7rocprim17ROCPRIM_400000_NS6detail17trampoline_kernelINS0_14default_configENS1_25transform_config_selectorIiLb0EEEZNS1_14transform_implILb0ES3_S5_N6thrust23THRUST_200600_302600_NS6detail15normal_iteratorINS8_10device_ptrIiEEEEPiNS0_8identityIiEEEE10hipError_tT2_T3_mT4_P12ihipStream_tbEUlT_E_NS1_11comp_targetILNS1_3genE10ELNS1_11target_archE1201ELNS1_3gpuE5ELNS1_3repE0EEENS1_30default_config_static_selectorELNS0_4arch9wavefront6targetE1EEEvT1_.num_vgpr, 0
	.set _ZN7rocprim17ROCPRIM_400000_NS6detail17trampoline_kernelINS0_14default_configENS1_25transform_config_selectorIiLb0EEEZNS1_14transform_implILb0ES3_S5_N6thrust23THRUST_200600_302600_NS6detail15normal_iteratorINS8_10device_ptrIiEEEEPiNS0_8identityIiEEEE10hipError_tT2_T3_mT4_P12ihipStream_tbEUlT_E_NS1_11comp_targetILNS1_3genE10ELNS1_11target_archE1201ELNS1_3gpuE5ELNS1_3repE0EEENS1_30default_config_static_selectorELNS0_4arch9wavefront6targetE1EEEvT1_.num_agpr, 0
	.set _ZN7rocprim17ROCPRIM_400000_NS6detail17trampoline_kernelINS0_14default_configENS1_25transform_config_selectorIiLb0EEEZNS1_14transform_implILb0ES3_S5_N6thrust23THRUST_200600_302600_NS6detail15normal_iteratorINS8_10device_ptrIiEEEEPiNS0_8identityIiEEEE10hipError_tT2_T3_mT4_P12ihipStream_tbEUlT_E_NS1_11comp_targetILNS1_3genE10ELNS1_11target_archE1201ELNS1_3gpuE5ELNS1_3repE0EEENS1_30default_config_static_selectorELNS0_4arch9wavefront6targetE1EEEvT1_.numbered_sgpr, 0
	.set _ZN7rocprim17ROCPRIM_400000_NS6detail17trampoline_kernelINS0_14default_configENS1_25transform_config_selectorIiLb0EEEZNS1_14transform_implILb0ES3_S5_N6thrust23THRUST_200600_302600_NS6detail15normal_iteratorINS8_10device_ptrIiEEEEPiNS0_8identityIiEEEE10hipError_tT2_T3_mT4_P12ihipStream_tbEUlT_E_NS1_11comp_targetILNS1_3genE10ELNS1_11target_archE1201ELNS1_3gpuE5ELNS1_3repE0EEENS1_30default_config_static_selectorELNS0_4arch9wavefront6targetE1EEEvT1_.num_named_barrier, 0
	.set _ZN7rocprim17ROCPRIM_400000_NS6detail17trampoline_kernelINS0_14default_configENS1_25transform_config_selectorIiLb0EEEZNS1_14transform_implILb0ES3_S5_N6thrust23THRUST_200600_302600_NS6detail15normal_iteratorINS8_10device_ptrIiEEEEPiNS0_8identityIiEEEE10hipError_tT2_T3_mT4_P12ihipStream_tbEUlT_E_NS1_11comp_targetILNS1_3genE10ELNS1_11target_archE1201ELNS1_3gpuE5ELNS1_3repE0EEENS1_30default_config_static_selectorELNS0_4arch9wavefront6targetE1EEEvT1_.private_seg_size, 0
	.set _ZN7rocprim17ROCPRIM_400000_NS6detail17trampoline_kernelINS0_14default_configENS1_25transform_config_selectorIiLb0EEEZNS1_14transform_implILb0ES3_S5_N6thrust23THRUST_200600_302600_NS6detail15normal_iteratorINS8_10device_ptrIiEEEEPiNS0_8identityIiEEEE10hipError_tT2_T3_mT4_P12ihipStream_tbEUlT_E_NS1_11comp_targetILNS1_3genE10ELNS1_11target_archE1201ELNS1_3gpuE5ELNS1_3repE0EEENS1_30default_config_static_selectorELNS0_4arch9wavefront6targetE1EEEvT1_.uses_vcc, 0
	.set _ZN7rocprim17ROCPRIM_400000_NS6detail17trampoline_kernelINS0_14default_configENS1_25transform_config_selectorIiLb0EEEZNS1_14transform_implILb0ES3_S5_N6thrust23THRUST_200600_302600_NS6detail15normal_iteratorINS8_10device_ptrIiEEEEPiNS0_8identityIiEEEE10hipError_tT2_T3_mT4_P12ihipStream_tbEUlT_E_NS1_11comp_targetILNS1_3genE10ELNS1_11target_archE1201ELNS1_3gpuE5ELNS1_3repE0EEENS1_30default_config_static_selectorELNS0_4arch9wavefront6targetE1EEEvT1_.uses_flat_scratch, 0
	.set _ZN7rocprim17ROCPRIM_400000_NS6detail17trampoline_kernelINS0_14default_configENS1_25transform_config_selectorIiLb0EEEZNS1_14transform_implILb0ES3_S5_N6thrust23THRUST_200600_302600_NS6detail15normal_iteratorINS8_10device_ptrIiEEEEPiNS0_8identityIiEEEE10hipError_tT2_T3_mT4_P12ihipStream_tbEUlT_E_NS1_11comp_targetILNS1_3genE10ELNS1_11target_archE1201ELNS1_3gpuE5ELNS1_3repE0EEENS1_30default_config_static_selectorELNS0_4arch9wavefront6targetE1EEEvT1_.has_dyn_sized_stack, 0
	.set _ZN7rocprim17ROCPRIM_400000_NS6detail17trampoline_kernelINS0_14default_configENS1_25transform_config_selectorIiLb0EEEZNS1_14transform_implILb0ES3_S5_N6thrust23THRUST_200600_302600_NS6detail15normal_iteratorINS8_10device_ptrIiEEEEPiNS0_8identityIiEEEE10hipError_tT2_T3_mT4_P12ihipStream_tbEUlT_E_NS1_11comp_targetILNS1_3genE10ELNS1_11target_archE1201ELNS1_3gpuE5ELNS1_3repE0EEENS1_30default_config_static_selectorELNS0_4arch9wavefront6targetE1EEEvT1_.has_recursion, 0
	.set _ZN7rocprim17ROCPRIM_400000_NS6detail17trampoline_kernelINS0_14default_configENS1_25transform_config_selectorIiLb0EEEZNS1_14transform_implILb0ES3_S5_N6thrust23THRUST_200600_302600_NS6detail15normal_iteratorINS8_10device_ptrIiEEEEPiNS0_8identityIiEEEE10hipError_tT2_T3_mT4_P12ihipStream_tbEUlT_E_NS1_11comp_targetILNS1_3genE10ELNS1_11target_archE1201ELNS1_3gpuE5ELNS1_3repE0EEENS1_30default_config_static_selectorELNS0_4arch9wavefront6targetE1EEEvT1_.has_indirect_call, 0
	.section	.AMDGPU.csdata,"",@progbits
; Kernel info:
; codeLenInByte = 0
; TotalNumSgprs: 6
; NumVgprs: 0
; NumAgprs: 0
; TotalNumVgprs: 0
; ScratchSize: 0
; MemoryBound: 0
; FloatMode: 240
; IeeeMode: 1
; LDSByteSize: 0 bytes/workgroup (compile time only)
; SGPRBlocks: 0
; VGPRBlocks: 0
; NumSGPRsForWavesPerEU: 6
; NumVGPRsForWavesPerEU: 1
; AccumOffset: 4
; Occupancy: 8
; WaveLimiterHint : 0
; COMPUTE_PGM_RSRC2:SCRATCH_EN: 0
; COMPUTE_PGM_RSRC2:USER_SGPR: 2
; COMPUTE_PGM_RSRC2:TRAP_HANDLER: 0
; COMPUTE_PGM_RSRC2:TGID_X_EN: 1
; COMPUTE_PGM_RSRC2:TGID_Y_EN: 0
; COMPUTE_PGM_RSRC2:TGID_Z_EN: 0
; COMPUTE_PGM_RSRC2:TIDIG_COMP_CNT: 0
; COMPUTE_PGM_RSRC3_GFX90A:ACCUM_OFFSET: 0
; COMPUTE_PGM_RSRC3_GFX90A:TG_SPLIT: 0
	.section	.text._ZN7rocprim17ROCPRIM_400000_NS6detail17trampoline_kernelINS0_14default_configENS1_25transform_config_selectorIiLb0EEEZNS1_14transform_implILb0ES3_S5_N6thrust23THRUST_200600_302600_NS6detail15normal_iteratorINS8_10device_ptrIiEEEEPiNS0_8identityIiEEEE10hipError_tT2_T3_mT4_P12ihipStream_tbEUlT_E_NS1_11comp_targetILNS1_3genE10ELNS1_11target_archE1200ELNS1_3gpuE4ELNS1_3repE0EEENS1_30default_config_static_selectorELNS0_4arch9wavefront6targetE1EEEvT1_,"axG",@progbits,_ZN7rocprim17ROCPRIM_400000_NS6detail17trampoline_kernelINS0_14default_configENS1_25transform_config_selectorIiLb0EEEZNS1_14transform_implILb0ES3_S5_N6thrust23THRUST_200600_302600_NS6detail15normal_iteratorINS8_10device_ptrIiEEEEPiNS0_8identityIiEEEE10hipError_tT2_T3_mT4_P12ihipStream_tbEUlT_E_NS1_11comp_targetILNS1_3genE10ELNS1_11target_archE1200ELNS1_3gpuE4ELNS1_3repE0EEENS1_30default_config_static_selectorELNS0_4arch9wavefront6targetE1EEEvT1_,comdat
	.protected	_ZN7rocprim17ROCPRIM_400000_NS6detail17trampoline_kernelINS0_14default_configENS1_25transform_config_selectorIiLb0EEEZNS1_14transform_implILb0ES3_S5_N6thrust23THRUST_200600_302600_NS6detail15normal_iteratorINS8_10device_ptrIiEEEEPiNS0_8identityIiEEEE10hipError_tT2_T3_mT4_P12ihipStream_tbEUlT_E_NS1_11comp_targetILNS1_3genE10ELNS1_11target_archE1200ELNS1_3gpuE4ELNS1_3repE0EEENS1_30default_config_static_selectorELNS0_4arch9wavefront6targetE1EEEvT1_ ; -- Begin function _ZN7rocprim17ROCPRIM_400000_NS6detail17trampoline_kernelINS0_14default_configENS1_25transform_config_selectorIiLb0EEEZNS1_14transform_implILb0ES3_S5_N6thrust23THRUST_200600_302600_NS6detail15normal_iteratorINS8_10device_ptrIiEEEEPiNS0_8identityIiEEEE10hipError_tT2_T3_mT4_P12ihipStream_tbEUlT_E_NS1_11comp_targetILNS1_3genE10ELNS1_11target_archE1200ELNS1_3gpuE4ELNS1_3repE0EEENS1_30default_config_static_selectorELNS0_4arch9wavefront6targetE1EEEvT1_
	.globl	_ZN7rocprim17ROCPRIM_400000_NS6detail17trampoline_kernelINS0_14default_configENS1_25transform_config_selectorIiLb0EEEZNS1_14transform_implILb0ES3_S5_N6thrust23THRUST_200600_302600_NS6detail15normal_iteratorINS8_10device_ptrIiEEEEPiNS0_8identityIiEEEE10hipError_tT2_T3_mT4_P12ihipStream_tbEUlT_E_NS1_11comp_targetILNS1_3genE10ELNS1_11target_archE1200ELNS1_3gpuE4ELNS1_3repE0EEENS1_30default_config_static_selectorELNS0_4arch9wavefront6targetE1EEEvT1_
	.p2align	8
	.type	_ZN7rocprim17ROCPRIM_400000_NS6detail17trampoline_kernelINS0_14default_configENS1_25transform_config_selectorIiLb0EEEZNS1_14transform_implILb0ES3_S5_N6thrust23THRUST_200600_302600_NS6detail15normal_iteratorINS8_10device_ptrIiEEEEPiNS0_8identityIiEEEE10hipError_tT2_T3_mT4_P12ihipStream_tbEUlT_E_NS1_11comp_targetILNS1_3genE10ELNS1_11target_archE1200ELNS1_3gpuE4ELNS1_3repE0EEENS1_30default_config_static_selectorELNS0_4arch9wavefront6targetE1EEEvT1_,@function
_ZN7rocprim17ROCPRIM_400000_NS6detail17trampoline_kernelINS0_14default_configENS1_25transform_config_selectorIiLb0EEEZNS1_14transform_implILb0ES3_S5_N6thrust23THRUST_200600_302600_NS6detail15normal_iteratorINS8_10device_ptrIiEEEEPiNS0_8identityIiEEEE10hipError_tT2_T3_mT4_P12ihipStream_tbEUlT_E_NS1_11comp_targetILNS1_3genE10ELNS1_11target_archE1200ELNS1_3gpuE4ELNS1_3repE0EEENS1_30default_config_static_selectorELNS0_4arch9wavefront6targetE1EEEvT1_: ; @_ZN7rocprim17ROCPRIM_400000_NS6detail17trampoline_kernelINS0_14default_configENS1_25transform_config_selectorIiLb0EEEZNS1_14transform_implILb0ES3_S5_N6thrust23THRUST_200600_302600_NS6detail15normal_iteratorINS8_10device_ptrIiEEEEPiNS0_8identityIiEEEE10hipError_tT2_T3_mT4_P12ihipStream_tbEUlT_E_NS1_11comp_targetILNS1_3genE10ELNS1_11target_archE1200ELNS1_3gpuE4ELNS1_3repE0EEENS1_30default_config_static_selectorELNS0_4arch9wavefront6targetE1EEEvT1_
; %bb.0:
	.section	.rodata,"a",@progbits
	.p2align	6, 0x0
	.amdhsa_kernel _ZN7rocprim17ROCPRIM_400000_NS6detail17trampoline_kernelINS0_14default_configENS1_25transform_config_selectorIiLb0EEEZNS1_14transform_implILb0ES3_S5_N6thrust23THRUST_200600_302600_NS6detail15normal_iteratorINS8_10device_ptrIiEEEEPiNS0_8identityIiEEEE10hipError_tT2_T3_mT4_P12ihipStream_tbEUlT_E_NS1_11comp_targetILNS1_3genE10ELNS1_11target_archE1200ELNS1_3gpuE4ELNS1_3repE0EEENS1_30default_config_static_selectorELNS0_4arch9wavefront6targetE1EEEvT1_
		.amdhsa_group_segment_fixed_size 0
		.amdhsa_private_segment_fixed_size 0
		.amdhsa_kernarg_size 40
		.amdhsa_user_sgpr_count 2
		.amdhsa_user_sgpr_dispatch_ptr 0
		.amdhsa_user_sgpr_queue_ptr 0
		.amdhsa_user_sgpr_kernarg_segment_ptr 1
		.amdhsa_user_sgpr_dispatch_id 0
		.amdhsa_user_sgpr_kernarg_preload_length 0
		.amdhsa_user_sgpr_kernarg_preload_offset 0
		.amdhsa_user_sgpr_private_segment_size 0
		.amdhsa_uses_dynamic_stack 0
		.amdhsa_enable_private_segment 0
		.amdhsa_system_sgpr_workgroup_id_x 1
		.amdhsa_system_sgpr_workgroup_id_y 0
		.amdhsa_system_sgpr_workgroup_id_z 0
		.amdhsa_system_sgpr_workgroup_info 0
		.amdhsa_system_vgpr_workitem_id 0
		.amdhsa_next_free_vgpr 1
		.amdhsa_next_free_sgpr 0
		.amdhsa_accum_offset 4
		.amdhsa_reserve_vcc 0
		.amdhsa_float_round_mode_32 0
		.amdhsa_float_round_mode_16_64 0
		.amdhsa_float_denorm_mode_32 3
		.amdhsa_float_denorm_mode_16_64 3
		.amdhsa_dx10_clamp 1
		.amdhsa_ieee_mode 1
		.amdhsa_fp16_overflow 0
		.amdhsa_tg_split 0
		.amdhsa_exception_fp_ieee_invalid_op 0
		.amdhsa_exception_fp_denorm_src 0
		.amdhsa_exception_fp_ieee_div_zero 0
		.amdhsa_exception_fp_ieee_overflow 0
		.amdhsa_exception_fp_ieee_underflow 0
		.amdhsa_exception_fp_ieee_inexact 0
		.amdhsa_exception_int_div_zero 0
	.end_amdhsa_kernel
	.section	.text._ZN7rocprim17ROCPRIM_400000_NS6detail17trampoline_kernelINS0_14default_configENS1_25transform_config_selectorIiLb0EEEZNS1_14transform_implILb0ES3_S5_N6thrust23THRUST_200600_302600_NS6detail15normal_iteratorINS8_10device_ptrIiEEEEPiNS0_8identityIiEEEE10hipError_tT2_T3_mT4_P12ihipStream_tbEUlT_E_NS1_11comp_targetILNS1_3genE10ELNS1_11target_archE1200ELNS1_3gpuE4ELNS1_3repE0EEENS1_30default_config_static_selectorELNS0_4arch9wavefront6targetE1EEEvT1_,"axG",@progbits,_ZN7rocprim17ROCPRIM_400000_NS6detail17trampoline_kernelINS0_14default_configENS1_25transform_config_selectorIiLb0EEEZNS1_14transform_implILb0ES3_S5_N6thrust23THRUST_200600_302600_NS6detail15normal_iteratorINS8_10device_ptrIiEEEEPiNS0_8identityIiEEEE10hipError_tT2_T3_mT4_P12ihipStream_tbEUlT_E_NS1_11comp_targetILNS1_3genE10ELNS1_11target_archE1200ELNS1_3gpuE4ELNS1_3repE0EEENS1_30default_config_static_selectorELNS0_4arch9wavefront6targetE1EEEvT1_,comdat
.Lfunc_end156:
	.size	_ZN7rocprim17ROCPRIM_400000_NS6detail17trampoline_kernelINS0_14default_configENS1_25transform_config_selectorIiLb0EEEZNS1_14transform_implILb0ES3_S5_N6thrust23THRUST_200600_302600_NS6detail15normal_iteratorINS8_10device_ptrIiEEEEPiNS0_8identityIiEEEE10hipError_tT2_T3_mT4_P12ihipStream_tbEUlT_E_NS1_11comp_targetILNS1_3genE10ELNS1_11target_archE1200ELNS1_3gpuE4ELNS1_3repE0EEENS1_30default_config_static_selectorELNS0_4arch9wavefront6targetE1EEEvT1_, .Lfunc_end156-_ZN7rocprim17ROCPRIM_400000_NS6detail17trampoline_kernelINS0_14default_configENS1_25transform_config_selectorIiLb0EEEZNS1_14transform_implILb0ES3_S5_N6thrust23THRUST_200600_302600_NS6detail15normal_iteratorINS8_10device_ptrIiEEEEPiNS0_8identityIiEEEE10hipError_tT2_T3_mT4_P12ihipStream_tbEUlT_E_NS1_11comp_targetILNS1_3genE10ELNS1_11target_archE1200ELNS1_3gpuE4ELNS1_3repE0EEENS1_30default_config_static_selectorELNS0_4arch9wavefront6targetE1EEEvT1_
                                        ; -- End function
	.set _ZN7rocprim17ROCPRIM_400000_NS6detail17trampoline_kernelINS0_14default_configENS1_25transform_config_selectorIiLb0EEEZNS1_14transform_implILb0ES3_S5_N6thrust23THRUST_200600_302600_NS6detail15normal_iteratorINS8_10device_ptrIiEEEEPiNS0_8identityIiEEEE10hipError_tT2_T3_mT4_P12ihipStream_tbEUlT_E_NS1_11comp_targetILNS1_3genE10ELNS1_11target_archE1200ELNS1_3gpuE4ELNS1_3repE0EEENS1_30default_config_static_selectorELNS0_4arch9wavefront6targetE1EEEvT1_.num_vgpr, 0
	.set _ZN7rocprim17ROCPRIM_400000_NS6detail17trampoline_kernelINS0_14default_configENS1_25transform_config_selectorIiLb0EEEZNS1_14transform_implILb0ES3_S5_N6thrust23THRUST_200600_302600_NS6detail15normal_iteratorINS8_10device_ptrIiEEEEPiNS0_8identityIiEEEE10hipError_tT2_T3_mT4_P12ihipStream_tbEUlT_E_NS1_11comp_targetILNS1_3genE10ELNS1_11target_archE1200ELNS1_3gpuE4ELNS1_3repE0EEENS1_30default_config_static_selectorELNS0_4arch9wavefront6targetE1EEEvT1_.num_agpr, 0
	.set _ZN7rocprim17ROCPRIM_400000_NS6detail17trampoline_kernelINS0_14default_configENS1_25transform_config_selectorIiLb0EEEZNS1_14transform_implILb0ES3_S5_N6thrust23THRUST_200600_302600_NS6detail15normal_iteratorINS8_10device_ptrIiEEEEPiNS0_8identityIiEEEE10hipError_tT2_T3_mT4_P12ihipStream_tbEUlT_E_NS1_11comp_targetILNS1_3genE10ELNS1_11target_archE1200ELNS1_3gpuE4ELNS1_3repE0EEENS1_30default_config_static_selectorELNS0_4arch9wavefront6targetE1EEEvT1_.numbered_sgpr, 0
	.set _ZN7rocprim17ROCPRIM_400000_NS6detail17trampoline_kernelINS0_14default_configENS1_25transform_config_selectorIiLb0EEEZNS1_14transform_implILb0ES3_S5_N6thrust23THRUST_200600_302600_NS6detail15normal_iteratorINS8_10device_ptrIiEEEEPiNS0_8identityIiEEEE10hipError_tT2_T3_mT4_P12ihipStream_tbEUlT_E_NS1_11comp_targetILNS1_3genE10ELNS1_11target_archE1200ELNS1_3gpuE4ELNS1_3repE0EEENS1_30default_config_static_selectorELNS0_4arch9wavefront6targetE1EEEvT1_.num_named_barrier, 0
	.set _ZN7rocprim17ROCPRIM_400000_NS6detail17trampoline_kernelINS0_14default_configENS1_25transform_config_selectorIiLb0EEEZNS1_14transform_implILb0ES3_S5_N6thrust23THRUST_200600_302600_NS6detail15normal_iteratorINS8_10device_ptrIiEEEEPiNS0_8identityIiEEEE10hipError_tT2_T3_mT4_P12ihipStream_tbEUlT_E_NS1_11comp_targetILNS1_3genE10ELNS1_11target_archE1200ELNS1_3gpuE4ELNS1_3repE0EEENS1_30default_config_static_selectorELNS0_4arch9wavefront6targetE1EEEvT1_.private_seg_size, 0
	.set _ZN7rocprim17ROCPRIM_400000_NS6detail17trampoline_kernelINS0_14default_configENS1_25transform_config_selectorIiLb0EEEZNS1_14transform_implILb0ES3_S5_N6thrust23THRUST_200600_302600_NS6detail15normal_iteratorINS8_10device_ptrIiEEEEPiNS0_8identityIiEEEE10hipError_tT2_T3_mT4_P12ihipStream_tbEUlT_E_NS1_11comp_targetILNS1_3genE10ELNS1_11target_archE1200ELNS1_3gpuE4ELNS1_3repE0EEENS1_30default_config_static_selectorELNS0_4arch9wavefront6targetE1EEEvT1_.uses_vcc, 0
	.set _ZN7rocprim17ROCPRIM_400000_NS6detail17trampoline_kernelINS0_14default_configENS1_25transform_config_selectorIiLb0EEEZNS1_14transform_implILb0ES3_S5_N6thrust23THRUST_200600_302600_NS6detail15normal_iteratorINS8_10device_ptrIiEEEEPiNS0_8identityIiEEEE10hipError_tT2_T3_mT4_P12ihipStream_tbEUlT_E_NS1_11comp_targetILNS1_3genE10ELNS1_11target_archE1200ELNS1_3gpuE4ELNS1_3repE0EEENS1_30default_config_static_selectorELNS0_4arch9wavefront6targetE1EEEvT1_.uses_flat_scratch, 0
	.set _ZN7rocprim17ROCPRIM_400000_NS6detail17trampoline_kernelINS0_14default_configENS1_25transform_config_selectorIiLb0EEEZNS1_14transform_implILb0ES3_S5_N6thrust23THRUST_200600_302600_NS6detail15normal_iteratorINS8_10device_ptrIiEEEEPiNS0_8identityIiEEEE10hipError_tT2_T3_mT4_P12ihipStream_tbEUlT_E_NS1_11comp_targetILNS1_3genE10ELNS1_11target_archE1200ELNS1_3gpuE4ELNS1_3repE0EEENS1_30default_config_static_selectorELNS0_4arch9wavefront6targetE1EEEvT1_.has_dyn_sized_stack, 0
	.set _ZN7rocprim17ROCPRIM_400000_NS6detail17trampoline_kernelINS0_14default_configENS1_25transform_config_selectorIiLb0EEEZNS1_14transform_implILb0ES3_S5_N6thrust23THRUST_200600_302600_NS6detail15normal_iteratorINS8_10device_ptrIiEEEEPiNS0_8identityIiEEEE10hipError_tT2_T3_mT4_P12ihipStream_tbEUlT_E_NS1_11comp_targetILNS1_3genE10ELNS1_11target_archE1200ELNS1_3gpuE4ELNS1_3repE0EEENS1_30default_config_static_selectorELNS0_4arch9wavefront6targetE1EEEvT1_.has_recursion, 0
	.set _ZN7rocprim17ROCPRIM_400000_NS6detail17trampoline_kernelINS0_14default_configENS1_25transform_config_selectorIiLb0EEEZNS1_14transform_implILb0ES3_S5_N6thrust23THRUST_200600_302600_NS6detail15normal_iteratorINS8_10device_ptrIiEEEEPiNS0_8identityIiEEEE10hipError_tT2_T3_mT4_P12ihipStream_tbEUlT_E_NS1_11comp_targetILNS1_3genE10ELNS1_11target_archE1200ELNS1_3gpuE4ELNS1_3repE0EEENS1_30default_config_static_selectorELNS0_4arch9wavefront6targetE1EEEvT1_.has_indirect_call, 0
	.section	.AMDGPU.csdata,"",@progbits
; Kernel info:
; codeLenInByte = 0
; TotalNumSgprs: 6
; NumVgprs: 0
; NumAgprs: 0
; TotalNumVgprs: 0
; ScratchSize: 0
; MemoryBound: 0
; FloatMode: 240
; IeeeMode: 1
; LDSByteSize: 0 bytes/workgroup (compile time only)
; SGPRBlocks: 0
; VGPRBlocks: 0
; NumSGPRsForWavesPerEU: 6
; NumVGPRsForWavesPerEU: 1
; AccumOffset: 4
; Occupancy: 8
; WaveLimiterHint : 0
; COMPUTE_PGM_RSRC2:SCRATCH_EN: 0
; COMPUTE_PGM_RSRC2:USER_SGPR: 2
; COMPUTE_PGM_RSRC2:TRAP_HANDLER: 0
; COMPUTE_PGM_RSRC2:TGID_X_EN: 1
; COMPUTE_PGM_RSRC2:TGID_Y_EN: 0
; COMPUTE_PGM_RSRC2:TGID_Z_EN: 0
; COMPUTE_PGM_RSRC2:TIDIG_COMP_CNT: 0
; COMPUTE_PGM_RSRC3_GFX90A:ACCUM_OFFSET: 0
; COMPUTE_PGM_RSRC3_GFX90A:TG_SPLIT: 0
	.section	.text._ZN7rocprim17ROCPRIM_400000_NS6detail17trampoline_kernelINS0_14default_configENS1_25transform_config_selectorIiLb0EEEZNS1_14transform_implILb0ES3_S5_N6thrust23THRUST_200600_302600_NS6detail15normal_iteratorINS8_10device_ptrIiEEEEPiNS0_8identityIiEEEE10hipError_tT2_T3_mT4_P12ihipStream_tbEUlT_E_NS1_11comp_targetILNS1_3genE9ELNS1_11target_archE1100ELNS1_3gpuE3ELNS1_3repE0EEENS1_30default_config_static_selectorELNS0_4arch9wavefront6targetE1EEEvT1_,"axG",@progbits,_ZN7rocprim17ROCPRIM_400000_NS6detail17trampoline_kernelINS0_14default_configENS1_25transform_config_selectorIiLb0EEEZNS1_14transform_implILb0ES3_S5_N6thrust23THRUST_200600_302600_NS6detail15normal_iteratorINS8_10device_ptrIiEEEEPiNS0_8identityIiEEEE10hipError_tT2_T3_mT4_P12ihipStream_tbEUlT_E_NS1_11comp_targetILNS1_3genE9ELNS1_11target_archE1100ELNS1_3gpuE3ELNS1_3repE0EEENS1_30default_config_static_selectorELNS0_4arch9wavefront6targetE1EEEvT1_,comdat
	.protected	_ZN7rocprim17ROCPRIM_400000_NS6detail17trampoline_kernelINS0_14default_configENS1_25transform_config_selectorIiLb0EEEZNS1_14transform_implILb0ES3_S5_N6thrust23THRUST_200600_302600_NS6detail15normal_iteratorINS8_10device_ptrIiEEEEPiNS0_8identityIiEEEE10hipError_tT2_T3_mT4_P12ihipStream_tbEUlT_E_NS1_11comp_targetILNS1_3genE9ELNS1_11target_archE1100ELNS1_3gpuE3ELNS1_3repE0EEENS1_30default_config_static_selectorELNS0_4arch9wavefront6targetE1EEEvT1_ ; -- Begin function _ZN7rocprim17ROCPRIM_400000_NS6detail17trampoline_kernelINS0_14default_configENS1_25transform_config_selectorIiLb0EEEZNS1_14transform_implILb0ES3_S5_N6thrust23THRUST_200600_302600_NS6detail15normal_iteratorINS8_10device_ptrIiEEEEPiNS0_8identityIiEEEE10hipError_tT2_T3_mT4_P12ihipStream_tbEUlT_E_NS1_11comp_targetILNS1_3genE9ELNS1_11target_archE1100ELNS1_3gpuE3ELNS1_3repE0EEENS1_30default_config_static_selectorELNS0_4arch9wavefront6targetE1EEEvT1_
	.globl	_ZN7rocprim17ROCPRIM_400000_NS6detail17trampoline_kernelINS0_14default_configENS1_25transform_config_selectorIiLb0EEEZNS1_14transform_implILb0ES3_S5_N6thrust23THRUST_200600_302600_NS6detail15normal_iteratorINS8_10device_ptrIiEEEEPiNS0_8identityIiEEEE10hipError_tT2_T3_mT4_P12ihipStream_tbEUlT_E_NS1_11comp_targetILNS1_3genE9ELNS1_11target_archE1100ELNS1_3gpuE3ELNS1_3repE0EEENS1_30default_config_static_selectorELNS0_4arch9wavefront6targetE1EEEvT1_
	.p2align	8
	.type	_ZN7rocprim17ROCPRIM_400000_NS6detail17trampoline_kernelINS0_14default_configENS1_25transform_config_selectorIiLb0EEEZNS1_14transform_implILb0ES3_S5_N6thrust23THRUST_200600_302600_NS6detail15normal_iteratorINS8_10device_ptrIiEEEEPiNS0_8identityIiEEEE10hipError_tT2_T3_mT4_P12ihipStream_tbEUlT_E_NS1_11comp_targetILNS1_3genE9ELNS1_11target_archE1100ELNS1_3gpuE3ELNS1_3repE0EEENS1_30default_config_static_selectorELNS0_4arch9wavefront6targetE1EEEvT1_,@function
_ZN7rocprim17ROCPRIM_400000_NS6detail17trampoline_kernelINS0_14default_configENS1_25transform_config_selectorIiLb0EEEZNS1_14transform_implILb0ES3_S5_N6thrust23THRUST_200600_302600_NS6detail15normal_iteratorINS8_10device_ptrIiEEEEPiNS0_8identityIiEEEE10hipError_tT2_T3_mT4_P12ihipStream_tbEUlT_E_NS1_11comp_targetILNS1_3genE9ELNS1_11target_archE1100ELNS1_3gpuE3ELNS1_3repE0EEENS1_30default_config_static_selectorELNS0_4arch9wavefront6targetE1EEEvT1_: ; @_ZN7rocprim17ROCPRIM_400000_NS6detail17trampoline_kernelINS0_14default_configENS1_25transform_config_selectorIiLb0EEEZNS1_14transform_implILb0ES3_S5_N6thrust23THRUST_200600_302600_NS6detail15normal_iteratorINS8_10device_ptrIiEEEEPiNS0_8identityIiEEEE10hipError_tT2_T3_mT4_P12ihipStream_tbEUlT_E_NS1_11comp_targetILNS1_3genE9ELNS1_11target_archE1100ELNS1_3gpuE3ELNS1_3repE0EEENS1_30default_config_static_selectorELNS0_4arch9wavefront6targetE1EEEvT1_
; %bb.0:
	.section	.rodata,"a",@progbits
	.p2align	6, 0x0
	.amdhsa_kernel _ZN7rocprim17ROCPRIM_400000_NS6detail17trampoline_kernelINS0_14default_configENS1_25transform_config_selectorIiLb0EEEZNS1_14transform_implILb0ES3_S5_N6thrust23THRUST_200600_302600_NS6detail15normal_iteratorINS8_10device_ptrIiEEEEPiNS0_8identityIiEEEE10hipError_tT2_T3_mT4_P12ihipStream_tbEUlT_E_NS1_11comp_targetILNS1_3genE9ELNS1_11target_archE1100ELNS1_3gpuE3ELNS1_3repE0EEENS1_30default_config_static_selectorELNS0_4arch9wavefront6targetE1EEEvT1_
		.amdhsa_group_segment_fixed_size 0
		.amdhsa_private_segment_fixed_size 0
		.amdhsa_kernarg_size 40
		.amdhsa_user_sgpr_count 2
		.amdhsa_user_sgpr_dispatch_ptr 0
		.amdhsa_user_sgpr_queue_ptr 0
		.amdhsa_user_sgpr_kernarg_segment_ptr 1
		.amdhsa_user_sgpr_dispatch_id 0
		.amdhsa_user_sgpr_kernarg_preload_length 0
		.amdhsa_user_sgpr_kernarg_preload_offset 0
		.amdhsa_user_sgpr_private_segment_size 0
		.amdhsa_uses_dynamic_stack 0
		.amdhsa_enable_private_segment 0
		.amdhsa_system_sgpr_workgroup_id_x 1
		.amdhsa_system_sgpr_workgroup_id_y 0
		.amdhsa_system_sgpr_workgroup_id_z 0
		.amdhsa_system_sgpr_workgroup_info 0
		.amdhsa_system_vgpr_workitem_id 0
		.amdhsa_next_free_vgpr 1
		.amdhsa_next_free_sgpr 0
		.amdhsa_accum_offset 4
		.amdhsa_reserve_vcc 0
		.amdhsa_float_round_mode_32 0
		.amdhsa_float_round_mode_16_64 0
		.amdhsa_float_denorm_mode_32 3
		.amdhsa_float_denorm_mode_16_64 3
		.amdhsa_dx10_clamp 1
		.amdhsa_ieee_mode 1
		.amdhsa_fp16_overflow 0
		.amdhsa_tg_split 0
		.amdhsa_exception_fp_ieee_invalid_op 0
		.amdhsa_exception_fp_denorm_src 0
		.amdhsa_exception_fp_ieee_div_zero 0
		.amdhsa_exception_fp_ieee_overflow 0
		.amdhsa_exception_fp_ieee_underflow 0
		.amdhsa_exception_fp_ieee_inexact 0
		.amdhsa_exception_int_div_zero 0
	.end_amdhsa_kernel
	.section	.text._ZN7rocprim17ROCPRIM_400000_NS6detail17trampoline_kernelINS0_14default_configENS1_25transform_config_selectorIiLb0EEEZNS1_14transform_implILb0ES3_S5_N6thrust23THRUST_200600_302600_NS6detail15normal_iteratorINS8_10device_ptrIiEEEEPiNS0_8identityIiEEEE10hipError_tT2_T3_mT4_P12ihipStream_tbEUlT_E_NS1_11comp_targetILNS1_3genE9ELNS1_11target_archE1100ELNS1_3gpuE3ELNS1_3repE0EEENS1_30default_config_static_selectorELNS0_4arch9wavefront6targetE1EEEvT1_,"axG",@progbits,_ZN7rocprim17ROCPRIM_400000_NS6detail17trampoline_kernelINS0_14default_configENS1_25transform_config_selectorIiLb0EEEZNS1_14transform_implILb0ES3_S5_N6thrust23THRUST_200600_302600_NS6detail15normal_iteratorINS8_10device_ptrIiEEEEPiNS0_8identityIiEEEE10hipError_tT2_T3_mT4_P12ihipStream_tbEUlT_E_NS1_11comp_targetILNS1_3genE9ELNS1_11target_archE1100ELNS1_3gpuE3ELNS1_3repE0EEENS1_30default_config_static_selectorELNS0_4arch9wavefront6targetE1EEEvT1_,comdat
.Lfunc_end157:
	.size	_ZN7rocprim17ROCPRIM_400000_NS6detail17trampoline_kernelINS0_14default_configENS1_25transform_config_selectorIiLb0EEEZNS1_14transform_implILb0ES3_S5_N6thrust23THRUST_200600_302600_NS6detail15normal_iteratorINS8_10device_ptrIiEEEEPiNS0_8identityIiEEEE10hipError_tT2_T3_mT4_P12ihipStream_tbEUlT_E_NS1_11comp_targetILNS1_3genE9ELNS1_11target_archE1100ELNS1_3gpuE3ELNS1_3repE0EEENS1_30default_config_static_selectorELNS0_4arch9wavefront6targetE1EEEvT1_, .Lfunc_end157-_ZN7rocprim17ROCPRIM_400000_NS6detail17trampoline_kernelINS0_14default_configENS1_25transform_config_selectorIiLb0EEEZNS1_14transform_implILb0ES3_S5_N6thrust23THRUST_200600_302600_NS6detail15normal_iteratorINS8_10device_ptrIiEEEEPiNS0_8identityIiEEEE10hipError_tT2_T3_mT4_P12ihipStream_tbEUlT_E_NS1_11comp_targetILNS1_3genE9ELNS1_11target_archE1100ELNS1_3gpuE3ELNS1_3repE0EEENS1_30default_config_static_selectorELNS0_4arch9wavefront6targetE1EEEvT1_
                                        ; -- End function
	.set _ZN7rocprim17ROCPRIM_400000_NS6detail17trampoline_kernelINS0_14default_configENS1_25transform_config_selectorIiLb0EEEZNS1_14transform_implILb0ES3_S5_N6thrust23THRUST_200600_302600_NS6detail15normal_iteratorINS8_10device_ptrIiEEEEPiNS0_8identityIiEEEE10hipError_tT2_T3_mT4_P12ihipStream_tbEUlT_E_NS1_11comp_targetILNS1_3genE9ELNS1_11target_archE1100ELNS1_3gpuE3ELNS1_3repE0EEENS1_30default_config_static_selectorELNS0_4arch9wavefront6targetE1EEEvT1_.num_vgpr, 0
	.set _ZN7rocprim17ROCPRIM_400000_NS6detail17trampoline_kernelINS0_14default_configENS1_25transform_config_selectorIiLb0EEEZNS1_14transform_implILb0ES3_S5_N6thrust23THRUST_200600_302600_NS6detail15normal_iteratorINS8_10device_ptrIiEEEEPiNS0_8identityIiEEEE10hipError_tT2_T3_mT4_P12ihipStream_tbEUlT_E_NS1_11comp_targetILNS1_3genE9ELNS1_11target_archE1100ELNS1_3gpuE3ELNS1_3repE0EEENS1_30default_config_static_selectorELNS0_4arch9wavefront6targetE1EEEvT1_.num_agpr, 0
	.set _ZN7rocprim17ROCPRIM_400000_NS6detail17trampoline_kernelINS0_14default_configENS1_25transform_config_selectorIiLb0EEEZNS1_14transform_implILb0ES3_S5_N6thrust23THRUST_200600_302600_NS6detail15normal_iteratorINS8_10device_ptrIiEEEEPiNS0_8identityIiEEEE10hipError_tT2_T3_mT4_P12ihipStream_tbEUlT_E_NS1_11comp_targetILNS1_3genE9ELNS1_11target_archE1100ELNS1_3gpuE3ELNS1_3repE0EEENS1_30default_config_static_selectorELNS0_4arch9wavefront6targetE1EEEvT1_.numbered_sgpr, 0
	.set _ZN7rocprim17ROCPRIM_400000_NS6detail17trampoline_kernelINS0_14default_configENS1_25transform_config_selectorIiLb0EEEZNS1_14transform_implILb0ES3_S5_N6thrust23THRUST_200600_302600_NS6detail15normal_iteratorINS8_10device_ptrIiEEEEPiNS0_8identityIiEEEE10hipError_tT2_T3_mT4_P12ihipStream_tbEUlT_E_NS1_11comp_targetILNS1_3genE9ELNS1_11target_archE1100ELNS1_3gpuE3ELNS1_3repE0EEENS1_30default_config_static_selectorELNS0_4arch9wavefront6targetE1EEEvT1_.num_named_barrier, 0
	.set _ZN7rocprim17ROCPRIM_400000_NS6detail17trampoline_kernelINS0_14default_configENS1_25transform_config_selectorIiLb0EEEZNS1_14transform_implILb0ES3_S5_N6thrust23THRUST_200600_302600_NS6detail15normal_iteratorINS8_10device_ptrIiEEEEPiNS0_8identityIiEEEE10hipError_tT2_T3_mT4_P12ihipStream_tbEUlT_E_NS1_11comp_targetILNS1_3genE9ELNS1_11target_archE1100ELNS1_3gpuE3ELNS1_3repE0EEENS1_30default_config_static_selectorELNS0_4arch9wavefront6targetE1EEEvT1_.private_seg_size, 0
	.set _ZN7rocprim17ROCPRIM_400000_NS6detail17trampoline_kernelINS0_14default_configENS1_25transform_config_selectorIiLb0EEEZNS1_14transform_implILb0ES3_S5_N6thrust23THRUST_200600_302600_NS6detail15normal_iteratorINS8_10device_ptrIiEEEEPiNS0_8identityIiEEEE10hipError_tT2_T3_mT4_P12ihipStream_tbEUlT_E_NS1_11comp_targetILNS1_3genE9ELNS1_11target_archE1100ELNS1_3gpuE3ELNS1_3repE0EEENS1_30default_config_static_selectorELNS0_4arch9wavefront6targetE1EEEvT1_.uses_vcc, 0
	.set _ZN7rocprim17ROCPRIM_400000_NS6detail17trampoline_kernelINS0_14default_configENS1_25transform_config_selectorIiLb0EEEZNS1_14transform_implILb0ES3_S5_N6thrust23THRUST_200600_302600_NS6detail15normal_iteratorINS8_10device_ptrIiEEEEPiNS0_8identityIiEEEE10hipError_tT2_T3_mT4_P12ihipStream_tbEUlT_E_NS1_11comp_targetILNS1_3genE9ELNS1_11target_archE1100ELNS1_3gpuE3ELNS1_3repE0EEENS1_30default_config_static_selectorELNS0_4arch9wavefront6targetE1EEEvT1_.uses_flat_scratch, 0
	.set _ZN7rocprim17ROCPRIM_400000_NS6detail17trampoline_kernelINS0_14default_configENS1_25transform_config_selectorIiLb0EEEZNS1_14transform_implILb0ES3_S5_N6thrust23THRUST_200600_302600_NS6detail15normal_iteratorINS8_10device_ptrIiEEEEPiNS0_8identityIiEEEE10hipError_tT2_T3_mT4_P12ihipStream_tbEUlT_E_NS1_11comp_targetILNS1_3genE9ELNS1_11target_archE1100ELNS1_3gpuE3ELNS1_3repE0EEENS1_30default_config_static_selectorELNS0_4arch9wavefront6targetE1EEEvT1_.has_dyn_sized_stack, 0
	.set _ZN7rocprim17ROCPRIM_400000_NS6detail17trampoline_kernelINS0_14default_configENS1_25transform_config_selectorIiLb0EEEZNS1_14transform_implILb0ES3_S5_N6thrust23THRUST_200600_302600_NS6detail15normal_iteratorINS8_10device_ptrIiEEEEPiNS0_8identityIiEEEE10hipError_tT2_T3_mT4_P12ihipStream_tbEUlT_E_NS1_11comp_targetILNS1_3genE9ELNS1_11target_archE1100ELNS1_3gpuE3ELNS1_3repE0EEENS1_30default_config_static_selectorELNS0_4arch9wavefront6targetE1EEEvT1_.has_recursion, 0
	.set _ZN7rocprim17ROCPRIM_400000_NS6detail17trampoline_kernelINS0_14default_configENS1_25transform_config_selectorIiLb0EEEZNS1_14transform_implILb0ES3_S5_N6thrust23THRUST_200600_302600_NS6detail15normal_iteratorINS8_10device_ptrIiEEEEPiNS0_8identityIiEEEE10hipError_tT2_T3_mT4_P12ihipStream_tbEUlT_E_NS1_11comp_targetILNS1_3genE9ELNS1_11target_archE1100ELNS1_3gpuE3ELNS1_3repE0EEENS1_30default_config_static_selectorELNS0_4arch9wavefront6targetE1EEEvT1_.has_indirect_call, 0
	.section	.AMDGPU.csdata,"",@progbits
; Kernel info:
; codeLenInByte = 0
; TotalNumSgprs: 6
; NumVgprs: 0
; NumAgprs: 0
; TotalNumVgprs: 0
; ScratchSize: 0
; MemoryBound: 0
; FloatMode: 240
; IeeeMode: 1
; LDSByteSize: 0 bytes/workgroup (compile time only)
; SGPRBlocks: 0
; VGPRBlocks: 0
; NumSGPRsForWavesPerEU: 6
; NumVGPRsForWavesPerEU: 1
; AccumOffset: 4
; Occupancy: 8
; WaveLimiterHint : 0
; COMPUTE_PGM_RSRC2:SCRATCH_EN: 0
; COMPUTE_PGM_RSRC2:USER_SGPR: 2
; COMPUTE_PGM_RSRC2:TRAP_HANDLER: 0
; COMPUTE_PGM_RSRC2:TGID_X_EN: 1
; COMPUTE_PGM_RSRC2:TGID_Y_EN: 0
; COMPUTE_PGM_RSRC2:TGID_Z_EN: 0
; COMPUTE_PGM_RSRC2:TIDIG_COMP_CNT: 0
; COMPUTE_PGM_RSRC3_GFX90A:ACCUM_OFFSET: 0
; COMPUTE_PGM_RSRC3_GFX90A:TG_SPLIT: 0
	.section	.text._ZN7rocprim17ROCPRIM_400000_NS6detail17trampoline_kernelINS0_14default_configENS1_25transform_config_selectorIiLb0EEEZNS1_14transform_implILb0ES3_S5_N6thrust23THRUST_200600_302600_NS6detail15normal_iteratorINS8_10device_ptrIiEEEEPiNS0_8identityIiEEEE10hipError_tT2_T3_mT4_P12ihipStream_tbEUlT_E_NS1_11comp_targetILNS1_3genE8ELNS1_11target_archE1030ELNS1_3gpuE2ELNS1_3repE0EEENS1_30default_config_static_selectorELNS0_4arch9wavefront6targetE1EEEvT1_,"axG",@progbits,_ZN7rocprim17ROCPRIM_400000_NS6detail17trampoline_kernelINS0_14default_configENS1_25transform_config_selectorIiLb0EEEZNS1_14transform_implILb0ES3_S5_N6thrust23THRUST_200600_302600_NS6detail15normal_iteratorINS8_10device_ptrIiEEEEPiNS0_8identityIiEEEE10hipError_tT2_T3_mT4_P12ihipStream_tbEUlT_E_NS1_11comp_targetILNS1_3genE8ELNS1_11target_archE1030ELNS1_3gpuE2ELNS1_3repE0EEENS1_30default_config_static_selectorELNS0_4arch9wavefront6targetE1EEEvT1_,comdat
	.protected	_ZN7rocprim17ROCPRIM_400000_NS6detail17trampoline_kernelINS0_14default_configENS1_25transform_config_selectorIiLb0EEEZNS1_14transform_implILb0ES3_S5_N6thrust23THRUST_200600_302600_NS6detail15normal_iteratorINS8_10device_ptrIiEEEEPiNS0_8identityIiEEEE10hipError_tT2_T3_mT4_P12ihipStream_tbEUlT_E_NS1_11comp_targetILNS1_3genE8ELNS1_11target_archE1030ELNS1_3gpuE2ELNS1_3repE0EEENS1_30default_config_static_selectorELNS0_4arch9wavefront6targetE1EEEvT1_ ; -- Begin function _ZN7rocprim17ROCPRIM_400000_NS6detail17trampoline_kernelINS0_14default_configENS1_25transform_config_selectorIiLb0EEEZNS1_14transform_implILb0ES3_S5_N6thrust23THRUST_200600_302600_NS6detail15normal_iteratorINS8_10device_ptrIiEEEEPiNS0_8identityIiEEEE10hipError_tT2_T3_mT4_P12ihipStream_tbEUlT_E_NS1_11comp_targetILNS1_3genE8ELNS1_11target_archE1030ELNS1_3gpuE2ELNS1_3repE0EEENS1_30default_config_static_selectorELNS0_4arch9wavefront6targetE1EEEvT1_
	.globl	_ZN7rocprim17ROCPRIM_400000_NS6detail17trampoline_kernelINS0_14default_configENS1_25transform_config_selectorIiLb0EEEZNS1_14transform_implILb0ES3_S5_N6thrust23THRUST_200600_302600_NS6detail15normal_iteratorINS8_10device_ptrIiEEEEPiNS0_8identityIiEEEE10hipError_tT2_T3_mT4_P12ihipStream_tbEUlT_E_NS1_11comp_targetILNS1_3genE8ELNS1_11target_archE1030ELNS1_3gpuE2ELNS1_3repE0EEENS1_30default_config_static_selectorELNS0_4arch9wavefront6targetE1EEEvT1_
	.p2align	8
	.type	_ZN7rocprim17ROCPRIM_400000_NS6detail17trampoline_kernelINS0_14default_configENS1_25transform_config_selectorIiLb0EEEZNS1_14transform_implILb0ES3_S5_N6thrust23THRUST_200600_302600_NS6detail15normal_iteratorINS8_10device_ptrIiEEEEPiNS0_8identityIiEEEE10hipError_tT2_T3_mT4_P12ihipStream_tbEUlT_E_NS1_11comp_targetILNS1_3genE8ELNS1_11target_archE1030ELNS1_3gpuE2ELNS1_3repE0EEENS1_30default_config_static_selectorELNS0_4arch9wavefront6targetE1EEEvT1_,@function
_ZN7rocprim17ROCPRIM_400000_NS6detail17trampoline_kernelINS0_14default_configENS1_25transform_config_selectorIiLb0EEEZNS1_14transform_implILb0ES3_S5_N6thrust23THRUST_200600_302600_NS6detail15normal_iteratorINS8_10device_ptrIiEEEEPiNS0_8identityIiEEEE10hipError_tT2_T3_mT4_P12ihipStream_tbEUlT_E_NS1_11comp_targetILNS1_3genE8ELNS1_11target_archE1030ELNS1_3gpuE2ELNS1_3repE0EEENS1_30default_config_static_selectorELNS0_4arch9wavefront6targetE1EEEvT1_: ; @_ZN7rocprim17ROCPRIM_400000_NS6detail17trampoline_kernelINS0_14default_configENS1_25transform_config_selectorIiLb0EEEZNS1_14transform_implILb0ES3_S5_N6thrust23THRUST_200600_302600_NS6detail15normal_iteratorINS8_10device_ptrIiEEEEPiNS0_8identityIiEEEE10hipError_tT2_T3_mT4_P12ihipStream_tbEUlT_E_NS1_11comp_targetILNS1_3genE8ELNS1_11target_archE1030ELNS1_3gpuE2ELNS1_3repE0EEENS1_30default_config_static_selectorELNS0_4arch9wavefront6targetE1EEEvT1_
; %bb.0:
	.section	.rodata,"a",@progbits
	.p2align	6, 0x0
	.amdhsa_kernel _ZN7rocprim17ROCPRIM_400000_NS6detail17trampoline_kernelINS0_14default_configENS1_25transform_config_selectorIiLb0EEEZNS1_14transform_implILb0ES3_S5_N6thrust23THRUST_200600_302600_NS6detail15normal_iteratorINS8_10device_ptrIiEEEEPiNS0_8identityIiEEEE10hipError_tT2_T3_mT4_P12ihipStream_tbEUlT_E_NS1_11comp_targetILNS1_3genE8ELNS1_11target_archE1030ELNS1_3gpuE2ELNS1_3repE0EEENS1_30default_config_static_selectorELNS0_4arch9wavefront6targetE1EEEvT1_
		.amdhsa_group_segment_fixed_size 0
		.amdhsa_private_segment_fixed_size 0
		.amdhsa_kernarg_size 40
		.amdhsa_user_sgpr_count 2
		.amdhsa_user_sgpr_dispatch_ptr 0
		.amdhsa_user_sgpr_queue_ptr 0
		.amdhsa_user_sgpr_kernarg_segment_ptr 1
		.amdhsa_user_sgpr_dispatch_id 0
		.amdhsa_user_sgpr_kernarg_preload_length 0
		.amdhsa_user_sgpr_kernarg_preload_offset 0
		.amdhsa_user_sgpr_private_segment_size 0
		.amdhsa_uses_dynamic_stack 0
		.amdhsa_enable_private_segment 0
		.amdhsa_system_sgpr_workgroup_id_x 1
		.amdhsa_system_sgpr_workgroup_id_y 0
		.amdhsa_system_sgpr_workgroup_id_z 0
		.amdhsa_system_sgpr_workgroup_info 0
		.amdhsa_system_vgpr_workitem_id 0
		.amdhsa_next_free_vgpr 1
		.amdhsa_next_free_sgpr 0
		.amdhsa_accum_offset 4
		.amdhsa_reserve_vcc 0
		.amdhsa_float_round_mode_32 0
		.amdhsa_float_round_mode_16_64 0
		.amdhsa_float_denorm_mode_32 3
		.amdhsa_float_denorm_mode_16_64 3
		.amdhsa_dx10_clamp 1
		.amdhsa_ieee_mode 1
		.amdhsa_fp16_overflow 0
		.amdhsa_tg_split 0
		.amdhsa_exception_fp_ieee_invalid_op 0
		.amdhsa_exception_fp_denorm_src 0
		.amdhsa_exception_fp_ieee_div_zero 0
		.amdhsa_exception_fp_ieee_overflow 0
		.amdhsa_exception_fp_ieee_underflow 0
		.amdhsa_exception_fp_ieee_inexact 0
		.amdhsa_exception_int_div_zero 0
	.end_amdhsa_kernel
	.section	.text._ZN7rocprim17ROCPRIM_400000_NS6detail17trampoline_kernelINS0_14default_configENS1_25transform_config_selectorIiLb0EEEZNS1_14transform_implILb0ES3_S5_N6thrust23THRUST_200600_302600_NS6detail15normal_iteratorINS8_10device_ptrIiEEEEPiNS0_8identityIiEEEE10hipError_tT2_T3_mT4_P12ihipStream_tbEUlT_E_NS1_11comp_targetILNS1_3genE8ELNS1_11target_archE1030ELNS1_3gpuE2ELNS1_3repE0EEENS1_30default_config_static_selectorELNS0_4arch9wavefront6targetE1EEEvT1_,"axG",@progbits,_ZN7rocprim17ROCPRIM_400000_NS6detail17trampoline_kernelINS0_14default_configENS1_25transform_config_selectorIiLb0EEEZNS1_14transform_implILb0ES3_S5_N6thrust23THRUST_200600_302600_NS6detail15normal_iteratorINS8_10device_ptrIiEEEEPiNS0_8identityIiEEEE10hipError_tT2_T3_mT4_P12ihipStream_tbEUlT_E_NS1_11comp_targetILNS1_3genE8ELNS1_11target_archE1030ELNS1_3gpuE2ELNS1_3repE0EEENS1_30default_config_static_selectorELNS0_4arch9wavefront6targetE1EEEvT1_,comdat
.Lfunc_end158:
	.size	_ZN7rocprim17ROCPRIM_400000_NS6detail17trampoline_kernelINS0_14default_configENS1_25transform_config_selectorIiLb0EEEZNS1_14transform_implILb0ES3_S5_N6thrust23THRUST_200600_302600_NS6detail15normal_iteratorINS8_10device_ptrIiEEEEPiNS0_8identityIiEEEE10hipError_tT2_T3_mT4_P12ihipStream_tbEUlT_E_NS1_11comp_targetILNS1_3genE8ELNS1_11target_archE1030ELNS1_3gpuE2ELNS1_3repE0EEENS1_30default_config_static_selectorELNS0_4arch9wavefront6targetE1EEEvT1_, .Lfunc_end158-_ZN7rocprim17ROCPRIM_400000_NS6detail17trampoline_kernelINS0_14default_configENS1_25transform_config_selectorIiLb0EEEZNS1_14transform_implILb0ES3_S5_N6thrust23THRUST_200600_302600_NS6detail15normal_iteratorINS8_10device_ptrIiEEEEPiNS0_8identityIiEEEE10hipError_tT2_T3_mT4_P12ihipStream_tbEUlT_E_NS1_11comp_targetILNS1_3genE8ELNS1_11target_archE1030ELNS1_3gpuE2ELNS1_3repE0EEENS1_30default_config_static_selectorELNS0_4arch9wavefront6targetE1EEEvT1_
                                        ; -- End function
	.set _ZN7rocprim17ROCPRIM_400000_NS6detail17trampoline_kernelINS0_14default_configENS1_25transform_config_selectorIiLb0EEEZNS1_14transform_implILb0ES3_S5_N6thrust23THRUST_200600_302600_NS6detail15normal_iteratorINS8_10device_ptrIiEEEEPiNS0_8identityIiEEEE10hipError_tT2_T3_mT4_P12ihipStream_tbEUlT_E_NS1_11comp_targetILNS1_3genE8ELNS1_11target_archE1030ELNS1_3gpuE2ELNS1_3repE0EEENS1_30default_config_static_selectorELNS0_4arch9wavefront6targetE1EEEvT1_.num_vgpr, 0
	.set _ZN7rocprim17ROCPRIM_400000_NS6detail17trampoline_kernelINS0_14default_configENS1_25transform_config_selectorIiLb0EEEZNS1_14transform_implILb0ES3_S5_N6thrust23THRUST_200600_302600_NS6detail15normal_iteratorINS8_10device_ptrIiEEEEPiNS0_8identityIiEEEE10hipError_tT2_T3_mT4_P12ihipStream_tbEUlT_E_NS1_11comp_targetILNS1_3genE8ELNS1_11target_archE1030ELNS1_3gpuE2ELNS1_3repE0EEENS1_30default_config_static_selectorELNS0_4arch9wavefront6targetE1EEEvT1_.num_agpr, 0
	.set _ZN7rocprim17ROCPRIM_400000_NS6detail17trampoline_kernelINS0_14default_configENS1_25transform_config_selectorIiLb0EEEZNS1_14transform_implILb0ES3_S5_N6thrust23THRUST_200600_302600_NS6detail15normal_iteratorINS8_10device_ptrIiEEEEPiNS0_8identityIiEEEE10hipError_tT2_T3_mT4_P12ihipStream_tbEUlT_E_NS1_11comp_targetILNS1_3genE8ELNS1_11target_archE1030ELNS1_3gpuE2ELNS1_3repE0EEENS1_30default_config_static_selectorELNS0_4arch9wavefront6targetE1EEEvT1_.numbered_sgpr, 0
	.set _ZN7rocprim17ROCPRIM_400000_NS6detail17trampoline_kernelINS0_14default_configENS1_25transform_config_selectorIiLb0EEEZNS1_14transform_implILb0ES3_S5_N6thrust23THRUST_200600_302600_NS6detail15normal_iteratorINS8_10device_ptrIiEEEEPiNS0_8identityIiEEEE10hipError_tT2_T3_mT4_P12ihipStream_tbEUlT_E_NS1_11comp_targetILNS1_3genE8ELNS1_11target_archE1030ELNS1_3gpuE2ELNS1_3repE0EEENS1_30default_config_static_selectorELNS0_4arch9wavefront6targetE1EEEvT1_.num_named_barrier, 0
	.set _ZN7rocprim17ROCPRIM_400000_NS6detail17trampoline_kernelINS0_14default_configENS1_25transform_config_selectorIiLb0EEEZNS1_14transform_implILb0ES3_S5_N6thrust23THRUST_200600_302600_NS6detail15normal_iteratorINS8_10device_ptrIiEEEEPiNS0_8identityIiEEEE10hipError_tT2_T3_mT4_P12ihipStream_tbEUlT_E_NS1_11comp_targetILNS1_3genE8ELNS1_11target_archE1030ELNS1_3gpuE2ELNS1_3repE0EEENS1_30default_config_static_selectorELNS0_4arch9wavefront6targetE1EEEvT1_.private_seg_size, 0
	.set _ZN7rocprim17ROCPRIM_400000_NS6detail17trampoline_kernelINS0_14default_configENS1_25transform_config_selectorIiLb0EEEZNS1_14transform_implILb0ES3_S5_N6thrust23THRUST_200600_302600_NS6detail15normal_iteratorINS8_10device_ptrIiEEEEPiNS0_8identityIiEEEE10hipError_tT2_T3_mT4_P12ihipStream_tbEUlT_E_NS1_11comp_targetILNS1_3genE8ELNS1_11target_archE1030ELNS1_3gpuE2ELNS1_3repE0EEENS1_30default_config_static_selectorELNS0_4arch9wavefront6targetE1EEEvT1_.uses_vcc, 0
	.set _ZN7rocprim17ROCPRIM_400000_NS6detail17trampoline_kernelINS0_14default_configENS1_25transform_config_selectorIiLb0EEEZNS1_14transform_implILb0ES3_S5_N6thrust23THRUST_200600_302600_NS6detail15normal_iteratorINS8_10device_ptrIiEEEEPiNS0_8identityIiEEEE10hipError_tT2_T3_mT4_P12ihipStream_tbEUlT_E_NS1_11comp_targetILNS1_3genE8ELNS1_11target_archE1030ELNS1_3gpuE2ELNS1_3repE0EEENS1_30default_config_static_selectorELNS0_4arch9wavefront6targetE1EEEvT1_.uses_flat_scratch, 0
	.set _ZN7rocprim17ROCPRIM_400000_NS6detail17trampoline_kernelINS0_14default_configENS1_25transform_config_selectorIiLb0EEEZNS1_14transform_implILb0ES3_S5_N6thrust23THRUST_200600_302600_NS6detail15normal_iteratorINS8_10device_ptrIiEEEEPiNS0_8identityIiEEEE10hipError_tT2_T3_mT4_P12ihipStream_tbEUlT_E_NS1_11comp_targetILNS1_3genE8ELNS1_11target_archE1030ELNS1_3gpuE2ELNS1_3repE0EEENS1_30default_config_static_selectorELNS0_4arch9wavefront6targetE1EEEvT1_.has_dyn_sized_stack, 0
	.set _ZN7rocprim17ROCPRIM_400000_NS6detail17trampoline_kernelINS0_14default_configENS1_25transform_config_selectorIiLb0EEEZNS1_14transform_implILb0ES3_S5_N6thrust23THRUST_200600_302600_NS6detail15normal_iteratorINS8_10device_ptrIiEEEEPiNS0_8identityIiEEEE10hipError_tT2_T3_mT4_P12ihipStream_tbEUlT_E_NS1_11comp_targetILNS1_3genE8ELNS1_11target_archE1030ELNS1_3gpuE2ELNS1_3repE0EEENS1_30default_config_static_selectorELNS0_4arch9wavefront6targetE1EEEvT1_.has_recursion, 0
	.set _ZN7rocprim17ROCPRIM_400000_NS6detail17trampoline_kernelINS0_14default_configENS1_25transform_config_selectorIiLb0EEEZNS1_14transform_implILb0ES3_S5_N6thrust23THRUST_200600_302600_NS6detail15normal_iteratorINS8_10device_ptrIiEEEEPiNS0_8identityIiEEEE10hipError_tT2_T3_mT4_P12ihipStream_tbEUlT_E_NS1_11comp_targetILNS1_3genE8ELNS1_11target_archE1030ELNS1_3gpuE2ELNS1_3repE0EEENS1_30default_config_static_selectorELNS0_4arch9wavefront6targetE1EEEvT1_.has_indirect_call, 0
	.section	.AMDGPU.csdata,"",@progbits
; Kernel info:
; codeLenInByte = 0
; TotalNumSgprs: 6
; NumVgprs: 0
; NumAgprs: 0
; TotalNumVgprs: 0
; ScratchSize: 0
; MemoryBound: 0
; FloatMode: 240
; IeeeMode: 1
; LDSByteSize: 0 bytes/workgroup (compile time only)
; SGPRBlocks: 0
; VGPRBlocks: 0
; NumSGPRsForWavesPerEU: 6
; NumVGPRsForWavesPerEU: 1
; AccumOffset: 4
; Occupancy: 8
; WaveLimiterHint : 0
; COMPUTE_PGM_RSRC2:SCRATCH_EN: 0
; COMPUTE_PGM_RSRC2:USER_SGPR: 2
; COMPUTE_PGM_RSRC2:TRAP_HANDLER: 0
; COMPUTE_PGM_RSRC2:TGID_X_EN: 1
; COMPUTE_PGM_RSRC2:TGID_Y_EN: 0
; COMPUTE_PGM_RSRC2:TGID_Z_EN: 0
; COMPUTE_PGM_RSRC2:TIDIG_COMP_CNT: 0
; COMPUTE_PGM_RSRC3_GFX90A:ACCUM_OFFSET: 0
; COMPUTE_PGM_RSRC3_GFX90A:TG_SPLIT: 0
	.section	.text._ZN7rocprim17ROCPRIM_400000_NS6detail17trampoline_kernelINS0_14default_configENS1_35radix_sort_onesweep_config_selectorIiNS0_10empty_typeEEEZZNS1_29radix_sort_onesweep_iterationIS3_Lb0EN6thrust23THRUST_200600_302600_NS6detail15normal_iteratorINS9_10device_ptrIiEEEESE_PS5_SF_jNS0_19identity_decomposerENS1_16block_id_wrapperIjLb1EEEEE10hipError_tT1_PNSt15iterator_traitsISK_E10value_typeET2_T3_PNSL_ISQ_E10value_typeET4_T5_PSV_SW_PNS1_23onesweep_lookback_stateEbbT6_jjT7_P12ihipStream_tbENKUlT_T0_SK_SP_E_clISE_SE_SF_SF_EEDaS13_S14_SK_SP_EUlS13_E_NS1_11comp_targetILNS1_3genE0ELNS1_11target_archE4294967295ELNS1_3gpuE0ELNS1_3repE0EEENS1_47radix_sort_onesweep_sort_config_static_selectorELNS0_4arch9wavefront6targetE1EEEvSK_,"axG",@progbits,_ZN7rocprim17ROCPRIM_400000_NS6detail17trampoline_kernelINS0_14default_configENS1_35radix_sort_onesweep_config_selectorIiNS0_10empty_typeEEEZZNS1_29radix_sort_onesweep_iterationIS3_Lb0EN6thrust23THRUST_200600_302600_NS6detail15normal_iteratorINS9_10device_ptrIiEEEESE_PS5_SF_jNS0_19identity_decomposerENS1_16block_id_wrapperIjLb1EEEEE10hipError_tT1_PNSt15iterator_traitsISK_E10value_typeET2_T3_PNSL_ISQ_E10value_typeET4_T5_PSV_SW_PNS1_23onesweep_lookback_stateEbbT6_jjT7_P12ihipStream_tbENKUlT_T0_SK_SP_E_clISE_SE_SF_SF_EEDaS13_S14_SK_SP_EUlS13_E_NS1_11comp_targetILNS1_3genE0ELNS1_11target_archE4294967295ELNS1_3gpuE0ELNS1_3repE0EEENS1_47radix_sort_onesweep_sort_config_static_selectorELNS0_4arch9wavefront6targetE1EEEvSK_,comdat
	.protected	_ZN7rocprim17ROCPRIM_400000_NS6detail17trampoline_kernelINS0_14default_configENS1_35radix_sort_onesweep_config_selectorIiNS0_10empty_typeEEEZZNS1_29radix_sort_onesweep_iterationIS3_Lb0EN6thrust23THRUST_200600_302600_NS6detail15normal_iteratorINS9_10device_ptrIiEEEESE_PS5_SF_jNS0_19identity_decomposerENS1_16block_id_wrapperIjLb1EEEEE10hipError_tT1_PNSt15iterator_traitsISK_E10value_typeET2_T3_PNSL_ISQ_E10value_typeET4_T5_PSV_SW_PNS1_23onesweep_lookback_stateEbbT6_jjT7_P12ihipStream_tbENKUlT_T0_SK_SP_E_clISE_SE_SF_SF_EEDaS13_S14_SK_SP_EUlS13_E_NS1_11comp_targetILNS1_3genE0ELNS1_11target_archE4294967295ELNS1_3gpuE0ELNS1_3repE0EEENS1_47radix_sort_onesweep_sort_config_static_selectorELNS0_4arch9wavefront6targetE1EEEvSK_ ; -- Begin function _ZN7rocprim17ROCPRIM_400000_NS6detail17trampoline_kernelINS0_14default_configENS1_35radix_sort_onesweep_config_selectorIiNS0_10empty_typeEEEZZNS1_29radix_sort_onesweep_iterationIS3_Lb0EN6thrust23THRUST_200600_302600_NS6detail15normal_iteratorINS9_10device_ptrIiEEEESE_PS5_SF_jNS0_19identity_decomposerENS1_16block_id_wrapperIjLb1EEEEE10hipError_tT1_PNSt15iterator_traitsISK_E10value_typeET2_T3_PNSL_ISQ_E10value_typeET4_T5_PSV_SW_PNS1_23onesweep_lookback_stateEbbT6_jjT7_P12ihipStream_tbENKUlT_T0_SK_SP_E_clISE_SE_SF_SF_EEDaS13_S14_SK_SP_EUlS13_E_NS1_11comp_targetILNS1_3genE0ELNS1_11target_archE4294967295ELNS1_3gpuE0ELNS1_3repE0EEENS1_47radix_sort_onesweep_sort_config_static_selectorELNS0_4arch9wavefront6targetE1EEEvSK_
	.globl	_ZN7rocprim17ROCPRIM_400000_NS6detail17trampoline_kernelINS0_14default_configENS1_35radix_sort_onesweep_config_selectorIiNS0_10empty_typeEEEZZNS1_29radix_sort_onesweep_iterationIS3_Lb0EN6thrust23THRUST_200600_302600_NS6detail15normal_iteratorINS9_10device_ptrIiEEEESE_PS5_SF_jNS0_19identity_decomposerENS1_16block_id_wrapperIjLb1EEEEE10hipError_tT1_PNSt15iterator_traitsISK_E10value_typeET2_T3_PNSL_ISQ_E10value_typeET4_T5_PSV_SW_PNS1_23onesweep_lookback_stateEbbT6_jjT7_P12ihipStream_tbENKUlT_T0_SK_SP_E_clISE_SE_SF_SF_EEDaS13_S14_SK_SP_EUlS13_E_NS1_11comp_targetILNS1_3genE0ELNS1_11target_archE4294967295ELNS1_3gpuE0ELNS1_3repE0EEENS1_47radix_sort_onesweep_sort_config_static_selectorELNS0_4arch9wavefront6targetE1EEEvSK_
	.p2align	8
	.type	_ZN7rocprim17ROCPRIM_400000_NS6detail17trampoline_kernelINS0_14default_configENS1_35radix_sort_onesweep_config_selectorIiNS0_10empty_typeEEEZZNS1_29radix_sort_onesweep_iterationIS3_Lb0EN6thrust23THRUST_200600_302600_NS6detail15normal_iteratorINS9_10device_ptrIiEEEESE_PS5_SF_jNS0_19identity_decomposerENS1_16block_id_wrapperIjLb1EEEEE10hipError_tT1_PNSt15iterator_traitsISK_E10value_typeET2_T3_PNSL_ISQ_E10value_typeET4_T5_PSV_SW_PNS1_23onesweep_lookback_stateEbbT6_jjT7_P12ihipStream_tbENKUlT_T0_SK_SP_E_clISE_SE_SF_SF_EEDaS13_S14_SK_SP_EUlS13_E_NS1_11comp_targetILNS1_3genE0ELNS1_11target_archE4294967295ELNS1_3gpuE0ELNS1_3repE0EEENS1_47radix_sort_onesweep_sort_config_static_selectorELNS0_4arch9wavefront6targetE1EEEvSK_,@function
_ZN7rocprim17ROCPRIM_400000_NS6detail17trampoline_kernelINS0_14default_configENS1_35radix_sort_onesweep_config_selectorIiNS0_10empty_typeEEEZZNS1_29radix_sort_onesweep_iterationIS3_Lb0EN6thrust23THRUST_200600_302600_NS6detail15normal_iteratorINS9_10device_ptrIiEEEESE_PS5_SF_jNS0_19identity_decomposerENS1_16block_id_wrapperIjLb1EEEEE10hipError_tT1_PNSt15iterator_traitsISK_E10value_typeET2_T3_PNSL_ISQ_E10value_typeET4_T5_PSV_SW_PNS1_23onesweep_lookback_stateEbbT6_jjT7_P12ihipStream_tbENKUlT_T0_SK_SP_E_clISE_SE_SF_SF_EEDaS13_S14_SK_SP_EUlS13_E_NS1_11comp_targetILNS1_3genE0ELNS1_11target_archE4294967295ELNS1_3gpuE0ELNS1_3repE0EEENS1_47radix_sort_onesweep_sort_config_static_selectorELNS0_4arch9wavefront6targetE1EEEvSK_: ; @_ZN7rocprim17ROCPRIM_400000_NS6detail17trampoline_kernelINS0_14default_configENS1_35radix_sort_onesweep_config_selectorIiNS0_10empty_typeEEEZZNS1_29radix_sort_onesweep_iterationIS3_Lb0EN6thrust23THRUST_200600_302600_NS6detail15normal_iteratorINS9_10device_ptrIiEEEESE_PS5_SF_jNS0_19identity_decomposerENS1_16block_id_wrapperIjLb1EEEEE10hipError_tT1_PNSt15iterator_traitsISK_E10value_typeET2_T3_PNSL_ISQ_E10value_typeET4_T5_PSV_SW_PNS1_23onesweep_lookback_stateEbbT6_jjT7_P12ihipStream_tbENKUlT_T0_SK_SP_E_clISE_SE_SF_SF_EEDaS13_S14_SK_SP_EUlS13_E_NS1_11comp_targetILNS1_3genE0ELNS1_11target_archE4294967295ELNS1_3gpuE0ELNS1_3repE0EEENS1_47radix_sort_onesweep_sort_config_static_selectorELNS0_4arch9wavefront6targetE1EEEvSK_
; %bb.0:
	.section	.rodata,"a",@progbits
	.p2align	6, 0x0
	.amdhsa_kernel _ZN7rocprim17ROCPRIM_400000_NS6detail17trampoline_kernelINS0_14default_configENS1_35radix_sort_onesweep_config_selectorIiNS0_10empty_typeEEEZZNS1_29radix_sort_onesweep_iterationIS3_Lb0EN6thrust23THRUST_200600_302600_NS6detail15normal_iteratorINS9_10device_ptrIiEEEESE_PS5_SF_jNS0_19identity_decomposerENS1_16block_id_wrapperIjLb1EEEEE10hipError_tT1_PNSt15iterator_traitsISK_E10value_typeET2_T3_PNSL_ISQ_E10value_typeET4_T5_PSV_SW_PNS1_23onesweep_lookback_stateEbbT6_jjT7_P12ihipStream_tbENKUlT_T0_SK_SP_E_clISE_SE_SF_SF_EEDaS13_S14_SK_SP_EUlS13_E_NS1_11comp_targetILNS1_3genE0ELNS1_11target_archE4294967295ELNS1_3gpuE0ELNS1_3repE0EEENS1_47radix_sort_onesweep_sort_config_static_selectorELNS0_4arch9wavefront6targetE1EEEvSK_
		.amdhsa_group_segment_fixed_size 0
		.amdhsa_private_segment_fixed_size 0
		.amdhsa_kernarg_size 88
		.amdhsa_user_sgpr_count 2
		.amdhsa_user_sgpr_dispatch_ptr 0
		.amdhsa_user_sgpr_queue_ptr 0
		.amdhsa_user_sgpr_kernarg_segment_ptr 1
		.amdhsa_user_sgpr_dispatch_id 0
		.amdhsa_user_sgpr_kernarg_preload_length 0
		.amdhsa_user_sgpr_kernarg_preload_offset 0
		.amdhsa_user_sgpr_private_segment_size 0
		.amdhsa_uses_dynamic_stack 0
		.amdhsa_enable_private_segment 0
		.amdhsa_system_sgpr_workgroup_id_x 1
		.amdhsa_system_sgpr_workgroup_id_y 0
		.amdhsa_system_sgpr_workgroup_id_z 0
		.amdhsa_system_sgpr_workgroup_info 0
		.amdhsa_system_vgpr_workitem_id 0
		.amdhsa_next_free_vgpr 1
		.amdhsa_next_free_sgpr 0
		.amdhsa_accum_offset 4
		.amdhsa_reserve_vcc 0
		.amdhsa_float_round_mode_32 0
		.amdhsa_float_round_mode_16_64 0
		.amdhsa_float_denorm_mode_32 3
		.amdhsa_float_denorm_mode_16_64 3
		.amdhsa_dx10_clamp 1
		.amdhsa_ieee_mode 1
		.amdhsa_fp16_overflow 0
		.amdhsa_tg_split 0
		.amdhsa_exception_fp_ieee_invalid_op 0
		.amdhsa_exception_fp_denorm_src 0
		.amdhsa_exception_fp_ieee_div_zero 0
		.amdhsa_exception_fp_ieee_overflow 0
		.amdhsa_exception_fp_ieee_underflow 0
		.amdhsa_exception_fp_ieee_inexact 0
		.amdhsa_exception_int_div_zero 0
	.end_amdhsa_kernel
	.section	.text._ZN7rocprim17ROCPRIM_400000_NS6detail17trampoline_kernelINS0_14default_configENS1_35radix_sort_onesweep_config_selectorIiNS0_10empty_typeEEEZZNS1_29radix_sort_onesweep_iterationIS3_Lb0EN6thrust23THRUST_200600_302600_NS6detail15normal_iteratorINS9_10device_ptrIiEEEESE_PS5_SF_jNS0_19identity_decomposerENS1_16block_id_wrapperIjLb1EEEEE10hipError_tT1_PNSt15iterator_traitsISK_E10value_typeET2_T3_PNSL_ISQ_E10value_typeET4_T5_PSV_SW_PNS1_23onesweep_lookback_stateEbbT6_jjT7_P12ihipStream_tbENKUlT_T0_SK_SP_E_clISE_SE_SF_SF_EEDaS13_S14_SK_SP_EUlS13_E_NS1_11comp_targetILNS1_3genE0ELNS1_11target_archE4294967295ELNS1_3gpuE0ELNS1_3repE0EEENS1_47radix_sort_onesweep_sort_config_static_selectorELNS0_4arch9wavefront6targetE1EEEvSK_,"axG",@progbits,_ZN7rocprim17ROCPRIM_400000_NS6detail17trampoline_kernelINS0_14default_configENS1_35radix_sort_onesweep_config_selectorIiNS0_10empty_typeEEEZZNS1_29radix_sort_onesweep_iterationIS3_Lb0EN6thrust23THRUST_200600_302600_NS6detail15normal_iteratorINS9_10device_ptrIiEEEESE_PS5_SF_jNS0_19identity_decomposerENS1_16block_id_wrapperIjLb1EEEEE10hipError_tT1_PNSt15iterator_traitsISK_E10value_typeET2_T3_PNSL_ISQ_E10value_typeET4_T5_PSV_SW_PNS1_23onesweep_lookback_stateEbbT6_jjT7_P12ihipStream_tbENKUlT_T0_SK_SP_E_clISE_SE_SF_SF_EEDaS13_S14_SK_SP_EUlS13_E_NS1_11comp_targetILNS1_3genE0ELNS1_11target_archE4294967295ELNS1_3gpuE0ELNS1_3repE0EEENS1_47radix_sort_onesweep_sort_config_static_selectorELNS0_4arch9wavefront6targetE1EEEvSK_,comdat
.Lfunc_end159:
	.size	_ZN7rocprim17ROCPRIM_400000_NS6detail17trampoline_kernelINS0_14default_configENS1_35radix_sort_onesweep_config_selectorIiNS0_10empty_typeEEEZZNS1_29radix_sort_onesweep_iterationIS3_Lb0EN6thrust23THRUST_200600_302600_NS6detail15normal_iteratorINS9_10device_ptrIiEEEESE_PS5_SF_jNS0_19identity_decomposerENS1_16block_id_wrapperIjLb1EEEEE10hipError_tT1_PNSt15iterator_traitsISK_E10value_typeET2_T3_PNSL_ISQ_E10value_typeET4_T5_PSV_SW_PNS1_23onesweep_lookback_stateEbbT6_jjT7_P12ihipStream_tbENKUlT_T0_SK_SP_E_clISE_SE_SF_SF_EEDaS13_S14_SK_SP_EUlS13_E_NS1_11comp_targetILNS1_3genE0ELNS1_11target_archE4294967295ELNS1_3gpuE0ELNS1_3repE0EEENS1_47radix_sort_onesweep_sort_config_static_selectorELNS0_4arch9wavefront6targetE1EEEvSK_, .Lfunc_end159-_ZN7rocprim17ROCPRIM_400000_NS6detail17trampoline_kernelINS0_14default_configENS1_35radix_sort_onesweep_config_selectorIiNS0_10empty_typeEEEZZNS1_29radix_sort_onesweep_iterationIS3_Lb0EN6thrust23THRUST_200600_302600_NS6detail15normal_iteratorINS9_10device_ptrIiEEEESE_PS5_SF_jNS0_19identity_decomposerENS1_16block_id_wrapperIjLb1EEEEE10hipError_tT1_PNSt15iterator_traitsISK_E10value_typeET2_T3_PNSL_ISQ_E10value_typeET4_T5_PSV_SW_PNS1_23onesweep_lookback_stateEbbT6_jjT7_P12ihipStream_tbENKUlT_T0_SK_SP_E_clISE_SE_SF_SF_EEDaS13_S14_SK_SP_EUlS13_E_NS1_11comp_targetILNS1_3genE0ELNS1_11target_archE4294967295ELNS1_3gpuE0ELNS1_3repE0EEENS1_47radix_sort_onesweep_sort_config_static_selectorELNS0_4arch9wavefront6targetE1EEEvSK_
                                        ; -- End function
	.set _ZN7rocprim17ROCPRIM_400000_NS6detail17trampoline_kernelINS0_14default_configENS1_35radix_sort_onesweep_config_selectorIiNS0_10empty_typeEEEZZNS1_29radix_sort_onesweep_iterationIS3_Lb0EN6thrust23THRUST_200600_302600_NS6detail15normal_iteratorINS9_10device_ptrIiEEEESE_PS5_SF_jNS0_19identity_decomposerENS1_16block_id_wrapperIjLb1EEEEE10hipError_tT1_PNSt15iterator_traitsISK_E10value_typeET2_T3_PNSL_ISQ_E10value_typeET4_T5_PSV_SW_PNS1_23onesweep_lookback_stateEbbT6_jjT7_P12ihipStream_tbENKUlT_T0_SK_SP_E_clISE_SE_SF_SF_EEDaS13_S14_SK_SP_EUlS13_E_NS1_11comp_targetILNS1_3genE0ELNS1_11target_archE4294967295ELNS1_3gpuE0ELNS1_3repE0EEENS1_47radix_sort_onesweep_sort_config_static_selectorELNS0_4arch9wavefront6targetE1EEEvSK_.num_vgpr, 0
	.set _ZN7rocprim17ROCPRIM_400000_NS6detail17trampoline_kernelINS0_14default_configENS1_35radix_sort_onesweep_config_selectorIiNS0_10empty_typeEEEZZNS1_29radix_sort_onesweep_iterationIS3_Lb0EN6thrust23THRUST_200600_302600_NS6detail15normal_iteratorINS9_10device_ptrIiEEEESE_PS5_SF_jNS0_19identity_decomposerENS1_16block_id_wrapperIjLb1EEEEE10hipError_tT1_PNSt15iterator_traitsISK_E10value_typeET2_T3_PNSL_ISQ_E10value_typeET4_T5_PSV_SW_PNS1_23onesweep_lookback_stateEbbT6_jjT7_P12ihipStream_tbENKUlT_T0_SK_SP_E_clISE_SE_SF_SF_EEDaS13_S14_SK_SP_EUlS13_E_NS1_11comp_targetILNS1_3genE0ELNS1_11target_archE4294967295ELNS1_3gpuE0ELNS1_3repE0EEENS1_47radix_sort_onesweep_sort_config_static_selectorELNS0_4arch9wavefront6targetE1EEEvSK_.num_agpr, 0
	.set _ZN7rocprim17ROCPRIM_400000_NS6detail17trampoline_kernelINS0_14default_configENS1_35radix_sort_onesweep_config_selectorIiNS0_10empty_typeEEEZZNS1_29radix_sort_onesweep_iterationIS3_Lb0EN6thrust23THRUST_200600_302600_NS6detail15normal_iteratorINS9_10device_ptrIiEEEESE_PS5_SF_jNS0_19identity_decomposerENS1_16block_id_wrapperIjLb1EEEEE10hipError_tT1_PNSt15iterator_traitsISK_E10value_typeET2_T3_PNSL_ISQ_E10value_typeET4_T5_PSV_SW_PNS1_23onesweep_lookback_stateEbbT6_jjT7_P12ihipStream_tbENKUlT_T0_SK_SP_E_clISE_SE_SF_SF_EEDaS13_S14_SK_SP_EUlS13_E_NS1_11comp_targetILNS1_3genE0ELNS1_11target_archE4294967295ELNS1_3gpuE0ELNS1_3repE0EEENS1_47radix_sort_onesweep_sort_config_static_selectorELNS0_4arch9wavefront6targetE1EEEvSK_.numbered_sgpr, 0
	.set _ZN7rocprim17ROCPRIM_400000_NS6detail17trampoline_kernelINS0_14default_configENS1_35radix_sort_onesweep_config_selectorIiNS0_10empty_typeEEEZZNS1_29radix_sort_onesweep_iterationIS3_Lb0EN6thrust23THRUST_200600_302600_NS6detail15normal_iteratorINS9_10device_ptrIiEEEESE_PS5_SF_jNS0_19identity_decomposerENS1_16block_id_wrapperIjLb1EEEEE10hipError_tT1_PNSt15iterator_traitsISK_E10value_typeET2_T3_PNSL_ISQ_E10value_typeET4_T5_PSV_SW_PNS1_23onesweep_lookback_stateEbbT6_jjT7_P12ihipStream_tbENKUlT_T0_SK_SP_E_clISE_SE_SF_SF_EEDaS13_S14_SK_SP_EUlS13_E_NS1_11comp_targetILNS1_3genE0ELNS1_11target_archE4294967295ELNS1_3gpuE0ELNS1_3repE0EEENS1_47radix_sort_onesweep_sort_config_static_selectorELNS0_4arch9wavefront6targetE1EEEvSK_.num_named_barrier, 0
	.set _ZN7rocprim17ROCPRIM_400000_NS6detail17trampoline_kernelINS0_14default_configENS1_35radix_sort_onesweep_config_selectorIiNS0_10empty_typeEEEZZNS1_29radix_sort_onesweep_iterationIS3_Lb0EN6thrust23THRUST_200600_302600_NS6detail15normal_iteratorINS9_10device_ptrIiEEEESE_PS5_SF_jNS0_19identity_decomposerENS1_16block_id_wrapperIjLb1EEEEE10hipError_tT1_PNSt15iterator_traitsISK_E10value_typeET2_T3_PNSL_ISQ_E10value_typeET4_T5_PSV_SW_PNS1_23onesweep_lookback_stateEbbT6_jjT7_P12ihipStream_tbENKUlT_T0_SK_SP_E_clISE_SE_SF_SF_EEDaS13_S14_SK_SP_EUlS13_E_NS1_11comp_targetILNS1_3genE0ELNS1_11target_archE4294967295ELNS1_3gpuE0ELNS1_3repE0EEENS1_47radix_sort_onesweep_sort_config_static_selectorELNS0_4arch9wavefront6targetE1EEEvSK_.private_seg_size, 0
	.set _ZN7rocprim17ROCPRIM_400000_NS6detail17trampoline_kernelINS0_14default_configENS1_35radix_sort_onesweep_config_selectorIiNS0_10empty_typeEEEZZNS1_29radix_sort_onesweep_iterationIS3_Lb0EN6thrust23THRUST_200600_302600_NS6detail15normal_iteratorINS9_10device_ptrIiEEEESE_PS5_SF_jNS0_19identity_decomposerENS1_16block_id_wrapperIjLb1EEEEE10hipError_tT1_PNSt15iterator_traitsISK_E10value_typeET2_T3_PNSL_ISQ_E10value_typeET4_T5_PSV_SW_PNS1_23onesweep_lookback_stateEbbT6_jjT7_P12ihipStream_tbENKUlT_T0_SK_SP_E_clISE_SE_SF_SF_EEDaS13_S14_SK_SP_EUlS13_E_NS1_11comp_targetILNS1_3genE0ELNS1_11target_archE4294967295ELNS1_3gpuE0ELNS1_3repE0EEENS1_47radix_sort_onesweep_sort_config_static_selectorELNS0_4arch9wavefront6targetE1EEEvSK_.uses_vcc, 0
	.set _ZN7rocprim17ROCPRIM_400000_NS6detail17trampoline_kernelINS0_14default_configENS1_35radix_sort_onesweep_config_selectorIiNS0_10empty_typeEEEZZNS1_29radix_sort_onesweep_iterationIS3_Lb0EN6thrust23THRUST_200600_302600_NS6detail15normal_iteratorINS9_10device_ptrIiEEEESE_PS5_SF_jNS0_19identity_decomposerENS1_16block_id_wrapperIjLb1EEEEE10hipError_tT1_PNSt15iterator_traitsISK_E10value_typeET2_T3_PNSL_ISQ_E10value_typeET4_T5_PSV_SW_PNS1_23onesweep_lookback_stateEbbT6_jjT7_P12ihipStream_tbENKUlT_T0_SK_SP_E_clISE_SE_SF_SF_EEDaS13_S14_SK_SP_EUlS13_E_NS1_11comp_targetILNS1_3genE0ELNS1_11target_archE4294967295ELNS1_3gpuE0ELNS1_3repE0EEENS1_47radix_sort_onesweep_sort_config_static_selectorELNS0_4arch9wavefront6targetE1EEEvSK_.uses_flat_scratch, 0
	.set _ZN7rocprim17ROCPRIM_400000_NS6detail17trampoline_kernelINS0_14default_configENS1_35radix_sort_onesweep_config_selectorIiNS0_10empty_typeEEEZZNS1_29radix_sort_onesweep_iterationIS3_Lb0EN6thrust23THRUST_200600_302600_NS6detail15normal_iteratorINS9_10device_ptrIiEEEESE_PS5_SF_jNS0_19identity_decomposerENS1_16block_id_wrapperIjLb1EEEEE10hipError_tT1_PNSt15iterator_traitsISK_E10value_typeET2_T3_PNSL_ISQ_E10value_typeET4_T5_PSV_SW_PNS1_23onesweep_lookback_stateEbbT6_jjT7_P12ihipStream_tbENKUlT_T0_SK_SP_E_clISE_SE_SF_SF_EEDaS13_S14_SK_SP_EUlS13_E_NS1_11comp_targetILNS1_3genE0ELNS1_11target_archE4294967295ELNS1_3gpuE0ELNS1_3repE0EEENS1_47radix_sort_onesweep_sort_config_static_selectorELNS0_4arch9wavefront6targetE1EEEvSK_.has_dyn_sized_stack, 0
	.set _ZN7rocprim17ROCPRIM_400000_NS6detail17trampoline_kernelINS0_14default_configENS1_35radix_sort_onesweep_config_selectorIiNS0_10empty_typeEEEZZNS1_29radix_sort_onesweep_iterationIS3_Lb0EN6thrust23THRUST_200600_302600_NS6detail15normal_iteratorINS9_10device_ptrIiEEEESE_PS5_SF_jNS0_19identity_decomposerENS1_16block_id_wrapperIjLb1EEEEE10hipError_tT1_PNSt15iterator_traitsISK_E10value_typeET2_T3_PNSL_ISQ_E10value_typeET4_T5_PSV_SW_PNS1_23onesweep_lookback_stateEbbT6_jjT7_P12ihipStream_tbENKUlT_T0_SK_SP_E_clISE_SE_SF_SF_EEDaS13_S14_SK_SP_EUlS13_E_NS1_11comp_targetILNS1_3genE0ELNS1_11target_archE4294967295ELNS1_3gpuE0ELNS1_3repE0EEENS1_47radix_sort_onesweep_sort_config_static_selectorELNS0_4arch9wavefront6targetE1EEEvSK_.has_recursion, 0
	.set _ZN7rocprim17ROCPRIM_400000_NS6detail17trampoline_kernelINS0_14default_configENS1_35radix_sort_onesweep_config_selectorIiNS0_10empty_typeEEEZZNS1_29radix_sort_onesweep_iterationIS3_Lb0EN6thrust23THRUST_200600_302600_NS6detail15normal_iteratorINS9_10device_ptrIiEEEESE_PS5_SF_jNS0_19identity_decomposerENS1_16block_id_wrapperIjLb1EEEEE10hipError_tT1_PNSt15iterator_traitsISK_E10value_typeET2_T3_PNSL_ISQ_E10value_typeET4_T5_PSV_SW_PNS1_23onesweep_lookback_stateEbbT6_jjT7_P12ihipStream_tbENKUlT_T0_SK_SP_E_clISE_SE_SF_SF_EEDaS13_S14_SK_SP_EUlS13_E_NS1_11comp_targetILNS1_3genE0ELNS1_11target_archE4294967295ELNS1_3gpuE0ELNS1_3repE0EEENS1_47radix_sort_onesweep_sort_config_static_selectorELNS0_4arch9wavefront6targetE1EEEvSK_.has_indirect_call, 0
	.section	.AMDGPU.csdata,"",@progbits
; Kernel info:
; codeLenInByte = 0
; TotalNumSgprs: 6
; NumVgprs: 0
; NumAgprs: 0
; TotalNumVgprs: 0
; ScratchSize: 0
; MemoryBound: 0
; FloatMode: 240
; IeeeMode: 1
; LDSByteSize: 0 bytes/workgroup (compile time only)
; SGPRBlocks: 0
; VGPRBlocks: 0
; NumSGPRsForWavesPerEU: 6
; NumVGPRsForWavesPerEU: 1
; AccumOffset: 4
; Occupancy: 8
; WaveLimiterHint : 0
; COMPUTE_PGM_RSRC2:SCRATCH_EN: 0
; COMPUTE_PGM_RSRC2:USER_SGPR: 2
; COMPUTE_PGM_RSRC2:TRAP_HANDLER: 0
; COMPUTE_PGM_RSRC2:TGID_X_EN: 1
; COMPUTE_PGM_RSRC2:TGID_Y_EN: 0
; COMPUTE_PGM_RSRC2:TGID_Z_EN: 0
; COMPUTE_PGM_RSRC2:TIDIG_COMP_CNT: 0
; COMPUTE_PGM_RSRC3_GFX90A:ACCUM_OFFSET: 0
; COMPUTE_PGM_RSRC3_GFX90A:TG_SPLIT: 0
	.section	.text._ZN7rocprim17ROCPRIM_400000_NS6detail17trampoline_kernelINS0_14default_configENS1_35radix_sort_onesweep_config_selectorIiNS0_10empty_typeEEEZZNS1_29radix_sort_onesweep_iterationIS3_Lb0EN6thrust23THRUST_200600_302600_NS6detail15normal_iteratorINS9_10device_ptrIiEEEESE_PS5_SF_jNS0_19identity_decomposerENS1_16block_id_wrapperIjLb1EEEEE10hipError_tT1_PNSt15iterator_traitsISK_E10value_typeET2_T3_PNSL_ISQ_E10value_typeET4_T5_PSV_SW_PNS1_23onesweep_lookback_stateEbbT6_jjT7_P12ihipStream_tbENKUlT_T0_SK_SP_E_clISE_SE_SF_SF_EEDaS13_S14_SK_SP_EUlS13_E_NS1_11comp_targetILNS1_3genE6ELNS1_11target_archE950ELNS1_3gpuE13ELNS1_3repE0EEENS1_47radix_sort_onesweep_sort_config_static_selectorELNS0_4arch9wavefront6targetE1EEEvSK_,"axG",@progbits,_ZN7rocprim17ROCPRIM_400000_NS6detail17trampoline_kernelINS0_14default_configENS1_35radix_sort_onesweep_config_selectorIiNS0_10empty_typeEEEZZNS1_29radix_sort_onesweep_iterationIS3_Lb0EN6thrust23THRUST_200600_302600_NS6detail15normal_iteratorINS9_10device_ptrIiEEEESE_PS5_SF_jNS0_19identity_decomposerENS1_16block_id_wrapperIjLb1EEEEE10hipError_tT1_PNSt15iterator_traitsISK_E10value_typeET2_T3_PNSL_ISQ_E10value_typeET4_T5_PSV_SW_PNS1_23onesweep_lookback_stateEbbT6_jjT7_P12ihipStream_tbENKUlT_T0_SK_SP_E_clISE_SE_SF_SF_EEDaS13_S14_SK_SP_EUlS13_E_NS1_11comp_targetILNS1_3genE6ELNS1_11target_archE950ELNS1_3gpuE13ELNS1_3repE0EEENS1_47radix_sort_onesweep_sort_config_static_selectorELNS0_4arch9wavefront6targetE1EEEvSK_,comdat
	.protected	_ZN7rocprim17ROCPRIM_400000_NS6detail17trampoline_kernelINS0_14default_configENS1_35radix_sort_onesweep_config_selectorIiNS0_10empty_typeEEEZZNS1_29radix_sort_onesweep_iterationIS3_Lb0EN6thrust23THRUST_200600_302600_NS6detail15normal_iteratorINS9_10device_ptrIiEEEESE_PS5_SF_jNS0_19identity_decomposerENS1_16block_id_wrapperIjLb1EEEEE10hipError_tT1_PNSt15iterator_traitsISK_E10value_typeET2_T3_PNSL_ISQ_E10value_typeET4_T5_PSV_SW_PNS1_23onesweep_lookback_stateEbbT6_jjT7_P12ihipStream_tbENKUlT_T0_SK_SP_E_clISE_SE_SF_SF_EEDaS13_S14_SK_SP_EUlS13_E_NS1_11comp_targetILNS1_3genE6ELNS1_11target_archE950ELNS1_3gpuE13ELNS1_3repE0EEENS1_47radix_sort_onesweep_sort_config_static_selectorELNS0_4arch9wavefront6targetE1EEEvSK_ ; -- Begin function _ZN7rocprim17ROCPRIM_400000_NS6detail17trampoline_kernelINS0_14default_configENS1_35radix_sort_onesweep_config_selectorIiNS0_10empty_typeEEEZZNS1_29radix_sort_onesweep_iterationIS3_Lb0EN6thrust23THRUST_200600_302600_NS6detail15normal_iteratorINS9_10device_ptrIiEEEESE_PS5_SF_jNS0_19identity_decomposerENS1_16block_id_wrapperIjLb1EEEEE10hipError_tT1_PNSt15iterator_traitsISK_E10value_typeET2_T3_PNSL_ISQ_E10value_typeET4_T5_PSV_SW_PNS1_23onesweep_lookback_stateEbbT6_jjT7_P12ihipStream_tbENKUlT_T0_SK_SP_E_clISE_SE_SF_SF_EEDaS13_S14_SK_SP_EUlS13_E_NS1_11comp_targetILNS1_3genE6ELNS1_11target_archE950ELNS1_3gpuE13ELNS1_3repE0EEENS1_47radix_sort_onesweep_sort_config_static_selectorELNS0_4arch9wavefront6targetE1EEEvSK_
	.globl	_ZN7rocprim17ROCPRIM_400000_NS6detail17trampoline_kernelINS0_14default_configENS1_35radix_sort_onesweep_config_selectorIiNS0_10empty_typeEEEZZNS1_29radix_sort_onesweep_iterationIS3_Lb0EN6thrust23THRUST_200600_302600_NS6detail15normal_iteratorINS9_10device_ptrIiEEEESE_PS5_SF_jNS0_19identity_decomposerENS1_16block_id_wrapperIjLb1EEEEE10hipError_tT1_PNSt15iterator_traitsISK_E10value_typeET2_T3_PNSL_ISQ_E10value_typeET4_T5_PSV_SW_PNS1_23onesweep_lookback_stateEbbT6_jjT7_P12ihipStream_tbENKUlT_T0_SK_SP_E_clISE_SE_SF_SF_EEDaS13_S14_SK_SP_EUlS13_E_NS1_11comp_targetILNS1_3genE6ELNS1_11target_archE950ELNS1_3gpuE13ELNS1_3repE0EEENS1_47radix_sort_onesweep_sort_config_static_selectorELNS0_4arch9wavefront6targetE1EEEvSK_
	.p2align	8
	.type	_ZN7rocprim17ROCPRIM_400000_NS6detail17trampoline_kernelINS0_14default_configENS1_35radix_sort_onesweep_config_selectorIiNS0_10empty_typeEEEZZNS1_29radix_sort_onesweep_iterationIS3_Lb0EN6thrust23THRUST_200600_302600_NS6detail15normal_iteratorINS9_10device_ptrIiEEEESE_PS5_SF_jNS0_19identity_decomposerENS1_16block_id_wrapperIjLb1EEEEE10hipError_tT1_PNSt15iterator_traitsISK_E10value_typeET2_T3_PNSL_ISQ_E10value_typeET4_T5_PSV_SW_PNS1_23onesweep_lookback_stateEbbT6_jjT7_P12ihipStream_tbENKUlT_T0_SK_SP_E_clISE_SE_SF_SF_EEDaS13_S14_SK_SP_EUlS13_E_NS1_11comp_targetILNS1_3genE6ELNS1_11target_archE950ELNS1_3gpuE13ELNS1_3repE0EEENS1_47radix_sort_onesweep_sort_config_static_selectorELNS0_4arch9wavefront6targetE1EEEvSK_,@function
_ZN7rocprim17ROCPRIM_400000_NS6detail17trampoline_kernelINS0_14default_configENS1_35radix_sort_onesweep_config_selectorIiNS0_10empty_typeEEEZZNS1_29radix_sort_onesweep_iterationIS3_Lb0EN6thrust23THRUST_200600_302600_NS6detail15normal_iteratorINS9_10device_ptrIiEEEESE_PS5_SF_jNS0_19identity_decomposerENS1_16block_id_wrapperIjLb1EEEEE10hipError_tT1_PNSt15iterator_traitsISK_E10value_typeET2_T3_PNSL_ISQ_E10value_typeET4_T5_PSV_SW_PNS1_23onesweep_lookback_stateEbbT6_jjT7_P12ihipStream_tbENKUlT_T0_SK_SP_E_clISE_SE_SF_SF_EEDaS13_S14_SK_SP_EUlS13_E_NS1_11comp_targetILNS1_3genE6ELNS1_11target_archE950ELNS1_3gpuE13ELNS1_3repE0EEENS1_47radix_sort_onesweep_sort_config_static_selectorELNS0_4arch9wavefront6targetE1EEEvSK_: ; @_ZN7rocprim17ROCPRIM_400000_NS6detail17trampoline_kernelINS0_14default_configENS1_35radix_sort_onesweep_config_selectorIiNS0_10empty_typeEEEZZNS1_29radix_sort_onesweep_iterationIS3_Lb0EN6thrust23THRUST_200600_302600_NS6detail15normal_iteratorINS9_10device_ptrIiEEEESE_PS5_SF_jNS0_19identity_decomposerENS1_16block_id_wrapperIjLb1EEEEE10hipError_tT1_PNSt15iterator_traitsISK_E10value_typeET2_T3_PNSL_ISQ_E10value_typeET4_T5_PSV_SW_PNS1_23onesweep_lookback_stateEbbT6_jjT7_P12ihipStream_tbENKUlT_T0_SK_SP_E_clISE_SE_SF_SF_EEDaS13_S14_SK_SP_EUlS13_E_NS1_11comp_targetILNS1_3genE6ELNS1_11target_archE950ELNS1_3gpuE13ELNS1_3repE0EEENS1_47radix_sort_onesweep_sort_config_static_selectorELNS0_4arch9wavefront6targetE1EEEvSK_
; %bb.0:
	s_load_dwordx4 s[20:23], s[0:1], 0x28
	s_load_dwordx2 s[18:19], s[0:1], 0x38
	s_load_dwordx4 s[24:27], s[0:1], 0x44
	v_and_b32_e32 v10, 0x3ff, v0
	v_cmp_eq_u32_e64 s[10:11], 0, v10
	s_and_saveexec_b64 s[4:5], s[10:11]
	s_cbranch_execz .LBB160_4
; %bb.1:
	s_mov_b64 s[8:9], exec
	v_mbcnt_lo_u32_b32 v1, s8, 0
	v_mbcnt_hi_u32_b32 v1, s9, v1
	v_cmp_eq_u32_e32 vcc, 0, v1
                                        ; implicit-def: $vgpr2
	s_and_saveexec_b64 s[6:7], vcc
	s_cbranch_execz .LBB160_3
; %bb.2:
	s_load_dwordx2 s[12:13], s[0:1], 0x50
	s_bcnt1_i32_b64 s3, s[8:9]
	v_mov_b32_e32 v2, 0
	v_mov_b32_e32 v3, s3
	s_waitcnt lgkmcnt(0)
	global_atomic_add v2, v2, v3, s[12:13] sc0
.LBB160_3:
	s_or_b64 exec, exec, s[6:7]
	s_waitcnt vmcnt(0)
	v_readfirstlane_b32 s3, v2
	v_mov_b32_e32 v2, 0
	s_nop 0
	v_add_u32_e32 v1, s3, v1
	ds_write_b32 v2, v1 offset:20544
.LBB160_4:
	s_or_b64 exec, exec, s[4:5]
	v_mov_b32_e32 v3, 0
	s_load_dwordx4 s[28:31], s[0:1], 0x0
	s_load_dword s3, s[0:1], 0x20
	s_waitcnt lgkmcnt(0)
	s_barrier
	ds_read_b32 v1, v3 offset:20544
	s_mov_b64 s[4:5], -1
	s_waitcnt lgkmcnt(0)
	s_barrier
	v_cmp_le_u32_e32 vcc, s26, v1
	v_readfirstlane_b32 s27, v1
	v_mbcnt_lo_u32_b32 v1, -1, 0
	s_cbranch_vccz .LBB160_86
; %bb.5:
	s_lshl_b32 s4, s26, 13
	s_sub_i32 s3, s3, s4
	s_lshl_b32 s4, s27, 13
	s_mov_b32 s5, 0
	s_lshl_b64 s[4:5], s[4:5], 2
	v_mbcnt_hi_u32_b32 v16, -1, v1
	s_add_u32 s4, s28, s4
	v_and_b32_e32 v6, 63, v16
	v_lshlrev_b32_e32 v2, 3, v10
	s_addc_u32 s5, s29, s5
	v_and_b32_e32 v7, 0x1e00, v2
	v_lshlrev_b32_e32 v2, 2, v6
	v_lshl_add_u64 v[4:5], s[4:5], 0, v[2:3]
	v_lshlrev_b32_e32 v2, 2, v7
	v_lshl_add_u64 v[12:13], v[4:5], 0, v[2:3]
	v_or_b32_e32 v11, v6, v7
	v_bfrev_b32_e32 v2, -2
	v_cmp_gt_u32_e32 vcc, s3, v11
	v_mov_b32_e32 v3, v2
	v_mov_b32_e32 v4, v2
	;; [unrolled: 1-line block ×7, first 2 shown]
	s_and_saveexec_b64 s[4:5], vcc
	s_cbranch_execz .LBB160_7
; %bb.6:
	global_load_dword v18, v[12:13], off
	v_mov_b32_e32 v19, v2
	v_mov_b32_e32 v20, v2
	;; [unrolled: 1-line block ×7, first 2 shown]
	s_waitcnt vmcnt(0)
	v_mov_b64_e32 v[2:3], v[18:19]
	v_mov_b64_e32 v[4:5], v[20:21]
	;; [unrolled: 1-line block ×4, first 2 shown]
.LBB160_7:
	s_or_b64 exec, exec, s[4:5]
	v_or_b32_e32 v14, 64, v11
	v_cmp_gt_u32_e32 vcc, s3, v14
	s_and_saveexec_b64 s[4:5], vcc
	s_cbranch_execz .LBB160_9
; %bb.8:
	global_load_dword v3, v[12:13], off offset:256
.LBB160_9:
	s_or_b64 exec, exec, s[4:5]
	v_or_b32_e32 v14, 0x80, v11
	v_cmp_gt_u32_e32 vcc, s3, v14
	s_and_saveexec_b64 s[4:5], vcc
	s_cbranch_execz .LBB160_11
; %bb.10:
	global_load_dword v4, v[12:13], off offset:512
.LBB160_11:
	;; [unrolled: 8-line block ×7, first 2 shown]
	s_or_b64 exec, exec, s[4:5]
	s_load_dword s4, s[0:1], 0x64
	s_load_dword s26, s[0:1], 0x58
	s_add_u32 s5, s0, 0x58
	s_addc_u32 s6, s1, 0
	v_mov_b32_e32 v13, 0
	s_waitcnt lgkmcnt(0)
	s_lshr_b32 s7, s4, 16
	s_cmp_lt_u32 s2, s26
	s_cselect_b32 s4, 12, 18
	s_add_u32 s4, s5, s4
	s_addc_u32 s5, s6, 0
	global_load_ushort v30, v13, s[4:5]
	v_xor_b32_e32 v11, 0x80000000, v2
	v_lshrrev_b32_e32 v15, s24, v11
	s_lshl_b32 s4, -1, s25
	v_bfe_u32 v2, v0, 10, 10
	v_bfe_u32 v12, v0, 20, 10
	v_bitop3_b32 v31, v15, s4, v15 bitop3:0x30
	v_mad_u32_u24 v2, v12, s7, v2
	v_and_b32_e32 v12, 1, v31
	v_lshlrev_b32_e32 v15, 30, v31
	v_mov_b32_e32 v14, v13
	v_mov_b32_e32 v20, v13
	v_lshlrev_b32_e32 v19, 29, v31
	v_lshlrev_b32_e32 v21, 28, v31
	v_lshl_add_u64 v[28:29], v[12:13], 0, -1
	v_cmp_ne_u32_e32 vcc, 0, v12
	v_not_b32_e32 v12, v15
	v_mov_b32_e32 v18, v13
	v_mov_b32_e32 v22, v13
	s_not_b32 s33, s4
	v_lshlrev_b32_e32 v23, 27, v31
	v_cmp_gt_i64_e64 s[4:5], 0, v[14:15]
	v_not_b32_e32 v14, v19
	v_cmp_gt_i64_e64 s[8:9], 0, v[20:21]
	v_not_b32_e32 v15, v21
	v_xor_b32_e32 v21, vcc_hi, v29
	v_ashrrev_i32_e32 v12, 31, v12
	v_mov_b32_e32 v24, v13
	v_lshlrev_b32_e32 v25, 26, v31
	v_cmp_gt_i64_e64 s[6:7], 0, v[18:19]
	v_cmp_gt_i64_e64 s[12:13], 0, v[22:23]
	v_not_b32_e32 v18, v23
	v_xor_b32_e32 v22, vcc_lo, v28
	v_ashrrev_i32_e32 v14, 31, v14
	v_and_b32_e32 v21, exec_hi, v21
	v_xor_b32_e32 v23, s5, v12
	v_cmp_gt_i64_e64 s[14:15], 0, v[24:25]
	v_ashrrev_i32_e32 v15, 31, v15
	v_and_b32_e32 v22, exec_lo, v22
	v_xor_b32_e32 v12, s4, v12
	v_xor_b32_e32 v24, s7, v14
	v_and_b32_e32 v21, v21, v23
	v_mov_b32_e32 v26, v13
	v_lshlrev_b32_e32 v27, 25, v31
	v_not_b32_e32 v19, v25
	v_ashrrev_i32_e32 v18, 31, v18
	v_xor_b32_e32 v14, s6, v14
	v_xor_b32_e32 v25, s9, v15
	v_and_b32_e32 v12, v22, v12
	v_and_b32_e32 v21, v21, v24
	v_cmp_gt_i64_e64 s[16:17], 0, v[26:27]
	v_not_b32_e32 v20, v27
	v_ashrrev_i32_e32 v19, 31, v19
	v_xor_b32_e32 v26, s13, v18
	v_and_b32_e32 v12, v12, v14
	v_and_b32_e32 v14, v21, v25
	v_ashrrev_i32_e32 v20, 31, v20
	v_xor_b32_e32 v15, s8, v15
	v_xor_b32_e32 v27, s15, v19
	v_and_b32_e32 v14, v14, v26
	v_xor_b32_e32 v18, s12, v18
	v_xor_b32_e32 v28, s17, v20
	v_and_b32_e32 v12, v12, v15
	v_and_b32_e32 v14, v14, v27
	;; [unrolled: 1-line block ×4, first 2 shown]
	v_xor_b32_e32 v19, s14, v19
	v_xor_b32_e32 v20, s16, v20
	v_and_b32_e32 v12, v12, v19
	v_and_b32_e32 v12, v12, v20
	s_movk_i32 s34, 0x44
	v_mul_lo_u32 v32, v31, s34
	v_mul_u32_u24_e32 v17, 20, v10
	ds_write2_b32 v17, v13, v13 offset0:16 offset1:17
	ds_write2_b32 v17, v13, v13 offset0:18 offset1:19
	ds_write_b32 v17, v13 offset:80
	s_waitcnt lgkmcnt(0)
	s_barrier
	s_waitcnt vmcnt(0)
	; wave barrier
	v_mad_u64_u32 v[14:15], s[4:5], v2, v30, v[10:11]
	v_lshrrev_b32_e32 v2, 4, v14
	v_lshlrev_b32_e32 v15, 24, v31
	v_and_b32_e32 v30, 0xffffffc, v2
	v_mov_b32_e32 v14, v13
	v_not_b32_e32 v2, v15
	v_cmp_gt_i64_e32 vcc, 0, v[14:15]
	v_ashrrev_i32_e32 v2, 31, v2
	v_add_u32_e32 v22, v30, v32
	v_xor_b32_e32 v14, vcc_hi, v2
	v_xor_b32_e32 v2, vcc_lo, v2
	v_and_b32_e32 v15, v18, v14
	v_and_b32_e32 v14, v12, v2
	v_mbcnt_lo_u32_b32 v2, v14, 0
	v_mbcnt_hi_u32_b32 v18, v15, v2
	v_cmp_eq_u32_e32 vcc, 0, v18
	v_cmp_ne_u64_e64 s[4:5], 0, v[14:15]
	s_and_b64 s[6:7], s[4:5], vcc
	s_and_saveexec_b64 s[4:5], s[6:7]
; %bb.22:
	v_bcnt_u32_b32 v2, v14, 0
	v_bcnt_u32_b32 v2, v15, v2
	ds_write_b32 v22, v2 offset:64
; %bb.23:
	s_or_b64 exec, exec, s[4:5]
	v_xor_b32_e32 v14, 0x80000000, v3
	v_lshrrev_b32_e32 v2, s24, v14
	v_and_b32_e32 v15, s33, v2
	v_mul_lo_u32 v2, v15, s34
	v_and_b32_e32 v12, 1, v15
	v_add_u32_e32 v23, v30, v2
	v_lshl_add_u64 v[2:3], v[12:13], 0, -1
	v_cmp_ne_u32_e32 vcc, 0, v12
	; wave barrier
	s_nop 1
	v_xor_b32_e32 v3, vcc_hi, v3
	v_xor_b32_e32 v2, vcc_lo, v2
	v_and_b32_e32 v12, exec_hi, v3
	v_and_b32_e32 v20, exec_lo, v2
	v_lshlrev_b32_e32 v3, 30, v15
	v_mov_b32_e32 v2, v13
	v_cmp_gt_i64_e32 vcc, 0, v[2:3]
	v_not_b32_e32 v2, v3
	v_ashrrev_i32_e32 v2, 31, v2
	v_xor_b32_e32 v3, vcc_hi, v2
	v_xor_b32_e32 v2, vcc_lo, v2
	v_and_b32_e32 v12, v12, v3
	v_and_b32_e32 v20, v20, v2
	v_lshlrev_b32_e32 v3, 29, v15
	v_mov_b32_e32 v2, v13
	v_cmp_gt_i64_e32 vcc, 0, v[2:3]
	v_not_b32_e32 v2, v3
	v_ashrrev_i32_e32 v2, 31, v2
	v_xor_b32_e32 v3, vcc_hi, v2
	v_xor_b32_e32 v2, vcc_lo, v2
	v_and_b32_e32 v12, v12, v3
	v_and_b32_e32 v20, v20, v2
	;; [unrolled: 9-line block ×6, first 2 shown]
	v_lshlrev_b32_e32 v3, 24, v15
	v_mov_b32_e32 v2, v13
	v_cmp_gt_i64_e32 vcc, 0, v[2:3]
	v_not_b32_e32 v2, v3
	v_ashrrev_i32_e32 v2, 31, v2
	v_xor_b32_e32 v3, vcc_hi, v2
	v_xor_b32_e32 v2, vcc_lo, v2
	ds_read_b32 v19, v23 offset:64
	v_and_b32_e32 v2, v20, v2
	v_and_b32_e32 v3, v12, v3
	v_mbcnt_lo_u32_b32 v12, v2, 0
	v_mbcnt_hi_u32_b32 v20, v3, v12
	v_cmp_eq_u32_e32 vcc, 0, v20
	v_cmp_ne_u64_e64 s[4:5], 0, v[2:3]
	s_and_b64 s[6:7], s[4:5], vcc
	; wave barrier
	s_and_saveexec_b64 s[4:5], s[6:7]
	s_cbranch_execz .LBB160_25
; %bb.24:
	v_bcnt_u32_b32 v2, v2, 0
	v_bcnt_u32_b32 v2, v3, v2
	s_waitcnt lgkmcnt(0)
	v_add_u32_e32 v2, v19, v2
	ds_write_b32 v23, v2 offset:64
.LBB160_25:
	s_or_b64 exec, exec, s[4:5]
	v_xor_b32_e32 v15, 0x80000000, v4
	v_lshrrev_b32_e32 v2, s24, v15
	v_and_b32_e32 v4, s33, v2
	s_movk_i32 s6, 0x44
	v_mul_lo_u32 v2, v4, s6
	v_add_u32_e32 v27, v30, v2
	v_and_b32_e32 v2, 1, v4
	v_mov_b32_e32 v3, 0
	v_lshl_add_u64 v[12:13], v[2:3], 0, -1
	v_cmp_ne_u32_e32 vcc, 0, v2
	; wave barrier
	s_nop 1
	v_xor_b32_e32 v12, vcc_lo, v12
	v_xor_b32_e32 v2, vcc_hi, v13
	v_and_b32_e32 v24, exec_lo, v12
	v_lshlrev_b32_e32 v13, 30, v4
	v_mov_b32_e32 v12, v3
	v_cmp_gt_i64_e32 vcc, 0, v[12:13]
	v_not_b32_e32 v12, v13
	v_ashrrev_i32_e32 v12, 31, v12
	v_and_b32_e32 v2, exec_hi, v2
	v_xor_b32_e32 v13, vcc_hi, v12
	v_xor_b32_e32 v12, vcc_lo, v12
	v_and_b32_e32 v2, v2, v13
	v_and_b32_e32 v24, v24, v12
	v_lshlrev_b32_e32 v13, 29, v4
	v_mov_b32_e32 v12, v3
	v_cmp_gt_i64_e32 vcc, 0, v[12:13]
	v_not_b32_e32 v12, v13
	v_ashrrev_i32_e32 v12, 31, v12
	v_xor_b32_e32 v13, vcc_hi, v12
	v_xor_b32_e32 v12, vcc_lo, v12
	v_and_b32_e32 v2, v2, v13
	v_and_b32_e32 v24, v24, v12
	v_lshlrev_b32_e32 v13, 28, v4
	v_mov_b32_e32 v12, v3
	v_cmp_gt_i64_e32 vcc, 0, v[12:13]
	v_not_b32_e32 v12, v13
	v_ashrrev_i32_e32 v12, 31, v12
	;; [unrolled: 9-line block ×5, first 2 shown]
	v_xor_b32_e32 v13, vcc_hi, v12
	v_xor_b32_e32 v12, vcc_lo, v12
	v_and_b32_e32 v2, v2, v13
	v_lshlrev_b32_e32 v13, 24, v4
	v_and_b32_e32 v24, v24, v12
	v_mov_b32_e32 v12, v3
	v_not_b32_e32 v4, v13
	v_cmp_gt_i64_e32 vcc, 0, v[12:13]
	v_ashrrev_i32_e32 v4, 31, v4
	ds_read_b32 v21, v27 offset:64
	v_xor_b32_e32 v12, vcc_hi, v4
	v_xor_b32_e32 v4, vcc_lo, v4
	v_and_b32_e32 v13, v2, v12
	v_and_b32_e32 v12, v24, v4
	v_mbcnt_lo_u32_b32 v2, v12, 0
	v_mbcnt_hi_u32_b32 v25, v13, v2
	v_cmp_eq_u32_e32 vcc, 0, v25
	v_cmp_ne_u64_e64 s[4:5], 0, v[12:13]
	s_and_b64 s[8:9], s[4:5], vcc
	; wave barrier
	s_and_saveexec_b64 s[4:5], s[8:9]
	s_cbranch_execz .LBB160_27
; %bb.26:
	v_bcnt_u32_b32 v2, v12, 0
	v_bcnt_u32_b32 v2, v13, v2
	s_waitcnt lgkmcnt(0)
	v_add_u32_e32 v2, v21, v2
	ds_write_b32 v27, v2 offset:64
.LBB160_27:
	s_or_b64 exec, exec, s[4:5]
	v_xor_b32_e32 v12, 0x80000000, v5
	v_lshrrev_b32_e32 v2, s24, v12
	v_and_b32_e32 v13, s33, v2
	v_mul_lo_u32 v2, v13, s6
	v_add_u32_e32 v31, v30, v2
	v_and_b32_e32 v2, 1, v13
	v_lshl_add_u64 v[4:5], v[2:3], 0, -1
	v_cmp_ne_u32_e32 vcc, 0, v2
	; wave barrier
	s_nop 1
	v_xor_b32_e32 v4, vcc_lo, v4
	v_xor_b32_e32 v2, vcc_hi, v5
	v_and_b32_e32 v24, exec_lo, v4
	v_lshlrev_b32_e32 v5, 30, v13
	v_mov_b32_e32 v4, v3
	v_cmp_gt_i64_e32 vcc, 0, v[4:5]
	v_not_b32_e32 v4, v5
	v_ashrrev_i32_e32 v4, 31, v4
	v_and_b32_e32 v2, exec_hi, v2
	v_xor_b32_e32 v5, vcc_hi, v4
	v_xor_b32_e32 v4, vcc_lo, v4
	v_and_b32_e32 v2, v2, v5
	v_and_b32_e32 v24, v24, v4
	v_lshlrev_b32_e32 v5, 29, v13
	v_mov_b32_e32 v4, v3
	v_cmp_gt_i64_e32 vcc, 0, v[4:5]
	v_not_b32_e32 v4, v5
	v_ashrrev_i32_e32 v4, 31, v4
	v_xor_b32_e32 v5, vcc_hi, v4
	v_xor_b32_e32 v4, vcc_lo, v4
	v_and_b32_e32 v2, v2, v5
	v_and_b32_e32 v24, v24, v4
	v_lshlrev_b32_e32 v5, 28, v13
	v_mov_b32_e32 v4, v3
	v_cmp_gt_i64_e32 vcc, 0, v[4:5]
	v_not_b32_e32 v4, v5
	v_ashrrev_i32_e32 v4, 31, v4
	;; [unrolled: 9-line block ×5, first 2 shown]
	v_xor_b32_e32 v5, vcc_hi, v4
	v_xor_b32_e32 v4, vcc_lo, v4
	v_and_b32_e32 v2, v2, v5
	v_lshlrev_b32_e32 v5, 24, v13
	v_and_b32_e32 v24, v24, v4
	v_mov_b32_e32 v4, v3
	v_not_b32_e32 v3, v5
	v_cmp_gt_i64_e32 vcc, 0, v[4:5]
	v_ashrrev_i32_e32 v3, 31, v3
	ds_read_b32 v26, v31 offset:64
	v_xor_b32_e32 v4, vcc_hi, v3
	v_xor_b32_e32 v5, vcc_lo, v3
	v_and_b32_e32 v3, v2, v4
	v_and_b32_e32 v2, v24, v5
	v_mbcnt_lo_u32_b32 v4, v2, 0
	v_mbcnt_hi_u32_b32 v28, v3, v4
	v_cmp_eq_u32_e32 vcc, 0, v28
	v_cmp_ne_u64_e64 s[4:5], 0, v[2:3]
	s_and_b64 s[6:7], s[4:5], vcc
	; wave barrier
	s_and_saveexec_b64 s[4:5], s[6:7]
	s_cbranch_execz .LBB160_29
; %bb.28:
	v_bcnt_u32_b32 v2, v2, 0
	v_bcnt_u32_b32 v2, v3, v2
	s_waitcnt lgkmcnt(0)
	v_add_u32_e32 v2, v26, v2
	ds_write_b32 v31, v2 offset:64
.LBB160_29:
	s_or_b64 exec, exec, s[4:5]
	v_xor_b32_e32 v13, 0x80000000, v6
	v_lshrrev_b32_e32 v2, s24, v13
	v_and_b32_e32 v24, s33, v2
	s_movk_i32 s6, 0x44
	v_mul_lo_u32 v2, v24, s6
	v_add_u32_e32 v6, v30, v2
	v_and_b32_e32 v2, 1, v24
	v_mov_b32_e32 v3, 0
	v_lshl_add_u64 v[4:5], v[2:3], 0, -1
	v_cmp_ne_u32_e32 vcc, 0, v2
	; wave barrier
	s_nop 1
	v_xor_b32_e32 v4, vcc_lo, v4
	v_xor_b32_e32 v2, vcc_hi, v5
	v_and_b32_e32 v32, exec_lo, v4
	v_lshlrev_b32_e32 v5, 30, v24
	v_mov_b32_e32 v4, v3
	v_cmp_gt_i64_e32 vcc, 0, v[4:5]
	v_not_b32_e32 v4, v5
	v_ashrrev_i32_e32 v4, 31, v4
	v_and_b32_e32 v2, exec_hi, v2
	v_xor_b32_e32 v5, vcc_hi, v4
	v_xor_b32_e32 v4, vcc_lo, v4
	v_and_b32_e32 v2, v2, v5
	v_and_b32_e32 v32, v32, v4
	v_lshlrev_b32_e32 v5, 29, v24
	v_mov_b32_e32 v4, v3
	v_cmp_gt_i64_e32 vcc, 0, v[4:5]
	v_not_b32_e32 v4, v5
	v_ashrrev_i32_e32 v4, 31, v4
	v_xor_b32_e32 v5, vcc_hi, v4
	v_xor_b32_e32 v4, vcc_lo, v4
	v_and_b32_e32 v2, v2, v5
	v_and_b32_e32 v32, v32, v4
	v_lshlrev_b32_e32 v5, 28, v24
	v_mov_b32_e32 v4, v3
	v_cmp_gt_i64_e32 vcc, 0, v[4:5]
	v_not_b32_e32 v4, v5
	v_ashrrev_i32_e32 v4, 31, v4
	;; [unrolled: 9-line block ×6, first 2 shown]
	v_xor_b32_e32 v5, vcc_hi, v4
	v_xor_b32_e32 v4, vcc_lo, v4
	ds_read_b32 v29, v6 offset:64
	v_and_b32_e32 v4, v32, v4
	v_and_b32_e32 v5, v2, v5
	v_mbcnt_lo_u32_b32 v2, v4, 0
	v_mbcnt_hi_u32_b32 v32, v5, v2
	v_cmp_eq_u32_e32 vcc, 0, v32
	v_cmp_ne_u64_e64 s[4:5], 0, v[4:5]
	s_and_b64 s[8:9], s[4:5], vcc
	; wave barrier
	s_and_saveexec_b64 s[4:5], s[8:9]
	s_cbranch_execz .LBB160_31
; %bb.30:
	v_bcnt_u32_b32 v2, v4, 0
	v_bcnt_u32_b32 v2, v5, v2
	s_waitcnt lgkmcnt(0)
	v_add_u32_e32 v2, v29, v2
	ds_write_b32 v6, v2 offset:64
.LBB160_31:
	s_or_b64 exec, exec, s[4:5]
	v_xor_b32_e32 v24, 0x80000000, v7
	v_lshrrev_b32_e32 v2, s24, v24
	v_and_b32_e32 v34, s33, v2
	v_mul_lo_u32 v2, v34, s6
	v_add_u32_e32 v7, v30, v2
	v_and_b32_e32 v2, 1, v34
	v_lshl_add_u64 v[4:5], v[2:3], 0, -1
	v_cmp_ne_u32_e32 vcc, 0, v2
	; wave barrier
	s_nop 1
	v_xor_b32_e32 v4, vcc_lo, v4
	v_xor_b32_e32 v2, vcc_hi, v5
	v_and_b32_e32 v35, exec_lo, v4
	v_lshlrev_b32_e32 v5, 30, v34
	v_mov_b32_e32 v4, v3
	v_cmp_gt_i64_e32 vcc, 0, v[4:5]
	v_not_b32_e32 v4, v5
	v_ashrrev_i32_e32 v4, 31, v4
	v_and_b32_e32 v2, exec_hi, v2
	v_xor_b32_e32 v5, vcc_hi, v4
	v_xor_b32_e32 v4, vcc_lo, v4
	v_and_b32_e32 v2, v2, v5
	v_and_b32_e32 v35, v35, v4
	v_lshlrev_b32_e32 v5, 29, v34
	v_mov_b32_e32 v4, v3
	v_cmp_gt_i64_e32 vcc, 0, v[4:5]
	v_not_b32_e32 v4, v5
	v_ashrrev_i32_e32 v4, 31, v4
	v_xor_b32_e32 v5, vcc_hi, v4
	v_xor_b32_e32 v4, vcc_lo, v4
	v_and_b32_e32 v2, v2, v5
	v_and_b32_e32 v35, v35, v4
	v_lshlrev_b32_e32 v5, 28, v34
	v_mov_b32_e32 v4, v3
	v_cmp_gt_i64_e32 vcc, 0, v[4:5]
	v_not_b32_e32 v4, v5
	v_ashrrev_i32_e32 v4, 31, v4
	;; [unrolled: 9-line block ×5, first 2 shown]
	v_xor_b32_e32 v5, vcc_hi, v4
	v_xor_b32_e32 v4, vcc_lo, v4
	v_and_b32_e32 v2, v2, v5
	v_lshlrev_b32_e32 v5, 24, v34
	v_and_b32_e32 v35, v35, v4
	v_mov_b32_e32 v4, v3
	v_not_b32_e32 v3, v5
	v_cmp_gt_i64_e32 vcc, 0, v[4:5]
	v_ashrrev_i32_e32 v3, 31, v3
	ds_read_b32 v33, v7 offset:64
	v_xor_b32_e32 v4, vcc_hi, v3
	v_xor_b32_e32 v5, vcc_lo, v3
	v_and_b32_e32 v3, v2, v4
	v_and_b32_e32 v2, v35, v5
	v_mbcnt_lo_u32_b32 v4, v2, 0
	v_mbcnt_hi_u32_b32 v34, v3, v4
	v_cmp_eq_u32_e32 vcc, 0, v34
	v_cmp_ne_u64_e64 s[4:5], 0, v[2:3]
	s_and_b64 s[6:7], s[4:5], vcc
	; wave barrier
	s_and_saveexec_b64 s[4:5], s[6:7]
	s_cbranch_execz .LBB160_33
; %bb.32:
	v_bcnt_u32_b32 v2, v2, 0
	v_bcnt_u32_b32 v2, v3, v2
	s_waitcnt lgkmcnt(0)
	v_add_u32_e32 v2, v33, v2
	ds_write_b32 v7, v2 offset:64
.LBB160_33:
	s_or_b64 exec, exec, s[4:5]
	v_xor_b32_e32 v8, 0x80000000, v8
	v_lshrrev_b32_e32 v2, s24, v8
	v_and_b32_e32 v36, s33, v2
	s_movk_i32 s6, 0x44
	v_mul_lo_u32 v2, v36, s6
	v_add_u32_e32 v37, v30, v2
	v_and_b32_e32 v2, 1, v36
	v_mov_b32_e32 v3, 0
	v_lshl_add_u64 v[4:5], v[2:3], 0, -1
	v_cmp_ne_u32_e32 vcc, 0, v2
	; wave barrier
	s_nop 1
	v_xor_b32_e32 v4, vcc_lo, v4
	v_xor_b32_e32 v2, vcc_hi, v5
	v_and_b32_e32 v38, exec_lo, v4
	v_lshlrev_b32_e32 v5, 30, v36
	v_mov_b32_e32 v4, v3
	v_cmp_gt_i64_e32 vcc, 0, v[4:5]
	v_not_b32_e32 v4, v5
	v_ashrrev_i32_e32 v4, 31, v4
	v_and_b32_e32 v2, exec_hi, v2
	v_xor_b32_e32 v5, vcc_hi, v4
	v_xor_b32_e32 v4, vcc_lo, v4
	v_and_b32_e32 v2, v2, v5
	v_and_b32_e32 v38, v38, v4
	v_lshlrev_b32_e32 v5, 29, v36
	v_mov_b32_e32 v4, v3
	v_cmp_gt_i64_e32 vcc, 0, v[4:5]
	v_not_b32_e32 v4, v5
	v_ashrrev_i32_e32 v4, 31, v4
	v_xor_b32_e32 v5, vcc_hi, v4
	v_xor_b32_e32 v4, vcc_lo, v4
	v_and_b32_e32 v2, v2, v5
	v_and_b32_e32 v38, v38, v4
	v_lshlrev_b32_e32 v5, 28, v36
	v_mov_b32_e32 v4, v3
	v_cmp_gt_i64_e32 vcc, 0, v[4:5]
	v_not_b32_e32 v4, v5
	v_ashrrev_i32_e32 v4, 31, v4
	;; [unrolled: 9-line block ×6, first 2 shown]
	v_xor_b32_e32 v5, vcc_hi, v4
	v_xor_b32_e32 v4, vcc_lo, v4
	ds_read_b32 v35, v37 offset:64
	v_and_b32_e32 v4, v38, v4
	v_and_b32_e32 v5, v2, v5
	v_mbcnt_lo_u32_b32 v2, v4, 0
	v_mbcnt_hi_u32_b32 v36, v5, v2
	v_cmp_eq_u32_e32 vcc, 0, v36
	v_cmp_ne_u64_e64 s[4:5], 0, v[4:5]
	s_and_b64 s[8:9], s[4:5], vcc
	; wave barrier
	s_and_saveexec_b64 s[4:5], s[8:9]
	s_cbranch_execz .LBB160_35
; %bb.34:
	v_bcnt_u32_b32 v2, v4, 0
	v_bcnt_u32_b32 v2, v5, v2
	s_waitcnt lgkmcnt(0)
	v_add_u32_e32 v2, v35, v2
	ds_write_b32 v37, v2 offset:64
.LBB160_35:
	s_or_b64 exec, exec, s[4:5]
	v_xor_b32_e32 v9, 0x80000000, v9
	v_lshrrev_b32_e32 v2, s24, v9
	v_and_b32_e32 v38, s33, v2
	v_mul_lo_u32 v2, v38, s6
	v_add_u32_e32 v39, v30, v2
	v_and_b32_e32 v2, 1, v38
	v_lshl_add_u64 v[4:5], v[2:3], 0, -1
	v_cmp_ne_u32_e32 vcc, 0, v2
	; wave barrier
	s_nop 1
	v_xor_b32_e32 v4, vcc_lo, v4
	v_xor_b32_e32 v2, vcc_hi, v5
	v_and_b32_e32 v40, exec_lo, v4
	v_lshlrev_b32_e32 v5, 30, v38
	v_mov_b32_e32 v4, v3
	v_cmp_gt_i64_e32 vcc, 0, v[4:5]
	v_not_b32_e32 v4, v5
	v_ashrrev_i32_e32 v4, 31, v4
	v_and_b32_e32 v2, exec_hi, v2
	v_xor_b32_e32 v5, vcc_hi, v4
	v_xor_b32_e32 v4, vcc_lo, v4
	v_and_b32_e32 v2, v2, v5
	v_and_b32_e32 v40, v40, v4
	v_lshlrev_b32_e32 v5, 29, v38
	v_mov_b32_e32 v4, v3
	v_cmp_gt_i64_e32 vcc, 0, v[4:5]
	v_not_b32_e32 v4, v5
	v_ashrrev_i32_e32 v4, 31, v4
	v_xor_b32_e32 v5, vcc_hi, v4
	v_xor_b32_e32 v4, vcc_lo, v4
	v_and_b32_e32 v2, v2, v5
	v_and_b32_e32 v40, v40, v4
	v_lshlrev_b32_e32 v5, 28, v38
	v_mov_b32_e32 v4, v3
	v_cmp_gt_i64_e32 vcc, 0, v[4:5]
	v_not_b32_e32 v4, v5
	v_ashrrev_i32_e32 v4, 31, v4
	;; [unrolled: 9-line block ×5, first 2 shown]
	v_xor_b32_e32 v5, vcc_hi, v4
	v_xor_b32_e32 v4, vcc_lo, v4
	v_and_b32_e32 v2, v2, v5
	v_lshlrev_b32_e32 v5, 24, v38
	v_and_b32_e32 v40, v40, v4
	v_mov_b32_e32 v4, v3
	v_not_b32_e32 v3, v5
	v_cmp_gt_i64_e32 vcc, 0, v[4:5]
	v_ashrrev_i32_e32 v3, 31, v3
	ds_read_b32 v30, v39 offset:64
	v_xor_b32_e32 v4, vcc_hi, v3
	v_xor_b32_e32 v5, vcc_lo, v3
	v_and_b32_e32 v3, v2, v4
	v_and_b32_e32 v2, v40, v5
	v_mbcnt_lo_u32_b32 v4, v2, 0
	v_mbcnt_hi_u32_b32 v38, v3, v4
	v_cmp_eq_u32_e32 vcc, 0, v38
	v_cmp_ne_u64_e64 s[4:5], 0, v[2:3]
	s_and_b64 s[6:7], s[4:5], vcc
	; wave barrier
	s_and_saveexec_b64 s[4:5], s[6:7]
	s_cbranch_execz .LBB160_37
; %bb.36:
	v_bcnt_u32_b32 v2, v2, 0
	v_bcnt_u32_b32 v2, v3, v2
	s_waitcnt lgkmcnt(0)
	v_add_u32_e32 v2, v30, v2
	ds_write_b32 v39, v2 offset:64
.LBB160_37:
	s_or_b64 exec, exec, s[4:5]
	; wave barrier
	s_waitcnt lgkmcnt(0)
	s_barrier
	ds_read2_b32 v[4:5], v17 offset0:16 offset1:17
	ds_read2_b32 v[2:3], v17 offset0:18 offset1:19
	ds_read_b32 v40, v17 offset:80
	v_cmp_lt_u32_e64 s[12:13], 31, v16
	s_waitcnt lgkmcnt(1)
	v_add3_u32 v41, v5, v4, v2
	s_waitcnt lgkmcnt(0)
	v_add3_u32 v40, v41, v3, v40
	v_and_b32_e32 v41, 15, v16
	v_cmp_eq_u32_e32 vcc, 0, v41
	v_mov_b32_dpp v42, v40 row_shr:1 row_mask:0xf bank_mask:0xf
	v_cmp_lt_u32_e64 s[4:5], 1, v41
	v_cndmask_b32_e64 v42, v42, 0, vcc
	v_add_u32_e32 v40, v42, v40
	v_cmp_lt_u32_e64 s[6:7], 3, v41
	v_cmp_lt_u32_e64 s[8:9], 7, v41
	v_mov_b32_dpp v42, v40 row_shr:2 row_mask:0xf bank_mask:0xf
	v_cndmask_b32_e64 v42, 0, v42, s[4:5]
	v_add_u32_e32 v40, v40, v42
	s_nop 1
	v_mov_b32_dpp v42, v40 row_shr:4 row_mask:0xf bank_mask:0xf
	v_cndmask_b32_e64 v42, 0, v42, s[6:7]
	v_add_u32_e32 v40, v40, v42
	s_nop 1
	v_mov_b32_dpp v42, v40 row_shr:8 row_mask:0xf bank_mask:0xf
	v_cndmask_b32_e64 v41, 0, v42, s[8:9]
	v_add_u32_e32 v40, v40, v41
	v_bfe_i32 v42, v16, 4, 1
	s_nop 0
	v_mov_b32_dpp v41, v40 row_bcast:15 row_mask:0xf bank_mask:0xf
	v_and_b32_e32 v41, v42, v41
	v_add_u32_e32 v40, v40, v41
	v_and_b32_e32 v42, 63, v10
	s_nop 0
	v_mov_b32_dpp v41, v40 row_bcast:31 row_mask:0xf bank_mask:0xf
	v_cndmask_b32_e64 v41, 0, v41, s[12:13]
	v_add_u32_e32 v40, v40, v41
	v_lshrrev_b32_e32 v41, 6, v10
	v_cmp_eq_u32_e64 s[12:13], 63, v42
	s_and_saveexec_b64 s[14:15], s[12:13]
; %bb.38:
	v_lshlrev_b32_e32 v42, 2, v41
	ds_write_b32 v42, v40
; %bb.39:
	s_or_b64 exec, exec, s[14:15]
	v_cmp_gt_u32_e64 s[12:13], 16, v10
	s_waitcnt lgkmcnt(0)
	s_barrier
	s_and_saveexec_b64 s[14:15], s[12:13]
	s_cbranch_execz .LBB160_41
; %bb.40:
	v_lshlrev_b32_e32 v42, 2, v10
	ds_read_b32 v43, v42
	s_waitcnt lgkmcnt(0)
	s_nop 0
	v_mov_b32_dpp v44, v43 row_shr:1 row_mask:0xf bank_mask:0xf
	v_cndmask_b32_e64 v44, v44, 0, vcc
	v_add_u32_e32 v43, v44, v43
	s_nop 1
	v_mov_b32_dpp v44, v43 row_shr:2 row_mask:0xf bank_mask:0xf
	v_cndmask_b32_e64 v44, 0, v44, s[4:5]
	v_add_u32_e32 v43, v43, v44
	s_nop 1
	v_mov_b32_dpp v44, v43 row_shr:4 row_mask:0xf bank_mask:0xf
	v_cndmask_b32_e64 v44, 0, v44, s[6:7]
	;; [unrolled: 4-line block ×3, first 2 shown]
	v_add_u32_e32 v43, v43, v44
	ds_write_b32 v42, v43
.LBB160_41:
	s_or_b64 exec, exec, s[14:15]
	v_cmp_lt_u32_e32 vcc, 63, v10
	v_mov_b32_e32 v42, 0
	s_waitcnt lgkmcnt(0)
	s_barrier
	s_and_saveexec_b64 s[4:5], vcc
; %bb.42:
	v_lshl_add_u32 v41, v41, 2, -4
	ds_read_b32 v42, v41
; %bb.43:
	s_or_b64 exec, exec, s[4:5]
	v_subrev_co_u32_e32 v41, vcc, 1, v16
	v_and_b32_e32 v43, 64, v16
	v_cmp_lt_i32_e64 s[4:5], v41, v43
	s_waitcnt lgkmcnt(0)
	v_add_u32_e32 v40, v42, v40
	s_movk_i32 s6, 0x100
	v_cndmask_b32_e64 v16, v41, v16, s[4:5]
	v_lshlrev_b32_e32 v16, 2, v16
	ds_bpermute_b32 v16, v16, v40
	s_movk_i32 s4, 0xff
	v_cmp_lt_u32_e64 s[4:5], s4, v10
	s_waitcnt lgkmcnt(0)
	v_cndmask_b32_e32 v16, v16, v42, vcc
	v_cndmask_b32_e64 v16, v16, 0, s[10:11]
	v_add_u32_e32 v4, v16, v4
	v_add_u32_e32 v5, v4, v5
	;; [unrolled: 1-line block ×4, first 2 shown]
	ds_write2_b32 v17, v16, v4 offset0:16 offset1:17
	ds_write2_b32 v17, v5, v2 offset0:18 offset1:19
	ds_write_b32 v17, v3 offset:80
	s_waitcnt lgkmcnt(0)
	s_barrier
	ds_read_b32 v40, v22 offset:64
	ds_read_b32 v23, v23 offset:64
	;; [unrolled: 1-line block ×8, first 2 shown]
	v_cmp_gt_u32_e32 vcc, s6, v10
                                        ; implicit-def: $vgpr16
                                        ; implicit-def: $vgpr17
	s_and_saveexec_b64 s[8:9], vcc
	s_cbranch_execz .LBB160_47
; %bb.44:
	v_mul_u32_u24_e32 v2, 0x44, v10
	ds_read_b32 v16, v2 offset:64
	v_add_u32_e32 v3, 1, v10
	v_cmp_ne_u32_e64 s[6:7], s6, v3
	v_mov_b32_e32 v2, 0x2000
	s_and_saveexec_b64 s[12:13], s[6:7]
; %bb.45:
	v_mul_u32_u24_e32 v2, 0x44, v3
	ds_read_b32 v2, v2 offset:64
; %bb.46:
	s_or_b64 exec, exec, s[12:13]
	s_waitcnt lgkmcnt(0)
	v_sub_u32_e32 v17, v2, v16
.LBB160_47:
	s_or_b64 exec, exec, s[8:9]
	v_mov_b32_e32 v3, 0
	v_lshlrev_b32_e32 v22, 2, v10
	s_waitcnt lgkmcnt(0)
	s_barrier
	s_and_saveexec_b64 s[6:7], vcc
	s_cbranch_execz .LBB160_57
; %bb.48:
	v_lshl_add_u32 v2, s27, 8, v10
	v_lshl_add_u64 v[4:5], v[2:3], 2, s[18:19]
	v_or_b32_e32 v2, 2.0, v17
	s_mov_b64 s[8:9], 0
	s_brev_b32 s16, -4
	s_mov_b32 s17, s27
	v_mov_b32_e32 v43, 0
	global_store_dword v[4:5], v2, off sc1
                                        ; implicit-def: $sgpr12_sgpr13
	s_branch .LBB160_51
.LBB160_49:                             ;   in Loop: Header=BB160_51 Depth=1
	s_or_b64 exec, exec, s[14:15]
.LBB160_50:                             ;   in Loop: Header=BB160_51 Depth=1
	s_or_b64 exec, exec, s[12:13]
	v_and_b32_e32 v6, 0x3fffffff, v2
	v_add_u32_e32 v43, v6, v43
	v_cmp_gt_i32_e64 s[12:13], -2.0, v2
	s_and_b64 s[14:15], exec, s[12:13]
	s_or_b64 s[8:9], s[14:15], s[8:9]
	s_andn2_b64 exec, exec, s[8:9]
	s_cbranch_execz .LBB160_56
.LBB160_51:                             ; =>This Loop Header: Depth=1
                                        ;     Child Loop BB160_54 Depth 2
	s_or_b64 s[12:13], s[12:13], exec
	s_cmp_eq_u32 s17, 0
	s_cbranch_scc1 .LBB160_55
; %bb.52:                               ;   in Loop: Header=BB160_51 Depth=1
	s_add_i32 s17, s17, -1
	v_lshl_or_b32 v2, s17, 8, v10
	v_lshl_add_u64 v[6:7], v[2:3], 2, s[18:19]
	global_load_dword v2, v[6:7], off sc1
	s_waitcnt vmcnt(0)
	v_cmp_gt_u32_e32 vcc, 2.0, v2
	s_and_saveexec_b64 s[12:13], vcc
	s_cbranch_execz .LBB160_50
; %bb.53:                               ;   in Loop: Header=BB160_51 Depth=1
	s_mov_b64 s[14:15], 0
.LBB160_54:                             ;   Parent Loop BB160_51 Depth=1
                                        ; =>  This Inner Loop Header: Depth=2
	global_load_dword v2, v[6:7], off sc1
	s_waitcnt vmcnt(0)
	v_cmp_lt_u32_e32 vcc, s16, v2
	s_or_b64 s[14:15], vcc, s[14:15]
	s_andn2_b64 exec, exec, s[14:15]
	s_cbranch_execnz .LBB160_54
	s_branch .LBB160_49
.LBB160_55:                             ;   in Loop: Header=BB160_51 Depth=1
                                        ; implicit-def: $sgpr17
	s_and_b64 s[14:15], exec, s[12:13]
	s_or_b64 s[8:9], s[14:15], s[8:9]
	s_andn2_b64 exec, exec, s[8:9]
	s_cbranch_execnz .LBB160_51
.LBB160_56:
	s_or_b64 exec, exec, s[8:9]
	v_add_u32_e32 v2, v43, v17
	v_or_b32_e32 v2, 0x80000000, v2
	global_store_dword v[4:5], v2, off sc1
	global_load_dword v2, v22, s[20:21]
	v_sub_u32_e32 v3, v43, v16
	s_waitcnt vmcnt(0)
	v_add_u32_e32 v2, v3, v2
	ds_write_b32 v22, v2
.LBB160_57:
	s_or_b64 exec, exec, s[6:7]
	v_add_u32_e32 v4, v40, v18
	v_add3_u32 v5, v20, v19, v23
	v_add3_u32 v6, v25, v21, v27
	;; [unrolled: 1-line block ×7, first 2 shown]
	v_lshlrev_b32_e32 v23, 2, v21
	v_lshlrev_b32_e32 v25, 2, v20
	;; [unrolled: 1-line block ×8, first 2 shown]
	s_mov_b64 s[6:7], -1
	s_mov_b32 s12, 0
	v_mov_b32_e32 v3, 0
	s_movk_i32 s13, 0x400
	s_movk_i32 s14, 0x800
	;; [unrolled: 1-line block ×3, first 2 shown]
	v_mov_b32_e32 v32, v10
	s_branch .LBB160_59
.LBB160_58:                             ;   in Loop: Header=BB160_59 Depth=1
	s_or_b64 exec, exec, s[8:9]
	s_xor_b64 s[8:9], s[6:7], -1
	s_addk_i32 s12, 0xc000
	v_add_u32_e32 v32, 0x1000, v32
	s_mov_b64 s[6:7], 0
	s_and_b64 vcc, exec, s[8:9]
	s_barrier
	s_cbranch_vccnz .LBB160_83
.LBB160_59:                             ; =>This Inner Loop Header: Depth=1
	v_subrev_co_u32_e32 v4, vcc, 0x1000, v4
	s_and_saveexec_b64 s[8:9], vcc
	s_cbranch_execz .LBB160_67
; %bb.60:                               ;   in Loop: Header=BB160_59 Depth=1
	v_add_u32_e32 v2, s12, v31
	ds_write_b32 v2, v11 offset:1024
	s_or_b64 exec, exec, s[8:9]
	v_subrev_co_u32_e32 v5, vcc, 0x1000, v5
	s_and_saveexec_b64 s[8:9], vcc
	s_cbranch_execnz .LBB160_68
.LBB160_61:                             ;   in Loop: Header=BB160_59 Depth=1
	s_or_b64 exec, exec, s[8:9]
	v_subrev_co_u32_e32 v6, vcc, 0x1000, v6
	s_and_saveexec_b64 s[8:9], vcc
	s_cbranch_execz .LBB160_69
.LBB160_62:                             ;   in Loop: Header=BB160_59 Depth=1
	v_add_u32_e32 v2, s12, v29
	ds_write_b32 v2, v15 offset:1024
	s_or_b64 exec, exec, s[8:9]
	v_subrev_co_u32_e32 v7, vcc, 0x1000, v7
	s_and_saveexec_b64 s[8:9], vcc
	s_cbranch_execnz .LBB160_70
.LBB160_63:                             ;   in Loop: Header=BB160_59 Depth=1
	s_or_b64 exec, exec, s[8:9]
	v_subrev_co_u32_e32 v18, vcc, 0x1000, v18
	s_and_saveexec_b64 s[8:9], vcc
	s_cbranch_execz .LBB160_71
.LBB160_64:                             ;   in Loop: Header=BB160_59 Depth=1
	v_add_u32_e32 v2, s12, v27
	ds_write_b32 v2, v13 offset:1024
	s_or_b64 exec, exec, s[8:9]
	v_subrev_co_u32_e32 v19, vcc, 0x1000, v19
	s_and_saveexec_b64 s[8:9], vcc
	s_cbranch_execnz .LBB160_72
.LBB160_65:                             ;   in Loop: Header=BB160_59 Depth=1
	s_or_b64 exec, exec, s[8:9]
	v_subrev_co_u32_e32 v20, vcc, 0x1000, v20
	s_and_saveexec_b64 s[8:9], vcc
	s_cbranch_execz .LBB160_73
.LBB160_66:                             ;   in Loop: Header=BB160_59 Depth=1
	v_add_u32_e32 v2, s12, v25
	ds_write_b32 v2, v8 offset:1024
	s_or_b64 exec, exec, s[8:9]
	v_subrev_co_u32_e32 v21, vcc, 0x1000, v21
	s_and_saveexec_b64 s[8:9], vcc
	s_cbranch_execnz .LBB160_74
	s_branch .LBB160_75
.LBB160_67:                             ;   in Loop: Header=BB160_59 Depth=1
	s_or_b64 exec, exec, s[8:9]
	v_subrev_co_u32_e32 v5, vcc, 0x1000, v5
	s_and_saveexec_b64 s[8:9], vcc
	s_cbranch_execz .LBB160_61
.LBB160_68:                             ;   in Loop: Header=BB160_59 Depth=1
	v_add_u32_e32 v2, s12, v30
	ds_write_b32 v2, v14 offset:1024
	s_or_b64 exec, exec, s[8:9]
	v_subrev_co_u32_e32 v6, vcc, 0x1000, v6
	s_and_saveexec_b64 s[8:9], vcc
	s_cbranch_execnz .LBB160_62
.LBB160_69:                             ;   in Loop: Header=BB160_59 Depth=1
	s_or_b64 exec, exec, s[8:9]
	v_subrev_co_u32_e32 v7, vcc, 0x1000, v7
	s_and_saveexec_b64 s[8:9], vcc
	s_cbranch_execz .LBB160_63
.LBB160_70:                             ;   in Loop: Header=BB160_59 Depth=1
	v_add_u32_e32 v2, s12, v28
	ds_write_b32 v2, v12 offset:1024
	s_or_b64 exec, exec, s[8:9]
	v_subrev_co_u32_e32 v18, vcc, 0x1000, v18
	s_and_saveexec_b64 s[8:9], vcc
	s_cbranch_execnz .LBB160_64
.LBB160_71:                             ;   in Loop: Header=BB160_59 Depth=1
	s_or_b64 exec, exec, s[8:9]
	v_subrev_co_u32_e32 v19, vcc, 0x1000, v19
	s_and_saveexec_b64 s[8:9], vcc
	s_cbranch_execz .LBB160_65
.LBB160_72:                             ;   in Loop: Header=BB160_59 Depth=1
	v_add_u32_e32 v2, s12, v26
	ds_write_b32 v2, v24 offset:1024
	s_or_b64 exec, exec, s[8:9]
	v_subrev_co_u32_e32 v20, vcc, 0x1000, v20
	s_and_saveexec_b64 s[8:9], vcc
	s_cbranch_execnz .LBB160_66
.LBB160_73:                             ;   in Loop: Header=BB160_59 Depth=1
	s_or_b64 exec, exec, s[8:9]
	v_subrev_co_u32_e32 v21, vcc, 0x1000, v21
	s_and_saveexec_b64 s[8:9], vcc
.LBB160_74:                             ;   in Loop: Header=BB160_59 Depth=1
	v_add_u32_e32 v2, s12, v23
	ds_write_b32 v2, v9 offset:1024
.LBB160_75:                             ;   in Loop: Header=BB160_59 Depth=1
	s_or_b64 exec, exec, s[8:9]
	v_cmp_gt_u32_e32 vcc, s3, v32
	s_waitcnt lgkmcnt(0)
	s_barrier
	s_and_saveexec_b64 s[8:9], vcc
	s_cbranch_execz .LBB160_77
; %bb.76:                               ;   in Loop: Header=BB160_59 Depth=1
	ds_read_b32 v2, v22 offset:1024
	s_waitcnt lgkmcnt(0)
	v_lshrrev_b32_e32 v33, s24, v2
	v_and_b32_e32 v33, s33, v33
	v_lshlrev_b32_e32 v33, 2, v33
	ds_read_b32 v33, v33
	v_xor_b32_e32 v36, 0x80000000, v2
	s_waitcnt lgkmcnt(0)
	v_add_u32_e32 v2, v32, v33
	v_lshl_add_u64 v[34:35], v[2:3], 2, s[30:31]
	global_store_dword v[34:35], v36, off
.LBB160_77:                             ;   in Loop: Header=BB160_59 Depth=1
	s_or_b64 exec, exec, s[8:9]
	v_add_u32_e32 v2, 0x400, v32
	v_cmp_gt_u32_e32 vcc, s3, v2
	s_and_saveexec_b64 s[8:9], vcc
	s_cbranch_execz .LBB160_79
; %bb.78:                               ;   in Loop: Header=BB160_59 Depth=1
	ds_read_b32 v2, v22 offset:5120
	s_waitcnt lgkmcnt(0)
	v_lshrrev_b32_e32 v33, s24, v2
	v_and_b32_e32 v33, s33, v33
	v_lshlrev_b32_e32 v33, 2, v33
	ds_read_b32 v33, v33
	v_xor_b32_e32 v36, 0x80000000, v2
	s_waitcnt lgkmcnt(0)
	v_add3_u32 v2, v32, v33, s13
	v_lshl_add_u64 v[34:35], v[2:3], 2, s[30:31]
	global_store_dword v[34:35], v36, off
.LBB160_79:                             ;   in Loop: Header=BB160_59 Depth=1
	s_or_b64 exec, exec, s[8:9]
	v_add_u32_e32 v2, 0x800, v32
	v_cmp_gt_u32_e32 vcc, s3, v2
	s_and_saveexec_b64 s[8:9], vcc
	s_cbranch_execz .LBB160_81
; %bb.80:                               ;   in Loop: Header=BB160_59 Depth=1
	ds_read_b32 v2, v22 offset:9216
	s_waitcnt lgkmcnt(0)
	v_lshrrev_b32_e32 v33, s24, v2
	v_and_b32_e32 v33, s33, v33
	v_lshlrev_b32_e32 v33, 2, v33
	ds_read_b32 v33, v33
	v_xor_b32_e32 v36, 0x80000000, v2
	s_waitcnt lgkmcnt(0)
	v_add3_u32 v2, v32, v33, s14
	v_lshl_add_u64 v[34:35], v[2:3], 2, s[30:31]
	global_store_dword v[34:35], v36, off
.LBB160_81:                             ;   in Loop: Header=BB160_59 Depth=1
	s_or_b64 exec, exec, s[8:9]
	v_add_u32_e32 v2, 0xc00, v32
	v_cmp_gt_u32_e32 vcc, s3, v2
	s_and_saveexec_b64 s[8:9], vcc
	s_cbranch_execz .LBB160_58
; %bb.82:                               ;   in Loop: Header=BB160_59 Depth=1
	ds_read_b32 v2, v22 offset:13312
	s_waitcnt lgkmcnt(0)
	v_lshrrev_b32_e32 v33, s24, v2
	v_and_b32_e32 v33, s33, v33
	v_lshlrev_b32_e32 v33, 2, v33
	ds_read_b32 v33, v33
	v_xor_b32_e32 v36, 0x80000000, v2
	s_waitcnt lgkmcnt(0)
	v_add3_u32 v2, v32, v33, s15
	v_lshl_add_u64 v[34:35], v[2:3], 2, s[30:31]
	global_store_dword v[34:35], v36, off
	s_branch .LBB160_58
.LBB160_83:
	s_add_i32 s26, s26, -1
	s_cmp_eq_u32 s27, s26
	s_cselect_b64 s[6:7], -1, 0
	s_xor_b64 s[4:5], s[4:5], -1
	s_and_b64 s[6:7], s[4:5], s[6:7]
	s_and_saveexec_b64 s[4:5], s[6:7]
	s_cbranch_execz .LBB160_85
; %bb.84:
	ds_read_b32 v2, v22
	s_waitcnt lgkmcnt(0)
	v_add3_u32 v2, v16, v17, v2
	global_store_dword v22, v2, s[22:23]
.LBB160_85:
	s_or_b64 exec, exec, s[4:5]
	s_mov_b64 s[4:5], 0
.LBB160_86:
	s_and_b64 vcc, exec, s[4:5]
	s_cbranch_vccz .LBB160_143
; %bb.87:
	s_lshl_b32 s4, s27, 13
	s_mov_b32 s5, 0
	s_lshl_b64 s[4:5], s[4:5], 2
	v_mbcnt_hi_u32_b32 v4, -1, v1
	s_add_u32 s4, s28, s4
	v_and_b32_e32 v1, 63, v4
	s_addc_u32 s5, s29, s5
	v_lshlrev_b32_e32 v2, 2, v1
	v_mov_b32_e32 v3, 0
	v_lshlrev_b32_e32 v1, 5, v10
	v_lshl_add_u64 v[6:7], s[4:5], 0, v[2:3]
	v_and_b32_e32 v2, 0x7800, v1
	v_lshl_add_u64 v[16:17], v[6:7], 0, v[2:3]
	global_load_dword v1, v[16:17], off
	s_load_dword s3, s[0:1], 0x64
	s_load_dword s12, s[0:1], 0x58
	s_add_u32 s0, s0, 0x58
	s_addc_u32 s1, s1, 0
	v_mul_u32_u24_e32 v5, 20, v10
	s_waitcnt lgkmcnt(0)
	s_lshr_b32 s3, s3, 16
	s_cmp_lt_u32 s2, s12
	s_cselect_b32 s2, 12, 18
	s_add_u32 s0, s0, s2
	s_addc_u32 s1, s1, 0
	global_load_ushort v9, v3, s[0:1]
	ds_write2_b32 v5, v3, v3 offset0:16 offset1:17
	ds_write2_b32 v5, v3, v3 offset0:18 offset1:19
	ds_write_b32 v5, v3 offset:80
	global_load_dword v7, v[16:17], off offset:256
	global_load_dword v8, v[16:17], off offset:512
	;; [unrolled: 1-line block ×7, first 2 shown]
	v_bfe_u32 v2, v0, 10, 10
	v_bfe_u32 v6, v0, 20, 10
	v_mad_u32_u24 v11, v6, s3, v2
	s_lshl_b32 s0, -1, s25
	v_mov_b32_e32 v0, v3
	s_not_b32 s13, s0
	v_mov_b32_e32 v18, v3
	v_mov_b32_e32 v24, v3
	;; [unrolled: 1-line block ×4, first 2 shown]
	s_movk_i32 s8, 0x44
	s_waitcnt lgkmcnt(0)
	s_barrier
	s_waitcnt vmcnt(8)
	; wave barrier
	v_xor_b32_e32 v6, 0x80000000, v1
	v_lshrrev_b32_e32 v1, s24, v6
	v_bitop3_b32 v13, v1, s0, v1 bitop3:0x30
	v_and_b32_e32 v2, 1, v13
	v_lshlrev_b32_e32 v1, 30, v13
	v_lshlrev_b32_e32 v19, 29, v13
	v_lshl_add_u64 v[32:33], v[2:3], 0, -1
	v_cmp_ne_u32_e32 vcc, 0, v2
	v_lshlrev_b32_e32 v25, 28, v13
	v_cmp_gt_i64_e64 s[2:3], 0, v[18:19]
	s_waitcnt vmcnt(7)
	v_mad_u64_u32 v[16:17], s[0:1], v11, v9, v[10:11]
	v_cmp_gt_i64_e64 s[0:1], 0, v[0:1]
	v_not_b32_e32 v0, v1
	v_not_b32_e32 v1, v19
	v_lshrrev_b32_e32 v11, 4, v16
	v_xor_b32_e32 v16, vcc_hi, v33
	v_xor_b32_e32 v17, vcc_lo, v32
	v_ashrrev_i32_e32 v0, 31, v0
	v_cmp_gt_i64_e64 s[4:5], 0, v[24:25]
	v_not_b32_e32 v2, v25
	v_ashrrev_i32_e32 v1, 31, v1
	v_and_b32_e32 v24, 0xffffffc, v11
	v_and_b32_e32 v11, exec_hi, v16
	v_and_b32_e32 v16, exec_lo, v17
	v_xor_b32_e32 v17, s1, v0
	v_xor_b32_e32 v0, s0, v0
	v_lshlrev_b32_e32 v29, 27, v13
	v_ashrrev_i32_e32 v2, 31, v2
	v_xor_b32_e32 v18, s3, v1
	v_xor_b32_e32 v1, s2, v1
	v_and_b32_e32 v0, v16, v0
	v_lshlrev_b32_e32 v31, 26, v13
	v_not_b32_e32 v9, v29
	v_xor_b32_e32 v19, s5, v2
	v_xor_b32_e32 v2, s4, v2
	v_and_b32_e32 v11, v11, v17
	v_and_b32_e32 v0, v0, v1
	v_cmp_gt_i64_e64 s[6:7], 0, v[28:29]
	v_ashrrev_i32_e32 v9, 31, v9
	v_and_b32_e32 v11, v11, v18
	v_and_b32_e32 v0, v0, v2
	v_not_b32_e32 v2, v31
	v_xor_b32_e32 v21, s7, v9
	v_xor_b32_e32 v9, s6, v9
	v_and_b32_e32 v1, v11, v19
	v_cmp_gt_i64_e32 vcc, 0, v[30:31]
	v_ashrrev_i32_e32 v2, 31, v2
	v_and_b32_e32 v1, v1, v21
	v_and_b32_e32 v0, v0, v9
	v_xor_b32_e32 v9, vcc_hi, v2
	v_xor_b32_e32 v2, vcc_lo, v2
	v_and_b32_e32 v9, v1, v9
	v_and_b32_e32 v2, v0, v2
	v_lshlrev_b32_e32 v1, 25, v13
	v_mov_b32_e32 v0, v3
	v_cmp_gt_i64_e32 vcc, 0, v[0:1]
	v_not_b32_e32 v0, v1
	v_ashrrev_i32_e32 v0, 31, v0
	v_xor_b32_e32 v1, vcc_hi, v0
	v_xor_b32_e32 v0, vcc_lo, v0
	v_and_b32_e32 v9, v9, v1
	v_and_b32_e32 v2, v2, v0
	v_lshlrev_b32_e32 v1, 24, v13
	v_mov_b32_e32 v0, v3
	v_cmp_gt_i64_e32 vcc, 0, v[0:1]
	v_not_b32_e32 v0, v1
	v_ashrrev_i32_e32 v0, 31, v0
	v_xor_b32_e32 v1, vcc_hi, v0
	v_xor_b32_e32 v0, vcc_lo, v0
	v_and_b32_e32 v0, v2, v0
	v_and_b32_e32 v1, v9, v1
	v_mbcnt_lo_u32_b32 v2, v0, 0
	v_mbcnt_hi_u32_b32 v9, v1, v2
	v_mul_lo_u32 v14, v13, s8
	v_cmp_eq_u32_e32 vcc, 0, v9
	v_cmp_ne_u64_e64 s[0:1], 0, v[0:1]
	s_and_b64 s[2:3], s[0:1], vcc
	v_add_u32_e32 v16, v24, v14
	s_and_saveexec_b64 s[0:1], s[2:3]
; %bb.88:
	v_bcnt_u32_b32 v0, v0, 0
	v_bcnt_u32_b32 v0, v1, v0
	ds_write_b32 v16, v0 offset:64
; %bb.89:
	s_or_b64 exec, exec, s[0:1]
	s_waitcnt vmcnt(6)
	v_xor_b32_e32 v7, 0x80000000, v7
	v_lshrrev_b32_e32 v0, s24, v7
	v_and_b32_e32 v13, s13, v0
	v_mul_lo_u32 v0, v13, s8
	v_and_b32_e32 v2, 1, v13
	v_add_u32_e32 v17, v24, v0
	v_lshl_add_u64 v[0:1], v[2:3], 0, -1
	v_cmp_ne_u32_e32 vcc, 0, v2
	; wave barrier
	s_nop 1
	v_xor_b32_e32 v1, vcc_hi, v1
	v_xor_b32_e32 v0, vcc_lo, v0
	v_and_b32_e32 v2, exec_hi, v1
	v_and_b32_e32 v14, exec_lo, v0
	v_lshlrev_b32_e32 v1, 30, v13
	v_mov_b32_e32 v0, v3
	v_cmp_gt_i64_e32 vcc, 0, v[0:1]
	v_not_b32_e32 v0, v1
	v_ashrrev_i32_e32 v0, 31, v0
	v_xor_b32_e32 v1, vcc_hi, v0
	v_xor_b32_e32 v0, vcc_lo, v0
	v_and_b32_e32 v2, v2, v1
	v_and_b32_e32 v14, v14, v0
	v_lshlrev_b32_e32 v1, 29, v13
	v_mov_b32_e32 v0, v3
	v_cmp_gt_i64_e32 vcc, 0, v[0:1]
	v_not_b32_e32 v0, v1
	v_ashrrev_i32_e32 v0, 31, v0
	v_xor_b32_e32 v1, vcc_hi, v0
	v_xor_b32_e32 v0, vcc_lo, v0
	v_and_b32_e32 v2, v2, v1
	v_and_b32_e32 v14, v14, v0
	;; [unrolled: 9-line block ×6, first 2 shown]
	v_lshlrev_b32_e32 v1, 24, v13
	v_mov_b32_e32 v0, v3
	v_cmp_gt_i64_e32 vcc, 0, v[0:1]
	v_not_b32_e32 v0, v1
	v_ashrrev_i32_e32 v0, 31, v0
	v_xor_b32_e32 v1, vcc_hi, v0
	v_xor_b32_e32 v0, vcc_lo, v0
	ds_read_b32 v11, v17 offset:64
	v_and_b32_e32 v0, v14, v0
	v_and_b32_e32 v1, v2, v1
	v_mbcnt_lo_u32_b32 v2, v0, 0
	v_mbcnt_hi_u32_b32 v13, v1, v2
	v_cmp_eq_u32_e32 vcc, 0, v13
	v_cmp_ne_u64_e64 s[0:1], 0, v[0:1]
	s_and_b64 s[2:3], s[0:1], vcc
	; wave barrier
	s_and_saveexec_b64 s[0:1], s[2:3]
	s_cbranch_execz .LBB160_91
; %bb.90:
	v_bcnt_u32_b32 v0, v0, 0
	v_bcnt_u32_b32 v0, v1, v0
	s_waitcnt lgkmcnt(0)
	v_add_u32_e32 v0, v11, v0
	ds_write_b32 v17, v0 offset:64
.LBB160_91:
	s_or_b64 exec, exec, s[0:1]
	s_waitcnt vmcnt(5)
	v_xor_b32_e32 v8, 0x80000000, v8
	v_lshrrev_b32_e32 v0, s24, v8
	v_and_b32_e32 v18, s13, v0
	s_movk_i32 s2, 0x44
	v_mul_lo_u32 v0, v18, s2
	v_add_u32_e32 v21, v24, v0
	v_and_b32_e32 v0, 1, v18
	v_mov_b32_e32 v1, 0
	v_lshl_add_u64 v[2:3], v[0:1], 0, -1
	v_cmp_ne_u32_e32 vcc, 0, v0
	; wave barrier
	s_nop 1
	v_xor_b32_e32 v2, vcc_lo, v2
	v_xor_b32_e32 v0, vcc_hi, v3
	v_and_b32_e32 v19, exec_lo, v2
	v_lshlrev_b32_e32 v3, 30, v18
	v_mov_b32_e32 v2, v1
	v_cmp_gt_i64_e32 vcc, 0, v[2:3]
	v_not_b32_e32 v2, v3
	v_ashrrev_i32_e32 v2, 31, v2
	v_and_b32_e32 v0, exec_hi, v0
	v_xor_b32_e32 v3, vcc_hi, v2
	v_xor_b32_e32 v2, vcc_lo, v2
	v_and_b32_e32 v0, v0, v3
	v_and_b32_e32 v19, v19, v2
	v_lshlrev_b32_e32 v3, 29, v18
	v_mov_b32_e32 v2, v1
	v_cmp_gt_i64_e32 vcc, 0, v[2:3]
	v_not_b32_e32 v2, v3
	v_ashrrev_i32_e32 v2, 31, v2
	v_xor_b32_e32 v3, vcc_hi, v2
	v_xor_b32_e32 v2, vcc_lo, v2
	v_and_b32_e32 v0, v0, v3
	v_and_b32_e32 v19, v19, v2
	v_lshlrev_b32_e32 v3, 28, v18
	v_mov_b32_e32 v2, v1
	v_cmp_gt_i64_e32 vcc, 0, v[2:3]
	v_not_b32_e32 v2, v3
	v_ashrrev_i32_e32 v2, 31, v2
	;; [unrolled: 9-line block ×6, first 2 shown]
	v_xor_b32_e32 v3, vcc_hi, v2
	v_xor_b32_e32 v2, vcc_lo, v2
	ds_read_b32 v14, v21 offset:64
	v_and_b32_e32 v2, v19, v2
	v_and_b32_e32 v3, v0, v3
	v_mbcnt_lo_u32_b32 v0, v2, 0
	v_mbcnt_hi_u32_b32 v18, v3, v0
	v_cmp_eq_u32_e32 vcc, 0, v18
	v_cmp_ne_u64_e64 s[0:1], 0, v[2:3]
	s_and_b64 s[4:5], s[0:1], vcc
	; wave barrier
	s_and_saveexec_b64 s[0:1], s[4:5]
	s_cbranch_execz .LBB160_93
; %bb.92:
	v_bcnt_u32_b32 v0, v2, 0
	v_bcnt_u32_b32 v0, v3, v0
	s_waitcnt lgkmcnt(0)
	v_add_u32_e32 v0, v14, v0
	ds_write_b32 v21, v0 offset:64
.LBB160_93:
	s_or_b64 exec, exec, s[0:1]
	s_waitcnt vmcnt(4)
	v_xor_b32_e32 v12, 0x80000000, v12
	v_lshrrev_b32_e32 v0, s24, v12
	v_and_b32_e32 v23, s13, v0
	v_mul_lo_u32 v0, v23, s2
	v_add_u32_e32 v27, v24, v0
	v_and_b32_e32 v0, 1, v23
	v_lshl_add_u64 v[2:3], v[0:1], 0, -1
	v_cmp_ne_u32_e32 vcc, 0, v0
	; wave barrier
	s_nop 1
	v_xor_b32_e32 v2, vcc_lo, v2
	v_xor_b32_e32 v0, vcc_hi, v3
	v_and_b32_e32 v25, exec_lo, v2
	v_lshlrev_b32_e32 v3, 30, v23
	v_mov_b32_e32 v2, v1
	v_cmp_gt_i64_e32 vcc, 0, v[2:3]
	v_not_b32_e32 v2, v3
	v_ashrrev_i32_e32 v2, 31, v2
	v_and_b32_e32 v0, exec_hi, v0
	v_xor_b32_e32 v3, vcc_hi, v2
	v_xor_b32_e32 v2, vcc_lo, v2
	v_and_b32_e32 v0, v0, v3
	v_and_b32_e32 v25, v25, v2
	v_lshlrev_b32_e32 v3, 29, v23
	v_mov_b32_e32 v2, v1
	v_cmp_gt_i64_e32 vcc, 0, v[2:3]
	v_not_b32_e32 v2, v3
	v_ashrrev_i32_e32 v2, 31, v2
	v_xor_b32_e32 v3, vcc_hi, v2
	v_xor_b32_e32 v2, vcc_lo, v2
	v_and_b32_e32 v0, v0, v3
	v_and_b32_e32 v25, v25, v2
	v_lshlrev_b32_e32 v3, 28, v23
	v_mov_b32_e32 v2, v1
	v_cmp_gt_i64_e32 vcc, 0, v[2:3]
	v_not_b32_e32 v2, v3
	v_ashrrev_i32_e32 v2, 31, v2
	;; [unrolled: 9-line block ×5, first 2 shown]
	v_xor_b32_e32 v3, vcc_hi, v2
	v_xor_b32_e32 v2, vcc_lo, v2
	v_and_b32_e32 v0, v0, v3
	v_lshlrev_b32_e32 v3, 24, v23
	v_and_b32_e32 v25, v25, v2
	v_mov_b32_e32 v2, v1
	v_not_b32_e32 v1, v3
	v_cmp_gt_i64_e32 vcc, 0, v[2:3]
	v_ashrrev_i32_e32 v1, 31, v1
	ds_read_b32 v19, v27 offset:64
	v_xor_b32_e32 v2, vcc_hi, v1
	v_xor_b32_e32 v3, vcc_lo, v1
	v_and_b32_e32 v1, v0, v2
	v_and_b32_e32 v0, v25, v3
	v_mbcnt_lo_u32_b32 v2, v0, 0
	v_mbcnt_hi_u32_b32 v23, v1, v2
	v_cmp_eq_u32_e32 vcc, 0, v23
	v_cmp_ne_u64_e64 s[0:1], 0, v[0:1]
	s_and_b64 s[2:3], s[0:1], vcc
	; wave barrier
	s_and_saveexec_b64 s[0:1], s[2:3]
	s_cbranch_execz .LBB160_95
; %bb.94:
	v_bcnt_u32_b32 v0, v0, 0
	v_bcnt_u32_b32 v0, v1, v0
	s_waitcnt lgkmcnt(0)
	v_add_u32_e32 v0, v19, v0
	ds_write_b32 v27, v0 offset:64
.LBB160_95:
	s_or_b64 exec, exec, s[0:1]
	s_waitcnt vmcnt(3)
	v_xor_b32_e32 v15, 0x80000000, v15
	v_lshrrev_b32_e32 v0, s24, v15
	v_and_b32_e32 v28, s13, v0
	s_movk_i32 s2, 0x44
	v_mul_lo_u32 v0, v28, s2
	v_add_u32_e32 v30, v24, v0
	v_and_b32_e32 v0, 1, v28
	v_mov_b32_e32 v1, 0
	v_lshl_add_u64 v[2:3], v[0:1], 0, -1
	v_cmp_ne_u32_e32 vcc, 0, v0
	; wave barrier
	s_nop 1
	v_xor_b32_e32 v2, vcc_lo, v2
	v_xor_b32_e32 v0, vcc_hi, v3
	v_and_b32_e32 v29, exec_lo, v2
	v_lshlrev_b32_e32 v3, 30, v28
	v_mov_b32_e32 v2, v1
	v_cmp_gt_i64_e32 vcc, 0, v[2:3]
	v_not_b32_e32 v2, v3
	v_ashrrev_i32_e32 v2, 31, v2
	v_and_b32_e32 v0, exec_hi, v0
	v_xor_b32_e32 v3, vcc_hi, v2
	v_xor_b32_e32 v2, vcc_lo, v2
	v_and_b32_e32 v0, v0, v3
	v_and_b32_e32 v29, v29, v2
	v_lshlrev_b32_e32 v3, 29, v28
	v_mov_b32_e32 v2, v1
	v_cmp_gt_i64_e32 vcc, 0, v[2:3]
	v_not_b32_e32 v2, v3
	v_ashrrev_i32_e32 v2, 31, v2
	v_xor_b32_e32 v3, vcc_hi, v2
	v_xor_b32_e32 v2, vcc_lo, v2
	v_and_b32_e32 v0, v0, v3
	v_and_b32_e32 v29, v29, v2
	v_lshlrev_b32_e32 v3, 28, v28
	v_mov_b32_e32 v2, v1
	v_cmp_gt_i64_e32 vcc, 0, v[2:3]
	v_not_b32_e32 v2, v3
	v_ashrrev_i32_e32 v2, 31, v2
	;; [unrolled: 9-line block ×6, first 2 shown]
	v_xor_b32_e32 v3, vcc_hi, v2
	v_xor_b32_e32 v2, vcc_lo, v2
	ds_read_b32 v25, v30 offset:64
	v_and_b32_e32 v2, v29, v2
	v_and_b32_e32 v3, v0, v3
	v_mbcnt_lo_u32_b32 v0, v2, 0
	v_mbcnt_hi_u32_b32 v28, v3, v0
	v_cmp_eq_u32_e32 vcc, 0, v28
	v_cmp_ne_u64_e64 s[0:1], 0, v[2:3]
	s_and_b64 s[4:5], s[0:1], vcc
	; wave barrier
	s_and_saveexec_b64 s[0:1], s[4:5]
	s_cbranch_execz .LBB160_97
; %bb.96:
	v_bcnt_u32_b32 v0, v2, 0
	v_bcnt_u32_b32 v0, v3, v0
	s_waitcnt lgkmcnt(0)
	v_add_u32_e32 v0, v25, v0
	ds_write_b32 v30, v0 offset:64
.LBB160_97:
	s_or_b64 exec, exec, s[0:1]
	s_waitcnt vmcnt(2)
	v_xor_b32_e32 v20, 0x80000000, v20
	v_lshrrev_b32_e32 v0, s24, v20
	v_and_b32_e32 v31, s13, v0
	v_mul_lo_u32 v0, v31, s2
	v_add_u32_e32 v33, v24, v0
	v_and_b32_e32 v0, 1, v31
	v_lshl_add_u64 v[2:3], v[0:1], 0, -1
	v_cmp_ne_u32_e32 vcc, 0, v0
	; wave barrier
	s_nop 1
	v_xor_b32_e32 v2, vcc_lo, v2
	v_xor_b32_e32 v0, vcc_hi, v3
	v_and_b32_e32 v32, exec_lo, v2
	v_lshlrev_b32_e32 v3, 30, v31
	v_mov_b32_e32 v2, v1
	v_cmp_gt_i64_e32 vcc, 0, v[2:3]
	v_not_b32_e32 v2, v3
	v_ashrrev_i32_e32 v2, 31, v2
	v_and_b32_e32 v0, exec_hi, v0
	v_xor_b32_e32 v3, vcc_hi, v2
	v_xor_b32_e32 v2, vcc_lo, v2
	v_and_b32_e32 v0, v0, v3
	v_and_b32_e32 v32, v32, v2
	v_lshlrev_b32_e32 v3, 29, v31
	v_mov_b32_e32 v2, v1
	v_cmp_gt_i64_e32 vcc, 0, v[2:3]
	v_not_b32_e32 v2, v3
	v_ashrrev_i32_e32 v2, 31, v2
	v_xor_b32_e32 v3, vcc_hi, v2
	v_xor_b32_e32 v2, vcc_lo, v2
	v_and_b32_e32 v0, v0, v3
	v_and_b32_e32 v32, v32, v2
	v_lshlrev_b32_e32 v3, 28, v31
	v_mov_b32_e32 v2, v1
	v_cmp_gt_i64_e32 vcc, 0, v[2:3]
	v_not_b32_e32 v2, v3
	v_ashrrev_i32_e32 v2, 31, v2
	;; [unrolled: 9-line block ×5, first 2 shown]
	v_xor_b32_e32 v3, vcc_hi, v2
	v_xor_b32_e32 v2, vcc_lo, v2
	v_and_b32_e32 v0, v0, v3
	v_lshlrev_b32_e32 v3, 24, v31
	v_and_b32_e32 v32, v32, v2
	v_mov_b32_e32 v2, v1
	v_not_b32_e32 v1, v3
	v_cmp_gt_i64_e32 vcc, 0, v[2:3]
	v_ashrrev_i32_e32 v1, 31, v1
	ds_read_b32 v29, v33 offset:64
	v_xor_b32_e32 v2, vcc_hi, v1
	v_xor_b32_e32 v3, vcc_lo, v1
	v_and_b32_e32 v1, v0, v2
	v_and_b32_e32 v0, v32, v3
	v_mbcnt_lo_u32_b32 v2, v0, 0
	v_mbcnt_hi_u32_b32 v31, v1, v2
	v_cmp_eq_u32_e32 vcc, 0, v31
	v_cmp_ne_u64_e64 s[0:1], 0, v[0:1]
	s_and_b64 s[2:3], s[0:1], vcc
	; wave barrier
	s_and_saveexec_b64 s[0:1], s[2:3]
	s_cbranch_execz .LBB160_99
; %bb.98:
	v_bcnt_u32_b32 v0, v0, 0
	v_bcnt_u32_b32 v0, v1, v0
	s_waitcnt lgkmcnt(0)
	v_add_u32_e32 v0, v29, v0
	ds_write_b32 v33, v0 offset:64
.LBB160_99:
	s_or_b64 exec, exec, s[0:1]
	s_waitcnt vmcnt(1)
	v_xor_b32_e32 v26, 0x80000000, v26
	v_lshrrev_b32_e32 v0, s24, v26
	v_and_b32_e32 v34, s13, v0
	s_movk_i32 s2, 0x44
	v_mul_lo_u32 v0, v34, s2
	v_add_u32_e32 v36, v24, v0
	v_and_b32_e32 v0, 1, v34
	v_mov_b32_e32 v1, 0
	v_lshl_add_u64 v[2:3], v[0:1], 0, -1
	v_cmp_ne_u32_e32 vcc, 0, v0
	; wave barrier
	s_nop 1
	v_xor_b32_e32 v2, vcc_lo, v2
	v_xor_b32_e32 v0, vcc_hi, v3
	v_and_b32_e32 v35, exec_lo, v2
	v_lshlrev_b32_e32 v3, 30, v34
	v_mov_b32_e32 v2, v1
	v_cmp_gt_i64_e32 vcc, 0, v[2:3]
	v_not_b32_e32 v2, v3
	v_ashrrev_i32_e32 v2, 31, v2
	v_and_b32_e32 v0, exec_hi, v0
	v_xor_b32_e32 v3, vcc_hi, v2
	v_xor_b32_e32 v2, vcc_lo, v2
	v_and_b32_e32 v0, v0, v3
	v_and_b32_e32 v35, v35, v2
	v_lshlrev_b32_e32 v3, 29, v34
	v_mov_b32_e32 v2, v1
	v_cmp_gt_i64_e32 vcc, 0, v[2:3]
	v_not_b32_e32 v2, v3
	v_ashrrev_i32_e32 v2, 31, v2
	v_xor_b32_e32 v3, vcc_hi, v2
	v_xor_b32_e32 v2, vcc_lo, v2
	v_and_b32_e32 v0, v0, v3
	v_and_b32_e32 v35, v35, v2
	v_lshlrev_b32_e32 v3, 28, v34
	v_mov_b32_e32 v2, v1
	v_cmp_gt_i64_e32 vcc, 0, v[2:3]
	v_not_b32_e32 v2, v3
	v_ashrrev_i32_e32 v2, 31, v2
	v_xor_b32_e32 v3, vcc_hi, v2
	v_xor_b32_e32 v2, vcc_lo, v2
	v_and_b32_e32 v0, v0, v3
	v_and_b32_e32 v35, v35, v2
	v_lshlrev_b32_e32 v3, 27, v34
	v_mov_b32_e32 v2, v1
	v_cmp_gt_i64_e32 vcc, 0, v[2:3]
	v_not_b32_e32 v2, v3
	v_ashrrev_i32_e32 v2, 31, v2
	v_xor_b32_e32 v3, vcc_hi, v2
	v_xor_b32_e32 v2, vcc_lo, v2
	v_and_b32_e32 v0, v0, v3
	v_and_b32_e32 v35, v35, v2
	v_lshlrev_b32_e32 v3, 26, v34
	v_mov_b32_e32 v2, v1
	v_cmp_gt_i64_e32 vcc, 0, v[2:3]
	v_not_b32_e32 v2, v3
	v_ashrrev_i32_e32 v2, 31, v2
	v_xor_b32_e32 v3, vcc_hi, v2
	v_xor_b32_e32 v2, vcc_lo, v2
	v_and_b32_e32 v0, v0, v3
	v_and_b32_e32 v35, v35, v2
	v_lshlrev_b32_e32 v3, 25, v34
	v_mov_b32_e32 v2, v1
	v_cmp_gt_i64_e32 vcc, 0, v[2:3]
	v_not_b32_e32 v2, v3
	v_ashrrev_i32_e32 v2, 31, v2
	v_xor_b32_e32 v3, vcc_hi, v2
	v_xor_b32_e32 v2, vcc_lo, v2
	v_and_b32_e32 v0, v0, v3
	v_and_b32_e32 v35, v35, v2
	v_lshlrev_b32_e32 v3, 24, v34
	v_mov_b32_e32 v2, v1
	v_cmp_gt_i64_e32 vcc, 0, v[2:3]
	v_not_b32_e32 v2, v3
	v_ashrrev_i32_e32 v2, 31, v2
	v_xor_b32_e32 v3, vcc_hi, v2
	v_xor_b32_e32 v2, vcc_lo, v2
	ds_read_b32 v32, v36 offset:64
	v_and_b32_e32 v2, v35, v2
	v_and_b32_e32 v3, v0, v3
	v_mbcnt_lo_u32_b32 v0, v2, 0
	v_mbcnt_hi_u32_b32 v34, v3, v0
	v_cmp_eq_u32_e32 vcc, 0, v34
	v_cmp_ne_u64_e64 s[0:1], 0, v[2:3]
	s_and_b64 s[4:5], s[0:1], vcc
	; wave barrier
	s_and_saveexec_b64 s[0:1], s[4:5]
	s_cbranch_execz .LBB160_101
; %bb.100:
	v_bcnt_u32_b32 v0, v2, 0
	v_bcnt_u32_b32 v0, v3, v0
	s_waitcnt lgkmcnt(0)
	v_add_u32_e32 v0, v32, v0
	ds_write_b32 v36, v0 offset:64
.LBB160_101:
	s_or_b64 exec, exec, s[0:1]
	s_waitcnt vmcnt(0)
	v_xor_b32_e32 v22, 0x80000000, v22
	v_lshrrev_b32_e32 v0, s24, v22
	v_and_b32_e32 v37, s13, v0
	v_mul_lo_u32 v0, v37, s2
	v_add_u32_e32 v38, v24, v0
	v_and_b32_e32 v0, 1, v37
	v_lshl_add_u64 v[2:3], v[0:1], 0, -1
	v_cmp_ne_u32_e32 vcc, 0, v0
	; wave barrier
	s_nop 1
	v_xor_b32_e32 v2, vcc_lo, v2
	v_xor_b32_e32 v0, vcc_hi, v3
	v_and_b32_e32 v24, exec_lo, v2
	v_lshlrev_b32_e32 v3, 30, v37
	v_mov_b32_e32 v2, v1
	v_cmp_gt_i64_e32 vcc, 0, v[2:3]
	v_not_b32_e32 v2, v3
	v_ashrrev_i32_e32 v2, 31, v2
	v_and_b32_e32 v0, exec_hi, v0
	v_xor_b32_e32 v3, vcc_hi, v2
	v_xor_b32_e32 v2, vcc_lo, v2
	v_and_b32_e32 v0, v0, v3
	v_and_b32_e32 v24, v24, v2
	v_lshlrev_b32_e32 v3, 29, v37
	v_mov_b32_e32 v2, v1
	v_cmp_gt_i64_e32 vcc, 0, v[2:3]
	v_not_b32_e32 v2, v3
	v_ashrrev_i32_e32 v2, 31, v2
	v_xor_b32_e32 v3, vcc_hi, v2
	v_xor_b32_e32 v2, vcc_lo, v2
	v_and_b32_e32 v0, v0, v3
	v_and_b32_e32 v24, v24, v2
	v_lshlrev_b32_e32 v3, 28, v37
	v_mov_b32_e32 v2, v1
	v_cmp_gt_i64_e32 vcc, 0, v[2:3]
	v_not_b32_e32 v2, v3
	v_ashrrev_i32_e32 v2, 31, v2
	;; [unrolled: 9-line block ×5, first 2 shown]
	v_xor_b32_e32 v3, vcc_hi, v2
	v_xor_b32_e32 v2, vcc_lo, v2
	v_and_b32_e32 v0, v0, v3
	v_lshlrev_b32_e32 v3, 24, v37
	v_and_b32_e32 v24, v24, v2
	v_mov_b32_e32 v2, v1
	v_not_b32_e32 v1, v3
	v_cmp_gt_i64_e32 vcc, 0, v[2:3]
	v_ashrrev_i32_e32 v1, 31, v1
	ds_read_b32 v35, v38 offset:64
	v_xor_b32_e32 v2, vcc_hi, v1
	v_xor_b32_e32 v3, vcc_lo, v1
	v_and_b32_e32 v1, v0, v2
	v_and_b32_e32 v0, v24, v3
	v_mbcnt_lo_u32_b32 v2, v0, 0
	v_mbcnt_hi_u32_b32 v37, v1, v2
	v_cmp_eq_u32_e32 vcc, 0, v37
	v_cmp_ne_u64_e64 s[0:1], 0, v[0:1]
	s_and_b64 s[2:3], s[0:1], vcc
	; wave barrier
	s_and_saveexec_b64 s[0:1], s[2:3]
	s_cbranch_execz .LBB160_103
; %bb.102:
	v_bcnt_u32_b32 v0, v0, 0
	v_bcnt_u32_b32 v0, v1, v0
	s_waitcnt lgkmcnt(0)
	v_add_u32_e32 v0, v35, v0
	ds_write_b32 v38, v0 offset:64
.LBB160_103:
	s_or_b64 exec, exec, s[0:1]
	; wave barrier
	s_waitcnt lgkmcnt(0)
	s_barrier
	ds_read2_b32 v[2:3], v5 offset0:16 offset1:17
	ds_read2_b32 v[0:1], v5 offset0:18 offset1:19
	ds_read_b32 v24, v5 offset:80
	v_cmp_lt_u32_e64 s[2:3], 31, v4
	s_waitcnt lgkmcnt(1)
	v_add3_u32 v39, v3, v2, v0
	s_waitcnt lgkmcnt(0)
	v_add3_u32 v24, v39, v1, v24
	v_and_b32_e32 v39, 15, v4
	v_cmp_eq_u32_e32 vcc, 0, v39
	v_mov_b32_dpp v40, v24 row_shr:1 row_mask:0xf bank_mask:0xf
	v_cmp_lt_u32_e64 s[0:1], 1, v39
	v_cndmask_b32_e64 v40, v40, 0, vcc
	v_add_u32_e32 v24, v40, v24
	v_cmp_lt_u32_e64 s[4:5], 3, v39
	v_cmp_lt_u32_e64 s[6:7], 7, v39
	v_mov_b32_dpp v40, v24 row_shr:2 row_mask:0xf bank_mask:0xf
	v_cndmask_b32_e64 v40, 0, v40, s[0:1]
	v_add_u32_e32 v24, v24, v40
	s_nop 1
	v_mov_b32_dpp v40, v24 row_shr:4 row_mask:0xf bank_mask:0xf
	v_cndmask_b32_e64 v40, 0, v40, s[4:5]
	v_add_u32_e32 v24, v24, v40
	s_nop 1
	v_mov_b32_dpp v40, v24 row_shr:8 row_mask:0xf bank_mask:0xf
	v_cndmask_b32_e64 v39, 0, v40, s[6:7]
	v_add_u32_e32 v24, v24, v39
	v_bfe_i32 v40, v4, 4, 1
	s_nop 0
	v_mov_b32_dpp v39, v24 row_bcast:15 row_mask:0xf bank_mask:0xf
	v_and_b32_e32 v39, v40, v39
	v_add_u32_e32 v24, v24, v39
	v_lshrrev_b32_e32 v40, 6, v10
	s_nop 0
	v_mov_b32_dpp v39, v24 row_bcast:31 row_mask:0xf bank_mask:0xf
	v_cndmask_b32_e64 v39, 0, v39, s[2:3]
	v_add_u32_e32 v39, v24, v39
	v_and_b32_e32 v24, 63, v10
	v_cmp_eq_u32_e64 s[2:3], 63, v24
	s_and_saveexec_b64 s[8:9], s[2:3]
; %bb.104:
	v_lshlrev_b32_e32 v24, 2, v40
	ds_write_b32 v24, v39
; %bb.105:
	s_or_b64 exec, exec, s[8:9]
	v_cmp_gt_u32_e64 s[2:3], 16, v10
	v_lshlrev_b32_e32 v24, 2, v10
	s_waitcnt lgkmcnt(0)
	s_barrier
	s_and_saveexec_b64 s[8:9], s[2:3]
	s_cbranch_execz .LBB160_107
; %bb.106:
	ds_read_b32 v41, v24
	s_waitcnt lgkmcnt(0)
	s_nop 0
	v_mov_b32_dpp v42, v41 row_shr:1 row_mask:0xf bank_mask:0xf
	v_cndmask_b32_e64 v42, v42, 0, vcc
	v_add_u32_e32 v41, v42, v41
	s_nop 1
	v_mov_b32_dpp v42, v41 row_shr:2 row_mask:0xf bank_mask:0xf
	v_cndmask_b32_e64 v42, 0, v42, s[0:1]
	v_add_u32_e32 v41, v41, v42
	s_nop 1
	v_mov_b32_dpp v42, v41 row_shr:4 row_mask:0xf bank_mask:0xf
	v_cndmask_b32_e64 v42, 0, v42, s[4:5]
	;; [unrolled: 4-line block ×3, first 2 shown]
	v_add_u32_e32 v41, v41, v42
	ds_write_b32 v24, v41
.LBB160_107:
	s_or_b64 exec, exec, s[8:9]
	v_cmp_lt_u32_e32 vcc, 63, v10
	v_mov_b32_e32 v41, 0
	s_waitcnt lgkmcnt(0)
	s_barrier
	s_and_saveexec_b64 s[0:1], vcc
; %bb.108:
	v_lshl_add_u32 v40, v40, 2, -4
	ds_read_b32 v41, v40
; %bb.109:
	s_or_b64 exec, exec, s[0:1]
	v_subrev_co_u32_e32 v40, vcc, 1, v4
	v_and_b32_e32 v42, 64, v4
	v_cmp_lt_i32_e64 s[0:1], v40, v42
	s_waitcnt lgkmcnt(0)
	v_add_u32_e32 v39, v41, v39
	s_movk_i32 s2, 0x100
	v_cndmask_b32_e64 v4, v40, v4, s[0:1]
	v_lshlrev_b32_e32 v4, 2, v4
	ds_bpermute_b32 v4, v4, v39
	s_movk_i32 s0, 0xff
	v_cmp_lt_u32_e64 s[0:1], s0, v10
	s_waitcnt lgkmcnt(0)
	v_cndmask_b32_e32 v4, v4, v41, vcc
	v_cndmask_b32_e64 v4, v4, 0, s[10:11]
	v_add_u32_e32 v2, v4, v2
	v_add_u32_e32 v3, v2, v3
	;; [unrolled: 1-line block ×4, first 2 shown]
	ds_write2_b32 v5, v4, v2 offset0:16 offset1:17
	ds_write2_b32 v5, v3, v0 offset0:18 offset1:19
	ds_write_b32 v5, v1 offset:80
	s_waitcnt lgkmcnt(0)
	s_barrier
	ds_read_b32 v42, v16 offset:64
	ds_read_b32 v39, v17 offset:64
	;; [unrolled: 1-line block ×8, first 2 shown]
	v_cmp_gt_u32_e32 vcc, s2, v10
                                        ; implicit-def: $vgpr16
                                        ; implicit-def: $vgpr17
	s_and_saveexec_b64 s[4:5], vcc
	s_cbranch_execz .LBB160_113
; %bb.110:
	v_mul_u32_u24_e32 v0, 0x44, v10
	ds_read_b32 v16, v0 offset:64
	v_add_u32_e32 v1, 1, v10
	v_cmp_ne_u32_e64 s[2:3], s2, v1
	v_mov_b32_e32 v0, 0x2000
	s_and_saveexec_b64 s[6:7], s[2:3]
; %bb.111:
	v_mul_u32_u24_e32 v0, 0x44, v1
	ds_read_b32 v0, v0 offset:64
; %bb.112:
	s_or_b64 exec, exec, s[6:7]
	s_waitcnt lgkmcnt(0)
	v_sub_u32_e32 v17, v0, v16
.LBB160_113:
	s_or_b64 exec, exec, s[4:5]
	v_mov_b32_e32 v1, 0
	s_waitcnt lgkmcnt(0)
	s_barrier
	s_and_saveexec_b64 s[2:3], vcc
	s_cbranch_execz .LBB160_123
; %bb.114:
	v_lshl_add_u32 v0, s27, 8, v10
	v_lshl_add_u64 v[2:3], v[0:1], 2, s[18:19]
	v_or_b32_e32 v0, 2.0, v17
	s_mov_b64 s[4:5], 0
	s_brev_b32 s10, -4
	s_mov_b32 s11, s27
	v_mov_b32_e32 v36, 0
	global_store_dword v[2:3], v0, off sc1
                                        ; implicit-def: $sgpr6_sgpr7
	s_branch .LBB160_117
.LBB160_115:                            ;   in Loop: Header=BB160_117 Depth=1
	s_or_b64 exec, exec, s[8:9]
.LBB160_116:                            ;   in Loop: Header=BB160_117 Depth=1
	s_or_b64 exec, exec, s[6:7]
	v_and_b32_e32 v4, 0x3fffffff, v0
	v_add_u32_e32 v36, v4, v36
	v_cmp_gt_i32_e64 s[6:7], -2.0, v0
	s_and_b64 s[8:9], exec, s[6:7]
	s_or_b64 s[4:5], s[8:9], s[4:5]
	s_andn2_b64 exec, exec, s[4:5]
	s_cbranch_execz .LBB160_122
.LBB160_117:                            ; =>This Loop Header: Depth=1
                                        ;     Child Loop BB160_120 Depth 2
	s_or_b64 s[6:7], s[6:7], exec
	s_cmp_eq_u32 s11, 0
	s_cbranch_scc1 .LBB160_121
; %bb.118:                              ;   in Loop: Header=BB160_117 Depth=1
	s_add_i32 s11, s11, -1
	v_lshl_or_b32 v0, s11, 8, v10
	v_lshl_add_u64 v[4:5], v[0:1], 2, s[18:19]
	global_load_dword v0, v[4:5], off sc1
	s_waitcnt vmcnt(0)
	v_cmp_gt_u32_e32 vcc, 2.0, v0
	s_and_saveexec_b64 s[6:7], vcc
	s_cbranch_execz .LBB160_116
; %bb.119:                              ;   in Loop: Header=BB160_117 Depth=1
	s_mov_b64 s[8:9], 0
.LBB160_120:                            ;   Parent Loop BB160_117 Depth=1
                                        ; =>  This Inner Loop Header: Depth=2
	global_load_dword v0, v[4:5], off sc1
	s_waitcnt vmcnt(0)
	v_cmp_lt_u32_e32 vcc, s10, v0
	s_or_b64 s[8:9], vcc, s[8:9]
	s_andn2_b64 exec, exec, s[8:9]
	s_cbranch_execnz .LBB160_120
	s_branch .LBB160_115
.LBB160_121:                            ;   in Loop: Header=BB160_117 Depth=1
                                        ; implicit-def: $sgpr11
	s_and_b64 s[8:9], exec, s[6:7]
	s_or_b64 s[4:5], s[8:9], s[4:5]
	s_andn2_b64 exec, exec, s[4:5]
	s_cbranch_execnz .LBB160_117
.LBB160_122:
	s_or_b64 exec, exec, s[4:5]
	v_add_u32_e32 v0, v36, v17
	v_or_b32_e32 v0, 0x80000000, v0
	global_store_dword v[2:3], v0, off sc1
	global_load_dword v0, v24, s[20:21]
	v_sub_u32_e32 v1, v36, v16
	s_waitcnt vmcnt(0)
	v_add_u32_e32 v0, v1, v0
	ds_write_b32 v24, v0
.LBB160_123:
	s_or_b64 exec, exec, s[2:3]
	v_add_u32_e32 v0, v37, v35
	v_add_u32_e32 v1, v34, v32
	;; [unrolled: 1-line block ×8, first 2 shown]
	v_add_lshl_u32 v3, v0, v33, 2
	v_add3_u32 v4, v37, v33, v35
	v_add_lshl_u32 v5, v1, v21, 2
	v_add3_u32 v9, v34, v21, v32
	v_add_lshl_u32 v21, v36, v27, 2
	v_add3_u32 v27, v31, v27, v29
	v_add_lshl_u32 v29, v38, v30, 2
	v_add3_u32 v25, v28, v30, v25
	v_add_lshl_u32 v28, v43, v41, 2
	v_add3_u32 v19, v23, v41, v19
	v_add_lshl_u32 v23, v44, v40, 2
	v_add3_u32 v14, v18, v40, v14
	v_add_lshl_u32 v18, v45, v39, 2
	v_add3_u32 v11, v13, v39, v11
	v_lshlrev_b32_e32 v13, 2, v2
	s_mov_b64 s[2:3], -1
	s_mov_b32 s6, 0
	s_movk_i32 s7, 0x1000
	v_mov_b32_e32 v1, 0
	s_movk_i32 s8, 0x400
	s_movk_i32 s9, 0x800
	;; [unrolled: 1-line block ×3, first 2 shown]
	s_mov_b32 s11, 0
	s_branch .LBB160_125
.LBB160_124:                            ;   in Loop: Header=BB160_125 Depth=1
	s_or_b64 exec, exec, s[4:5]
	s_waitcnt lgkmcnt(0)
	s_barrier
	ds_read2st64_b32 v[30:31], v24 offset0:4 offset1:20
	s_xor_b64 s[4:5], s[2:3], -1
	s_addk_i32 s11, 0xc000
	s_addk_i32 s6, 0xf000
	s_mov_b64 s[2:3], 0
	s_waitcnt lgkmcnt(0)
	v_lshrrev_b32_e32 v0, s24, v30
	v_and_b32_e32 v0, s13, v0
	v_lshlrev_b32_e32 v0, 2, v0
	ds_read2st64_b32 v[32:33], v24 offset0:36 offset1:52
	ds_read_b32 v0, v0
	v_lshrrev_b32_e32 v34, s24, v31
	v_and_b32_e32 v34, s13, v34
	v_lshlrev_b32_e32 v34, 2, v34
	s_waitcnt lgkmcnt(1)
	v_lshrrev_b32_e32 v36, s24, v33
	v_lshrrev_b32_e32 v35, s24, v32
	v_and_b32_e32 v36, s13, v36
	v_and_b32_e32 v35, s13, v35
	v_lshlrev_b32_e32 v36, 2, v36
	v_lshlrev_b32_e32 v35, 2, v35
	ds_read_b32 v37, v34
	ds_read_b32 v38, v35
	;; [unrolled: 1-line block ×3, first 2 shown]
	s_waitcnt lgkmcnt(3)
	v_add_u32_e32 v0, v10, v0
	v_xor_b32_e32 v30, 0x80000000, v30
	v_lshl_add_u64 v[34:35], v[0:1], 2, s[30:31]
	s_waitcnt lgkmcnt(2)
	v_add3_u32 v0, v10, v37, s8
	global_store_dword v[34:35], v30, off
	v_xor_b32_e32 v34, 0x80000000, v31
	v_lshl_add_u64 v[30:31], v[0:1], 2, s[30:31]
	s_waitcnt lgkmcnt(1)
	v_add3_u32 v0, v10, v38, s9
	global_store_dword v[30:31], v34, off
	;; [unrolled: 5-line block ×3, first 2 shown]
	v_xor_b32_e32 v32, 0x80000000, v33
	v_lshl_add_u64 v[30:31], v[0:1], 2, s[30:31]
	v_add_u32_e32 v10, 0x1000, v10
	s_and_b64 vcc, exec, s[4:5]
	global_store_dword v[30:31], v32, off
	s_barrier
	s_cbranch_vccnz .LBB160_141
.LBB160_125:                            ; =>This Inner Loop Header: Depth=1
	v_add_u32_e32 v0, s6, v2
	v_cmp_gt_u32_e32 vcc, s7, v0
	s_and_saveexec_b64 s[4:5], vcc
; %bb.126:                              ;   in Loop: Header=BB160_125 Depth=1
	v_add_u32_e32 v0, s11, v13
	ds_write_b32 v0, v6 offset:1024
; %bb.127:                              ;   in Loop: Header=BB160_125 Depth=1
	s_or_b64 exec, exec, s[4:5]
	v_add_u32_e32 v0, s6, v11
	v_cmp_gt_u32_e32 vcc, s7, v0
	s_and_saveexec_b64 s[4:5], vcc
; %bb.128:                              ;   in Loop: Header=BB160_125 Depth=1
	v_add_u32_e32 v0, s11, v18
	ds_write_b32 v0, v7 offset:1024
; %bb.129:                              ;   in Loop: Header=BB160_125 Depth=1
	s_or_b64 exec, exec, s[4:5]
	;; [unrolled: 8-line block ×7, first 2 shown]
	v_add_u32_e32 v0, s6, v4
	v_cmp_gt_u32_e32 vcc, s7, v0
	s_and_saveexec_b64 s[4:5], vcc
	s_cbranch_execz .LBB160_124
; %bb.140:                              ;   in Loop: Header=BB160_125 Depth=1
	v_add_u32_e32 v0, s11, v3
	ds_write_b32 v0, v22 offset:1024
	s_branch .LBB160_124
.LBB160_141:
	s_add_i32 s12, s12, -1
	s_cmp_eq_u32 s27, s12
	s_cselect_b64 s[2:3], -1, 0
	s_xor_b64 s[0:1], s[0:1], -1
	s_and_b64 s[0:1], s[0:1], s[2:3]
	s_and_saveexec_b64 s[2:3], s[0:1]
	s_cbranch_execz .LBB160_143
; %bb.142:
	ds_read_b32 v0, v24
	s_waitcnt lgkmcnt(0)
	v_add3_u32 v0, v16, v17, v0
	global_store_dword v24, v0, s[22:23]
.LBB160_143:
	s_endpgm
	.section	.rodata,"a",@progbits
	.p2align	6, 0x0
	.amdhsa_kernel _ZN7rocprim17ROCPRIM_400000_NS6detail17trampoline_kernelINS0_14default_configENS1_35radix_sort_onesweep_config_selectorIiNS0_10empty_typeEEEZZNS1_29radix_sort_onesweep_iterationIS3_Lb0EN6thrust23THRUST_200600_302600_NS6detail15normal_iteratorINS9_10device_ptrIiEEEESE_PS5_SF_jNS0_19identity_decomposerENS1_16block_id_wrapperIjLb1EEEEE10hipError_tT1_PNSt15iterator_traitsISK_E10value_typeET2_T3_PNSL_ISQ_E10value_typeET4_T5_PSV_SW_PNS1_23onesweep_lookback_stateEbbT6_jjT7_P12ihipStream_tbENKUlT_T0_SK_SP_E_clISE_SE_SF_SF_EEDaS13_S14_SK_SP_EUlS13_E_NS1_11comp_targetILNS1_3genE6ELNS1_11target_archE950ELNS1_3gpuE13ELNS1_3repE0EEENS1_47radix_sort_onesweep_sort_config_static_selectorELNS0_4arch9wavefront6targetE1EEEvSK_
		.amdhsa_group_segment_fixed_size 20552
		.amdhsa_private_segment_fixed_size 0
		.amdhsa_kernarg_size 344
		.amdhsa_user_sgpr_count 2
		.amdhsa_user_sgpr_dispatch_ptr 0
		.amdhsa_user_sgpr_queue_ptr 0
		.amdhsa_user_sgpr_kernarg_segment_ptr 1
		.amdhsa_user_sgpr_dispatch_id 0
		.amdhsa_user_sgpr_kernarg_preload_length 0
		.amdhsa_user_sgpr_kernarg_preload_offset 0
		.amdhsa_user_sgpr_private_segment_size 0
		.amdhsa_uses_dynamic_stack 0
		.amdhsa_enable_private_segment 0
		.amdhsa_system_sgpr_workgroup_id_x 1
		.amdhsa_system_sgpr_workgroup_id_y 0
		.amdhsa_system_sgpr_workgroup_id_z 0
		.amdhsa_system_sgpr_workgroup_info 0
		.amdhsa_system_vgpr_workitem_id 2
		.amdhsa_next_free_vgpr 46
		.amdhsa_next_free_sgpr 35
		.amdhsa_accum_offset 48
		.amdhsa_reserve_vcc 1
		.amdhsa_float_round_mode_32 0
		.amdhsa_float_round_mode_16_64 0
		.amdhsa_float_denorm_mode_32 3
		.amdhsa_float_denorm_mode_16_64 3
		.amdhsa_dx10_clamp 1
		.amdhsa_ieee_mode 1
		.amdhsa_fp16_overflow 0
		.amdhsa_tg_split 0
		.amdhsa_exception_fp_ieee_invalid_op 0
		.amdhsa_exception_fp_denorm_src 0
		.amdhsa_exception_fp_ieee_div_zero 0
		.amdhsa_exception_fp_ieee_overflow 0
		.amdhsa_exception_fp_ieee_underflow 0
		.amdhsa_exception_fp_ieee_inexact 0
		.amdhsa_exception_int_div_zero 0
	.end_amdhsa_kernel
	.section	.text._ZN7rocprim17ROCPRIM_400000_NS6detail17trampoline_kernelINS0_14default_configENS1_35radix_sort_onesweep_config_selectorIiNS0_10empty_typeEEEZZNS1_29radix_sort_onesweep_iterationIS3_Lb0EN6thrust23THRUST_200600_302600_NS6detail15normal_iteratorINS9_10device_ptrIiEEEESE_PS5_SF_jNS0_19identity_decomposerENS1_16block_id_wrapperIjLb1EEEEE10hipError_tT1_PNSt15iterator_traitsISK_E10value_typeET2_T3_PNSL_ISQ_E10value_typeET4_T5_PSV_SW_PNS1_23onesweep_lookback_stateEbbT6_jjT7_P12ihipStream_tbENKUlT_T0_SK_SP_E_clISE_SE_SF_SF_EEDaS13_S14_SK_SP_EUlS13_E_NS1_11comp_targetILNS1_3genE6ELNS1_11target_archE950ELNS1_3gpuE13ELNS1_3repE0EEENS1_47radix_sort_onesweep_sort_config_static_selectorELNS0_4arch9wavefront6targetE1EEEvSK_,"axG",@progbits,_ZN7rocprim17ROCPRIM_400000_NS6detail17trampoline_kernelINS0_14default_configENS1_35radix_sort_onesweep_config_selectorIiNS0_10empty_typeEEEZZNS1_29radix_sort_onesweep_iterationIS3_Lb0EN6thrust23THRUST_200600_302600_NS6detail15normal_iteratorINS9_10device_ptrIiEEEESE_PS5_SF_jNS0_19identity_decomposerENS1_16block_id_wrapperIjLb1EEEEE10hipError_tT1_PNSt15iterator_traitsISK_E10value_typeET2_T3_PNSL_ISQ_E10value_typeET4_T5_PSV_SW_PNS1_23onesweep_lookback_stateEbbT6_jjT7_P12ihipStream_tbENKUlT_T0_SK_SP_E_clISE_SE_SF_SF_EEDaS13_S14_SK_SP_EUlS13_E_NS1_11comp_targetILNS1_3genE6ELNS1_11target_archE950ELNS1_3gpuE13ELNS1_3repE0EEENS1_47radix_sort_onesweep_sort_config_static_selectorELNS0_4arch9wavefront6targetE1EEEvSK_,comdat
.Lfunc_end160:
	.size	_ZN7rocprim17ROCPRIM_400000_NS6detail17trampoline_kernelINS0_14default_configENS1_35radix_sort_onesweep_config_selectorIiNS0_10empty_typeEEEZZNS1_29radix_sort_onesweep_iterationIS3_Lb0EN6thrust23THRUST_200600_302600_NS6detail15normal_iteratorINS9_10device_ptrIiEEEESE_PS5_SF_jNS0_19identity_decomposerENS1_16block_id_wrapperIjLb1EEEEE10hipError_tT1_PNSt15iterator_traitsISK_E10value_typeET2_T3_PNSL_ISQ_E10value_typeET4_T5_PSV_SW_PNS1_23onesweep_lookback_stateEbbT6_jjT7_P12ihipStream_tbENKUlT_T0_SK_SP_E_clISE_SE_SF_SF_EEDaS13_S14_SK_SP_EUlS13_E_NS1_11comp_targetILNS1_3genE6ELNS1_11target_archE950ELNS1_3gpuE13ELNS1_3repE0EEENS1_47radix_sort_onesweep_sort_config_static_selectorELNS0_4arch9wavefront6targetE1EEEvSK_, .Lfunc_end160-_ZN7rocprim17ROCPRIM_400000_NS6detail17trampoline_kernelINS0_14default_configENS1_35radix_sort_onesweep_config_selectorIiNS0_10empty_typeEEEZZNS1_29radix_sort_onesweep_iterationIS3_Lb0EN6thrust23THRUST_200600_302600_NS6detail15normal_iteratorINS9_10device_ptrIiEEEESE_PS5_SF_jNS0_19identity_decomposerENS1_16block_id_wrapperIjLb1EEEEE10hipError_tT1_PNSt15iterator_traitsISK_E10value_typeET2_T3_PNSL_ISQ_E10value_typeET4_T5_PSV_SW_PNS1_23onesweep_lookback_stateEbbT6_jjT7_P12ihipStream_tbENKUlT_T0_SK_SP_E_clISE_SE_SF_SF_EEDaS13_S14_SK_SP_EUlS13_E_NS1_11comp_targetILNS1_3genE6ELNS1_11target_archE950ELNS1_3gpuE13ELNS1_3repE0EEENS1_47radix_sort_onesweep_sort_config_static_selectorELNS0_4arch9wavefront6targetE1EEEvSK_
                                        ; -- End function
	.set _ZN7rocprim17ROCPRIM_400000_NS6detail17trampoline_kernelINS0_14default_configENS1_35radix_sort_onesweep_config_selectorIiNS0_10empty_typeEEEZZNS1_29radix_sort_onesweep_iterationIS3_Lb0EN6thrust23THRUST_200600_302600_NS6detail15normal_iteratorINS9_10device_ptrIiEEEESE_PS5_SF_jNS0_19identity_decomposerENS1_16block_id_wrapperIjLb1EEEEE10hipError_tT1_PNSt15iterator_traitsISK_E10value_typeET2_T3_PNSL_ISQ_E10value_typeET4_T5_PSV_SW_PNS1_23onesweep_lookback_stateEbbT6_jjT7_P12ihipStream_tbENKUlT_T0_SK_SP_E_clISE_SE_SF_SF_EEDaS13_S14_SK_SP_EUlS13_E_NS1_11comp_targetILNS1_3genE6ELNS1_11target_archE950ELNS1_3gpuE13ELNS1_3repE0EEENS1_47radix_sort_onesweep_sort_config_static_selectorELNS0_4arch9wavefront6targetE1EEEvSK_.num_vgpr, 46
	.set _ZN7rocprim17ROCPRIM_400000_NS6detail17trampoline_kernelINS0_14default_configENS1_35radix_sort_onesweep_config_selectorIiNS0_10empty_typeEEEZZNS1_29radix_sort_onesweep_iterationIS3_Lb0EN6thrust23THRUST_200600_302600_NS6detail15normal_iteratorINS9_10device_ptrIiEEEESE_PS5_SF_jNS0_19identity_decomposerENS1_16block_id_wrapperIjLb1EEEEE10hipError_tT1_PNSt15iterator_traitsISK_E10value_typeET2_T3_PNSL_ISQ_E10value_typeET4_T5_PSV_SW_PNS1_23onesweep_lookback_stateEbbT6_jjT7_P12ihipStream_tbENKUlT_T0_SK_SP_E_clISE_SE_SF_SF_EEDaS13_S14_SK_SP_EUlS13_E_NS1_11comp_targetILNS1_3genE6ELNS1_11target_archE950ELNS1_3gpuE13ELNS1_3repE0EEENS1_47radix_sort_onesweep_sort_config_static_selectorELNS0_4arch9wavefront6targetE1EEEvSK_.num_agpr, 0
	.set _ZN7rocprim17ROCPRIM_400000_NS6detail17trampoline_kernelINS0_14default_configENS1_35radix_sort_onesweep_config_selectorIiNS0_10empty_typeEEEZZNS1_29radix_sort_onesweep_iterationIS3_Lb0EN6thrust23THRUST_200600_302600_NS6detail15normal_iteratorINS9_10device_ptrIiEEEESE_PS5_SF_jNS0_19identity_decomposerENS1_16block_id_wrapperIjLb1EEEEE10hipError_tT1_PNSt15iterator_traitsISK_E10value_typeET2_T3_PNSL_ISQ_E10value_typeET4_T5_PSV_SW_PNS1_23onesweep_lookback_stateEbbT6_jjT7_P12ihipStream_tbENKUlT_T0_SK_SP_E_clISE_SE_SF_SF_EEDaS13_S14_SK_SP_EUlS13_E_NS1_11comp_targetILNS1_3genE6ELNS1_11target_archE950ELNS1_3gpuE13ELNS1_3repE0EEENS1_47radix_sort_onesweep_sort_config_static_selectorELNS0_4arch9wavefront6targetE1EEEvSK_.numbered_sgpr, 35
	.set _ZN7rocprim17ROCPRIM_400000_NS6detail17trampoline_kernelINS0_14default_configENS1_35radix_sort_onesweep_config_selectorIiNS0_10empty_typeEEEZZNS1_29radix_sort_onesweep_iterationIS3_Lb0EN6thrust23THRUST_200600_302600_NS6detail15normal_iteratorINS9_10device_ptrIiEEEESE_PS5_SF_jNS0_19identity_decomposerENS1_16block_id_wrapperIjLb1EEEEE10hipError_tT1_PNSt15iterator_traitsISK_E10value_typeET2_T3_PNSL_ISQ_E10value_typeET4_T5_PSV_SW_PNS1_23onesweep_lookback_stateEbbT6_jjT7_P12ihipStream_tbENKUlT_T0_SK_SP_E_clISE_SE_SF_SF_EEDaS13_S14_SK_SP_EUlS13_E_NS1_11comp_targetILNS1_3genE6ELNS1_11target_archE950ELNS1_3gpuE13ELNS1_3repE0EEENS1_47radix_sort_onesweep_sort_config_static_selectorELNS0_4arch9wavefront6targetE1EEEvSK_.num_named_barrier, 0
	.set _ZN7rocprim17ROCPRIM_400000_NS6detail17trampoline_kernelINS0_14default_configENS1_35radix_sort_onesweep_config_selectorIiNS0_10empty_typeEEEZZNS1_29radix_sort_onesweep_iterationIS3_Lb0EN6thrust23THRUST_200600_302600_NS6detail15normal_iteratorINS9_10device_ptrIiEEEESE_PS5_SF_jNS0_19identity_decomposerENS1_16block_id_wrapperIjLb1EEEEE10hipError_tT1_PNSt15iterator_traitsISK_E10value_typeET2_T3_PNSL_ISQ_E10value_typeET4_T5_PSV_SW_PNS1_23onesweep_lookback_stateEbbT6_jjT7_P12ihipStream_tbENKUlT_T0_SK_SP_E_clISE_SE_SF_SF_EEDaS13_S14_SK_SP_EUlS13_E_NS1_11comp_targetILNS1_3genE6ELNS1_11target_archE950ELNS1_3gpuE13ELNS1_3repE0EEENS1_47radix_sort_onesweep_sort_config_static_selectorELNS0_4arch9wavefront6targetE1EEEvSK_.private_seg_size, 0
	.set _ZN7rocprim17ROCPRIM_400000_NS6detail17trampoline_kernelINS0_14default_configENS1_35radix_sort_onesweep_config_selectorIiNS0_10empty_typeEEEZZNS1_29radix_sort_onesweep_iterationIS3_Lb0EN6thrust23THRUST_200600_302600_NS6detail15normal_iteratorINS9_10device_ptrIiEEEESE_PS5_SF_jNS0_19identity_decomposerENS1_16block_id_wrapperIjLb1EEEEE10hipError_tT1_PNSt15iterator_traitsISK_E10value_typeET2_T3_PNSL_ISQ_E10value_typeET4_T5_PSV_SW_PNS1_23onesweep_lookback_stateEbbT6_jjT7_P12ihipStream_tbENKUlT_T0_SK_SP_E_clISE_SE_SF_SF_EEDaS13_S14_SK_SP_EUlS13_E_NS1_11comp_targetILNS1_3genE6ELNS1_11target_archE950ELNS1_3gpuE13ELNS1_3repE0EEENS1_47radix_sort_onesweep_sort_config_static_selectorELNS0_4arch9wavefront6targetE1EEEvSK_.uses_vcc, 1
	.set _ZN7rocprim17ROCPRIM_400000_NS6detail17trampoline_kernelINS0_14default_configENS1_35radix_sort_onesweep_config_selectorIiNS0_10empty_typeEEEZZNS1_29radix_sort_onesweep_iterationIS3_Lb0EN6thrust23THRUST_200600_302600_NS6detail15normal_iteratorINS9_10device_ptrIiEEEESE_PS5_SF_jNS0_19identity_decomposerENS1_16block_id_wrapperIjLb1EEEEE10hipError_tT1_PNSt15iterator_traitsISK_E10value_typeET2_T3_PNSL_ISQ_E10value_typeET4_T5_PSV_SW_PNS1_23onesweep_lookback_stateEbbT6_jjT7_P12ihipStream_tbENKUlT_T0_SK_SP_E_clISE_SE_SF_SF_EEDaS13_S14_SK_SP_EUlS13_E_NS1_11comp_targetILNS1_3genE6ELNS1_11target_archE950ELNS1_3gpuE13ELNS1_3repE0EEENS1_47radix_sort_onesweep_sort_config_static_selectorELNS0_4arch9wavefront6targetE1EEEvSK_.uses_flat_scratch, 0
	.set _ZN7rocprim17ROCPRIM_400000_NS6detail17trampoline_kernelINS0_14default_configENS1_35radix_sort_onesweep_config_selectorIiNS0_10empty_typeEEEZZNS1_29radix_sort_onesweep_iterationIS3_Lb0EN6thrust23THRUST_200600_302600_NS6detail15normal_iteratorINS9_10device_ptrIiEEEESE_PS5_SF_jNS0_19identity_decomposerENS1_16block_id_wrapperIjLb1EEEEE10hipError_tT1_PNSt15iterator_traitsISK_E10value_typeET2_T3_PNSL_ISQ_E10value_typeET4_T5_PSV_SW_PNS1_23onesweep_lookback_stateEbbT6_jjT7_P12ihipStream_tbENKUlT_T0_SK_SP_E_clISE_SE_SF_SF_EEDaS13_S14_SK_SP_EUlS13_E_NS1_11comp_targetILNS1_3genE6ELNS1_11target_archE950ELNS1_3gpuE13ELNS1_3repE0EEENS1_47radix_sort_onesweep_sort_config_static_selectorELNS0_4arch9wavefront6targetE1EEEvSK_.has_dyn_sized_stack, 0
	.set _ZN7rocprim17ROCPRIM_400000_NS6detail17trampoline_kernelINS0_14default_configENS1_35radix_sort_onesweep_config_selectorIiNS0_10empty_typeEEEZZNS1_29radix_sort_onesweep_iterationIS3_Lb0EN6thrust23THRUST_200600_302600_NS6detail15normal_iteratorINS9_10device_ptrIiEEEESE_PS5_SF_jNS0_19identity_decomposerENS1_16block_id_wrapperIjLb1EEEEE10hipError_tT1_PNSt15iterator_traitsISK_E10value_typeET2_T3_PNSL_ISQ_E10value_typeET4_T5_PSV_SW_PNS1_23onesweep_lookback_stateEbbT6_jjT7_P12ihipStream_tbENKUlT_T0_SK_SP_E_clISE_SE_SF_SF_EEDaS13_S14_SK_SP_EUlS13_E_NS1_11comp_targetILNS1_3genE6ELNS1_11target_archE950ELNS1_3gpuE13ELNS1_3repE0EEENS1_47radix_sort_onesweep_sort_config_static_selectorELNS0_4arch9wavefront6targetE1EEEvSK_.has_recursion, 0
	.set _ZN7rocprim17ROCPRIM_400000_NS6detail17trampoline_kernelINS0_14default_configENS1_35radix_sort_onesweep_config_selectorIiNS0_10empty_typeEEEZZNS1_29radix_sort_onesweep_iterationIS3_Lb0EN6thrust23THRUST_200600_302600_NS6detail15normal_iteratorINS9_10device_ptrIiEEEESE_PS5_SF_jNS0_19identity_decomposerENS1_16block_id_wrapperIjLb1EEEEE10hipError_tT1_PNSt15iterator_traitsISK_E10value_typeET2_T3_PNSL_ISQ_E10value_typeET4_T5_PSV_SW_PNS1_23onesweep_lookback_stateEbbT6_jjT7_P12ihipStream_tbENKUlT_T0_SK_SP_E_clISE_SE_SF_SF_EEDaS13_S14_SK_SP_EUlS13_E_NS1_11comp_targetILNS1_3genE6ELNS1_11target_archE950ELNS1_3gpuE13ELNS1_3repE0EEENS1_47radix_sort_onesweep_sort_config_static_selectorELNS0_4arch9wavefront6targetE1EEEvSK_.has_indirect_call, 0
	.section	.AMDGPU.csdata,"",@progbits
; Kernel info:
; codeLenInByte = 11324
; TotalNumSgprs: 41
; NumVgprs: 46
; NumAgprs: 0
; TotalNumVgprs: 46
; ScratchSize: 0
; MemoryBound: 0
; FloatMode: 240
; IeeeMode: 1
; LDSByteSize: 20552 bytes/workgroup (compile time only)
; SGPRBlocks: 5
; VGPRBlocks: 5
; NumSGPRsForWavesPerEU: 41
; NumVGPRsForWavesPerEU: 46
; AccumOffset: 48
; Occupancy: 8
; WaveLimiterHint : 1
; COMPUTE_PGM_RSRC2:SCRATCH_EN: 0
; COMPUTE_PGM_RSRC2:USER_SGPR: 2
; COMPUTE_PGM_RSRC2:TRAP_HANDLER: 0
; COMPUTE_PGM_RSRC2:TGID_X_EN: 1
; COMPUTE_PGM_RSRC2:TGID_Y_EN: 0
; COMPUTE_PGM_RSRC2:TGID_Z_EN: 0
; COMPUTE_PGM_RSRC2:TIDIG_COMP_CNT: 2
; COMPUTE_PGM_RSRC3_GFX90A:ACCUM_OFFSET: 11
; COMPUTE_PGM_RSRC3_GFX90A:TG_SPLIT: 0
	.section	.text._ZN7rocprim17ROCPRIM_400000_NS6detail17trampoline_kernelINS0_14default_configENS1_35radix_sort_onesweep_config_selectorIiNS0_10empty_typeEEEZZNS1_29radix_sort_onesweep_iterationIS3_Lb0EN6thrust23THRUST_200600_302600_NS6detail15normal_iteratorINS9_10device_ptrIiEEEESE_PS5_SF_jNS0_19identity_decomposerENS1_16block_id_wrapperIjLb1EEEEE10hipError_tT1_PNSt15iterator_traitsISK_E10value_typeET2_T3_PNSL_ISQ_E10value_typeET4_T5_PSV_SW_PNS1_23onesweep_lookback_stateEbbT6_jjT7_P12ihipStream_tbENKUlT_T0_SK_SP_E_clISE_SE_SF_SF_EEDaS13_S14_SK_SP_EUlS13_E_NS1_11comp_targetILNS1_3genE5ELNS1_11target_archE942ELNS1_3gpuE9ELNS1_3repE0EEENS1_47radix_sort_onesweep_sort_config_static_selectorELNS0_4arch9wavefront6targetE1EEEvSK_,"axG",@progbits,_ZN7rocprim17ROCPRIM_400000_NS6detail17trampoline_kernelINS0_14default_configENS1_35radix_sort_onesweep_config_selectorIiNS0_10empty_typeEEEZZNS1_29radix_sort_onesweep_iterationIS3_Lb0EN6thrust23THRUST_200600_302600_NS6detail15normal_iteratorINS9_10device_ptrIiEEEESE_PS5_SF_jNS0_19identity_decomposerENS1_16block_id_wrapperIjLb1EEEEE10hipError_tT1_PNSt15iterator_traitsISK_E10value_typeET2_T3_PNSL_ISQ_E10value_typeET4_T5_PSV_SW_PNS1_23onesweep_lookback_stateEbbT6_jjT7_P12ihipStream_tbENKUlT_T0_SK_SP_E_clISE_SE_SF_SF_EEDaS13_S14_SK_SP_EUlS13_E_NS1_11comp_targetILNS1_3genE5ELNS1_11target_archE942ELNS1_3gpuE9ELNS1_3repE0EEENS1_47radix_sort_onesweep_sort_config_static_selectorELNS0_4arch9wavefront6targetE1EEEvSK_,comdat
	.protected	_ZN7rocprim17ROCPRIM_400000_NS6detail17trampoline_kernelINS0_14default_configENS1_35radix_sort_onesweep_config_selectorIiNS0_10empty_typeEEEZZNS1_29radix_sort_onesweep_iterationIS3_Lb0EN6thrust23THRUST_200600_302600_NS6detail15normal_iteratorINS9_10device_ptrIiEEEESE_PS5_SF_jNS0_19identity_decomposerENS1_16block_id_wrapperIjLb1EEEEE10hipError_tT1_PNSt15iterator_traitsISK_E10value_typeET2_T3_PNSL_ISQ_E10value_typeET4_T5_PSV_SW_PNS1_23onesweep_lookback_stateEbbT6_jjT7_P12ihipStream_tbENKUlT_T0_SK_SP_E_clISE_SE_SF_SF_EEDaS13_S14_SK_SP_EUlS13_E_NS1_11comp_targetILNS1_3genE5ELNS1_11target_archE942ELNS1_3gpuE9ELNS1_3repE0EEENS1_47radix_sort_onesweep_sort_config_static_selectorELNS0_4arch9wavefront6targetE1EEEvSK_ ; -- Begin function _ZN7rocprim17ROCPRIM_400000_NS6detail17trampoline_kernelINS0_14default_configENS1_35radix_sort_onesweep_config_selectorIiNS0_10empty_typeEEEZZNS1_29radix_sort_onesweep_iterationIS3_Lb0EN6thrust23THRUST_200600_302600_NS6detail15normal_iteratorINS9_10device_ptrIiEEEESE_PS5_SF_jNS0_19identity_decomposerENS1_16block_id_wrapperIjLb1EEEEE10hipError_tT1_PNSt15iterator_traitsISK_E10value_typeET2_T3_PNSL_ISQ_E10value_typeET4_T5_PSV_SW_PNS1_23onesweep_lookback_stateEbbT6_jjT7_P12ihipStream_tbENKUlT_T0_SK_SP_E_clISE_SE_SF_SF_EEDaS13_S14_SK_SP_EUlS13_E_NS1_11comp_targetILNS1_3genE5ELNS1_11target_archE942ELNS1_3gpuE9ELNS1_3repE0EEENS1_47radix_sort_onesweep_sort_config_static_selectorELNS0_4arch9wavefront6targetE1EEEvSK_
	.globl	_ZN7rocprim17ROCPRIM_400000_NS6detail17trampoline_kernelINS0_14default_configENS1_35radix_sort_onesweep_config_selectorIiNS0_10empty_typeEEEZZNS1_29radix_sort_onesweep_iterationIS3_Lb0EN6thrust23THRUST_200600_302600_NS6detail15normal_iteratorINS9_10device_ptrIiEEEESE_PS5_SF_jNS0_19identity_decomposerENS1_16block_id_wrapperIjLb1EEEEE10hipError_tT1_PNSt15iterator_traitsISK_E10value_typeET2_T3_PNSL_ISQ_E10value_typeET4_T5_PSV_SW_PNS1_23onesweep_lookback_stateEbbT6_jjT7_P12ihipStream_tbENKUlT_T0_SK_SP_E_clISE_SE_SF_SF_EEDaS13_S14_SK_SP_EUlS13_E_NS1_11comp_targetILNS1_3genE5ELNS1_11target_archE942ELNS1_3gpuE9ELNS1_3repE0EEENS1_47radix_sort_onesweep_sort_config_static_selectorELNS0_4arch9wavefront6targetE1EEEvSK_
	.p2align	8
	.type	_ZN7rocprim17ROCPRIM_400000_NS6detail17trampoline_kernelINS0_14default_configENS1_35radix_sort_onesweep_config_selectorIiNS0_10empty_typeEEEZZNS1_29radix_sort_onesweep_iterationIS3_Lb0EN6thrust23THRUST_200600_302600_NS6detail15normal_iteratorINS9_10device_ptrIiEEEESE_PS5_SF_jNS0_19identity_decomposerENS1_16block_id_wrapperIjLb1EEEEE10hipError_tT1_PNSt15iterator_traitsISK_E10value_typeET2_T3_PNSL_ISQ_E10value_typeET4_T5_PSV_SW_PNS1_23onesweep_lookback_stateEbbT6_jjT7_P12ihipStream_tbENKUlT_T0_SK_SP_E_clISE_SE_SF_SF_EEDaS13_S14_SK_SP_EUlS13_E_NS1_11comp_targetILNS1_3genE5ELNS1_11target_archE942ELNS1_3gpuE9ELNS1_3repE0EEENS1_47radix_sort_onesweep_sort_config_static_selectorELNS0_4arch9wavefront6targetE1EEEvSK_,@function
_ZN7rocprim17ROCPRIM_400000_NS6detail17trampoline_kernelINS0_14default_configENS1_35radix_sort_onesweep_config_selectorIiNS0_10empty_typeEEEZZNS1_29radix_sort_onesweep_iterationIS3_Lb0EN6thrust23THRUST_200600_302600_NS6detail15normal_iteratorINS9_10device_ptrIiEEEESE_PS5_SF_jNS0_19identity_decomposerENS1_16block_id_wrapperIjLb1EEEEE10hipError_tT1_PNSt15iterator_traitsISK_E10value_typeET2_T3_PNSL_ISQ_E10value_typeET4_T5_PSV_SW_PNS1_23onesweep_lookback_stateEbbT6_jjT7_P12ihipStream_tbENKUlT_T0_SK_SP_E_clISE_SE_SF_SF_EEDaS13_S14_SK_SP_EUlS13_E_NS1_11comp_targetILNS1_3genE5ELNS1_11target_archE942ELNS1_3gpuE9ELNS1_3repE0EEENS1_47radix_sort_onesweep_sort_config_static_selectorELNS0_4arch9wavefront6targetE1EEEvSK_: ; @_ZN7rocprim17ROCPRIM_400000_NS6detail17trampoline_kernelINS0_14default_configENS1_35radix_sort_onesweep_config_selectorIiNS0_10empty_typeEEEZZNS1_29radix_sort_onesweep_iterationIS3_Lb0EN6thrust23THRUST_200600_302600_NS6detail15normal_iteratorINS9_10device_ptrIiEEEESE_PS5_SF_jNS0_19identity_decomposerENS1_16block_id_wrapperIjLb1EEEEE10hipError_tT1_PNSt15iterator_traitsISK_E10value_typeET2_T3_PNSL_ISQ_E10value_typeET4_T5_PSV_SW_PNS1_23onesweep_lookback_stateEbbT6_jjT7_P12ihipStream_tbENKUlT_T0_SK_SP_E_clISE_SE_SF_SF_EEDaS13_S14_SK_SP_EUlS13_E_NS1_11comp_targetILNS1_3genE5ELNS1_11target_archE942ELNS1_3gpuE9ELNS1_3repE0EEENS1_47radix_sort_onesweep_sort_config_static_selectorELNS0_4arch9wavefront6targetE1EEEvSK_
; %bb.0:
	.section	.rodata,"a",@progbits
	.p2align	6, 0x0
	.amdhsa_kernel _ZN7rocprim17ROCPRIM_400000_NS6detail17trampoline_kernelINS0_14default_configENS1_35radix_sort_onesweep_config_selectorIiNS0_10empty_typeEEEZZNS1_29radix_sort_onesweep_iterationIS3_Lb0EN6thrust23THRUST_200600_302600_NS6detail15normal_iteratorINS9_10device_ptrIiEEEESE_PS5_SF_jNS0_19identity_decomposerENS1_16block_id_wrapperIjLb1EEEEE10hipError_tT1_PNSt15iterator_traitsISK_E10value_typeET2_T3_PNSL_ISQ_E10value_typeET4_T5_PSV_SW_PNS1_23onesweep_lookback_stateEbbT6_jjT7_P12ihipStream_tbENKUlT_T0_SK_SP_E_clISE_SE_SF_SF_EEDaS13_S14_SK_SP_EUlS13_E_NS1_11comp_targetILNS1_3genE5ELNS1_11target_archE942ELNS1_3gpuE9ELNS1_3repE0EEENS1_47radix_sort_onesweep_sort_config_static_selectorELNS0_4arch9wavefront6targetE1EEEvSK_
		.amdhsa_group_segment_fixed_size 0
		.amdhsa_private_segment_fixed_size 0
		.amdhsa_kernarg_size 88
		.amdhsa_user_sgpr_count 2
		.amdhsa_user_sgpr_dispatch_ptr 0
		.amdhsa_user_sgpr_queue_ptr 0
		.amdhsa_user_sgpr_kernarg_segment_ptr 1
		.amdhsa_user_sgpr_dispatch_id 0
		.amdhsa_user_sgpr_kernarg_preload_length 0
		.amdhsa_user_sgpr_kernarg_preload_offset 0
		.amdhsa_user_sgpr_private_segment_size 0
		.amdhsa_uses_dynamic_stack 0
		.amdhsa_enable_private_segment 0
		.amdhsa_system_sgpr_workgroup_id_x 1
		.amdhsa_system_sgpr_workgroup_id_y 0
		.amdhsa_system_sgpr_workgroup_id_z 0
		.amdhsa_system_sgpr_workgroup_info 0
		.amdhsa_system_vgpr_workitem_id 0
		.amdhsa_next_free_vgpr 1
		.amdhsa_next_free_sgpr 0
		.amdhsa_accum_offset 4
		.amdhsa_reserve_vcc 0
		.amdhsa_float_round_mode_32 0
		.amdhsa_float_round_mode_16_64 0
		.amdhsa_float_denorm_mode_32 3
		.amdhsa_float_denorm_mode_16_64 3
		.amdhsa_dx10_clamp 1
		.amdhsa_ieee_mode 1
		.amdhsa_fp16_overflow 0
		.amdhsa_tg_split 0
		.amdhsa_exception_fp_ieee_invalid_op 0
		.amdhsa_exception_fp_denorm_src 0
		.amdhsa_exception_fp_ieee_div_zero 0
		.amdhsa_exception_fp_ieee_overflow 0
		.amdhsa_exception_fp_ieee_underflow 0
		.amdhsa_exception_fp_ieee_inexact 0
		.amdhsa_exception_int_div_zero 0
	.end_amdhsa_kernel
	.section	.text._ZN7rocprim17ROCPRIM_400000_NS6detail17trampoline_kernelINS0_14default_configENS1_35radix_sort_onesweep_config_selectorIiNS0_10empty_typeEEEZZNS1_29radix_sort_onesweep_iterationIS3_Lb0EN6thrust23THRUST_200600_302600_NS6detail15normal_iteratorINS9_10device_ptrIiEEEESE_PS5_SF_jNS0_19identity_decomposerENS1_16block_id_wrapperIjLb1EEEEE10hipError_tT1_PNSt15iterator_traitsISK_E10value_typeET2_T3_PNSL_ISQ_E10value_typeET4_T5_PSV_SW_PNS1_23onesweep_lookback_stateEbbT6_jjT7_P12ihipStream_tbENKUlT_T0_SK_SP_E_clISE_SE_SF_SF_EEDaS13_S14_SK_SP_EUlS13_E_NS1_11comp_targetILNS1_3genE5ELNS1_11target_archE942ELNS1_3gpuE9ELNS1_3repE0EEENS1_47radix_sort_onesweep_sort_config_static_selectorELNS0_4arch9wavefront6targetE1EEEvSK_,"axG",@progbits,_ZN7rocprim17ROCPRIM_400000_NS6detail17trampoline_kernelINS0_14default_configENS1_35radix_sort_onesweep_config_selectorIiNS0_10empty_typeEEEZZNS1_29radix_sort_onesweep_iterationIS3_Lb0EN6thrust23THRUST_200600_302600_NS6detail15normal_iteratorINS9_10device_ptrIiEEEESE_PS5_SF_jNS0_19identity_decomposerENS1_16block_id_wrapperIjLb1EEEEE10hipError_tT1_PNSt15iterator_traitsISK_E10value_typeET2_T3_PNSL_ISQ_E10value_typeET4_T5_PSV_SW_PNS1_23onesweep_lookback_stateEbbT6_jjT7_P12ihipStream_tbENKUlT_T0_SK_SP_E_clISE_SE_SF_SF_EEDaS13_S14_SK_SP_EUlS13_E_NS1_11comp_targetILNS1_3genE5ELNS1_11target_archE942ELNS1_3gpuE9ELNS1_3repE0EEENS1_47radix_sort_onesweep_sort_config_static_selectorELNS0_4arch9wavefront6targetE1EEEvSK_,comdat
.Lfunc_end161:
	.size	_ZN7rocprim17ROCPRIM_400000_NS6detail17trampoline_kernelINS0_14default_configENS1_35radix_sort_onesweep_config_selectorIiNS0_10empty_typeEEEZZNS1_29radix_sort_onesweep_iterationIS3_Lb0EN6thrust23THRUST_200600_302600_NS6detail15normal_iteratorINS9_10device_ptrIiEEEESE_PS5_SF_jNS0_19identity_decomposerENS1_16block_id_wrapperIjLb1EEEEE10hipError_tT1_PNSt15iterator_traitsISK_E10value_typeET2_T3_PNSL_ISQ_E10value_typeET4_T5_PSV_SW_PNS1_23onesweep_lookback_stateEbbT6_jjT7_P12ihipStream_tbENKUlT_T0_SK_SP_E_clISE_SE_SF_SF_EEDaS13_S14_SK_SP_EUlS13_E_NS1_11comp_targetILNS1_3genE5ELNS1_11target_archE942ELNS1_3gpuE9ELNS1_3repE0EEENS1_47radix_sort_onesweep_sort_config_static_selectorELNS0_4arch9wavefront6targetE1EEEvSK_, .Lfunc_end161-_ZN7rocprim17ROCPRIM_400000_NS6detail17trampoline_kernelINS0_14default_configENS1_35radix_sort_onesweep_config_selectorIiNS0_10empty_typeEEEZZNS1_29radix_sort_onesweep_iterationIS3_Lb0EN6thrust23THRUST_200600_302600_NS6detail15normal_iteratorINS9_10device_ptrIiEEEESE_PS5_SF_jNS0_19identity_decomposerENS1_16block_id_wrapperIjLb1EEEEE10hipError_tT1_PNSt15iterator_traitsISK_E10value_typeET2_T3_PNSL_ISQ_E10value_typeET4_T5_PSV_SW_PNS1_23onesweep_lookback_stateEbbT6_jjT7_P12ihipStream_tbENKUlT_T0_SK_SP_E_clISE_SE_SF_SF_EEDaS13_S14_SK_SP_EUlS13_E_NS1_11comp_targetILNS1_3genE5ELNS1_11target_archE942ELNS1_3gpuE9ELNS1_3repE0EEENS1_47radix_sort_onesweep_sort_config_static_selectorELNS0_4arch9wavefront6targetE1EEEvSK_
                                        ; -- End function
	.set _ZN7rocprim17ROCPRIM_400000_NS6detail17trampoline_kernelINS0_14default_configENS1_35radix_sort_onesweep_config_selectorIiNS0_10empty_typeEEEZZNS1_29radix_sort_onesweep_iterationIS3_Lb0EN6thrust23THRUST_200600_302600_NS6detail15normal_iteratorINS9_10device_ptrIiEEEESE_PS5_SF_jNS0_19identity_decomposerENS1_16block_id_wrapperIjLb1EEEEE10hipError_tT1_PNSt15iterator_traitsISK_E10value_typeET2_T3_PNSL_ISQ_E10value_typeET4_T5_PSV_SW_PNS1_23onesweep_lookback_stateEbbT6_jjT7_P12ihipStream_tbENKUlT_T0_SK_SP_E_clISE_SE_SF_SF_EEDaS13_S14_SK_SP_EUlS13_E_NS1_11comp_targetILNS1_3genE5ELNS1_11target_archE942ELNS1_3gpuE9ELNS1_3repE0EEENS1_47radix_sort_onesweep_sort_config_static_selectorELNS0_4arch9wavefront6targetE1EEEvSK_.num_vgpr, 0
	.set _ZN7rocprim17ROCPRIM_400000_NS6detail17trampoline_kernelINS0_14default_configENS1_35radix_sort_onesweep_config_selectorIiNS0_10empty_typeEEEZZNS1_29radix_sort_onesweep_iterationIS3_Lb0EN6thrust23THRUST_200600_302600_NS6detail15normal_iteratorINS9_10device_ptrIiEEEESE_PS5_SF_jNS0_19identity_decomposerENS1_16block_id_wrapperIjLb1EEEEE10hipError_tT1_PNSt15iterator_traitsISK_E10value_typeET2_T3_PNSL_ISQ_E10value_typeET4_T5_PSV_SW_PNS1_23onesweep_lookback_stateEbbT6_jjT7_P12ihipStream_tbENKUlT_T0_SK_SP_E_clISE_SE_SF_SF_EEDaS13_S14_SK_SP_EUlS13_E_NS1_11comp_targetILNS1_3genE5ELNS1_11target_archE942ELNS1_3gpuE9ELNS1_3repE0EEENS1_47radix_sort_onesweep_sort_config_static_selectorELNS0_4arch9wavefront6targetE1EEEvSK_.num_agpr, 0
	.set _ZN7rocprim17ROCPRIM_400000_NS6detail17trampoline_kernelINS0_14default_configENS1_35radix_sort_onesweep_config_selectorIiNS0_10empty_typeEEEZZNS1_29radix_sort_onesweep_iterationIS3_Lb0EN6thrust23THRUST_200600_302600_NS6detail15normal_iteratorINS9_10device_ptrIiEEEESE_PS5_SF_jNS0_19identity_decomposerENS1_16block_id_wrapperIjLb1EEEEE10hipError_tT1_PNSt15iterator_traitsISK_E10value_typeET2_T3_PNSL_ISQ_E10value_typeET4_T5_PSV_SW_PNS1_23onesweep_lookback_stateEbbT6_jjT7_P12ihipStream_tbENKUlT_T0_SK_SP_E_clISE_SE_SF_SF_EEDaS13_S14_SK_SP_EUlS13_E_NS1_11comp_targetILNS1_3genE5ELNS1_11target_archE942ELNS1_3gpuE9ELNS1_3repE0EEENS1_47radix_sort_onesweep_sort_config_static_selectorELNS0_4arch9wavefront6targetE1EEEvSK_.numbered_sgpr, 0
	.set _ZN7rocprim17ROCPRIM_400000_NS6detail17trampoline_kernelINS0_14default_configENS1_35radix_sort_onesweep_config_selectorIiNS0_10empty_typeEEEZZNS1_29radix_sort_onesweep_iterationIS3_Lb0EN6thrust23THRUST_200600_302600_NS6detail15normal_iteratorINS9_10device_ptrIiEEEESE_PS5_SF_jNS0_19identity_decomposerENS1_16block_id_wrapperIjLb1EEEEE10hipError_tT1_PNSt15iterator_traitsISK_E10value_typeET2_T3_PNSL_ISQ_E10value_typeET4_T5_PSV_SW_PNS1_23onesweep_lookback_stateEbbT6_jjT7_P12ihipStream_tbENKUlT_T0_SK_SP_E_clISE_SE_SF_SF_EEDaS13_S14_SK_SP_EUlS13_E_NS1_11comp_targetILNS1_3genE5ELNS1_11target_archE942ELNS1_3gpuE9ELNS1_3repE0EEENS1_47radix_sort_onesweep_sort_config_static_selectorELNS0_4arch9wavefront6targetE1EEEvSK_.num_named_barrier, 0
	.set _ZN7rocprim17ROCPRIM_400000_NS6detail17trampoline_kernelINS0_14default_configENS1_35radix_sort_onesweep_config_selectorIiNS0_10empty_typeEEEZZNS1_29radix_sort_onesweep_iterationIS3_Lb0EN6thrust23THRUST_200600_302600_NS6detail15normal_iteratorINS9_10device_ptrIiEEEESE_PS5_SF_jNS0_19identity_decomposerENS1_16block_id_wrapperIjLb1EEEEE10hipError_tT1_PNSt15iterator_traitsISK_E10value_typeET2_T3_PNSL_ISQ_E10value_typeET4_T5_PSV_SW_PNS1_23onesweep_lookback_stateEbbT6_jjT7_P12ihipStream_tbENKUlT_T0_SK_SP_E_clISE_SE_SF_SF_EEDaS13_S14_SK_SP_EUlS13_E_NS1_11comp_targetILNS1_3genE5ELNS1_11target_archE942ELNS1_3gpuE9ELNS1_3repE0EEENS1_47radix_sort_onesweep_sort_config_static_selectorELNS0_4arch9wavefront6targetE1EEEvSK_.private_seg_size, 0
	.set _ZN7rocprim17ROCPRIM_400000_NS6detail17trampoline_kernelINS0_14default_configENS1_35radix_sort_onesweep_config_selectorIiNS0_10empty_typeEEEZZNS1_29radix_sort_onesweep_iterationIS3_Lb0EN6thrust23THRUST_200600_302600_NS6detail15normal_iteratorINS9_10device_ptrIiEEEESE_PS5_SF_jNS0_19identity_decomposerENS1_16block_id_wrapperIjLb1EEEEE10hipError_tT1_PNSt15iterator_traitsISK_E10value_typeET2_T3_PNSL_ISQ_E10value_typeET4_T5_PSV_SW_PNS1_23onesweep_lookback_stateEbbT6_jjT7_P12ihipStream_tbENKUlT_T0_SK_SP_E_clISE_SE_SF_SF_EEDaS13_S14_SK_SP_EUlS13_E_NS1_11comp_targetILNS1_3genE5ELNS1_11target_archE942ELNS1_3gpuE9ELNS1_3repE0EEENS1_47radix_sort_onesweep_sort_config_static_selectorELNS0_4arch9wavefront6targetE1EEEvSK_.uses_vcc, 0
	.set _ZN7rocprim17ROCPRIM_400000_NS6detail17trampoline_kernelINS0_14default_configENS1_35radix_sort_onesweep_config_selectorIiNS0_10empty_typeEEEZZNS1_29radix_sort_onesweep_iterationIS3_Lb0EN6thrust23THRUST_200600_302600_NS6detail15normal_iteratorINS9_10device_ptrIiEEEESE_PS5_SF_jNS0_19identity_decomposerENS1_16block_id_wrapperIjLb1EEEEE10hipError_tT1_PNSt15iterator_traitsISK_E10value_typeET2_T3_PNSL_ISQ_E10value_typeET4_T5_PSV_SW_PNS1_23onesweep_lookback_stateEbbT6_jjT7_P12ihipStream_tbENKUlT_T0_SK_SP_E_clISE_SE_SF_SF_EEDaS13_S14_SK_SP_EUlS13_E_NS1_11comp_targetILNS1_3genE5ELNS1_11target_archE942ELNS1_3gpuE9ELNS1_3repE0EEENS1_47radix_sort_onesweep_sort_config_static_selectorELNS0_4arch9wavefront6targetE1EEEvSK_.uses_flat_scratch, 0
	.set _ZN7rocprim17ROCPRIM_400000_NS6detail17trampoline_kernelINS0_14default_configENS1_35radix_sort_onesweep_config_selectorIiNS0_10empty_typeEEEZZNS1_29radix_sort_onesweep_iterationIS3_Lb0EN6thrust23THRUST_200600_302600_NS6detail15normal_iteratorINS9_10device_ptrIiEEEESE_PS5_SF_jNS0_19identity_decomposerENS1_16block_id_wrapperIjLb1EEEEE10hipError_tT1_PNSt15iterator_traitsISK_E10value_typeET2_T3_PNSL_ISQ_E10value_typeET4_T5_PSV_SW_PNS1_23onesweep_lookback_stateEbbT6_jjT7_P12ihipStream_tbENKUlT_T0_SK_SP_E_clISE_SE_SF_SF_EEDaS13_S14_SK_SP_EUlS13_E_NS1_11comp_targetILNS1_3genE5ELNS1_11target_archE942ELNS1_3gpuE9ELNS1_3repE0EEENS1_47radix_sort_onesweep_sort_config_static_selectorELNS0_4arch9wavefront6targetE1EEEvSK_.has_dyn_sized_stack, 0
	.set _ZN7rocprim17ROCPRIM_400000_NS6detail17trampoline_kernelINS0_14default_configENS1_35radix_sort_onesweep_config_selectorIiNS0_10empty_typeEEEZZNS1_29radix_sort_onesweep_iterationIS3_Lb0EN6thrust23THRUST_200600_302600_NS6detail15normal_iteratorINS9_10device_ptrIiEEEESE_PS5_SF_jNS0_19identity_decomposerENS1_16block_id_wrapperIjLb1EEEEE10hipError_tT1_PNSt15iterator_traitsISK_E10value_typeET2_T3_PNSL_ISQ_E10value_typeET4_T5_PSV_SW_PNS1_23onesweep_lookback_stateEbbT6_jjT7_P12ihipStream_tbENKUlT_T0_SK_SP_E_clISE_SE_SF_SF_EEDaS13_S14_SK_SP_EUlS13_E_NS1_11comp_targetILNS1_3genE5ELNS1_11target_archE942ELNS1_3gpuE9ELNS1_3repE0EEENS1_47radix_sort_onesweep_sort_config_static_selectorELNS0_4arch9wavefront6targetE1EEEvSK_.has_recursion, 0
	.set _ZN7rocprim17ROCPRIM_400000_NS6detail17trampoline_kernelINS0_14default_configENS1_35radix_sort_onesweep_config_selectorIiNS0_10empty_typeEEEZZNS1_29radix_sort_onesweep_iterationIS3_Lb0EN6thrust23THRUST_200600_302600_NS6detail15normal_iteratorINS9_10device_ptrIiEEEESE_PS5_SF_jNS0_19identity_decomposerENS1_16block_id_wrapperIjLb1EEEEE10hipError_tT1_PNSt15iterator_traitsISK_E10value_typeET2_T3_PNSL_ISQ_E10value_typeET4_T5_PSV_SW_PNS1_23onesweep_lookback_stateEbbT6_jjT7_P12ihipStream_tbENKUlT_T0_SK_SP_E_clISE_SE_SF_SF_EEDaS13_S14_SK_SP_EUlS13_E_NS1_11comp_targetILNS1_3genE5ELNS1_11target_archE942ELNS1_3gpuE9ELNS1_3repE0EEENS1_47radix_sort_onesweep_sort_config_static_selectorELNS0_4arch9wavefront6targetE1EEEvSK_.has_indirect_call, 0
	.section	.AMDGPU.csdata,"",@progbits
; Kernel info:
; codeLenInByte = 0
; TotalNumSgprs: 6
; NumVgprs: 0
; NumAgprs: 0
; TotalNumVgprs: 0
; ScratchSize: 0
; MemoryBound: 0
; FloatMode: 240
; IeeeMode: 1
; LDSByteSize: 0 bytes/workgroup (compile time only)
; SGPRBlocks: 0
; VGPRBlocks: 0
; NumSGPRsForWavesPerEU: 6
; NumVGPRsForWavesPerEU: 1
; AccumOffset: 4
; Occupancy: 8
; WaveLimiterHint : 0
; COMPUTE_PGM_RSRC2:SCRATCH_EN: 0
; COMPUTE_PGM_RSRC2:USER_SGPR: 2
; COMPUTE_PGM_RSRC2:TRAP_HANDLER: 0
; COMPUTE_PGM_RSRC2:TGID_X_EN: 1
; COMPUTE_PGM_RSRC2:TGID_Y_EN: 0
; COMPUTE_PGM_RSRC2:TGID_Z_EN: 0
; COMPUTE_PGM_RSRC2:TIDIG_COMP_CNT: 0
; COMPUTE_PGM_RSRC3_GFX90A:ACCUM_OFFSET: 0
; COMPUTE_PGM_RSRC3_GFX90A:TG_SPLIT: 0
	.section	.text._ZN7rocprim17ROCPRIM_400000_NS6detail17trampoline_kernelINS0_14default_configENS1_35radix_sort_onesweep_config_selectorIiNS0_10empty_typeEEEZZNS1_29radix_sort_onesweep_iterationIS3_Lb0EN6thrust23THRUST_200600_302600_NS6detail15normal_iteratorINS9_10device_ptrIiEEEESE_PS5_SF_jNS0_19identity_decomposerENS1_16block_id_wrapperIjLb1EEEEE10hipError_tT1_PNSt15iterator_traitsISK_E10value_typeET2_T3_PNSL_ISQ_E10value_typeET4_T5_PSV_SW_PNS1_23onesweep_lookback_stateEbbT6_jjT7_P12ihipStream_tbENKUlT_T0_SK_SP_E_clISE_SE_SF_SF_EEDaS13_S14_SK_SP_EUlS13_E_NS1_11comp_targetILNS1_3genE2ELNS1_11target_archE906ELNS1_3gpuE6ELNS1_3repE0EEENS1_47radix_sort_onesweep_sort_config_static_selectorELNS0_4arch9wavefront6targetE1EEEvSK_,"axG",@progbits,_ZN7rocprim17ROCPRIM_400000_NS6detail17trampoline_kernelINS0_14default_configENS1_35radix_sort_onesweep_config_selectorIiNS0_10empty_typeEEEZZNS1_29radix_sort_onesweep_iterationIS3_Lb0EN6thrust23THRUST_200600_302600_NS6detail15normal_iteratorINS9_10device_ptrIiEEEESE_PS5_SF_jNS0_19identity_decomposerENS1_16block_id_wrapperIjLb1EEEEE10hipError_tT1_PNSt15iterator_traitsISK_E10value_typeET2_T3_PNSL_ISQ_E10value_typeET4_T5_PSV_SW_PNS1_23onesweep_lookback_stateEbbT6_jjT7_P12ihipStream_tbENKUlT_T0_SK_SP_E_clISE_SE_SF_SF_EEDaS13_S14_SK_SP_EUlS13_E_NS1_11comp_targetILNS1_3genE2ELNS1_11target_archE906ELNS1_3gpuE6ELNS1_3repE0EEENS1_47radix_sort_onesweep_sort_config_static_selectorELNS0_4arch9wavefront6targetE1EEEvSK_,comdat
	.protected	_ZN7rocprim17ROCPRIM_400000_NS6detail17trampoline_kernelINS0_14default_configENS1_35radix_sort_onesweep_config_selectorIiNS0_10empty_typeEEEZZNS1_29radix_sort_onesweep_iterationIS3_Lb0EN6thrust23THRUST_200600_302600_NS6detail15normal_iteratorINS9_10device_ptrIiEEEESE_PS5_SF_jNS0_19identity_decomposerENS1_16block_id_wrapperIjLb1EEEEE10hipError_tT1_PNSt15iterator_traitsISK_E10value_typeET2_T3_PNSL_ISQ_E10value_typeET4_T5_PSV_SW_PNS1_23onesweep_lookback_stateEbbT6_jjT7_P12ihipStream_tbENKUlT_T0_SK_SP_E_clISE_SE_SF_SF_EEDaS13_S14_SK_SP_EUlS13_E_NS1_11comp_targetILNS1_3genE2ELNS1_11target_archE906ELNS1_3gpuE6ELNS1_3repE0EEENS1_47radix_sort_onesweep_sort_config_static_selectorELNS0_4arch9wavefront6targetE1EEEvSK_ ; -- Begin function _ZN7rocprim17ROCPRIM_400000_NS6detail17trampoline_kernelINS0_14default_configENS1_35radix_sort_onesweep_config_selectorIiNS0_10empty_typeEEEZZNS1_29radix_sort_onesweep_iterationIS3_Lb0EN6thrust23THRUST_200600_302600_NS6detail15normal_iteratorINS9_10device_ptrIiEEEESE_PS5_SF_jNS0_19identity_decomposerENS1_16block_id_wrapperIjLb1EEEEE10hipError_tT1_PNSt15iterator_traitsISK_E10value_typeET2_T3_PNSL_ISQ_E10value_typeET4_T5_PSV_SW_PNS1_23onesweep_lookback_stateEbbT6_jjT7_P12ihipStream_tbENKUlT_T0_SK_SP_E_clISE_SE_SF_SF_EEDaS13_S14_SK_SP_EUlS13_E_NS1_11comp_targetILNS1_3genE2ELNS1_11target_archE906ELNS1_3gpuE6ELNS1_3repE0EEENS1_47radix_sort_onesweep_sort_config_static_selectorELNS0_4arch9wavefront6targetE1EEEvSK_
	.globl	_ZN7rocprim17ROCPRIM_400000_NS6detail17trampoline_kernelINS0_14default_configENS1_35radix_sort_onesweep_config_selectorIiNS0_10empty_typeEEEZZNS1_29radix_sort_onesweep_iterationIS3_Lb0EN6thrust23THRUST_200600_302600_NS6detail15normal_iteratorINS9_10device_ptrIiEEEESE_PS5_SF_jNS0_19identity_decomposerENS1_16block_id_wrapperIjLb1EEEEE10hipError_tT1_PNSt15iterator_traitsISK_E10value_typeET2_T3_PNSL_ISQ_E10value_typeET4_T5_PSV_SW_PNS1_23onesweep_lookback_stateEbbT6_jjT7_P12ihipStream_tbENKUlT_T0_SK_SP_E_clISE_SE_SF_SF_EEDaS13_S14_SK_SP_EUlS13_E_NS1_11comp_targetILNS1_3genE2ELNS1_11target_archE906ELNS1_3gpuE6ELNS1_3repE0EEENS1_47radix_sort_onesweep_sort_config_static_selectorELNS0_4arch9wavefront6targetE1EEEvSK_
	.p2align	8
	.type	_ZN7rocprim17ROCPRIM_400000_NS6detail17trampoline_kernelINS0_14default_configENS1_35radix_sort_onesweep_config_selectorIiNS0_10empty_typeEEEZZNS1_29radix_sort_onesweep_iterationIS3_Lb0EN6thrust23THRUST_200600_302600_NS6detail15normal_iteratorINS9_10device_ptrIiEEEESE_PS5_SF_jNS0_19identity_decomposerENS1_16block_id_wrapperIjLb1EEEEE10hipError_tT1_PNSt15iterator_traitsISK_E10value_typeET2_T3_PNSL_ISQ_E10value_typeET4_T5_PSV_SW_PNS1_23onesweep_lookback_stateEbbT6_jjT7_P12ihipStream_tbENKUlT_T0_SK_SP_E_clISE_SE_SF_SF_EEDaS13_S14_SK_SP_EUlS13_E_NS1_11comp_targetILNS1_3genE2ELNS1_11target_archE906ELNS1_3gpuE6ELNS1_3repE0EEENS1_47radix_sort_onesweep_sort_config_static_selectorELNS0_4arch9wavefront6targetE1EEEvSK_,@function
_ZN7rocprim17ROCPRIM_400000_NS6detail17trampoline_kernelINS0_14default_configENS1_35radix_sort_onesweep_config_selectorIiNS0_10empty_typeEEEZZNS1_29radix_sort_onesweep_iterationIS3_Lb0EN6thrust23THRUST_200600_302600_NS6detail15normal_iteratorINS9_10device_ptrIiEEEESE_PS5_SF_jNS0_19identity_decomposerENS1_16block_id_wrapperIjLb1EEEEE10hipError_tT1_PNSt15iterator_traitsISK_E10value_typeET2_T3_PNSL_ISQ_E10value_typeET4_T5_PSV_SW_PNS1_23onesweep_lookback_stateEbbT6_jjT7_P12ihipStream_tbENKUlT_T0_SK_SP_E_clISE_SE_SF_SF_EEDaS13_S14_SK_SP_EUlS13_E_NS1_11comp_targetILNS1_3genE2ELNS1_11target_archE906ELNS1_3gpuE6ELNS1_3repE0EEENS1_47radix_sort_onesweep_sort_config_static_selectorELNS0_4arch9wavefront6targetE1EEEvSK_: ; @_ZN7rocprim17ROCPRIM_400000_NS6detail17trampoline_kernelINS0_14default_configENS1_35radix_sort_onesweep_config_selectorIiNS0_10empty_typeEEEZZNS1_29radix_sort_onesweep_iterationIS3_Lb0EN6thrust23THRUST_200600_302600_NS6detail15normal_iteratorINS9_10device_ptrIiEEEESE_PS5_SF_jNS0_19identity_decomposerENS1_16block_id_wrapperIjLb1EEEEE10hipError_tT1_PNSt15iterator_traitsISK_E10value_typeET2_T3_PNSL_ISQ_E10value_typeET4_T5_PSV_SW_PNS1_23onesweep_lookback_stateEbbT6_jjT7_P12ihipStream_tbENKUlT_T0_SK_SP_E_clISE_SE_SF_SF_EEDaS13_S14_SK_SP_EUlS13_E_NS1_11comp_targetILNS1_3genE2ELNS1_11target_archE906ELNS1_3gpuE6ELNS1_3repE0EEENS1_47radix_sort_onesweep_sort_config_static_selectorELNS0_4arch9wavefront6targetE1EEEvSK_
; %bb.0:
	.section	.rodata,"a",@progbits
	.p2align	6, 0x0
	.amdhsa_kernel _ZN7rocprim17ROCPRIM_400000_NS6detail17trampoline_kernelINS0_14default_configENS1_35radix_sort_onesweep_config_selectorIiNS0_10empty_typeEEEZZNS1_29radix_sort_onesweep_iterationIS3_Lb0EN6thrust23THRUST_200600_302600_NS6detail15normal_iteratorINS9_10device_ptrIiEEEESE_PS5_SF_jNS0_19identity_decomposerENS1_16block_id_wrapperIjLb1EEEEE10hipError_tT1_PNSt15iterator_traitsISK_E10value_typeET2_T3_PNSL_ISQ_E10value_typeET4_T5_PSV_SW_PNS1_23onesweep_lookback_stateEbbT6_jjT7_P12ihipStream_tbENKUlT_T0_SK_SP_E_clISE_SE_SF_SF_EEDaS13_S14_SK_SP_EUlS13_E_NS1_11comp_targetILNS1_3genE2ELNS1_11target_archE906ELNS1_3gpuE6ELNS1_3repE0EEENS1_47radix_sort_onesweep_sort_config_static_selectorELNS0_4arch9wavefront6targetE1EEEvSK_
		.amdhsa_group_segment_fixed_size 0
		.amdhsa_private_segment_fixed_size 0
		.amdhsa_kernarg_size 88
		.amdhsa_user_sgpr_count 2
		.amdhsa_user_sgpr_dispatch_ptr 0
		.amdhsa_user_sgpr_queue_ptr 0
		.amdhsa_user_sgpr_kernarg_segment_ptr 1
		.amdhsa_user_sgpr_dispatch_id 0
		.amdhsa_user_sgpr_kernarg_preload_length 0
		.amdhsa_user_sgpr_kernarg_preload_offset 0
		.amdhsa_user_sgpr_private_segment_size 0
		.amdhsa_uses_dynamic_stack 0
		.amdhsa_enable_private_segment 0
		.amdhsa_system_sgpr_workgroup_id_x 1
		.amdhsa_system_sgpr_workgroup_id_y 0
		.amdhsa_system_sgpr_workgroup_id_z 0
		.amdhsa_system_sgpr_workgroup_info 0
		.amdhsa_system_vgpr_workitem_id 0
		.amdhsa_next_free_vgpr 1
		.amdhsa_next_free_sgpr 0
		.amdhsa_accum_offset 4
		.amdhsa_reserve_vcc 0
		.amdhsa_float_round_mode_32 0
		.amdhsa_float_round_mode_16_64 0
		.amdhsa_float_denorm_mode_32 3
		.amdhsa_float_denorm_mode_16_64 3
		.amdhsa_dx10_clamp 1
		.amdhsa_ieee_mode 1
		.amdhsa_fp16_overflow 0
		.amdhsa_tg_split 0
		.amdhsa_exception_fp_ieee_invalid_op 0
		.amdhsa_exception_fp_denorm_src 0
		.amdhsa_exception_fp_ieee_div_zero 0
		.amdhsa_exception_fp_ieee_overflow 0
		.amdhsa_exception_fp_ieee_underflow 0
		.amdhsa_exception_fp_ieee_inexact 0
		.amdhsa_exception_int_div_zero 0
	.end_amdhsa_kernel
	.section	.text._ZN7rocprim17ROCPRIM_400000_NS6detail17trampoline_kernelINS0_14default_configENS1_35radix_sort_onesweep_config_selectorIiNS0_10empty_typeEEEZZNS1_29radix_sort_onesweep_iterationIS3_Lb0EN6thrust23THRUST_200600_302600_NS6detail15normal_iteratorINS9_10device_ptrIiEEEESE_PS5_SF_jNS0_19identity_decomposerENS1_16block_id_wrapperIjLb1EEEEE10hipError_tT1_PNSt15iterator_traitsISK_E10value_typeET2_T3_PNSL_ISQ_E10value_typeET4_T5_PSV_SW_PNS1_23onesweep_lookback_stateEbbT6_jjT7_P12ihipStream_tbENKUlT_T0_SK_SP_E_clISE_SE_SF_SF_EEDaS13_S14_SK_SP_EUlS13_E_NS1_11comp_targetILNS1_3genE2ELNS1_11target_archE906ELNS1_3gpuE6ELNS1_3repE0EEENS1_47radix_sort_onesweep_sort_config_static_selectorELNS0_4arch9wavefront6targetE1EEEvSK_,"axG",@progbits,_ZN7rocprim17ROCPRIM_400000_NS6detail17trampoline_kernelINS0_14default_configENS1_35radix_sort_onesweep_config_selectorIiNS0_10empty_typeEEEZZNS1_29radix_sort_onesweep_iterationIS3_Lb0EN6thrust23THRUST_200600_302600_NS6detail15normal_iteratorINS9_10device_ptrIiEEEESE_PS5_SF_jNS0_19identity_decomposerENS1_16block_id_wrapperIjLb1EEEEE10hipError_tT1_PNSt15iterator_traitsISK_E10value_typeET2_T3_PNSL_ISQ_E10value_typeET4_T5_PSV_SW_PNS1_23onesweep_lookback_stateEbbT6_jjT7_P12ihipStream_tbENKUlT_T0_SK_SP_E_clISE_SE_SF_SF_EEDaS13_S14_SK_SP_EUlS13_E_NS1_11comp_targetILNS1_3genE2ELNS1_11target_archE906ELNS1_3gpuE6ELNS1_3repE0EEENS1_47radix_sort_onesweep_sort_config_static_selectorELNS0_4arch9wavefront6targetE1EEEvSK_,comdat
.Lfunc_end162:
	.size	_ZN7rocprim17ROCPRIM_400000_NS6detail17trampoline_kernelINS0_14default_configENS1_35radix_sort_onesweep_config_selectorIiNS0_10empty_typeEEEZZNS1_29radix_sort_onesweep_iterationIS3_Lb0EN6thrust23THRUST_200600_302600_NS6detail15normal_iteratorINS9_10device_ptrIiEEEESE_PS5_SF_jNS0_19identity_decomposerENS1_16block_id_wrapperIjLb1EEEEE10hipError_tT1_PNSt15iterator_traitsISK_E10value_typeET2_T3_PNSL_ISQ_E10value_typeET4_T5_PSV_SW_PNS1_23onesweep_lookback_stateEbbT6_jjT7_P12ihipStream_tbENKUlT_T0_SK_SP_E_clISE_SE_SF_SF_EEDaS13_S14_SK_SP_EUlS13_E_NS1_11comp_targetILNS1_3genE2ELNS1_11target_archE906ELNS1_3gpuE6ELNS1_3repE0EEENS1_47radix_sort_onesweep_sort_config_static_selectorELNS0_4arch9wavefront6targetE1EEEvSK_, .Lfunc_end162-_ZN7rocprim17ROCPRIM_400000_NS6detail17trampoline_kernelINS0_14default_configENS1_35radix_sort_onesweep_config_selectorIiNS0_10empty_typeEEEZZNS1_29radix_sort_onesweep_iterationIS3_Lb0EN6thrust23THRUST_200600_302600_NS6detail15normal_iteratorINS9_10device_ptrIiEEEESE_PS5_SF_jNS0_19identity_decomposerENS1_16block_id_wrapperIjLb1EEEEE10hipError_tT1_PNSt15iterator_traitsISK_E10value_typeET2_T3_PNSL_ISQ_E10value_typeET4_T5_PSV_SW_PNS1_23onesweep_lookback_stateEbbT6_jjT7_P12ihipStream_tbENKUlT_T0_SK_SP_E_clISE_SE_SF_SF_EEDaS13_S14_SK_SP_EUlS13_E_NS1_11comp_targetILNS1_3genE2ELNS1_11target_archE906ELNS1_3gpuE6ELNS1_3repE0EEENS1_47radix_sort_onesweep_sort_config_static_selectorELNS0_4arch9wavefront6targetE1EEEvSK_
                                        ; -- End function
	.set _ZN7rocprim17ROCPRIM_400000_NS6detail17trampoline_kernelINS0_14default_configENS1_35radix_sort_onesweep_config_selectorIiNS0_10empty_typeEEEZZNS1_29radix_sort_onesweep_iterationIS3_Lb0EN6thrust23THRUST_200600_302600_NS6detail15normal_iteratorINS9_10device_ptrIiEEEESE_PS5_SF_jNS0_19identity_decomposerENS1_16block_id_wrapperIjLb1EEEEE10hipError_tT1_PNSt15iterator_traitsISK_E10value_typeET2_T3_PNSL_ISQ_E10value_typeET4_T5_PSV_SW_PNS1_23onesweep_lookback_stateEbbT6_jjT7_P12ihipStream_tbENKUlT_T0_SK_SP_E_clISE_SE_SF_SF_EEDaS13_S14_SK_SP_EUlS13_E_NS1_11comp_targetILNS1_3genE2ELNS1_11target_archE906ELNS1_3gpuE6ELNS1_3repE0EEENS1_47radix_sort_onesweep_sort_config_static_selectorELNS0_4arch9wavefront6targetE1EEEvSK_.num_vgpr, 0
	.set _ZN7rocprim17ROCPRIM_400000_NS6detail17trampoline_kernelINS0_14default_configENS1_35radix_sort_onesweep_config_selectorIiNS0_10empty_typeEEEZZNS1_29radix_sort_onesweep_iterationIS3_Lb0EN6thrust23THRUST_200600_302600_NS6detail15normal_iteratorINS9_10device_ptrIiEEEESE_PS5_SF_jNS0_19identity_decomposerENS1_16block_id_wrapperIjLb1EEEEE10hipError_tT1_PNSt15iterator_traitsISK_E10value_typeET2_T3_PNSL_ISQ_E10value_typeET4_T5_PSV_SW_PNS1_23onesweep_lookback_stateEbbT6_jjT7_P12ihipStream_tbENKUlT_T0_SK_SP_E_clISE_SE_SF_SF_EEDaS13_S14_SK_SP_EUlS13_E_NS1_11comp_targetILNS1_3genE2ELNS1_11target_archE906ELNS1_3gpuE6ELNS1_3repE0EEENS1_47radix_sort_onesweep_sort_config_static_selectorELNS0_4arch9wavefront6targetE1EEEvSK_.num_agpr, 0
	.set _ZN7rocprim17ROCPRIM_400000_NS6detail17trampoline_kernelINS0_14default_configENS1_35radix_sort_onesweep_config_selectorIiNS0_10empty_typeEEEZZNS1_29radix_sort_onesweep_iterationIS3_Lb0EN6thrust23THRUST_200600_302600_NS6detail15normal_iteratorINS9_10device_ptrIiEEEESE_PS5_SF_jNS0_19identity_decomposerENS1_16block_id_wrapperIjLb1EEEEE10hipError_tT1_PNSt15iterator_traitsISK_E10value_typeET2_T3_PNSL_ISQ_E10value_typeET4_T5_PSV_SW_PNS1_23onesweep_lookback_stateEbbT6_jjT7_P12ihipStream_tbENKUlT_T0_SK_SP_E_clISE_SE_SF_SF_EEDaS13_S14_SK_SP_EUlS13_E_NS1_11comp_targetILNS1_3genE2ELNS1_11target_archE906ELNS1_3gpuE6ELNS1_3repE0EEENS1_47radix_sort_onesweep_sort_config_static_selectorELNS0_4arch9wavefront6targetE1EEEvSK_.numbered_sgpr, 0
	.set _ZN7rocprim17ROCPRIM_400000_NS6detail17trampoline_kernelINS0_14default_configENS1_35radix_sort_onesweep_config_selectorIiNS0_10empty_typeEEEZZNS1_29radix_sort_onesweep_iterationIS3_Lb0EN6thrust23THRUST_200600_302600_NS6detail15normal_iteratorINS9_10device_ptrIiEEEESE_PS5_SF_jNS0_19identity_decomposerENS1_16block_id_wrapperIjLb1EEEEE10hipError_tT1_PNSt15iterator_traitsISK_E10value_typeET2_T3_PNSL_ISQ_E10value_typeET4_T5_PSV_SW_PNS1_23onesweep_lookback_stateEbbT6_jjT7_P12ihipStream_tbENKUlT_T0_SK_SP_E_clISE_SE_SF_SF_EEDaS13_S14_SK_SP_EUlS13_E_NS1_11comp_targetILNS1_3genE2ELNS1_11target_archE906ELNS1_3gpuE6ELNS1_3repE0EEENS1_47radix_sort_onesweep_sort_config_static_selectorELNS0_4arch9wavefront6targetE1EEEvSK_.num_named_barrier, 0
	.set _ZN7rocprim17ROCPRIM_400000_NS6detail17trampoline_kernelINS0_14default_configENS1_35radix_sort_onesweep_config_selectorIiNS0_10empty_typeEEEZZNS1_29radix_sort_onesweep_iterationIS3_Lb0EN6thrust23THRUST_200600_302600_NS6detail15normal_iteratorINS9_10device_ptrIiEEEESE_PS5_SF_jNS0_19identity_decomposerENS1_16block_id_wrapperIjLb1EEEEE10hipError_tT1_PNSt15iterator_traitsISK_E10value_typeET2_T3_PNSL_ISQ_E10value_typeET4_T5_PSV_SW_PNS1_23onesweep_lookback_stateEbbT6_jjT7_P12ihipStream_tbENKUlT_T0_SK_SP_E_clISE_SE_SF_SF_EEDaS13_S14_SK_SP_EUlS13_E_NS1_11comp_targetILNS1_3genE2ELNS1_11target_archE906ELNS1_3gpuE6ELNS1_3repE0EEENS1_47radix_sort_onesweep_sort_config_static_selectorELNS0_4arch9wavefront6targetE1EEEvSK_.private_seg_size, 0
	.set _ZN7rocprim17ROCPRIM_400000_NS6detail17trampoline_kernelINS0_14default_configENS1_35radix_sort_onesweep_config_selectorIiNS0_10empty_typeEEEZZNS1_29radix_sort_onesweep_iterationIS3_Lb0EN6thrust23THRUST_200600_302600_NS6detail15normal_iteratorINS9_10device_ptrIiEEEESE_PS5_SF_jNS0_19identity_decomposerENS1_16block_id_wrapperIjLb1EEEEE10hipError_tT1_PNSt15iterator_traitsISK_E10value_typeET2_T3_PNSL_ISQ_E10value_typeET4_T5_PSV_SW_PNS1_23onesweep_lookback_stateEbbT6_jjT7_P12ihipStream_tbENKUlT_T0_SK_SP_E_clISE_SE_SF_SF_EEDaS13_S14_SK_SP_EUlS13_E_NS1_11comp_targetILNS1_3genE2ELNS1_11target_archE906ELNS1_3gpuE6ELNS1_3repE0EEENS1_47radix_sort_onesweep_sort_config_static_selectorELNS0_4arch9wavefront6targetE1EEEvSK_.uses_vcc, 0
	.set _ZN7rocprim17ROCPRIM_400000_NS6detail17trampoline_kernelINS0_14default_configENS1_35radix_sort_onesweep_config_selectorIiNS0_10empty_typeEEEZZNS1_29radix_sort_onesweep_iterationIS3_Lb0EN6thrust23THRUST_200600_302600_NS6detail15normal_iteratorINS9_10device_ptrIiEEEESE_PS5_SF_jNS0_19identity_decomposerENS1_16block_id_wrapperIjLb1EEEEE10hipError_tT1_PNSt15iterator_traitsISK_E10value_typeET2_T3_PNSL_ISQ_E10value_typeET4_T5_PSV_SW_PNS1_23onesweep_lookback_stateEbbT6_jjT7_P12ihipStream_tbENKUlT_T0_SK_SP_E_clISE_SE_SF_SF_EEDaS13_S14_SK_SP_EUlS13_E_NS1_11comp_targetILNS1_3genE2ELNS1_11target_archE906ELNS1_3gpuE6ELNS1_3repE0EEENS1_47radix_sort_onesweep_sort_config_static_selectorELNS0_4arch9wavefront6targetE1EEEvSK_.uses_flat_scratch, 0
	.set _ZN7rocprim17ROCPRIM_400000_NS6detail17trampoline_kernelINS0_14default_configENS1_35radix_sort_onesweep_config_selectorIiNS0_10empty_typeEEEZZNS1_29radix_sort_onesweep_iterationIS3_Lb0EN6thrust23THRUST_200600_302600_NS6detail15normal_iteratorINS9_10device_ptrIiEEEESE_PS5_SF_jNS0_19identity_decomposerENS1_16block_id_wrapperIjLb1EEEEE10hipError_tT1_PNSt15iterator_traitsISK_E10value_typeET2_T3_PNSL_ISQ_E10value_typeET4_T5_PSV_SW_PNS1_23onesweep_lookback_stateEbbT6_jjT7_P12ihipStream_tbENKUlT_T0_SK_SP_E_clISE_SE_SF_SF_EEDaS13_S14_SK_SP_EUlS13_E_NS1_11comp_targetILNS1_3genE2ELNS1_11target_archE906ELNS1_3gpuE6ELNS1_3repE0EEENS1_47radix_sort_onesweep_sort_config_static_selectorELNS0_4arch9wavefront6targetE1EEEvSK_.has_dyn_sized_stack, 0
	.set _ZN7rocprim17ROCPRIM_400000_NS6detail17trampoline_kernelINS0_14default_configENS1_35radix_sort_onesweep_config_selectorIiNS0_10empty_typeEEEZZNS1_29radix_sort_onesweep_iterationIS3_Lb0EN6thrust23THRUST_200600_302600_NS6detail15normal_iteratorINS9_10device_ptrIiEEEESE_PS5_SF_jNS0_19identity_decomposerENS1_16block_id_wrapperIjLb1EEEEE10hipError_tT1_PNSt15iterator_traitsISK_E10value_typeET2_T3_PNSL_ISQ_E10value_typeET4_T5_PSV_SW_PNS1_23onesweep_lookback_stateEbbT6_jjT7_P12ihipStream_tbENKUlT_T0_SK_SP_E_clISE_SE_SF_SF_EEDaS13_S14_SK_SP_EUlS13_E_NS1_11comp_targetILNS1_3genE2ELNS1_11target_archE906ELNS1_3gpuE6ELNS1_3repE0EEENS1_47radix_sort_onesweep_sort_config_static_selectorELNS0_4arch9wavefront6targetE1EEEvSK_.has_recursion, 0
	.set _ZN7rocprim17ROCPRIM_400000_NS6detail17trampoline_kernelINS0_14default_configENS1_35radix_sort_onesweep_config_selectorIiNS0_10empty_typeEEEZZNS1_29radix_sort_onesweep_iterationIS3_Lb0EN6thrust23THRUST_200600_302600_NS6detail15normal_iteratorINS9_10device_ptrIiEEEESE_PS5_SF_jNS0_19identity_decomposerENS1_16block_id_wrapperIjLb1EEEEE10hipError_tT1_PNSt15iterator_traitsISK_E10value_typeET2_T3_PNSL_ISQ_E10value_typeET4_T5_PSV_SW_PNS1_23onesweep_lookback_stateEbbT6_jjT7_P12ihipStream_tbENKUlT_T0_SK_SP_E_clISE_SE_SF_SF_EEDaS13_S14_SK_SP_EUlS13_E_NS1_11comp_targetILNS1_3genE2ELNS1_11target_archE906ELNS1_3gpuE6ELNS1_3repE0EEENS1_47radix_sort_onesweep_sort_config_static_selectorELNS0_4arch9wavefront6targetE1EEEvSK_.has_indirect_call, 0
	.section	.AMDGPU.csdata,"",@progbits
; Kernel info:
; codeLenInByte = 0
; TotalNumSgprs: 6
; NumVgprs: 0
; NumAgprs: 0
; TotalNumVgprs: 0
; ScratchSize: 0
; MemoryBound: 0
; FloatMode: 240
; IeeeMode: 1
; LDSByteSize: 0 bytes/workgroup (compile time only)
; SGPRBlocks: 0
; VGPRBlocks: 0
; NumSGPRsForWavesPerEU: 6
; NumVGPRsForWavesPerEU: 1
; AccumOffset: 4
; Occupancy: 8
; WaveLimiterHint : 0
; COMPUTE_PGM_RSRC2:SCRATCH_EN: 0
; COMPUTE_PGM_RSRC2:USER_SGPR: 2
; COMPUTE_PGM_RSRC2:TRAP_HANDLER: 0
; COMPUTE_PGM_RSRC2:TGID_X_EN: 1
; COMPUTE_PGM_RSRC2:TGID_Y_EN: 0
; COMPUTE_PGM_RSRC2:TGID_Z_EN: 0
; COMPUTE_PGM_RSRC2:TIDIG_COMP_CNT: 0
; COMPUTE_PGM_RSRC3_GFX90A:ACCUM_OFFSET: 0
; COMPUTE_PGM_RSRC3_GFX90A:TG_SPLIT: 0
	.section	.text._ZN7rocprim17ROCPRIM_400000_NS6detail17trampoline_kernelINS0_14default_configENS1_35radix_sort_onesweep_config_selectorIiNS0_10empty_typeEEEZZNS1_29radix_sort_onesweep_iterationIS3_Lb0EN6thrust23THRUST_200600_302600_NS6detail15normal_iteratorINS9_10device_ptrIiEEEESE_PS5_SF_jNS0_19identity_decomposerENS1_16block_id_wrapperIjLb1EEEEE10hipError_tT1_PNSt15iterator_traitsISK_E10value_typeET2_T3_PNSL_ISQ_E10value_typeET4_T5_PSV_SW_PNS1_23onesweep_lookback_stateEbbT6_jjT7_P12ihipStream_tbENKUlT_T0_SK_SP_E_clISE_SE_SF_SF_EEDaS13_S14_SK_SP_EUlS13_E_NS1_11comp_targetILNS1_3genE4ELNS1_11target_archE910ELNS1_3gpuE8ELNS1_3repE0EEENS1_47radix_sort_onesweep_sort_config_static_selectorELNS0_4arch9wavefront6targetE1EEEvSK_,"axG",@progbits,_ZN7rocprim17ROCPRIM_400000_NS6detail17trampoline_kernelINS0_14default_configENS1_35radix_sort_onesweep_config_selectorIiNS0_10empty_typeEEEZZNS1_29radix_sort_onesweep_iterationIS3_Lb0EN6thrust23THRUST_200600_302600_NS6detail15normal_iteratorINS9_10device_ptrIiEEEESE_PS5_SF_jNS0_19identity_decomposerENS1_16block_id_wrapperIjLb1EEEEE10hipError_tT1_PNSt15iterator_traitsISK_E10value_typeET2_T3_PNSL_ISQ_E10value_typeET4_T5_PSV_SW_PNS1_23onesweep_lookback_stateEbbT6_jjT7_P12ihipStream_tbENKUlT_T0_SK_SP_E_clISE_SE_SF_SF_EEDaS13_S14_SK_SP_EUlS13_E_NS1_11comp_targetILNS1_3genE4ELNS1_11target_archE910ELNS1_3gpuE8ELNS1_3repE0EEENS1_47radix_sort_onesweep_sort_config_static_selectorELNS0_4arch9wavefront6targetE1EEEvSK_,comdat
	.protected	_ZN7rocprim17ROCPRIM_400000_NS6detail17trampoline_kernelINS0_14default_configENS1_35radix_sort_onesweep_config_selectorIiNS0_10empty_typeEEEZZNS1_29radix_sort_onesweep_iterationIS3_Lb0EN6thrust23THRUST_200600_302600_NS6detail15normal_iteratorINS9_10device_ptrIiEEEESE_PS5_SF_jNS0_19identity_decomposerENS1_16block_id_wrapperIjLb1EEEEE10hipError_tT1_PNSt15iterator_traitsISK_E10value_typeET2_T3_PNSL_ISQ_E10value_typeET4_T5_PSV_SW_PNS1_23onesweep_lookback_stateEbbT6_jjT7_P12ihipStream_tbENKUlT_T0_SK_SP_E_clISE_SE_SF_SF_EEDaS13_S14_SK_SP_EUlS13_E_NS1_11comp_targetILNS1_3genE4ELNS1_11target_archE910ELNS1_3gpuE8ELNS1_3repE0EEENS1_47radix_sort_onesweep_sort_config_static_selectorELNS0_4arch9wavefront6targetE1EEEvSK_ ; -- Begin function _ZN7rocprim17ROCPRIM_400000_NS6detail17trampoline_kernelINS0_14default_configENS1_35radix_sort_onesweep_config_selectorIiNS0_10empty_typeEEEZZNS1_29radix_sort_onesweep_iterationIS3_Lb0EN6thrust23THRUST_200600_302600_NS6detail15normal_iteratorINS9_10device_ptrIiEEEESE_PS5_SF_jNS0_19identity_decomposerENS1_16block_id_wrapperIjLb1EEEEE10hipError_tT1_PNSt15iterator_traitsISK_E10value_typeET2_T3_PNSL_ISQ_E10value_typeET4_T5_PSV_SW_PNS1_23onesweep_lookback_stateEbbT6_jjT7_P12ihipStream_tbENKUlT_T0_SK_SP_E_clISE_SE_SF_SF_EEDaS13_S14_SK_SP_EUlS13_E_NS1_11comp_targetILNS1_3genE4ELNS1_11target_archE910ELNS1_3gpuE8ELNS1_3repE0EEENS1_47radix_sort_onesweep_sort_config_static_selectorELNS0_4arch9wavefront6targetE1EEEvSK_
	.globl	_ZN7rocprim17ROCPRIM_400000_NS6detail17trampoline_kernelINS0_14default_configENS1_35radix_sort_onesweep_config_selectorIiNS0_10empty_typeEEEZZNS1_29radix_sort_onesweep_iterationIS3_Lb0EN6thrust23THRUST_200600_302600_NS6detail15normal_iteratorINS9_10device_ptrIiEEEESE_PS5_SF_jNS0_19identity_decomposerENS1_16block_id_wrapperIjLb1EEEEE10hipError_tT1_PNSt15iterator_traitsISK_E10value_typeET2_T3_PNSL_ISQ_E10value_typeET4_T5_PSV_SW_PNS1_23onesweep_lookback_stateEbbT6_jjT7_P12ihipStream_tbENKUlT_T0_SK_SP_E_clISE_SE_SF_SF_EEDaS13_S14_SK_SP_EUlS13_E_NS1_11comp_targetILNS1_3genE4ELNS1_11target_archE910ELNS1_3gpuE8ELNS1_3repE0EEENS1_47radix_sort_onesweep_sort_config_static_selectorELNS0_4arch9wavefront6targetE1EEEvSK_
	.p2align	8
	.type	_ZN7rocprim17ROCPRIM_400000_NS6detail17trampoline_kernelINS0_14default_configENS1_35radix_sort_onesweep_config_selectorIiNS0_10empty_typeEEEZZNS1_29radix_sort_onesweep_iterationIS3_Lb0EN6thrust23THRUST_200600_302600_NS6detail15normal_iteratorINS9_10device_ptrIiEEEESE_PS5_SF_jNS0_19identity_decomposerENS1_16block_id_wrapperIjLb1EEEEE10hipError_tT1_PNSt15iterator_traitsISK_E10value_typeET2_T3_PNSL_ISQ_E10value_typeET4_T5_PSV_SW_PNS1_23onesweep_lookback_stateEbbT6_jjT7_P12ihipStream_tbENKUlT_T0_SK_SP_E_clISE_SE_SF_SF_EEDaS13_S14_SK_SP_EUlS13_E_NS1_11comp_targetILNS1_3genE4ELNS1_11target_archE910ELNS1_3gpuE8ELNS1_3repE0EEENS1_47radix_sort_onesweep_sort_config_static_selectorELNS0_4arch9wavefront6targetE1EEEvSK_,@function
_ZN7rocprim17ROCPRIM_400000_NS6detail17trampoline_kernelINS0_14default_configENS1_35radix_sort_onesweep_config_selectorIiNS0_10empty_typeEEEZZNS1_29radix_sort_onesweep_iterationIS3_Lb0EN6thrust23THRUST_200600_302600_NS6detail15normal_iteratorINS9_10device_ptrIiEEEESE_PS5_SF_jNS0_19identity_decomposerENS1_16block_id_wrapperIjLb1EEEEE10hipError_tT1_PNSt15iterator_traitsISK_E10value_typeET2_T3_PNSL_ISQ_E10value_typeET4_T5_PSV_SW_PNS1_23onesweep_lookback_stateEbbT6_jjT7_P12ihipStream_tbENKUlT_T0_SK_SP_E_clISE_SE_SF_SF_EEDaS13_S14_SK_SP_EUlS13_E_NS1_11comp_targetILNS1_3genE4ELNS1_11target_archE910ELNS1_3gpuE8ELNS1_3repE0EEENS1_47radix_sort_onesweep_sort_config_static_selectorELNS0_4arch9wavefront6targetE1EEEvSK_: ; @_ZN7rocprim17ROCPRIM_400000_NS6detail17trampoline_kernelINS0_14default_configENS1_35radix_sort_onesweep_config_selectorIiNS0_10empty_typeEEEZZNS1_29radix_sort_onesweep_iterationIS3_Lb0EN6thrust23THRUST_200600_302600_NS6detail15normal_iteratorINS9_10device_ptrIiEEEESE_PS5_SF_jNS0_19identity_decomposerENS1_16block_id_wrapperIjLb1EEEEE10hipError_tT1_PNSt15iterator_traitsISK_E10value_typeET2_T3_PNSL_ISQ_E10value_typeET4_T5_PSV_SW_PNS1_23onesweep_lookback_stateEbbT6_jjT7_P12ihipStream_tbENKUlT_T0_SK_SP_E_clISE_SE_SF_SF_EEDaS13_S14_SK_SP_EUlS13_E_NS1_11comp_targetILNS1_3genE4ELNS1_11target_archE910ELNS1_3gpuE8ELNS1_3repE0EEENS1_47radix_sort_onesweep_sort_config_static_selectorELNS0_4arch9wavefront6targetE1EEEvSK_
; %bb.0:
	.section	.rodata,"a",@progbits
	.p2align	6, 0x0
	.amdhsa_kernel _ZN7rocprim17ROCPRIM_400000_NS6detail17trampoline_kernelINS0_14default_configENS1_35radix_sort_onesweep_config_selectorIiNS0_10empty_typeEEEZZNS1_29radix_sort_onesweep_iterationIS3_Lb0EN6thrust23THRUST_200600_302600_NS6detail15normal_iteratorINS9_10device_ptrIiEEEESE_PS5_SF_jNS0_19identity_decomposerENS1_16block_id_wrapperIjLb1EEEEE10hipError_tT1_PNSt15iterator_traitsISK_E10value_typeET2_T3_PNSL_ISQ_E10value_typeET4_T5_PSV_SW_PNS1_23onesweep_lookback_stateEbbT6_jjT7_P12ihipStream_tbENKUlT_T0_SK_SP_E_clISE_SE_SF_SF_EEDaS13_S14_SK_SP_EUlS13_E_NS1_11comp_targetILNS1_3genE4ELNS1_11target_archE910ELNS1_3gpuE8ELNS1_3repE0EEENS1_47radix_sort_onesweep_sort_config_static_selectorELNS0_4arch9wavefront6targetE1EEEvSK_
		.amdhsa_group_segment_fixed_size 0
		.amdhsa_private_segment_fixed_size 0
		.amdhsa_kernarg_size 88
		.amdhsa_user_sgpr_count 2
		.amdhsa_user_sgpr_dispatch_ptr 0
		.amdhsa_user_sgpr_queue_ptr 0
		.amdhsa_user_sgpr_kernarg_segment_ptr 1
		.amdhsa_user_sgpr_dispatch_id 0
		.amdhsa_user_sgpr_kernarg_preload_length 0
		.amdhsa_user_sgpr_kernarg_preload_offset 0
		.amdhsa_user_sgpr_private_segment_size 0
		.amdhsa_uses_dynamic_stack 0
		.amdhsa_enable_private_segment 0
		.amdhsa_system_sgpr_workgroup_id_x 1
		.amdhsa_system_sgpr_workgroup_id_y 0
		.amdhsa_system_sgpr_workgroup_id_z 0
		.amdhsa_system_sgpr_workgroup_info 0
		.amdhsa_system_vgpr_workitem_id 0
		.amdhsa_next_free_vgpr 1
		.amdhsa_next_free_sgpr 0
		.amdhsa_accum_offset 4
		.amdhsa_reserve_vcc 0
		.amdhsa_float_round_mode_32 0
		.amdhsa_float_round_mode_16_64 0
		.amdhsa_float_denorm_mode_32 3
		.amdhsa_float_denorm_mode_16_64 3
		.amdhsa_dx10_clamp 1
		.amdhsa_ieee_mode 1
		.amdhsa_fp16_overflow 0
		.amdhsa_tg_split 0
		.amdhsa_exception_fp_ieee_invalid_op 0
		.amdhsa_exception_fp_denorm_src 0
		.amdhsa_exception_fp_ieee_div_zero 0
		.amdhsa_exception_fp_ieee_overflow 0
		.amdhsa_exception_fp_ieee_underflow 0
		.amdhsa_exception_fp_ieee_inexact 0
		.amdhsa_exception_int_div_zero 0
	.end_amdhsa_kernel
	.section	.text._ZN7rocprim17ROCPRIM_400000_NS6detail17trampoline_kernelINS0_14default_configENS1_35radix_sort_onesweep_config_selectorIiNS0_10empty_typeEEEZZNS1_29radix_sort_onesweep_iterationIS3_Lb0EN6thrust23THRUST_200600_302600_NS6detail15normal_iteratorINS9_10device_ptrIiEEEESE_PS5_SF_jNS0_19identity_decomposerENS1_16block_id_wrapperIjLb1EEEEE10hipError_tT1_PNSt15iterator_traitsISK_E10value_typeET2_T3_PNSL_ISQ_E10value_typeET4_T5_PSV_SW_PNS1_23onesweep_lookback_stateEbbT6_jjT7_P12ihipStream_tbENKUlT_T0_SK_SP_E_clISE_SE_SF_SF_EEDaS13_S14_SK_SP_EUlS13_E_NS1_11comp_targetILNS1_3genE4ELNS1_11target_archE910ELNS1_3gpuE8ELNS1_3repE0EEENS1_47radix_sort_onesweep_sort_config_static_selectorELNS0_4arch9wavefront6targetE1EEEvSK_,"axG",@progbits,_ZN7rocprim17ROCPRIM_400000_NS6detail17trampoline_kernelINS0_14default_configENS1_35radix_sort_onesweep_config_selectorIiNS0_10empty_typeEEEZZNS1_29radix_sort_onesweep_iterationIS3_Lb0EN6thrust23THRUST_200600_302600_NS6detail15normal_iteratorINS9_10device_ptrIiEEEESE_PS5_SF_jNS0_19identity_decomposerENS1_16block_id_wrapperIjLb1EEEEE10hipError_tT1_PNSt15iterator_traitsISK_E10value_typeET2_T3_PNSL_ISQ_E10value_typeET4_T5_PSV_SW_PNS1_23onesweep_lookback_stateEbbT6_jjT7_P12ihipStream_tbENKUlT_T0_SK_SP_E_clISE_SE_SF_SF_EEDaS13_S14_SK_SP_EUlS13_E_NS1_11comp_targetILNS1_3genE4ELNS1_11target_archE910ELNS1_3gpuE8ELNS1_3repE0EEENS1_47radix_sort_onesweep_sort_config_static_selectorELNS0_4arch9wavefront6targetE1EEEvSK_,comdat
.Lfunc_end163:
	.size	_ZN7rocprim17ROCPRIM_400000_NS6detail17trampoline_kernelINS0_14default_configENS1_35radix_sort_onesweep_config_selectorIiNS0_10empty_typeEEEZZNS1_29radix_sort_onesweep_iterationIS3_Lb0EN6thrust23THRUST_200600_302600_NS6detail15normal_iteratorINS9_10device_ptrIiEEEESE_PS5_SF_jNS0_19identity_decomposerENS1_16block_id_wrapperIjLb1EEEEE10hipError_tT1_PNSt15iterator_traitsISK_E10value_typeET2_T3_PNSL_ISQ_E10value_typeET4_T5_PSV_SW_PNS1_23onesweep_lookback_stateEbbT6_jjT7_P12ihipStream_tbENKUlT_T0_SK_SP_E_clISE_SE_SF_SF_EEDaS13_S14_SK_SP_EUlS13_E_NS1_11comp_targetILNS1_3genE4ELNS1_11target_archE910ELNS1_3gpuE8ELNS1_3repE0EEENS1_47radix_sort_onesweep_sort_config_static_selectorELNS0_4arch9wavefront6targetE1EEEvSK_, .Lfunc_end163-_ZN7rocprim17ROCPRIM_400000_NS6detail17trampoline_kernelINS0_14default_configENS1_35radix_sort_onesweep_config_selectorIiNS0_10empty_typeEEEZZNS1_29radix_sort_onesweep_iterationIS3_Lb0EN6thrust23THRUST_200600_302600_NS6detail15normal_iteratorINS9_10device_ptrIiEEEESE_PS5_SF_jNS0_19identity_decomposerENS1_16block_id_wrapperIjLb1EEEEE10hipError_tT1_PNSt15iterator_traitsISK_E10value_typeET2_T3_PNSL_ISQ_E10value_typeET4_T5_PSV_SW_PNS1_23onesweep_lookback_stateEbbT6_jjT7_P12ihipStream_tbENKUlT_T0_SK_SP_E_clISE_SE_SF_SF_EEDaS13_S14_SK_SP_EUlS13_E_NS1_11comp_targetILNS1_3genE4ELNS1_11target_archE910ELNS1_3gpuE8ELNS1_3repE0EEENS1_47radix_sort_onesweep_sort_config_static_selectorELNS0_4arch9wavefront6targetE1EEEvSK_
                                        ; -- End function
	.set _ZN7rocprim17ROCPRIM_400000_NS6detail17trampoline_kernelINS0_14default_configENS1_35radix_sort_onesweep_config_selectorIiNS0_10empty_typeEEEZZNS1_29radix_sort_onesweep_iterationIS3_Lb0EN6thrust23THRUST_200600_302600_NS6detail15normal_iteratorINS9_10device_ptrIiEEEESE_PS5_SF_jNS0_19identity_decomposerENS1_16block_id_wrapperIjLb1EEEEE10hipError_tT1_PNSt15iterator_traitsISK_E10value_typeET2_T3_PNSL_ISQ_E10value_typeET4_T5_PSV_SW_PNS1_23onesweep_lookback_stateEbbT6_jjT7_P12ihipStream_tbENKUlT_T0_SK_SP_E_clISE_SE_SF_SF_EEDaS13_S14_SK_SP_EUlS13_E_NS1_11comp_targetILNS1_3genE4ELNS1_11target_archE910ELNS1_3gpuE8ELNS1_3repE0EEENS1_47radix_sort_onesweep_sort_config_static_selectorELNS0_4arch9wavefront6targetE1EEEvSK_.num_vgpr, 0
	.set _ZN7rocprim17ROCPRIM_400000_NS6detail17trampoline_kernelINS0_14default_configENS1_35radix_sort_onesweep_config_selectorIiNS0_10empty_typeEEEZZNS1_29radix_sort_onesweep_iterationIS3_Lb0EN6thrust23THRUST_200600_302600_NS6detail15normal_iteratorINS9_10device_ptrIiEEEESE_PS5_SF_jNS0_19identity_decomposerENS1_16block_id_wrapperIjLb1EEEEE10hipError_tT1_PNSt15iterator_traitsISK_E10value_typeET2_T3_PNSL_ISQ_E10value_typeET4_T5_PSV_SW_PNS1_23onesweep_lookback_stateEbbT6_jjT7_P12ihipStream_tbENKUlT_T0_SK_SP_E_clISE_SE_SF_SF_EEDaS13_S14_SK_SP_EUlS13_E_NS1_11comp_targetILNS1_3genE4ELNS1_11target_archE910ELNS1_3gpuE8ELNS1_3repE0EEENS1_47radix_sort_onesweep_sort_config_static_selectorELNS0_4arch9wavefront6targetE1EEEvSK_.num_agpr, 0
	.set _ZN7rocprim17ROCPRIM_400000_NS6detail17trampoline_kernelINS0_14default_configENS1_35radix_sort_onesweep_config_selectorIiNS0_10empty_typeEEEZZNS1_29radix_sort_onesweep_iterationIS3_Lb0EN6thrust23THRUST_200600_302600_NS6detail15normal_iteratorINS9_10device_ptrIiEEEESE_PS5_SF_jNS0_19identity_decomposerENS1_16block_id_wrapperIjLb1EEEEE10hipError_tT1_PNSt15iterator_traitsISK_E10value_typeET2_T3_PNSL_ISQ_E10value_typeET4_T5_PSV_SW_PNS1_23onesweep_lookback_stateEbbT6_jjT7_P12ihipStream_tbENKUlT_T0_SK_SP_E_clISE_SE_SF_SF_EEDaS13_S14_SK_SP_EUlS13_E_NS1_11comp_targetILNS1_3genE4ELNS1_11target_archE910ELNS1_3gpuE8ELNS1_3repE0EEENS1_47radix_sort_onesweep_sort_config_static_selectorELNS0_4arch9wavefront6targetE1EEEvSK_.numbered_sgpr, 0
	.set _ZN7rocprim17ROCPRIM_400000_NS6detail17trampoline_kernelINS0_14default_configENS1_35radix_sort_onesweep_config_selectorIiNS0_10empty_typeEEEZZNS1_29radix_sort_onesweep_iterationIS3_Lb0EN6thrust23THRUST_200600_302600_NS6detail15normal_iteratorINS9_10device_ptrIiEEEESE_PS5_SF_jNS0_19identity_decomposerENS1_16block_id_wrapperIjLb1EEEEE10hipError_tT1_PNSt15iterator_traitsISK_E10value_typeET2_T3_PNSL_ISQ_E10value_typeET4_T5_PSV_SW_PNS1_23onesweep_lookback_stateEbbT6_jjT7_P12ihipStream_tbENKUlT_T0_SK_SP_E_clISE_SE_SF_SF_EEDaS13_S14_SK_SP_EUlS13_E_NS1_11comp_targetILNS1_3genE4ELNS1_11target_archE910ELNS1_3gpuE8ELNS1_3repE0EEENS1_47radix_sort_onesweep_sort_config_static_selectorELNS0_4arch9wavefront6targetE1EEEvSK_.num_named_barrier, 0
	.set _ZN7rocprim17ROCPRIM_400000_NS6detail17trampoline_kernelINS0_14default_configENS1_35radix_sort_onesweep_config_selectorIiNS0_10empty_typeEEEZZNS1_29radix_sort_onesweep_iterationIS3_Lb0EN6thrust23THRUST_200600_302600_NS6detail15normal_iteratorINS9_10device_ptrIiEEEESE_PS5_SF_jNS0_19identity_decomposerENS1_16block_id_wrapperIjLb1EEEEE10hipError_tT1_PNSt15iterator_traitsISK_E10value_typeET2_T3_PNSL_ISQ_E10value_typeET4_T5_PSV_SW_PNS1_23onesweep_lookback_stateEbbT6_jjT7_P12ihipStream_tbENKUlT_T0_SK_SP_E_clISE_SE_SF_SF_EEDaS13_S14_SK_SP_EUlS13_E_NS1_11comp_targetILNS1_3genE4ELNS1_11target_archE910ELNS1_3gpuE8ELNS1_3repE0EEENS1_47radix_sort_onesweep_sort_config_static_selectorELNS0_4arch9wavefront6targetE1EEEvSK_.private_seg_size, 0
	.set _ZN7rocprim17ROCPRIM_400000_NS6detail17trampoline_kernelINS0_14default_configENS1_35radix_sort_onesweep_config_selectorIiNS0_10empty_typeEEEZZNS1_29radix_sort_onesweep_iterationIS3_Lb0EN6thrust23THRUST_200600_302600_NS6detail15normal_iteratorINS9_10device_ptrIiEEEESE_PS5_SF_jNS0_19identity_decomposerENS1_16block_id_wrapperIjLb1EEEEE10hipError_tT1_PNSt15iterator_traitsISK_E10value_typeET2_T3_PNSL_ISQ_E10value_typeET4_T5_PSV_SW_PNS1_23onesweep_lookback_stateEbbT6_jjT7_P12ihipStream_tbENKUlT_T0_SK_SP_E_clISE_SE_SF_SF_EEDaS13_S14_SK_SP_EUlS13_E_NS1_11comp_targetILNS1_3genE4ELNS1_11target_archE910ELNS1_3gpuE8ELNS1_3repE0EEENS1_47radix_sort_onesweep_sort_config_static_selectorELNS0_4arch9wavefront6targetE1EEEvSK_.uses_vcc, 0
	.set _ZN7rocprim17ROCPRIM_400000_NS6detail17trampoline_kernelINS0_14default_configENS1_35radix_sort_onesweep_config_selectorIiNS0_10empty_typeEEEZZNS1_29radix_sort_onesweep_iterationIS3_Lb0EN6thrust23THRUST_200600_302600_NS6detail15normal_iteratorINS9_10device_ptrIiEEEESE_PS5_SF_jNS0_19identity_decomposerENS1_16block_id_wrapperIjLb1EEEEE10hipError_tT1_PNSt15iterator_traitsISK_E10value_typeET2_T3_PNSL_ISQ_E10value_typeET4_T5_PSV_SW_PNS1_23onesweep_lookback_stateEbbT6_jjT7_P12ihipStream_tbENKUlT_T0_SK_SP_E_clISE_SE_SF_SF_EEDaS13_S14_SK_SP_EUlS13_E_NS1_11comp_targetILNS1_3genE4ELNS1_11target_archE910ELNS1_3gpuE8ELNS1_3repE0EEENS1_47radix_sort_onesweep_sort_config_static_selectorELNS0_4arch9wavefront6targetE1EEEvSK_.uses_flat_scratch, 0
	.set _ZN7rocprim17ROCPRIM_400000_NS6detail17trampoline_kernelINS0_14default_configENS1_35radix_sort_onesweep_config_selectorIiNS0_10empty_typeEEEZZNS1_29radix_sort_onesweep_iterationIS3_Lb0EN6thrust23THRUST_200600_302600_NS6detail15normal_iteratorINS9_10device_ptrIiEEEESE_PS5_SF_jNS0_19identity_decomposerENS1_16block_id_wrapperIjLb1EEEEE10hipError_tT1_PNSt15iterator_traitsISK_E10value_typeET2_T3_PNSL_ISQ_E10value_typeET4_T5_PSV_SW_PNS1_23onesweep_lookback_stateEbbT6_jjT7_P12ihipStream_tbENKUlT_T0_SK_SP_E_clISE_SE_SF_SF_EEDaS13_S14_SK_SP_EUlS13_E_NS1_11comp_targetILNS1_3genE4ELNS1_11target_archE910ELNS1_3gpuE8ELNS1_3repE0EEENS1_47radix_sort_onesweep_sort_config_static_selectorELNS0_4arch9wavefront6targetE1EEEvSK_.has_dyn_sized_stack, 0
	.set _ZN7rocprim17ROCPRIM_400000_NS6detail17trampoline_kernelINS0_14default_configENS1_35radix_sort_onesweep_config_selectorIiNS0_10empty_typeEEEZZNS1_29radix_sort_onesweep_iterationIS3_Lb0EN6thrust23THRUST_200600_302600_NS6detail15normal_iteratorINS9_10device_ptrIiEEEESE_PS5_SF_jNS0_19identity_decomposerENS1_16block_id_wrapperIjLb1EEEEE10hipError_tT1_PNSt15iterator_traitsISK_E10value_typeET2_T3_PNSL_ISQ_E10value_typeET4_T5_PSV_SW_PNS1_23onesweep_lookback_stateEbbT6_jjT7_P12ihipStream_tbENKUlT_T0_SK_SP_E_clISE_SE_SF_SF_EEDaS13_S14_SK_SP_EUlS13_E_NS1_11comp_targetILNS1_3genE4ELNS1_11target_archE910ELNS1_3gpuE8ELNS1_3repE0EEENS1_47radix_sort_onesweep_sort_config_static_selectorELNS0_4arch9wavefront6targetE1EEEvSK_.has_recursion, 0
	.set _ZN7rocprim17ROCPRIM_400000_NS6detail17trampoline_kernelINS0_14default_configENS1_35radix_sort_onesweep_config_selectorIiNS0_10empty_typeEEEZZNS1_29radix_sort_onesweep_iterationIS3_Lb0EN6thrust23THRUST_200600_302600_NS6detail15normal_iteratorINS9_10device_ptrIiEEEESE_PS5_SF_jNS0_19identity_decomposerENS1_16block_id_wrapperIjLb1EEEEE10hipError_tT1_PNSt15iterator_traitsISK_E10value_typeET2_T3_PNSL_ISQ_E10value_typeET4_T5_PSV_SW_PNS1_23onesweep_lookback_stateEbbT6_jjT7_P12ihipStream_tbENKUlT_T0_SK_SP_E_clISE_SE_SF_SF_EEDaS13_S14_SK_SP_EUlS13_E_NS1_11comp_targetILNS1_3genE4ELNS1_11target_archE910ELNS1_3gpuE8ELNS1_3repE0EEENS1_47radix_sort_onesweep_sort_config_static_selectorELNS0_4arch9wavefront6targetE1EEEvSK_.has_indirect_call, 0
	.section	.AMDGPU.csdata,"",@progbits
; Kernel info:
; codeLenInByte = 0
; TotalNumSgprs: 6
; NumVgprs: 0
; NumAgprs: 0
; TotalNumVgprs: 0
; ScratchSize: 0
; MemoryBound: 0
; FloatMode: 240
; IeeeMode: 1
; LDSByteSize: 0 bytes/workgroup (compile time only)
; SGPRBlocks: 0
; VGPRBlocks: 0
; NumSGPRsForWavesPerEU: 6
; NumVGPRsForWavesPerEU: 1
; AccumOffset: 4
; Occupancy: 8
; WaveLimiterHint : 0
; COMPUTE_PGM_RSRC2:SCRATCH_EN: 0
; COMPUTE_PGM_RSRC2:USER_SGPR: 2
; COMPUTE_PGM_RSRC2:TRAP_HANDLER: 0
; COMPUTE_PGM_RSRC2:TGID_X_EN: 1
; COMPUTE_PGM_RSRC2:TGID_Y_EN: 0
; COMPUTE_PGM_RSRC2:TGID_Z_EN: 0
; COMPUTE_PGM_RSRC2:TIDIG_COMP_CNT: 0
; COMPUTE_PGM_RSRC3_GFX90A:ACCUM_OFFSET: 0
; COMPUTE_PGM_RSRC3_GFX90A:TG_SPLIT: 0
	.section	.text._ZN7rocprim17ROCPRIM_400000_NS6detail17trampoline_kernelINS0_14default_configENS1_35radix_sort_onesweep_config_selectorIiNS0_10empty_typeEEEZZNS1_29radix_sort_onesweep_iterationIS3_Lb0EN6thrust23THRUST_200600_302600_NS6detail15normal_iteratorINS9_10device_ptrIiEEEESE_PS5_SF_jNS0_19identity_decomposerENS1_16block_id_wrapperIjLb1EEEEE10hipError_tT1_PNSt15iterator_traitsISK_E10value_typeET2_T3_PNSL_ISQ_E10value_typeET4_T5_PSV_SW_PNS1_23onesweep_lookback_stateEbbT6_jjT7_P12ihipStream_tbENKUlT_T0_SK_SP_E_clISE_SE_SF_SF_EEDaS13_S14_SK_SP_EUlS13_E_NS1_11comp_targetILNS1_3genE3ELNS1_11target_archE908ELNS1_3gpuE7ELNS1_3repE0EEENS1_47radix_sort_onesweep_sort_config_static_selectorELNS0_4arch9wavefront6targetE1EEEvSK_,"axG",@progbits,_ZN7rocprim17ROCPRIM_400000_NS6detail17trampoline_kernelINS0_14default_configENS1_35radix_sort_onesweep_config_selectorIiNS0_10empty_typeEEEZZNS1_29radix_sort_onesweep_iterationIS3_Lb0EN6thrust23THRUST_200600_302600_NS6detail15normal_iteratorINS9_10device_ptrIiEEEESE_PS5_SF_jNS0_19identity_decomposerENS1_16block_id_wrapperIjLb1EEEEE10hipError_tT1_PNSt15iterator_traitsISK_E10value_typeET2_T3_PNSL_ISQ_E10value_typeET4_T5_PSV_SW_PNS1_23onesweep_lookback_stateEbbT6_jjT7_P12ihipStream_tbENKUlT_T0_SK_SP_E_clISE_SE_SF_SF_EEDaS13_S14_SK_SP_EUlS13_E_NS1_11comp_targetILNS1_3genE3ELNS1_11target_archE908ELNS1_3gpuE7ELNS1_3repE0EEENS1_47radix_sort_onesweep_sort_config_static_selectorELNS0_4arch9wavefront6targetE1EEEvSK_,comdat
	.protected	_ZN7rocprim17ROCPRIM_400000_NS6detail17trampoline_kernelINS0_14default_configENS1_35radix_sort_onesweep_config_selectorIiNS0_10empty_typeEEEZZNS1_29radix_sort_onesweep_iterationIS3_Lb0EN6thrust23THRUST_200600_302600_NS6detail15normal_iteratorINS9_10device_ptrIiEEEESE_PS5_SF_jNS0_19identity_decomposerENS1_16block_id_wrapperIjLb1EEEEE10hipError_tT1_PNSt15iterator_traitsISK_E10value_typeET2_T3_PNSL_ISQ_E10value_typeET4_T5_PSV_SW_PNS1_23onesweep_lookback_stateEbbT6_jjT7_P12ihipStream_tbENKUlT_T0_SK_SP_E_clISE_SE_SF_SF_EEDaS13_S14_SK_SP_EUlS13_E_NS1_11comp_targetILNS1_3genE3ELNS1_11target_archE908ELNS1_3gpuE7ELNS1_3repE0EEENS1_47radix_sort_onesweep_sort_config_static_selectorELNS0_4arch9wavefront6targetE1EEEvSK_ ; -- Begin function _ZN7rocprim17ROCPRIM_400000_NS6detail17trampoline_kernelINS0_14default_configENS1_35radix_sort_onesweep_config_selectorIiNS0_10empty_typeEEEZZNS1_29radix_sort_onesweep_iterationIS3_Lb0EN6thrust23THRUST_200600_302600_NS6detail15normal_iteratorINS9_10device_ptrIiEEEESE_PS5_SF_jNS0_19identity_decomposerENS1_16block_id_wrapperIjLb1EEEEE10hipError_tT1_PNSt15iterator_traitsISK_E10value_typeET2_T3_PNSL_ISQ_E10value_typeET4_T5_PSV_SW_PNS1_23onesweep_lookback_stateEbbT6_jjT7_P12ihipStream_tbENKUlT_T0_SK_SP_E_clISE_SE_SF_SF_EEDaS13_S14_SK_SP_EUlS13_E_NS1_11comp_targetILNS1_3genE3ELNS1_11target_archE908ELNS1_3gpuE7ELNS1_3repE0EEENS1_47radix_sort_onesweep_sort_config_static_selectorELNS0_4arch9wavefront6targetE1EEEvSK_
	.globl	_ZN7rocprim17ROCPRIM_400000_NS6detail17trampoline_kernelINS0_14default_configENS1_35radix_sort_onesweep_config_selectorIiNS0_10empty_typeEEEZZNS1_29radix_sort_onesweep_iterationIS3_Lb0EN6thrust23THRUST_200600_302600_NS6detail15normal_iteratorINS9_10device_ptrIiEEEESE_PS5_SF_jNS0_19identity_decomposerENS1_16block_id_wrapperIjLb1EEEEE10hipError_tT1_PNSt15iterator_traitsISK_E10value_typeET2_T3_PNSL_ISQ_E10value_typeET4_T5_PSV_SW_PNS1_23onesweep_lookback_stateEbbT6_jjT7_P12ihipStream_tbENKUlT_T0_SK_SP_E_clISE_SE_SF_SF_EEDaS13_S14_SK_SP_EUlS13_E_NS1_11comp_targetILNS1_3genE3ELNS1_11target_archE908ELNS1_3gpuE7ELNS1_3repE0EEENS1_47radix_sort_onesweep_sort_config_static_selectorELNS0_4arch9wavefront6targetE1EEEvSK_
	.p2align	8
	.type	_ZN7rocprim17ROCPRIM_400000_NS6detail17trampoline_kernelINS0_14default_configENS1_35radix_sort_onesweep_config_selectorIiNS0_10empty_typeEEEZZNS1_29radix_sort_onesweep_iterationIS3_Lb0EN6thrust23THRUST_200600_302600_NS6detail15normal_iteratorINS9_10device_ptrIiEEEESE_PS5_SF_jNS0_19identity_decomposerENS1_16block_id_wrapperIjLb1EEEEE10hipError_tT1_PNSt15iterator_traitsISK_E10value_typeET2_T3_PNSL_ISQ_E10value_typeET4_T5_PSV_SW_PNS1_23onesweep_lookback_stateEbbT6_jjT7_P12ihipStream_tbENKUlT_T0_SK_SP_E_clISE_SE_SF_SF_EEDaS13_S14_SK_SP_EUlS13_E_NS1_11comp_targetILNS1_3genE3ELNS1_11target_archE908ELNS1_3gpuE7ELNS1_3repE0EEENS1_47radix_sort_onesweep_sort_config_static_selectorELNS0_4arch9wavefront6targetE1EEEvSK_,@function
_ZN7rocprim17ROCPRIM_400000_NS6detail17trampoline_kernelINS0_14default_configENS1_35radix_sort_onesweep_config_selectorIiNS0_10empty_typeEEEZZNS1_29radix_sort_onesweep_iterationIS3_Lb0EN6thrust23THRUST_200600_302600_NS6detail15normal_iteratorINS9_10device_ptrIiEEEESE_PS5_SF_jNS0_19identity_decomposerENS1_16block_id_wrapperIjLb1EEEEE10hipError_tT1_PNSt15iterator_traitsISK_E10value_typeET2_T3_PNSL_ISQ_E10value_typeET4_T5_PSV_SW_PNS1_23onesweep_lookback_stateEbbT6_jjT7_P12ihipStream_tbENKUlT_T0_SK_SP_E_clISE_SE_SF_SF_EEDaS13_S14_SK_SP_EUlS13_E_NS1_11comp_targetILNS1_3genE3ELNS1_11target_archE908ELNS1_3gpuE7ELNS1_3repE0EEENS1_47radix_sort_onesweep_sort_config_static_selectorELNS0_4arch9wavefront6targetE1EEEvSK_: ; @_ZN7rocprim17ROCPRIM_400000_NS6detail17trampoline_kernelINS0_14default_configENS1_35radix_sort_onesweep_config_selectorIiNS0_10empty_typeEEEZZNS1_29radix_sort_onesweep_iterationIS3_Lb0EN6thrust23THRUST_200600_302600_NS6detail15normal_iteratorINS9_10device_ptrIiEEEESE_PS5_SF_jNS0_19identity_decomposerENS1_16block_id_wrapperIjLb1EEEEE10hipError_tT1_PNSt15iterator_traitsISK_E10value_typeET2_T3_PNSL_ISQ_E10value_typeET4_T5_PSV_SW_PNS1_23onesweep_lookback_stateEbbT6_jjT7_P12ihipStream_tbENKUlT_T0_SK_SP_E_clISE_SE_SF_SF_EEDaS13_S14_SK_SP_EUlS13_E_NS1_11comp_targetILNS1_3genE3ELNS1_11target_archE908ELNS1_3gpuE7ELNS1_3repE0EEENS1_47radix_sort_onesweep_sort_config_static_selectorELNS0_4arch9wavefront6targetE1EEEvSK_
; %bb.0:
	.section	.rodata,"a",@progbits
	.p2align	6, 0x0
	.amdhsa_kernel _ZN7rocprim17ROCPRIM_400000_NS6detail17trampoline_kernelINS0_14default_configENS1_35radix_sort_onesweep_config_selectorIiNS0_10empty_typeEEEZZNS1_29radix_sort_onesweep_iterationIS3_Lb0EN6thrust23THRUST_200600_302600_NS6detail15normal_iteratorINS9_10device_ptrIiEEEESE_PS5_SF_jNS0_19identity_decomposerENS1_16block_id_wrapperIjLb1EEEEE10hipError_tT1_PNSt15iterator_traitsISK_E10value_typeET2_T3_PNSL_ISQ_E10value_typeET4_T5_PSV_SW_PNS1_23onesweep_lookback_stateEbbT6_jjT7_P12ihipStream_tbENKUlT_T0_SK_SP_E_clISE_SE_SF_SF_EEDaS13_S14_SK_SP_EUlS13_E_NS1_11comp_targetILNS1_3genE3ELNS1_11target_archE908ELNS1_3gpuE7ELNS1_3repE0EEENS1_47radix_sort_onesweep_sort_config_static_selectorELNS0_4arch9wavefront6targetE1EEEvSK_
		.amdhsa_group_segment_fixed_size 0
		.amdhsa_private_segment_fixed_size 0
		.amdhsa_kernarg_size 88
		.amdhsa_user_sgpr_count 2
		.amdhsa_user_sgpr_dispatch_ptr 0
		.amdhsa_user_sgpr_queue_ptr 0
		.amdhsa_user_sgpr_kernarg_segment_ptr 1
		.amdhsa_user_sgpr_dispatch_id 0
		.amdhsa_user_sgpr_kernarg_preload_length 0
		.amdhsa_user_sgpr_kernarg_preload_offset 0
		.amdhsa_user_sgpr_private_segment_size 0
		.amdhsa_uses_dynamic_stack 0
		.amdhsa_enable_private_segment 0
		.amdhsa_system_sgpr_workgroup_id_x 1
		.amdhsa_system_sgpr_workgroup_id_y 0
		.amdhsa_system_sgpr_workgroup_id_z 0
		.amdhsa_system_sgpr_workgroup_info 0
		.amdhsa_system_vgpr_workitem_id 0
		.amdhsa_next_free_vgpr 1
		.amdhsa_next_free_sgpr 0
		.amdhsa_accum_offset 4
		.amdhsa_reserve_vcc 0
		.amdhsa_float_round_mode_32 0
		.amdhsa_float_round_mode_16_64 0
		.amdhsa_float_denorm_mode_32 3
		.amdhsa_float_denorm_mode_16_64 3
		.amdhsa_dx10_clamp 1
		.amdhsa_ieee_mode 1
		.amdhsa_fp16_overflow 0
		.amdhsa_tg_split 0
		.amdhsa_exception_fp_ieee_invalid_op 0
		.amdhsa_exception_fp_denorm_src 0
		.amdhsa_exception_fp_ieee_div_zero 0
		.amdhsa_exception_fp_ieee_overflow 0
		.amdhsa_exception_fp_ieee_underflow 0
		.amdhsa_exception_fp_ieee_inexact 0
		.amdhsa_exception_int_div_zero 0
	.end_amdhsa_kernel
	.section	.text._ZN7rocprim17ROCPRIM_400000_NS6detail17trampoline_kernelINS0_14default_configENS1_35radix_sort_onesweep_config_selectorIiNS0_10empty_typeEEEZZNS1_29radix_sort_onesweep_iterationIS3_Lb0EN6thrust23THRUST_200600_302600_NS6detail15normal_iteratorINS9_10device_ptrIiEEEESE_PS5_SF_jNS0_19identity_decomposerENS1_16block_id_wrapperIjLb1EEEEE10hipError_tT1_PNSt15iterator_traitsISK_E10value_typeET2_T3_PNSL_ISQ_E10value_typeET4_T5_PSV_SW_PNS1_23onesweep_lookback_stateEbbT6_jjT7_P12ihipStream_tbENKUlT_T0_SK_SP_E_clISE_SE_SF_SF_EEDaS13_S14_SK_SP_EUlS13_E_NS1_11comp_targetILNS1_3genE3ELNS1_11target_archE908ELNS1_3gpuE7ELNS1_3repE0EEENS1_47radix_sort_onesweep_sort_config_static_selectorELNS0_4arch9wavefront6targetE1EEEvSK_,"axG",@progbits,_ZN7rocprim17ROCPRIM_400000_NS6detail17trampoline_kernelINS0_14default_configENS1_35radix_sort_onesweep_config_selectorIiNS0_10empty_typeEEEZZNS1_29radix_sort_onesweep_iterationIS3_Lb0EN6thrust23THRUST_200600_302600_NS6detail15normal_iteratorINS9_10device_ptrIiEEEESE_PS5_SF_jNS0_19identity_decomposerENS1_16block_id_wrapperIjLb1EEEEE10hipError_tT1_PNSt15iterator_traitsISK_E10value_typeET2_T3_PNSL_ISQ_E10value_typeET4_T5_PSV_SW_PNS1_23onesweep_lookback_stateEbbT6_jjT7_P12ihipStream_tbENKUlT_T0_SK_SP_E_clISE_SE_SF_SF_EEDaS13_S14_SK_SP_EUlS13_E_NS1_11comp_targetILNS1_3genE3ELNS1_11target_archE908ELNS1_3gpuE7ELNS1_3repE0EEENS1_47radix_sort_onesweep_sort_config_static_selectorELNS0_4arch9wavefront6targetE1EEEvSK_,comdat
.Lfunc_end164:
	.size	_ZN7rocprim17ROCPRIM_400000_NS6detail17trampoline_kernelINS0_14default_configENS1_35radix_sort_onesweep_config_selectorIiNS0_10empty_typeEEEZZNS1_29radix_sort_onesweep_iterationIS3_Lb0EN6thrust23THRUST_200600_302600_NS6detail15normal_iteratorINS9_10device_ptrIiEEEESE_PS5_SF_jNS0_19identity_decomposerENS1_16block_id_wrapperIjLb1EEEEE10hipError_tT1_PNSt15iterator_traitsISK_E10value_typeET2_T3_PNSL_ISQ_E10value_typeET4_T5_PSV_SW_PNS1_23onesweep_lookback_stateEbbT6_jjT7_P12ihipStream_tbENKUlT_T0_SK_SP_E_clISE_SE_SF_SF_EEDaS13_S14_SK_SP_EUlS13_E_NS1_11comp_targetILNS1_3genE3ELNS1_11target_archE908ELNS1_3gpuE7ELNS1_3repE0EEENS1_47radix_sort_onesweep_sort_config_static_selectorELNS0_4arch9wavefront6targetE1EEEvSK_, .Lfunc_end164-_ZN7rocprim17ROCPRIM_400000_NS6detail17trampoline_kernelINS0_14default_configENS1_35radix_sort_onesweep_config_selectorIiNS0_10empty_typeEEEZZNS1_29radix_sort_onesweep_iterationIS3_Lb0EN6thrust23THRUST_200600_302600_NS6detail15normal_iteratorINS9_10device_ptrIiEEEESE_PS5_SF_jNS0_19identity_decomposerENS1_16block_id_wrapperIjLb1EEEEE10hipError_tT1_PNSt15iterator_traitsISK_E10value_typeET2_T3_PNSL_ISQ_E10value_typeET4_T5_PSV_SW_PNS1_23onesweep_lookback_stateEbbT6_jjT7_P12ihipStream_tbENKUlT_T0_SK_SP_E_clISE_SE_SF_SF_EEDaS13_S14_SK_SP_EUlS13_E_NS1_11comp_targetILNS1_3genE3ELNS1_11target_archE908ELNS1_3gpuE7ELNS1_3repE0EEENS1_47radix_sort_onesweep_sort_config_static_selectorELNS0_4arch9wavefront6targetE1EEEvSK_
                                        ; -- End function
	.set _ZN7rocprim17ROCPRIM_400000_NS6detail17trampoline_kernelINS0_14default_configENS1_35radix_sort_onesweep_config_selectorIiNS0_10empty_typeEEEZZNS1_29radix_sort_onesweep_iterationIS3_Lb0EN6thrust23THRUST_200600_302600_NS6detail15normal_iteratorINS9_10device_ptrIiEEEESE_PS5_SF_jNS0_19identity_decomposerENS1_16block_id_wrapperIjLb1EEEEE10hipError_tT1_PNSt15iterator_traitsISK_E10value_typeET2_T3_PNSL_ISQ_E10value_typeET4_T5_PSV_SW_PNS1_23onesweep_lookback_stateEbbT6_jjT7_P12ihipStream_tbENKUlT_T0_SK_SP_E_clISE_SE_SF_SF_EEDaS13_S14_SK_SP_EUlS13_E_NS1_11comp_targetILNS1_3genE3ELNS1_11target_archE908ELNS1_3gpuE7ELNS1_3repE0EEENS1_47radix_sort_onesweep_sort_config_static_selectorELNS0_4arch9wavefront6targetE1EEEvSK_.num_vgpr, 0
	.set _ZN7rocprim17ROCPRIM_400000_NS6detail17trampoline_kernelINS0_14default_configENS1_35radix_sort_onesweep_config_selectorIiNS0_10empty_typeEEEZZNS1_29radix_sort_onesweep_iterationIS3_Lb0EN6thrust23THRUST_200600_302600_NS6detail15normal_iteratorINS9_10device_ptrIiEEEESE_PS5_SF_jNS0_19identity_decomposerENS1_16block_id_wrapperIjLb1EEEEE10hipError_tT1_PNSt15iterator_traitsISK_E10value_typeET2_T3_PNSL_ISQ_E10value_typeET4_T5_PSV_SW_PNS1_23onesweep_lookback_stateEbbT6_jjT7_P12ihipStream_tbENKUlT_T0_SK_SP_E_clISE_SE_SF_SF_EEDaS13_S14_SK_SP_EUlS13_E_NS1_11comp_targetILNS1_3genE3ELNS1_11target_archE908ELNS1_3gpuE7ELNS1_3repE0EEENS1_47radix_sort_onesweep_sort_config_static_selectorELNS0_4arch9wavefront6targetE1EEEvSK_.num_agpr, 0
	.set _ZN7rocprim17ROCPRIM_400000_NS6detail17trampoline_kernelINS0_14default_configENS1_35radix_sort_onesweep_config_selectorIiNS0_10empty_typeEEEZZNS1_29radix_sort_onesweep_iterationIS3_Lb0EN6thrust23THRUST_200600_302600_NS6detail15normal_iteratorINS9_10device_ptrIiEEEESE_PS5_SF_jNS0_19identity_decomposerENS1_16block_id_wrapperIjLb1EEEEE10hipError_tT1_PNSt15iterator_traitsISK_E10value_typeET2_T3_PNSL_ISQ_E10value_typeET4_T5_PSV_SW_PNS1_23onesweep_lookback_stateEbbT6_jjT7_P12ihipStream_tbENKUlT_T0_SK_SP_E_clISE_SE_SF_SF_EEDaS13_S14_SK_SP_EUlS13_E_NS1_11comp_targetILNS1_3genE3ELNS1_11target_archE908ELNS1_3gpuE7ELNS1_3repE0EEENS1_47radix_sort_onesweep_sort_config_static_selectorELNS0_4arch9wavefront6targetE1EEEvSK_.numbered_sgpr, 0
	.set _ZN7rocprim17ROCPRIM_400000_NS6detail17trampoline_kernelINS0_14default_configENS1_35radix_sort_onesweep_config_selectorIiNS0_10empty_typeEEEZZNS1_29radix_sort_onesweep_iterationIS3_Lb0EN6thrust23THRUST_200600_302600_NS6detail15normal_iteratorINS9_10device_ptrIiEEEESE_PS5_SF_jNS0_19identity_decomposerENS1_16block_id_wrapperIjLb1EEEEE10hipError_tT1_PNSt15iterator_traitsISK_E10value_typeET2_T3_PNSL_ISQ_E10value_typeET4_T5_PSV_SW_PNS1_23onesweep_lookback_stateEbbT6_jjT7_P12ihipStream_tbENKUlT_T0_SK_SP_E_clISE_SE_SF_SF_EEDaS13_S14_SK_SP_EUlS13_E_NS1_11comp_targetILNS1_3genE3ELNS1_11target_archE908ELNS1_3gpuE7ELNS1_3repE0EEENS1_47radix_sort_onesweep_sort_config_static_selectorELNS0_4arch9wavefront6targetE1EEEvSK_.num_named_barrier, 0
	.set _ZN7rocprim17ROCPRIM_400000_NS6detail17trampoline_kernelINS0_14default_configENS1_35radix_sort_onesweep_config_selectorIiNS0_10empty_typeEEEZZNS1_29radix_sort_onesweep_iterationIS3_Lb0EN6thrust23THRUST_200600_302600_NS6detail15normal_iteratorINS9_10device_ptrIiEEEESE_PS5_SF_jNS0_19identity_decomposerENS1_16block_id_wrapperIjLb1EEEEE10hipError_tT1_PNSt15iterator_traitsISK_E10value_typeET2_T3_PNSL_ISQ_E10value_typeET4_T5_PSV_SW_PNS1_23onesweep_lookback_stateEbbT6_jjT7_P12ihipStream_tbENKUlT_T0_SK_SP_E_clISE_SE_SF_SF_EEDaS13_S14_SK_SP_EUlS13_E_NS1_11comp_targetILNS1_3genE3ELNS1_11target_archE908ELNS1_3gpuE7ELNS1_3repE0EEENS1_47radix_sort_onesweep_sort_config_static_selectorELNS0_4arch9wavefront6targetE1EEEvSK_.private_seg_size, 0
	.set _ZN7rocprim17ROCPRIM_400000_NS6detail17trampoline_kernelINS0_14default_configENS1_35radix_sort_onesweep_config_selectorIiNS0_10empty_typeEEEZZNS1_29radix_sort_onesweep_iterationIS3_Lb0EN6thrust23THRUST_200600_302600_NS6detail15normal_iteratorINS9_10device_ptrIiEEEESE_PS5_SF_jNS0_19identity_decomposerENS1_16block_id_wrapperIjLb1EEEEE10hipError_tT1_PNSt15iterator_traitsISK_E10value_typeET2_T3_PNSL_ISQ_E10value_typeET4_T5_PSV_SW_PNS1_23onesweep_lookback_stateEbbT6_jjT7_P12ihipStream_tbENKUlT_T0_SK_SP_E_clISE_SE_SF_SF_EEDaS13_S14_SK_SP_EUlS13_E_NS1_11comp_targetILNS1_3genE3ELNS1_11target_archE908ELNS1_3gpuE7ELNS1_3repE0EEENS1_47radix_sort_onesweep_sort_config_static_selectorELNS0_4arch9wavefront6targetE1EEEvSK_.uses_vcc, 0
	.set _ZN7rocprim17ROCPRIM_400000_NS6detail17trampoline_kernelINS0_14default_configENS1_35radix_sort_onesweep_config_selectorIiNS0_10empty_typeEEEZZNS1_29radix_sort_onesweep_iterationIS3_Lb0EN6thrust23THRUST_200600_302600_NS6detail15normal_iteratorINS9_10device_ptrIiEEEESE_PS5_SF_jNS0_19identity_decomposerENS1_16block_id_wrapperIjLb1EEEEE10hipError_tT1_PNSt15iterator_traitsISK_E10value_typeET2_T3_PNSL_ISQ_E10value_typeET4_T5_PSV_SW_PNS1_23onesweep_lookback_stateEbbT6_jjT7_P12ihipStream_tbENKUlT_T0_SK_SP_E_clISE_SE_SF_SF_EEDaS13_S14_SK_SP_EUlS13_E_NS1_11comp_targetILNS1_3genE3ELNS1_11target_archE908ELNS1_3gpuE7ELNS1_3repE0EEENS1_47radix_sort_onesweep_sort_config_static_selectorELNS0_4arch9wavefront6targetE1EEEvSK_.uses_flat_scratch, 0
	.set _ZN7rocprim17ROCPRIM_400000_NS6detail17trampoline_kernelINS0_14default_configENS1_35radix_sort_onesweep_config_selectorIiNS0_10empty_typeEEEZZNS1_29radix_sort_onesweep_iterationIS3_Lb0EN6thrust23THRUST_200600_302600_NS6detail15normal_iteratorINS9_10device_ptrIiEEEESE_PS5_SF_jNS0_19identity_decomposerENS1_16block_id_wrapperIjLb1EEEEE10hipError_tT1_PNSt15iterator_traitsISK_E10value_typeET2_T3_PNSL_ISQ_E10value_typeET4_T5_PSV_SW_PNS1_23onesweep_lookback_stateEbbT6_jjT7_P12ihipStream_tbENKUlT_T0_SK_SP_E_clISE_SE_SF_SF_EEDaS13_S14_SK_SP_EUlS13_E_NS1_11comp_targetILNS1_3genE3ELNS1_11target_archE908ELNS1_3gpuE7ELNS1_3repE0EEENS1_47radix_sort_onesweep_sort_config_static_selectorELNS0_4arch9wavefront6targetE1EEEvSK_.has_dyn_sized_stack, 0
	.set _ZN7rocprim17ROCPRIM_400000_NS6detail17trampoline_kernelINS0_14default_configENS1_35radix_sort_onesweep_config_selectorIiNS0_10empty_typeEEEZZNS1_29radix_sort_onesweep_iterationIS3_Lb0EN6thrust23THRUST_200600_302600_NS6detail15normal_iteratorINS9_10device_ptrIiEEEESE_PS5_SF_jNS0_19identity_decomposerENS1_16block_id_wrapperIjLb1EEEEE10hipError_tT1_PNSt15iterator_traitsISK_E10value_typeET2_T3_PNSL_ISQ_E10value_typeET4_T5_PSV_SW_PNS1_23onesweep_lookback_stateEbbT6_jjT7_P12ihipStream_tbENKUlT_T0_SK_SP_E_clISE_SE_SF_SF_EEDaS13_S14_SK_SP_EUlS13_E_NS1_11comp_targetILNS1_3genE3ELNS1_11target_archE908ELNS1_3gpuE7ELNS1_3repE0EEENS1_47radix_sort_onesweep_sort_config_static_selectorELNS0_4arch9wavefront6targetE1EEEvSK_.has_recursion, 0
	.set _ZN7rocprim17ROCPRIM_400000_NS6detail17trampoline_kernelINS0_14default_configENS1_35radix_sort_onesweep_config_selectorIiNS0_10empty_typeEEEZZNS1_29radix_sort_onesweep_iterationIS3_Lb0EN6thrust23THRUST_200600_302600_NS6detail15normal_iteratorINS9_10device_ptrIiEEEESE_PS5_SF_jNS0_19identity_decomposerENS1_16block_id_wrapperIjLb1EEEEE10hipError_tT1_PNSt15iterator_traitsISK_E10value_typeET2_T3_PNSL_ISQ_E10value_typeET4_T5_PSV_SW_PNS1_23onesweep_lookback_stateEbbT6_jjT7_P12ihipStream_tbENKUlT_T0_SK_SP_E_clISE_SE_SF_SF_EEDaS13_S14_SK_SP_EUlS13_E_NS1_11comp_targetILNS1_3genE3ELNS1_11target_archE908ELNS1_3gpuE7ELNS1_3repE0EEENS1_47radix_sort_onesweep_sort_config_static_selectorELNS0_4arch9wavefront6targetE1EEEvSK_.has_indirect_call, 0
	.section	.AMDGPU.csdata,"",@progbits
; Kernel info:
; codeLenInByte = 0
; TotalNumSgprs: 6
; NumVgprs: 0
; NumAgprs: 0
; TotalNumVgprs: 0
; ScratchSize: 0
; MemoryBound: 0
; FloatMode: 240
; IeeeMode: 1
; LDSByteSize: 0 bytes/workgroup (compile time only)
; SGPRBlocks: 0
; VGPRBlocks: 0
; NumSGPRsForWavesPerEU: 6
; NumVGPRsForWavesPerEU: 1
; AccumOffset: 4
; Occupancy: 8
; WaveLimiterHint : 0
; COMPUTE_PGM_RSRC2:SCRATCH_EN: 0
; COMPUTE_PGM_RSRC2:USER_SGPR: 2
; COMPUTE_PGM_RSRC2:TRAP_HANDLER: 0
; COMPUTE_PGM_RSRC2:TGID_X_EN: 1
; COMPUTE_PGM_RSRC2:TGID_Y_EN: 0
; COMPUTE_PGM_RSRC2:TGID_Z_EN: 0
; COMPUTE_PGM_RSRC2:TIDIG_COMP_CNT: 0
; COMPUTE_PGM_RSRC3_GFX90A:ACCUM_OFFSET: 0
; COMPUTE_PGM_RSRC3_GFX90A:TG_SPLIT: 0
	.section	.text._ZN7rocprim17ROCPRIM_400000_NS6detail17trampoline_kernelINS0_14default_configENS1_35radix_sort_onesweep_config_selectorIiNS0_10empty_typeEEEZZNS1_29radix_sort_onesweep_iterationIS3_Lb0EN6thrust23THRUST_200600_302600_NS6detail15normal_iteratorINS9_10device_ptrIiEEEESE_PS5_SF_jNS0_19identity_decomposerENS1_16block_id_wrapperIjLb1EEEEE10hipError_tT1_PNSt15iterator_traitsISK_E10value_typeET2_T3_PNSL_ISQ_E10value_typeET4_T5_PSV_SW_PNS1_23onesweep_lookback_stateEbbT6_jjT7_P12ihipStream_tbENKUlT_T0_SK_SP_E_clISE_SE_SF_SF_EEDaS13_S14_SK_SP_EUlS13_E_NS1_11comp_targetILNS1_3genE10ELNS1_11target_archE1201ELNS1_3gpuE5ELNS1_3repE0EEENS1_47radix_sort_onesweep_sort_config_static_selectorELNS0_4arch9wavefront6targetE1EEEvSK_,"axG",@progbits,_ZN7rocprim17ROCPRIM_400000_NS6detail17trampoline_kernelINS0_14default_configENS1_35radix_sort_onesweep_config_selectorIiNS0_10empty_typeEEEZZNS1_29radix_sort_onesweep_iterationIS3_Lb0EN6thrust23THRUST_200600_302600_NS6detail15normal_iteratorINS9_10device_ptrIiEEEESE_PS5_SF_jNS0_19identity_decomposerENS1_16block_id_wrapperIjLb1EEEEE10hipError_tT1_PNSt15iterator_traitsISK_E10value_typeET2_T3_PNSL_ISQ_E10value_typeET4_T5_PSV_SW_PNS1_23onesweep_lookback_stateEbbT6_jjT7_P12ihipStream_tbENKUlT_T0_SK_SP_E_clISE_SE_SF_SF_EEDaS13_S14_SK_SP_EUlS13_E_NS1_11comp_targetILNS1_3genE10ELNS1_11target_archE1201ELNS1_3gpuE5ELNS1_3repE0EEENS1_47radix_sort_onesweep_sort_config_static_selectorELNS0_4arch9wavefront6targetE1EEEvSK_,comdat
	.protected	_ZN7rocprim17ROCPRIM_400000_NS6detail17trampoline_kernelINS0_14default_configENS1_35radix_sort_onesweep_config_selectorIiNS0_10empty_typeEEEZZNS1_29radix_sort_onesweep_iterationIS3_Lb0EN6thrust23THRUST_200600_302600_NS6detail15normal_iteratorINS9_10device_ptrIiEEEESE_PS5_SF_jNS0_19identity_decomposerENS1_16block_id_wrapperIjLb1EEEEE10hipError_tT1_PNSt15iterator_traitsISK_E10value_typeET2_T3_PNSL_ISQ_E10value_typeET4_T5_PSV_SW_PNS1_23onesweep_lookback_stateEbbT6_jjT7_P12ihipStream_tbENKUlT_T0_SK_SP_E_clISE_SE_SF_SF_EEDaS13_S14_SK_SP_EUlS13_E_NS1_11comp_targetILNS1_3genE10ELNS1_11target_archE1201ELNS1_3gpuE5ELNS1_3repE0EEENS1_47radix_sort_onesweep_sort_config_static_selectorELNS0_4arch9wavefront6targetE1EEEvSK_ ; -- Begin function _ZN7rocprim17ROCPRIM_400000_NS6detail17trampoline_kernelINS0_14default_configENS1_35radix_sort_onesweep_config_selectorIiNS0_10empty_typeEEEZZNS1_29radix_sort_onesweep_iterationIS3_Lb0EN6thrust23THRUST_200600_302600_NS6detail15normal_iteratorINS9_10device_ptrIiEEEESE_PS5_SF_jNS0_19identity_decomposerENS1_16block_id_wrapperIjLb1EEEEE10hipError_tT1_PNSt15iterator_traitsISK_E10value_typeET2_T3_PNSL_ISQ_E10value_typeET4_T5_PSV_SW_PNS1_23onesweep_lookback_stateEbbT6_jjT7_P12ihipStream_tbENKUlT_T0_SK_SP_E_clISE_SE_SF_SF_EEDaS13_S14_SK_SP_EUlS13_E_NS1_11comp_targetILNS1_3genE10ELNS1_11target_archE1201ELNS1_3gpuE5ELNS1_3repE0EEENS1_47radix_sort_onesweep_sort_config_static_selectorELNS0_4arch9wavefront6targetE1EEEvSK_
	.globl	_ZN7rocprim17ROCPRIM_400000_NS6detail17trampoline_kernelINS0_14default_configENS1_35radix_sort_onesweep_config_selectorIiNS0_10empty_typeEEEZZNS1_29radix_sort_onesweep_iterationIS3_Lb0EN6thrust23THRUST_200600_302600_NS6detail15normal_iteratorINS9_10device_ptrIiEEEESE_PS5_SF_jNS0_19identity_decomposerENS1_16block_id_wrapperIjLb1EEEEE10hipError_tT1_PNSt15iterator_traitsISK_E10value_typeET2_T3_PNSL_ISQ_E10value_typeET4_T5_PSV_SW_PNS1_23onesweep_lookback_stateEbbT6_jjT7_P12ihipStream_tbENKUlT_T0_SK_SP_E_clISE_SE_SF_SF_EEDaS13_S14_SK_SP_EUlS13_E_NS1_11comp_targetILNS1_3genE10ELNS1_11target_archE1201ELNS1_3gpuE5ELNS1_3repE0EEENS1_47radix_sort_onesweep_sort_config_static_selectorELNS0_4arch9wavefront6targetE1EEEvSK_
	.p2align	8
	.type	_ZN7rocprim17ROCPRIM_400000_NS6detail17trampoline_kernelINS0_14default_configENS1_35radix_sort_onesweep_config_selectorIiNS0_10empty_typeEEEZZNS1_29radix_sort_onesweep_iterationIS3_Lb0EN6thrust23THRUST_200600_302600_NS6detail15normal_iteratorINS9_10device_ptrIiEEEESE_PS5_SF_jNS0_19identity_decomposerENS1_16block_id_wrapperIjLb1EEEEE10hipError_tT1_PNSt15iterator_traitsISK_E10value_typeET2_T3_PNSL_ISQ_E10value_typeET4_T5_PSV_SW_PNS1_23onesweep_lookback_stateEbbT6_jjT7_P12ihipStream_tbENKUlT_T0_SK_SP_E_clISE_SE_SF_SF_EEDaS13_S14_SK_SP_EUlS13_E_NS1_11comp_targetILNS1_3genE10ELNS1_11target_archE1201ELNS1_3gpuE5ELNS1_3repE0EEENS1_47radix_sort_onesweep_sort_config_static_selectorELNS0_4arch9wavefront6targetE1EEEvSK_,@function
_ZN7rocprim17ROCPRIM_400000_NS6detail17trampoline_kernelINS0_14default_configENS1_35radix_sort_onesweep_config_selectorIiNS0_10empty_typeEEEZZNS1_29radix_sort_onesweep_iterationIS3_Lb0EN6thrust23THRUST_200600_302600_NS6detail15normal_iteratorINS9_10device_ptrIiEEEESE_PS5_SF_jNS0_19identity_decomposerENS1_16block_id_wrapperIjLb1EEEEE10hipError_tT1_PNSt15iterator_traitsISK_E10value_typeET2_T3_PNSL_ISQ_E10value_typeET4_T5_PSV_SW_PNS1_23onesweep_lookback_stateEbbT6_jjT7_P12ihipStream_tbENKUlT_T0_SK_SP_E_clISE_SE_SF_SF_EEDaS13_S14_SK_SP_EUlS13_E_NS1_11comp_targetILNS1_3genE10ELNS1_11target_archE1201ELNS1_3gpuE5ELNS1_3repE0EEENS1_47radix_sort_onesweep_sort_config_static_selectorELNS0_4arch9wavefront6targetE1EEEvSK_: ; @_ZN7rocprim17ROCPRIM_400000_NS6detail17trampoline_kernelINS0_14default_configENS1_35radix_sort_onesweep_config_selectorIiNS0_10empty_typeEEEZZNS1_29radix_sort_onesweep_iterationIS3_Lb0EN6thrust23THRUST_200600_302600_NS6detail15normal_iteratorINS9_10device_ptrIiEEEESE_PS5_SF_jNS0_19identity_decomposerENS1_16block_id_wrapperIjLb1EEEEE10hipError_tT1_PNSt15iterator_traitsISK_E10value_typeET2_T3_PNSL_ISQ_E10value_typeET4_T5_PSV_SW_PNS1_23onesweep_lookback_stateEbbT6_jjT7_P12ihipStream_tbENKUlT_T0_SK_SP_E_clISE_SE_SF_SF_EEDaS13_S14_SK_SP_EUlS13_E_NS1_11comp_targetILNS1_3genE10ELNS1_11target_archE1201ELNS1_3gpuE5ELNS1_3repE0EEENS1_47radix_sort_onesweep_sort_config_static_selectorELNS0_4arch9wavefront6targetE1EEEvSK_
; %bb.0:
	.section	.rodata,"a",@progbits
	.p2align	6, 0x0
	.amdhsa_kernel _ZN7rocprim17ROCPRIM_400000_NS6detail17trampoline_kernelINS0_14default_configENS1_35radix_sort_onesweep_config_selectorIiNS0_10empty_typeEEEZZNS1_29radix_sort_onesweep_iterationIS3_Lb0EN6thrust23THRUST_200600_302600_NS6detail15normal_iteratorINS9_10device_ptrIiEEEESE_PS5_SF_jNS0_19identity_decomposerENS1_16block_id_wrapperIjLb1EEEEE10hipError_tT1_PNSt15iterator_traitsISK_E10value_typeET2_T3_PNSL_ISQ_E10value_typeET4_T5_PSV_SW_PNS1_23onesweep_lookback_stateEbbT6_jjT7_P12ihipStream_tbENKUlT_T0_SK_SP_E_clISE_SE_SF_SF_EEDaS13_S14_SK_SP_EUlS13_E_NS1_11comp_targetILNS1_3genE10ELNS1_11target_archE1201ELNS1_3gpuE5ELNS1_3repE0EEENS1_47radix_sort_onesweep_sort_config_static_selectorELNS0_4arch9wavefront6targetE1EEEvSK_
		.amdhsa_group_segment_fixed_size 0
		.amdhsa_private_segment_fixed_size 0
		.amdhsa_kernarg_size 88
		.amdhsa_user_sgpr_count 2
		.amdhsa_user_sgpr_dispatch_ptr 0
		.amdhsa_user_sgpr_queue_ptr 0
		.amdhsa_user_sgpr_kernarg_segment_ptr 1
		.amdhsa_user_sgpr_dispatch_id 0
		.amdhsa_user_sgpr_kernarg_preload_length 0
		.amdhsa_user_sgpr_kernarg_preload_offset 0
		.amdhsa_user_sgpr_private_segment_size 0
		.amdhsa_uses_dynamic_stack 0
		.amdhsa_enable_private_segment 0
		.amdhsa_system_sgpr_workgroup_id_x 1
		.amdhsa_system_sgpr_workgroup_id_y 0
		.amdhsa_system_sgpr_workgroup_id_z 0
		.amdhsa_system_sgpr_workgroup_info 0
		.amdhsa_system_vgpr_workitem_id 0
		.amdhsa_next_free_vgpr 1
		.amdhsa_next_free_sgpr 0
		.amdhsa_accum_offset 4
		.amdhsa_reserve_vcc 0
		.amdhsa_float_round_mode_32 0
		.amdhsa_float_round_mode_16_64 0
		.amdhsa_float_denorm_mode_32 3
		.amdhsa_float_denorm_mode_16_64 3
		.amdhsa_dx10_clamp 1
		.amdhsa_ieee_mode 1
		.amdhsa_fp16_overflow 0
		.amdhsa_tg_split 0
		.amdhsa_exception_fp_ieee_invalid_op 0
		.amdhsa_exception_fp_denorm_src 0
		.amdhsa_exception_fp_ieee_div_zero 0
		.amdhsa_exception_fp_ieee_overflow 0
		.amdhsa_exception_fp_ieee_underflow 0
		.amdhsa_exception_fp_ieee_inexact 0
		.amdhsa_exception_int_div_zero 0
	.end_amdhsa_kernel
	.section	.text._ZN7rocprim17ROCPRIM_400000_NS6detail17trampoline_kernelINS0_14default_configENS1_35radix_sort_onesweep_config_selectorIiNS0_10empty_typeEEEZZNS1_29radix_sort_onesweep_iterationIS3_Lb0EN6thrust23THRUST_200600_302600_NS6detail15normal_iteratorINS9_10device_ptrIiEEEESE_PS5_SF_jNS0_19identity_decomposerENS1_16block_id_wrapperIjLb1EEEEE10hipError_tT1_PNSt15iterator_traitsISK_E10value_typeET2_T3_PNSL_ISQ_E10value_typeET4_T5_PSV_SW_PNS1_23onesweep_lookback_stateEbbT6_jjT7_P12ihipStream_tbENKUlT_T0_SK_SP_E_clISE_SE_SF_SF_EEDaS13_S14_SK_SP_EUlS13_E_NS1_11comp_targetILNS1_3genE10ELNS1_11target_archE1201ELNS1_3gpuE5ELNS1_3repE0EEENS1_47radix_sort_onesweep_sort_config_static_selectorELNS0_4arch9wavefront6targetE1EEEvSK_,"axG",@progbits,_ZN7rocprim17ROCPRIM_400000_NS6detail17trampoline_kernelINS0_14default_configENS1_35radix_sort_onesweep_config_selectorIiNS0_10empty_typeEEEZZNS1_29radix_sort_onesweep_iterationIS3_Lb0EN6thrust23THRUST_200600_302600_NS6detail15normal_iteratorINS9_10device_ptrIiEEEESE_PS5_SF_jNS0_19identity_decomposerENS1_16block_id_wrapperIjLb1EEEEE10hipError_tT1_PNSt15iterator_traitsISK_E10value_typeET2_T3_PNSL_ISQ_E10value_typeET4_T5_PSV_SW_PNS1_23onesweep_lookback_stateEbbT6_jjT7_P12ihipStream_tbENKUlT_T0_SK_SP_E_clISE_SE_SF_SF_EEDaS13_S14_SK_SP_EUlS13_E_NS1_11comp_targetILNS1_3genE10ELNS1_11target_archE1201ELNS1_3gpuE5ELNS1_3repE0EEENS1_47radix_sort_onesweep_sort_config_static_selectorELNS0_4arch9wavefront6targetE1EEEvSK_,comdat
.Lfunc_end165:
	.size	_ZN7rocprim17ROCPRIM_400000_NS6detail17trampoline_kernelINS0_14default_configENS1_35radix_sort_onesweep_config_selectorIiNS0_10empty_typeEEEZZNS1_29radix_sort_onesweep_iterationIS3_Lb0EN6thrust23THRUST_200600_302600_NS6detail15normal_iteratorINS9_10device_ptrIiEEEESE_PS5_SF_jNS0_19identity_decomposerENS1_16block_id_wrapperIjLb1EEEEE10hipError_tT1_PNSt15iterator_traitsISK_E10value_typeET2_T3_PNSL_ISQ_E10value_typeET4_T5_PSV_SW_PNS1_23onesweep_lookback_stateEbbT6_jjT7_P12ihipStream_tbENKUlT_T0_SK_SP_E_clISE_SE_SF_SF_EEDaS13_S14_SK_SP_EUlS13_E_NS1_11comp_targetILNS1_3genE10ELNS1_11target_archE1201ELNS1_3gpuE5ELNS1_3repE0EEENS1_47radix_sort_onesweep_sort_config_static_selectorELNS0_4arch9wavefront6targetE1EEEvSK_, .Lfunc_end165-_ZN7rocprim17ROCPRIM_400000_NS6detail17trampoline_kernelINS0_14default_configENS1_35radix_sort_onesweep_config_selectorIiNS0_10empty_typeEEEZZNS1_29radix_sort_onesweep_iterationIS3_Lb0EN6thrust23THRUST_200600_302600_NS6detail15normal_iteratorINS9_10device_ptrIiEEEESE_PS5_SF_jNS0_19identity_decomposerENS1_16block_id_wrapperIjLb1EEEEE10hipError_tT1_PNSt15iterator_traitsISK_E10value_typeET2_T3_PNSL_ISQ_E10value_typeET4_T5_PSV_SW_PNS1_23onesweep_lookback_stateEbbT6_jjT7_P12ihipStream_tbENKUlT_T0_SK_SP_E_clISE_SE_SF_SF_EEDaS13_S14_SK_SP_EUlS13_E_NS1_11comp_targetILNS1_3genE10ELNS1_11target_archE1201ELNS1_3gpuE5ELNS1_3repE0EEENS1_47radix_sort_onesweep_sort_config_static_selectorELNS0_4arch9wavefront6targetE1EEEvSK_
                                        ; -- End function
	.set _ZN7rocprim17ROCPRIM_400000_NS6detail17trampoline_kernelINS0_14default_configENS1_35radix_sort_onesweep_config_selectorIiNS0_10empty_typeEEEZZNS1_29radix_sort_onesweep_iterationIS3_Lb0EN6thrust23THRUST_200600_302600_NS6detail15normal_iteratorINS9_10device_ptrIiEEEESE_PS5_SF_jNS0_19identity_decomposerENS1_16block_id_wrapperIjLb1EEEEE10hipError_tT1_PNSt15iterator_traitsISK_E10value_typeET2_T3_PNSL_ISQ_E10value_typeET4_T5_PSV_SW_PNS1_23onesweep_lookback_stateEbbT6_jjT7_P12ihipStream_tbENKUlT_T0_SK_SP_E_clISE_SE_SF_SF_EEDaS13_S14_SK_SP_EUlS13_E_NS1_11comp_targetILNS1_3genE10ELNS1_11target_archE1201ELNS1_3gpuE5ELNS1_3repE0EEENS1_47radix_sort_onesweep_sort_config_static_selectorELNS0_4arch9wavefront6targetE1EEEvSK_.num_vgpr, 0
	.set _ZN7rocprim17ROCPRIM_400000_NS6detail17trampoline_kernelINS0_14default_configENS1_35radix_sort_onesweep_config_selectorIiNS0_10empty_typeEEEZZNS1_29radix_sort_onesweep_iterationIS3_Lb0EN6thrust23THRUST_200600_302600_NS6detail15normal_iteratorINS9_10device_ptrIiEEEESE_PS5_SF_jNS0_19identity_decomposerENS1_16block_id_wrapperIjLb1EEEEE10hipError_tT1_PNSt15iterator_traitsISK_E10value_typeET2_T3_PNSL_ISQ_E10value_typeET4_T5_PSV_SW_PNS1_23onesweep_lookback_stateEbbT6_jjT7_P12ihipStream_tbENKUlT_T0_SK_SP_E_clISE_SE_SF_SF_EEDaS13_S14_SK_SP_EUlS13_E_NS1_11comp_targetILNS1_3genE10ELNS1_11target_archE1201ELNS1_3gpuE5ELNS1_3repE0EEENS1_47radix_sort_onesweep_sort_config_static_selectorELNS0_4arch9wavefront6targetE1EEEvSK_.num_agpr, 0
	.set _ZN7rocprim17ROCPRIM_400000_NS6detail17trampoline_kernelINS0_14default_configENS1_35radix_sort_onesweep_config_selectorIiNS0_10empty_typeEEEZZNS1_29radix_sort_onesweep_iterationIS3_Lb0EN6thrust23THRUST_200600_302600_NS6detail15normal_iteratorINS9_10device_ptrIiEEEESE_PS5_SF_jNS0_19identity_decomposerENS1_16block_id_wrapperIjLb1EEEEE10hipError_tT1_PNSt15iterator_traitsISK_E10value_typeET2_T3_PNSL_ISQ_E10value_typeET4_T5_PSV_SW_PNS1_23onesweep_lookback_stateEbbT6_jjT7_P12ihipStream_tbENKUlT_T0_SK_SP_E_clISE_SE_SF_SF_EEDaS13_S14_SK_SP_EUlS13_E_NS1_11comp_targetILNS1_3genE10ELNS1_11target_archE1201ELNS1_3gpuE5ELNS1_3repE0EEENS1_47radix_sort_onesweep_sort_config_static_selectorELNS0_4arch9wavefront6targetE1EEEvSK_.numbered_sgpr, 0
	.set _ZN7rocprim17ROCPRIM_400000_NS6detail17trampoline_kernelINS0_14default_configENS1_35radix_sort_onesweep_config_selectorIiNS0_10empty_typeEEEZZNS1_29radix_sort_onesweep_iterationIS3_Lb0EN6thrust23THRUST_200600_302600_NS6detail15normal_iteratorINS9_10device_ptrIiEEEESE_PS5_SF_jNS0_19identity_decomposerENS1_16block_id_wrapperIjLb1EEEEE10hipError_tT1_PNSt15iterator_traitsISK_E10value_typeET2_T3_PNSL_ISQ_E10value_typeET4_T5_PSV_SW_PNS1_23onesweep_lookback_stateEbbT6_jjT7_P12ihipStream_tbENKUlT_T0_SK_SP_E_clISE_SE_SF_SF_EEDaS13_S14_SK_SP_EUlS13_E_NS1_11comp_targetILNS1_3genE10ELNS1_11target_archE1201ELNS1_3gpuE5ELNS1_3repE0EEENS1_47radix_sort_onesweep_sort_config_static_selectorELNS0_4arch9wavefront6targetE1EEEvSK_.num_named_barrier, 0
	.set _ZN7rocprim17ROCPRIM_400000_NS6detail17trampoline_kernelINS0_14default_configENS1_35radix_sort_onesweep_config_selectorIiNS0_10empty_typeEEEZZNS1_29radix_sort_onesweep_iterationIS3_Lb0EN6thrust23THRUST_200600_302600_NS6detail15normal_iteratorINS9_10device_ptrIiEEEESE_PS5_SF_jNS0_19identity_decomposerENS1_16block_id_wrapperIjLb1EEEEE10hipError_tT1_PNSt15iterator_traitsISK_E10value_typeET2_T3_PNSL_ISQ_E10value_typeET4_T5_PSV_SW_PNS1_23onesweep_lookback_stateEbbT6_jjT7_P12ihipStream_tbENKUlT_T0_SK_SP_E_clISE_SE_SF_SF_EEDaS13_S14_SK_SP_EUlS13_E_NS1_11comp_targetILNS1_3genE10ELNS1_11target_archE1201ELNS1_3gpuE5ELNS1_3repE0EEENS1_47radix_sort_onesweep_sort_config_static_selectorELNS0_4arch9wavefront6targetE1EEEvSK_.private_seg_size, 0
	.set _ZN7rocprim17ROCPRIM_400000_NS6detail17trampoline_kernelINS0_14default_configENS1_35radix_sort_onesweep_config_selectorIiNS0_10empty_typeEEEZZNS1_29radix_sort_onesweep_iterationIS3_Lb0EN6thrust23THRUST_200600_302600_NS6detail15normal_iteratorINS9_10device_ptrIiEEEESE_PS5_SF_jNS0_19identity_decomposerENS1_16block_id_wrapperIjLb1EEEEE10hipError_tT1_PNSt15iterator_traitsISK_E10value_typeET2_T3_PNSL_ISQ_E10value_typeET4_T5_PSV_SW_PNS1_23onesweep_lookback_stateEbbT6_jjT7_P12ihipStream_tbENKUlT_T0_SK_SP_E_clISE_SE_SF_SF_EEDaS13_S14_SK_SP_EUlS13_E_NS1_11comp_targetILNS1_3genE10ELNS1_11target_archE1201ELNS1_3gpuE5ELNS1_3repE0EEENS1_47radix_sort_onesweep_sort_config_static_selectorELNS0_4arch9wavefront6targetE1EEEvSK_.uses_vcc, 0
	.set _ZN7rocprim17ROCPRIM_400000_NS6detail17trampoline_kernelINS0_14default_configENS1_35radix_sort_onesweep_config_selectorIiNS0_10empty_typeEEEZZNS1_29radix_sort_onesweep_iterationIS3_Lb0EN6thrust23THRUST_200600_302600_NS6detail15normal_iteratorINS9_10device_ptrIiEEEESE_PS5_SF_jNS0_19identity_decomposerENS1_16block_id_wrapperIjLb1EEEEE10hipError_tT1_PNSt15iterator_traitsISK_E10value_typeET2_T3_PNSL_ISQ_E10value_typeET4_T5_PSV_SW_PNS1_23onesweep_lookback_stateEbbT6_jjT7_P12ihipStream_tbENKUlT_T0_SK_SP_E_clISE_SE_SF_SF_EEDaS13_S14_SK_SP_EUlS13_E_NS1_11comp_targetILNS1_3genE10ELNS1_11target_archE1201ELNS1_3gpuE5ELNS1_3repE0EEENS1_47radix_sort_onesweep_sort_config_static_selectorELNS0_4arch9wavefront6targetE1EEEvSK_.uses_flat_scratch, 0
	.set _ZN7rocprim17ROCPRIM_400000_NS6detail17trampoline_kernelINS0_14default_configENS1_35radix_sort_onesweep_config_selectorIiNS0_10empty_typeEEEZZNS1_29radix_sort_onesweep_iterationIS3_Lb0EN6thrust23THRUST_200600_302600_NS6detail15normal_iteratorINS9_10device_ptrIiEEEESE_PS5_SF_jNS0_19identity_decomposerENS1_16block_id_wrapperIjLb1EEEEE10hipError_tT1_PNSt15iterator_traitsISK_E10value_typeET2_T3_PNSL_ISQ_E10value_typeET4_T5_PSV_SW_PNS1_23onesweep_lookback_stateEbbT6_jjT7_P12ihipStream_tbENKUlT_T0_SK_SP_E_clISE_SE_SF_SF_EEDaS13_S14_SK_SP_EUlS13_E_NS1_11comp_targetILNS1_3genE10ELNS1_11target_archE1201ELNS1_3gpuE5ELNS1_3repE0EEENS1_47radix_sort_onesweep_sort_config_static_selectorELNS0_4arch9wavefront6targetE1EEEvSK_.has_dyn_sized_stack, 0
	.set _ZN7rocprim17ROCPRIM_400000_NS6detail17trampoline_kernelINS0_14default_configENS1_35radix_sort_onesweep_config_selectorIiNS0_10empty_typeEEEZZNS1_29radix_sort_onesweep_iterationIS3_Lb0EN6thrust23THRUST_200600_302600_NS6detail15normal_iteratorINS9_10device_ptrIiEEEESE_PS5_SF_jNS0_19identity_decomposerENS1_16block_id_wrapperIjLb1EEEEE10hipError_tT1_PNSt15iterator_traitsISK_E10value_typeET2_T3_PNSL_ISQ_E10value_typeET4_T5_PSV_SW_PNS1_23onesweep_lookback_stateEbbT6_jjT7_P12ihipStream_tbENKUlT_T0_SK_SP_E_clISE_SE_SF_SF_EEDaS13_S14_SK_SP_EUlS13_E_NS1_11comp_targetILNS1_3genE10ELNS1_11target_archE1201ELNS1_3gpuE5ELNS1_3repE0EEENS1_47radix_sort_onesweep_sort_config_static_selectorELNS0_4arch9wavefront6targetE1EEEvSK_.has_recursion, 0
	.set _ZN7rocprim17ROCPRIM_400000_NS6detail17trampoline_kernelINS0_14default_configENS1_35radix_sort_onesweep_config_selectorIiNS0_10empty_typeEEEZZNS1_29radix_sort_onesweep_iterationIS3_Lb0EN6thrust23THRUST_200600_302600_NS6detail15normal_iteratorINS9_10device_ptrIiEEEESE_PS5_SF_jNS0_19identity_decomposerENS1_16block_id_wrapperIjLb1EEEEE10hipError_tT1_PNSt15iterator_traitsISK_E10value_typeET2_T3_PNSL_ISQ_E10value_typeET4_T5_PSV_SW_PNS1_23onesweep_lookback_stateEbbT6_jjT7_P12ihipStream_tbENKUlT_T0_SK_SP_E_clISE_SE_SF_SF_EEDaS13_S14_SK_SP_EUlS13_E_NS1_11comp_targetILNS1_3genE10ELNS1_11target_archE1201ELNS1_3gpuE5ELNS1_3repE0EEENS1_47radix_sort_onesweep_sort_config_static_selectorELNS0_4arch9wavefront6targetE1EEEvSK_.has_indirect_call, 0
	.section	.AMDGPU.csdata,"",@progbits
; Kernel info:
; codeLenInByte = 0
; TotalNumSgprs: 6
; NumVgprs: 0
; NumAgprs: 0
; TotalNumVgprs: 0
; ScratchSize: 0
; MemoryBound: 0
; FloatMode: 240
; IeeeMode: 1
; LDSByteSize: 0 bytes/workgroup (compile time only)
; SGPRBlocks: 0
; VGPRBlocks: 0
; NumSGPRsForWavesPerEU: 6
; NumVGPRsForWavesPerEU: 1
; AccumOffset: 4
; Occupancy: 8
; WaveLimiterHint : 0
; COMPUTE_PGM_RSRC2:SCRATCH_EN: 0
; COMPUTE_PGM_RSRC2:USER_SGPR: 2
; COMPUTE_PGM_RSRC2:TRAP_HANDLER: 0
; COMPUTE_PGM_RSRC2:TGID_X_EN: 1
; COMPUTE_PGM_RSRC2:TGID_Y_EN: 0
; COMPUTE_PGM_RSRC2:TGID_Z_EN: 0
; COMPUTE_PGM_RSRC2:TIDIG_COMP_CNT: 0
; COMPUTE_PGM_RSRC3_GFX90A:ACCUM_OFFSET: 0
; COMPUTE_PGM_RSRC3_GFX90A:TG_SPLIT: 0
	.section	.text._ZN7rocprim17ROCPRIM_400000_NS6detail17trampoline_kernelINS0_14default_configENS1_35radix_sort_onesweep_config_selectorIiNS0_10empty_typeEEEZZNS1_29radix_sort_onesweep_iterationIS3_Lb0EN6thrust23THRUST_200600_302600_NS6detail15normal_iteratorINS9_10device_ptrIiEEEESE_PS5_SF_jNS0_19identity_decomposerENS1_16block_id_wrapperIjLb1EEEEE10hipError_tT1_PNSt15iterator_traitsISK_E10value_typeET2_T3_PNSL_ISQ_E10value_typeET4_T5_PSV_SW_PNS1_23onesweep_lookback_stateEbbT6_jjT7_P12ihipStream_tbENKUlT_T0_SK_SP_E_clISE_SE_SF_SF_EEDaS13_S14_SK_SP_EUlS13_E_NS1_11comp_targetILNS1_3genE9ELNS1_11target_archE1100ELNS1_3gpuE3ELNS1_3repE0EEENS1_47radix_sort_onesweep_sort_config_static_selectorELNS0_4arch9wavefront6targetE1EEEvSK_,"axG",@progbits,_ZN7rocprim17ROCPRIM_400000_NS6detail17trampoline_kernelINS0_14default_configENS1_35radix_sort_onesweep_config_selectorIiNS0_10empty_typeEEEZZNS1_29radix_sort_onesweep_iterationIS3_Lb0EN6thrust23THRUST_200600_302600_NS6detail15normal_iteratorINS9_10device_ptrIiEEEESE_PS5_SF_jNS0_19identity_decomposerENS1_16block_id_wrapperIjLb1EEEEE10hipError_tT1_PNSt15iterator_traitsISK_E10value_typeET2_T3_PNSL_ISQ_E10value_typeET4_T5_PSV_SW_PNS1_23onesweep_lookback_stateEbbT6_jjT7_P12ihipStream_tbENKUlT_T0_SK_SP_E_clISE_SE_SF_SF_EEDaS13_S14_SK_SP_EUlS13_E_NS1_11comp_targetILNS1_3genE9ELNS1_11target_archE1100ELNS1_3gpuE3ELNS1_3repE0EEENS1_47radix_sort_onesweep_sort_config_static_selectorELNS0_4arch9wavefront6targetE1EEEvSK_,comdat
	.protected	_ZN7rocprim17ROCPRIM_400000_NS6detail17trampoline_kernelINS0_14default_configENS1_35radix_sort_onesweep_config_selectorIiNS0_10empty_typeEEEZZNS1_29radix_sort_onesweep_iterationIS3_Lb0EN6thrust23THRUST_200600_302600_NS6detail15normal_iteratorINS9_10device_ptrIiEEEESE_PS5_SF_jNS0_19identity_decomposerENS1_16block_id_wrapperIjLb1EEEEE10hipError_tT1_PNSt15iterator_traitsISK_E10value_typeET2_T3_PNSL_ISQ_E10value_typeET4_T5_PSV_SW_PNS1_23onesweep_lookback_stateEbbT6_jjT7_P12ihipStream_tbENKUlT_T0_SK_SP_E_clISE_SE_SF_SF_EEDaS13_S14_SK_SP_EUlS13_E_NS1_11comp_targetILNS1_3genE9ELNS1_11target_archE1100ELNS1_3gpuE3ELNS1_3repE0EEENS1_47radix_sort_onesweep_sort_config_static_selectorELNS0_4arch9wavefront6targetE1EEEvSK_ ; -- Begin function _ZN7rocprim17ROCPRIM_400000_NS6detail17trampoline_kernelINS0_14default_configENS1_35radix_sort_onesweep_config_selectorIiNS0_10empty_typeEEEZZNS1_29radix_sort_onesweep_iterationIS3_Lb0EN6thrust23THRUST_200600_302600_NS6detail15normal_iteratorINS9_10device_ptrIiEEEESE_PS5_SF_jNS0_19identity_decomposerENS1_16block_id_wrapperIjLb1EEEEE10hipError_tT1_PNSt15iterator_traitsISK_E10value_typeET2_T3_PNSL_ISQ_E10value_typeET4_T5_PSV_SW_PNS1_23onesweep_lookback_stateEbbT6_jjT7_P12ihipStream_tbENKUlT_T0_SK_SP_E_clISE_SE_SF_SF_EEDaS13_S14_SK_SP_EUlS13_E_NS1_11comp_targetILNS1_3genE9ELNS1_11target_archE1100ELNS1_3gpuE3ELNS1_3repE0EEENS1_47radix_sort_onesweep_sort_config_static_selectorELNS0_4arch9wavefront6targetE1EEEvSK_
	.globl	_ZN7rocprim17ROCPRIM_400000_NS6detail17trampoline_kernelINS0_14default_configENS1_35radix_sort_onesweep_config_selectorIiNS0_10empty_typeEEEZZNS1_29radix_sort_onesweep_iterationIS3_Lb0EN6thrust23THRUST_200600_302600_NS6detail15normal_iteratorINS9_10device_ptrIiEEEESE_PS5_SF_jNS0_19identity_decomposerENS1_16block_id_wrapperIjLb1EEEEE10hipError_tT1_PNSt15iterator_traitsISK_E10value_typeET2_T3_PNSL_ISQ_E10value_typeET4_T5_PSV_SW_PNS1_23onesweep_lookback_stateEbbT6_jjT7_P12ihipStream_tbENKUlT_T0_SK_SP_E_clISE_SE_SF_SF_EEDaS13_S14_SK_SP_EUlS13_E_NS1_11comp_targetILNS1_3genE9ELNS1_11target_archE1100ELNS1_3gpuE3ELNS1_3repE0EEENS1_47radix_sort_onesweep_sort_config_static_selectorELNS0_4arch9wavefront6targetE1EEEvSK_
	.p2align	8
	.type	_ZN7rocprim17ROCPRIM_400000_NS6detail17trampoline_kernelINS0_14default_configENS1_35radix_sort_onesweep_config_selectorIiNS0_10empty_typeEEEZZNS1_29radix_sort_onesweep_iterationIS3_Lb0EN6thrust23THRUST_200600_302600_NS6detail15normal_iteratorINS9_10device_ptrIiEEEESE_PS5_SF_jNS0_19identity_decomposerENS1_16block_id_wrapperIjLb1EEEEE10hipError_tT1_PNSt15iterator_traitsISK_E10value_typeET2_T3_PNSL_ISQ_E10value_typeET4_T5_PSV_SW_PNS1_23onesweep_lookback_stateEbbT6_jjT7_P12ihipStream_tbENKUlT_T0_SK_SP_E_clISE_SE_SF_SF_EEDaS13_S14_SK_SP_EUlS13_E_NS1_11comp_targetILNS1_3genE9ELNS1_11target_archE1100ELNS1_3gpuE3ELNS1_3repE0EEENS1_47radix_sort_onesweep_sort_config_static_selectorELNS0_4arch9wavefront6targetE1EEEvSK_,@function
_ZN7rocprim17ROCPRIM_400000_NS6detail17trampoline_kernelINS0_14default_configENS1_35radix_sort_onesweep_config_selectorIiNS0_10empty_typeEEEZZNS1_29radix_sort_onesweep_iterationIS3_Lb0EN6thrust23THRUST_200600_302600_NS6detail15normal_iteratorINS9_10device_ptrIiEEEESE_PS5_SF_jNS0_19identity_decomposerENS1_16block_id_wrapperIjLb1EEEEE10hipError_tT1_PNSt15iterator_traitsISK_E10value_typeET2_T3_PNSL_ISQ_E10value_typeET4_T5_PSV_SW_PNS1_23onesweep_lookback_stateEbbT6_jjT7_P12ihipStream_tbENKUlT_T0_SK_SP_E_clISE_SE_SF_SF_EEDaS13_S14_SK_SP_EUlS13_E_NS1_11comp_targetILNS1_3genE9ELNS1_11target_archE1100ELNS1_3gpuE3ELNS1_3repE0EEENS1_47radix_sort_onesweep_sort_config_static_selectorELNS0_4arch9wavefront6targetE1EEEvSK_: ; @_ZN7rocprim17ROCPRIM_400000_NS6detail17trampoline_kernelINS0_14default_configENS1_35radix_sort_onesweep_config_selectorIiNS0_10empty_typeEEEZZNS1_29radix_sort_onesweep_iterationIS3_Lb0EN6thrust23THRUST_200600_302600_NS6detail15normal_iteratorINS9_10device_ptrIiEEEESE_PS5_SF_jNS0_19identity_decomposerENS1_16block_id_wrapperIjLb1EEEEE10hipError_tT1_PNSt15iterator_traitsISK_E10value_typeET2_T3_PNSL_ISQ_E10value_typeET4_T5_PSV_SW_PNS1_23onesweep_lookback_stateEbbT6_jjT7_P12ihipStream_tbENKUlT_T0_SK_SP_E_clISE_SE_SF_SF_EEDaS13_S14_SK_SP_EUlS13_E_NS1_11comp_targetILNS1_3genE9ELNS1_11target_archE1100ELNS1_3gpuE3ELNS1_3repE0EEENS1_47radix_sort_onesweep_sort_config_static_selectorELNS0_4arch9wavefront6targetE1EEEvSK_
; %bb.0:
	.section	.rodata,"a",@progbits
	.p2align	6, 0x0
	.amdhsa_kernel _ZN7rocprim17ROCPRIM_400000_NS6detail17trampoline_kernelINS0_14default_configENS1_35radix_sort_onesweep_config_selectorIiNS0_10empty_typeEEEZZNS1_29radix_sort_onesweep_iterationIS3_Lb0EN6thrust23THRUST_200600_302600_NS6detail15normal_iteratorINS9_10device_ptrIiEEEESE_PS5_SF_jNS0_19identity_decomposerENS1_16block_id_wrapperIjLb1EEEEE10hipError_tT1_PNSt15iterator_traitsISK_E10value_typeET2_T3_PNSL_ISQ_E10value_typeET4_T5_PSV_SW_PNS1_23onesweep_lookback_stateEbbT6_jjT7_P12ihipStream_tbENKUlT_T0_SK_SP_E_clISE_SE_SF_SF_EEDaS13_S14_SK_SP_EUlS13_E_NS1_11comp_targetILNS1_3genE9ELNS1_11target_archE1100ELNS1_3gpuE3ELNS1_3repE0EEENS1_47radix_sort_onesweep_sort_config_static_selectorELNS0_4arch9wavefront6targetE1EEEvSK_
		.amdhsa_group_segment_fixed_size 0
		.amdhsa_private_segment_fixed_size 0
		.amdhsa_kernarg_size 88
		.amdhsa_user_sgpr_count 2
		.amdhsa_user_sgpr_dispatch_ptr 0
		.amdhsa_user_sgpr_queue_ptr 0
		.amdhsa_user_sgpr_kernarg_segment_ptr 1
		.amdhsa_user_sgpr_dispatch_id 0
		.amdhsa_user_sgpr_kernarg_preload_length 0
		.amdhsa_user_sgpr_kernarg_preload_offset 0
		.amdhsa_user_sgpr_private_segment_size 0
		.amdhsa_uses_dynamic_stack 0
		.amdhsa_enable_private_segment 0
		.amdhsa_system_sgpr_workgroup_id_x 1
		.amdhsa_system_sgpr_workgroup_id_y 0
		.amdhsa_system_sgpr_workgroup_id_z 0
		.amdhsa_system_sgpr_workgroup_info 0
		.amdhsa_system_vgpr_workitem_id 0
		.amdhsa_next_free_vgpr 1
		.amdhsa_next_free_sgpr 0
		.amdhsa_accum_offset 4
		.amdhsa_reserve_vcc 0
		.amdhsa_float_round_mode_32 0
		.amdhsa_float_round_mode_16_64 0
		.amdhsa_float_denorm_mode_32 3
		.amdhsa_float_denorm_mode_16_64 3
		.amdhsa_dx10_clamp 1
		.amdhsa_ieee_mode 1
		.amdhsa_fp16_overflow 0
		.amdhsa_tg_split 0
		.amdhsa_exception_fp_ieee_invalid_op 0
		.amdhsa_exception_fp_denorm_src 0
		.amdhsa_exception_fp_ieee_div_zero 0
		.amdhsa_exception_fp_ieee_overflow 0
		.amdhsa_exception_fp_ieee_underflow 0
		.amdhsa_exception_fp_ieee_inexact 0
		.amdhsa_exception_int_div_zero 0
	.end_amdhsa_kernel
	.section	.text._ZN7rocprim17ROCPRIM_400000_NS6detail17trampoline_kernelINS0_14default_configENS1_35radix_sort_onesweep_config_selectorIiNS0_10empty_typeEEEZZNS1_29radix_sort_onesweep_iterationIS3_Lb0EN6thrust23THRUST_200600_302600_NS6detail15normal_iteratorINS9_10device_ptrIiEEEESE_PS5_SF_jNS0_19identity_decomposerENS1_16block_id_wrapperIjLb1EEEEE10hipError_tT1_PNSt15iterator_traitsISK_E10value_typeET2_T3_PNSL_ISQ_E10value_typeET4_T5_PSV_SW_PNS1_23onesweep_lookback_stateEbbT6_jjT7_P12ihipStream_tbENKUlT_T0_SK_SP_E_clISE_SE_SF_SF_EEDaS13_S14_SK_SP_EUlS13_E_NS1_11comp_targetILNS1_3genE9ELNS1_11target_archE1100ELNS1_3gpuE3ELNS1_3repE0EEENS1_47radix_sort_onesweep_sort_config_static_selectorELNS0_4arch9wavefront6targetE1EEEvSK_,"axG",@progbits,_ZN7rocprim17ROCPRIM_400000_NS6detail17trampoline_kernelINS0_14default_configENS1_35radix_sort_onesweep_config_selectorIiNS0_10empty_typeEEEZZNS1_29radix_sort_onesweep_iterationIS3_Lb0EN6thrust23THRUST_200600_302600_NS6detail15normal_iteratorINS9_10device_ptrIiEEEESE_PS5_SF_jNS0_19identity_decomposerENS1_16block_id_wrapperIjLb1EEEEE10hipError_tT1_PNSt15iterator_traitsISK_E10value_typeET2_T3_PNSL_ISQ_E10value_typeET4_T5_PSV_SW_PNS1_23onesweep_lookback_stateEbbT6_jjT7_P12ihipStream_tbENKUlT_T0_SK_SP_E_clISE_SE_SF_SF_EEDaS13_S14_SK_SP_EUlS13_E_NS1_11comp_targetILNS1_3genE9ELNS1_11target_archE1100ELNS1_3gpuE3ELNS1_3repE0EEENS1_47radix_sort_onesweep_sort_config_static_selectorELNS0_4arch9wavefront6targetE1EEEvSK_,comdat
.Lfunc_end166:
	.size	_ZN7rocprim17ROCPRIM_400000_NS6detail17trampoline_kernelINS0_14default_configENS1_35radix_sort_onesweep_config_selectorIiNS0_10empty_typeEEEZZNS1_29radix_sort_onesweep_iterationIS3_Lb0EN6thrust23THRUST_200600_302600_NS6detail15normal_iteratorINS9_10device_ptrIiEEEESE_PS5_SF_jNS0_19identity_decomposerENS1_16block_id_wrapperIjLb1EEEEE10hipError_tT1_PNSt15iterator_traitsISK_E10value_typeET2_T3_PNSL_ISQ_E10value_typeET4_T5_PSV_SW_PNS1_23onesweep_lookback_stateEbbT6_jjT7_P12ihipStream_tbENKUlT_T0_SK_SP_E_clISE_SE_SF_SF_EEDaS13_S14_SK_SP_EUlS13_E_NS1_11comp_targetILNS1_3genE9ELNS1_11target_archE1100ELNS1_3gpuE3ELNS1_3repE0EEENS1_47radix_sort_onesweep_sort_config_static_selectorELNS0_4arch9wavefront6targetE1EEEvSK_, .Lfunc_end166-_ZN7rocprim17ROCPRIM_400000_NS6detail17trampoline_kernelINS0_14default_configENS1_35radix_sort_onesweep_config_selectorIiNS0_10empty_typeEEEZZNS1_29radix_sort_onesweep_iterationIS3_Lb0EN6thrust23THRUST_200600_302600_NS6detail15normal_iteratorINS9_10device_ptrIiEEEESE_PS5_SF_jNS0_19identity_decomposerENS1_16block_id_wrapperIjLb1EEEEE10hipError_tT1_PNSt15iterator_traitsISK_E10value_typeET2_T3_PNSL_ISQ_E10value_typeET4_T5_PSV_SW_PNS1_23onesweep_lookback_stateEbbT6_jjT7_P12ihipStream_tbENKUlT_T0_SK_SP_E_clISE_SE_SF_SF_EEDaS13_S14_SK_SP_EUlS13_E_NS1_11comp_targetILNS1_3genE9ELNS1_11target_archE1100ELNS1_3gpuE3ELNS1_3repE0EEENS1_47radix_sort_onesweep_sort_config_static_selectorELNS0_4arch9wavefront6targetE1EEEvSK_
                                        ; -- End function
	.set _ZN7rocprim17ROCPRIM_400000_NS6detail17trampoline_kernelINS0_14default_configENS1_35radix_sort_onesweep_config_selectorIiNS0_10empty_typeEEEZZNS1_29radix_sort_onesweep_iterationIS3_Lb0EN6thrust23THRUST_200600_302600_NS6detail15normal_iteratorINS9_10device_ptrIiEEEESE_PS5_SF_jNS0_19identity_decomposerENS1_16block_id_wrapperIjLb1EEEEE10hipError_tT1_PNSt15iterator_traitsISK_E10value_typeET2_T3_PNSL_ISQ_E10value_typeET4_T5_PSV_SW_PNS1_23onesweep_lookback_stateEbbT6_jjT7_P12ihipStream_tbENKUlT_T0_SK_SP_E_clISE_SE_SF_SF_EEDaS13_S14_SK_SP_EUlS13_E_NS1_11comp_targetILNS1_3genE9ELNS1_11target_archE1100ELNS1_3gpuE3ELNS1_3repE0EEENS1_47radix_sort_onesweep_sort_config_static_selectorELNS0_4arch9wavefront6targetE1EEEvSK_.num_vgpr, 0
	.set _ZN7rocprim17ROCPRIM_400000_NS6detail17trampoline_kernelINS0_14default_configENS1_35radix_sort_onesweep_config_selectorIiNS0_10empty_typeEEEZZNS1_29radix_sort_onesweep_iterationIS3_Lb0EN6thrust23THRUST_200600_302600_NS6detail15normal_iteratorINS9_10device_ptrIiEEEESE_PS5_SF_jNS0_19identity_decomposerENS1_16block_id_wrapperIjLb1EEEEE10hipError_tT1_PNSt15iterator_traitsISK_E10value_typeET2_T3_PNSL_ISQ_E10value_typeET4_T5_PSV_SW_PNS1_23onesweep_lookback_stateEbbT6_jjT7_P12ihipStream_tbENKUlT_T0_SK_SP_E_clISE_SE_SF_SF_EEDaS13_S14_SK_SP_EUlS13_E_NS1_11comp_targetILNS1_3genE9ELNS1_11target_archE1100ELNS1_3gpuE3ELNS1_3repE0EEENS1_47radix_sort_onesweep_sort_config_static_selectorELNS0_4arch9wavefront6targetE1EEEvSK_.num_agpr, 0
	.set _ZN7rocprim17ROCPRIM_400000_NS6detail17trampoline_kernelINS0_14default_configENS1_35radix_sort_onesweep_config_selectorIiNS0_10empty_typeEEEZZNS1_29radix_sort_onesweep_iterationIS3_Lb0EN6thrust23THRUST_200600_302600_NS6detail15normal_iteratorINS9_10device_ptrIiEEEESE_PS5_SF_jNS0_19identity_decomposerENS1_16block_id_wrapperIjLb1EEEEE10hipError_tT1_PNSt15iterator_traitsISK_E10value_typeET2_T3_PNSL_ISQ_E10value_typeET4_T5_PSV_SW_PNS1_23onesweep_lookback_stateEbbT6_jjT7_P12ihipStream_tbENKUlT_T0_SK_SP_E_clISE_SE_SF_SF_EEDaS13_S14_SK_SP_EUlS13_E_NS1_11comp_targetILNS1_3genE9ELNS1_11target_archE1100ELNS1_3gpuE3ELNS1_3repE0EEENS1_47radix_sort_onesweep_sort_config_static_selectorELNS0_4arch9wavefront6targetE1EEEvSK_.numbered_sgpr, 0
	.set _ZN7rocprim17ROCPRIM_400000_NS6detail17trampoline_kernelINS0_14default_configENS1_35radix_sort_onesweep_config_selectorIiNS0_10empty_typeEEEZZNS1_29radix_sort_onesweep_iterationIS3_Lb0EN6thrust23THRUST_200600_302600_NS6detail15normal_iteratorINS9_10device_ptrIiEEEESE_PS5_SF_jNS0_19identity_decomposerENS1_16block_id_wrapperIjLb1EEEEE10hipError_tT1_PNSt15iterator_traitsISK_E10value_typeET2_T3_PNSL_ISQ_E10value_typeET4_T5_PSV_SW_PNS1_23onesweep_lookback_stateEbbT6_jjT7_P12ihipStream_tbENKUlT_T0_SK_SP_E_clISE_SE_SF_SF_EEDaS13_S14_SK_SP_EUlS13_E_NS1_11comp_targetILNS1_3genE9ELNS1_11target_archE1100ELNS1_3gpuE3ELNS1_3repE0EEENS1_47radix_sort_onesweep_sort_config_static_selectorELNS0_4arch9wavefront6targetE1EEEvSK_.num_named_barrier, 0
	.set _ZN7rocprim17ROCPRIM_400000_NS6detail17trampoline_kernelINS0_14default_configENS1_35radix_sort_onesweep_config_selectorIiNS0_10empty_typeEEEZZNS1_29radix_sort_onesweep_iterationIS3_Lb0EN6thrust23THRUST_200600_302600_NS6detail15normal_iteratorINS9_10device_ptrIiEEEESE_PS5_SF_jNS0_19identity_decomposerENS1_16block_id_wrapperIjLb1EEEEE10hipError_tT1_PNSt15iterator_traitsISK_E10value_typeET2_T3_PNSL_ISQ_E10value_typeET4_T5_PSV_SW_PNS1_23onesweep_lookback_stateEbbT6_jjT7_P12ihipStream_tbENKUlT_T0_SK_SP_E_clISE_SE_SF_SF_EEDaS13_S14_SK_SP_EUlS13_E_NS1_11comp_targetILNS1_3genE9ELNS1_11target_archE1100ELNS1_3gpuE3ELNS1_3repE0EEENS1_47radix_sort_onesweep_sort_config_static_selectorELNS0_4arch9wavefront6targetE1EEEvSK_.private_seg_size, 0
	.set _ZN7rocprim17ROCPRIM_400000_NS6detail17trampoline_kernelINS0_14default_configENS1_35radix_sort_onesweep_config_selectorIiNS0_10empty_typeEEEZZNS1_29radix_sort_onesweep_iterationIS3_Lb0EN6thrust23THRUST_200600_302600_NS6detail15normal_iteratorINS9_10device_ptrIiEEEESE_PS5_SF_jNS0_19identity_decomposerENS1_16block_id_wrapperIjLb1EEEEE10hipError_tT1_PNSt15iterator_traitsISK_E10value_typeET2_T3_PNSL_ISQ_E10value_typeET4_T5_PSV_SW_PNS1_23onesweep_lookback_stateEbbT6_jjT7_P12ihipStream_tbENKUlT_T0_SK_SP_E_clISE_SE_SF_SF_EEDaS13_S14_SK_SP_EUlS13_E_NS1_11comp_targetILNS1_3genE9ELNS1_11target_archE1100ELNS1_3gpuE3ELNS1_3repE0EEENS1_47radix_sort_onesweep_sort_config_static_selectorELNS0_4arch9wavefront6targetE1EEEvSK_.uses_vcc, 0
	.set _ZN7rocprim17ROCPRIM_400000_NS6detail17trampoline_kernelINS0_14default_configENS1_35radix_sort_onesweep_config_selectorIiNS0_10empty_typeEEEZZNS1_29radix_sort_onesweep_iterationIS3_Lb0EN6thrust23THRUST_200600_302600_NS6detail15normal_iteratorINS9_10device_ptrIiEEEESE_PS5_SF_jNS0_19identity_decomposerENS1_16block_id_wrapperIjLb1EEEEE10hipError_tT1_PNSt15iterator_traitsISK_E10value_typeET2_T3_PNSL_ISQ_E10value_typeET4_T5_PSV_SW_PNS1_23onesweep_lookback_stateEbbT6_jjT7_P12ihipStream_tbENKUlT_T0_SK_SP_E_clISE_SE_SF_SF_EEDaS13_S14_SK_SP_EUlS13_E_NS1_11comp_targetILNS1_3genE9ELNS1_11target_archE1100ELNS1_3gpuE3ELNS1_3repE0EEENS1_47radix_sort_onesweep_sort_config_static_selectorELNS0_4arch9wavefront6targetE1EEEvSK_.uses_flat_scratch, 0
	.set _ZN7rocprim17ROCPRIM_400000_NS6detail17trampoline_kernelINS0_14default_configENS1_35radix_sort_onesweep_config_selectorIiNS0_10empty_typeEEEZZNS1_29radix_sort_onesweep_iterationIS3_Lb0EN6thrust23THRUST_200600_302600_NS6detail15normal_iteratorINS9_10device_ptrIiEEEESE_PS5_SF_jNS0_19identity_decomposerENS1_16block_id_wrapperIjLb1EEEEE10hipError_tT1_PNSt15iterator_traitsISK_E10value_typeET2_T3_PNSL_ISQ_E10value_typeET4_T5_PSV_SW_PNS1_23onesweep_lookback_stateEbbT6_jjT7_P12ihipStream_tbENKUlT_T0_SK_SP_E_clISE_SE_SF_SF_EEDaS13_S14_SK_SP_EUlS13_E_NS1_11comp_targetILNS1_3genE9ELNS1_11target_archE1100ELNS1_3gpuE3ELNS1_3repE0EEENS1_47radix_sort_onesweep_sort_config_static_selectorELNS0_4arch9wavefront6targetE1EEEvSK_.has_dyn_sized_stack, 0
	.set _ZN7rocprim17ROCPRIM_400000_NS6detail17trampoline_kernelINS0_14default_configENS1_35radix_sort_onesweep_config_selectorIiNS0_10empty_typeEEEZZNS1_29radix_sort_onesweep_iterationIS3_Lb0EN6thrust23THRUST_200600_302600_NS6detail15normal_iteratorINS9_10device_ptrIiEEEESE_PS5_SF_jNS0_19identity_decomposerENS1_16block_id_wrapperIjLb1EEEEE10hipError_tT1_PNSt15iterator_traitsISK_E10value_typeET2_T3_PNSL_ISQ_E10value_typeET4_T5_PSV_SW_PNS1_23onesweep_lookback_stateEbbT6_jjT7_P12ihipStream_tbENKUlT_T0_SK_SP_E_clISE_SE_SF_SF_EEDaS13_S14_SK_SP_EUlS13_E_NS1_11comp_targetILNS1_3genE9ELNS1_11target_archE1100ELNS1_3gpuE3ELNS1_3repE0EEENS1_47radix_sort_onesweep_sort_config_static_selectorELNS0_4arch9wavefront6targetE1EEEvSK_.has_recursion, 0
	.set _ZN7rocprim17ROCPRIM_400000_NS6detail17trampoline_kernelINS0_14default_configENS1_35radix_sort_onesweep_config_selectorIiNS0_10empty_typeEEEZZNS1_29radix_sort_onesweep_iterationIS3_Lb0EN6thrust23THRUST_200600_302600_NS6detail15normal_iteratorINS9_10device_ptrIiEEEESE_PS5_SF_jNS0_19identity_decomposerENS1_16block_id_wrapperIjLb1EEEEE10hipError_tT1_PNSt15iterator_traitsISK_E10value_typeET2_T3_PNSL_ISQ_E10value_typeET4_T5_PSV_SW_PNS1_23onesweep_lookback_stateEbbT6_jjT7_P12ihipStream_tbENKUlT_T0_SK_SP_E_clISE_SE_SF_SF_EEDaS13_S14_SK_SP_EUlS13_E_NS1_11comp_targetILNS1_3genE9ELNS1_11target_archE1100ELNS1_3gpuE3ELNS1_3repE0EEENS1_47radix_sort_onesweep_sort_config_static_selectorELNS0_4arch9wavefront6targetE1EEEvSK_.has_indirect_call, 0
	.section	.AMDGPU.csdata,"",@progbits
; Kernel info:
; codeLenInByte = 0
; TotalNumSgprs: 6
; NumVgprs: 0
; NumAgprs: 0
; TotalNumVgprs: 0
; ScratchSize: 0
; MemoryBound: 0
; FloatMode: 240
; IeeeMode: 1
; LDSByteSize: 0 bytes/workgroup (compile time only)
; SGPRBlocks: 0
; VGPRBlocks: 0
; NumSGPRsForWavesPerEU: 6
; NumVGPRsForWavesPerEU: 1
; AccumOffset: 4
; Occupancy: 8
; WaveLimiterHint : 0
; COMPUTE_PGM_RSRC2:SCRATCH_EN: 0
; COMPUTE_PGM_RSRC2:USER_SGPR: 2
; COMPUTE_PGM_RSRC2:TRAP_HANDLER: 0
; COMPUTE_PGM_RSRC2:TGID_X_EN: 1
; COMPUTE_PGM_RSRC2:TGID_Y_EN: 0
; COMPUTE_PGM_RSRC2:TGID_Z_EN: 0
; COMPUTE_PGM_RSRC2:TIDIG_COMP_CNT: 0
; COMPUTE_PGM_RSRC3_GFX90A:ACCUM_OFFSET: 0
; COMPUTE_PGM_RSRC3_GFX90A:TG_SPLIT: 0
	.section	.text._ZN7rocprim17ROCPRIM_400000_NS6detail17trampoline_kernelINS0_14default_configENS1_35radix_sort_onesweep_config_selectorIiNS0_10empty_typeEEEZZNS1_29radix_sort_onesweep_iterationIS3_Lb0EN6thrust23THRUST_200600_302600_NS6detail15normal_iteratorINS9_10device_ptrIiEEEESE_PS5_SF_jNS0_19identity_decomposerENS1_16block_id_wrapperIjLb1EEEEE10hipError_tT1_PNSt15iterator_traitsISK_E10value_typeET2_T3_PNSL_ISQ_E10value_typeET4_T5_PSV_SW_PNS1_23onesweep_lookback_stateEbbT6_jjT7_P12ihipStream_tbENKUlT_T0_SK_SP_E_clISE_SE_SF_SF_EEDaS13_S14_SK_SP_EUlS13_E_NS1_11comp_targetILNS1_3genE8ELNS1_11target_archE1030ELNS1_3gpuE2ELNS1_3repE0EEENS1_47radix_sort_onesweep_sort_config_static_selectorELNS0_4arch9wavefront6targetE1EEEvSK_,"axG",@progbits,_ZN7rocprim17ROCPRIM_400000_NS6detail17trampoline_kernelINS0_14default_configENS1_35radix_sort_onesweep_config_selectorIiNS0_10empty_typeEEEZZNS1_29radix_sort_onesweep_iterationIS3_Lb0EN6thrust23THRUST_200600_302600_NS6detail15normal_iteratorINS9_10device_ptrIiEEEESE_PS5_SF_jNS0_19identity_decomposerENS1_16block_id_wrapperIjLb1EEEEE10hipError_tT1_PNSt15iterator_traitsISK_E10value_typeET2_T3_PNSL_ISQ_E10value_typeET4_T5_PSV_SW_PNS1_23onesweep_lookback_stateEbbT6_jjT7_P12ihipStream_tbENKUlT_T0_SK_SP_E_clISE_SE_SF_SF_EEDaS13_S14_SK_SP_EUlS13_E_NS1_11comp_targetILNS1_3genE8ELNS1_11target_archE1030ELNS1_3gpuE2ELNS1_3repE0EEENS1_47radix_sort_onesweep_sort_config_static_selectorELNS0_4arch9wavefront6targetE1EEEvSK_,comdat
	.protected	_ZN7rocprim17ROCPRIM_400000_NS6detail17trampoline_kernelINS0_14default_configENS1_35radix_sort_onesweep_config_selectorIiNS0_10empty_typeEEEZZNS1_29radix_sort_onesweep_iterationIS3_Lb0EN6thrust23THRUST_200600_302600_NS6detail15normal_iteratorINS9_10device_ptrIiEEEESE_PS5_SF_jNS0_19identity_decomposerENS1_16block_id_wrapperIjLb1EEEEE10hipError_tT1_PNSt15iterator_traitsISK_E10value_typeET2_T3_PNSL_ISQ_E10value_typeET4_T5_PSV_SW_PNS1_23onesweep_lookback_stateEbbT6_jjT7_P12ihipStream_tbENKUlT_T0_SK_SP_E_clISE_SE_SF_SF_EEDaS13_S14_SK_SP_EUlS13_E_NS1_11comp_targetILNS1_3genE8ELNS1_11target_archE1030ELNS1_3gpuE2ELNS1_3repE0EEENS1_47radix_sort_onesweep_sort_config_static_selectorELNS0_4arch9wavefront6targetE1EEEvSK_ ; -- Begin function _ZN7rocprim17ROCPRIM_400000_NS6detail17trampoline_kernelINS0_14default_configENS1_35radix_sort_onesweep_config_selectorIiNS0_10empty_typeEEEZZNS1_29radix_sort_onesweep_iterationIS3_Lb0EN6thrust23THRUST_200600_302600_NS6detail15normal_iteratorINS9_10device_ptrIiEEEESE_PS5_SF_jNS0_19identity_decomposerENS1_16block_id_wrapperIjLb1EEEEE10hipError_tT1_PNSt15iterator_traitsISK_E10value_typeET2_T3_PNSL_ISQ_E10value_typeET4_T5_PSV_SW_PNS1_23onesweep_lookback_stateEbbT6_jjT7_P12ihipStream_tbENKUlT_T0_SK_SP_E_clISE_SE_SF_SF_EEDaS13_S14_SK_SP_EUlS13_E_NS1_11comp_targetILNS1_3genE8ELNS1_11target_archE1030ELNS1_3gpuE2ELNS1_3repE0EEENS1_47radix_sort_onesweep_sort_config_static_selectorELNS0_4arch9wavefront6targetE1EEEvSK_
	.globl	_ZN7rocprim17ROCPRIM_400000_NS6detail17trampoline_kernelINS0_14default_configENS1_35radix_sort_onesweep_config_selectorIiNS0_10empty_typeEEEZZNS1_29radix_sort_onesweep_iterationIS3_Lb0EN6thrust23THRUST_200600_302600_NS6detail15normal_iteratorINS9_10device_ptrIiEEEESE_PS5_SF_jNS0_19identity_decomposerENS1_16block_id_wrapperIjLb1EEEEE10hipError_tT1_PNSt15iterator_traitsISK_E10value_typeET2_T3_PNSL_ISQ_E10value_typeET4_T5_PSV_SW_PNS1_23onesweep_lookback_stateEbbT6_jjT7_P12ihipStream_tbENKUlT_T0_SK_SP_E_clISE_SE_SF_SF_EEDaS13_S14_SK_SP_EUlS13_E_NS1_11comp_targetILNS1_3genE8ELNS1_11target_archE1030ELNS1_3gpuE2ELNS1_3repE0EEENS1_47radix_sort_onesweep_sort_config_static_selectorELNS0_4arch9wavefront6targetE1EEEvSK_
	.p2align	8
	.type	_ZN7rocprim17ROCPRIM_400000_NS6detail17trampoline_kernelINS0_14default_configENS1_35radix_sort_onesweep_config_selectorIiNS0_10empty_typeEEEZZNS1_29radix_sort_onesweep_iterationIS3_Lb0EN6thrust23THRUST_200600_302600_NS6detail15normal_iteratorINS9_10device_ptrIiEEEESE_PS5_SF_jNS0_19identity_decomposerENS1_16block_id_wrapperIjLb1EEEEE10hipError_tT1_PNSt15iterator_traitsISK_E10value_typeET2_T3_PNSL_ISQ_E10value_typeET4_T5_PSV_SW_PNS1_23onesweep_lookback_stateEbbT6_jjT7_P12ihipStream_tbENKUlT_T0_SK_SP_E_clISE_SE_SF_SF_EEDaS13_S14_SK_SP_EUlS13_E_NS1_11comp_targetILNS1_3genE8ELNS1_11target_archE1030ELNS1_3gpuE2ELNS1_3repE0EEENS1_47radix_sort_onesweep_sort_config_static_selectorELNS0_4arch9wavefront6targetE1EEEvSK_,@function
_ZN7rocprim17ROCPRIM_400000_NS6detail17trampoline_kernelINS0_14default_configENS1_35radix_sort_onesweep_config_selectorIiNS0_10empty_typeEEEZZNS1_29radix_sort_onesweep_iterationIS3_Lb0EN6thrust23THRUST_200600_302600_NS6detail15normal_iteratorINS9_10device_ptrIiEEEESE_PS5_SF_jNS0_19identity_decomposerENS1_16block_id_wrapperIjLb1EEEEE10hipError_tT1_PNSt15iterator_traitsISK_E10value_typeET2_T3_PNSL_ISQ_E10value_typeET4_T5_PSV_SW_PNS1_23onesweep_lookback_stateEbbT6_jjT7_P12ihipStream_tbENKUlT_T0_SK_SP_E_clISE_SE_SF_SF_EEDaS13_S14_SK_SP_EUlS13_E_NS1_11comp_targetILNS1_3genE8ELNS1_11target_archE1030ELNS1_3gpuE2ELNS1_3repE0EEENS1_47radix_sort_onesweep_sort_config_static_selectorELNS0_4arch9wavefront6targetE1EEEvSK_: ; @_ZN7rocprim17ROCPRIM_400000_NS6detail17trampoline_kernelINS0_14default_configENS1_35radix_sort_onesweep_config_selectorIiNS0_10empty_typeEEEZZNS1_29radix_sort_onesweep_iterationIS3_Lb0EN6thrust23THRUST_200600_302600_NS6detail15normal_iteratorINS9_10device_ptrIiEEEESE_PS5_SF_jNS0_19identity_decomposerENS1_16block_id_wrapperIjLb1EEEEE10hipError_tT1_PNSt15iterator_traitsISK_E10value_typeET2_T3_PNSL_ISQ_E10value_typeET4_T5_PSV_SW_PNS1_23onesweep_lookback_stateEbbT6_jjT7_P12ihipStream_tbENKUlT_T0_SK_SP_E_clISE_SE_SF_SF_EEDaS13_S14_SK_SP_EUlS13_E_NS1_11comp_targetILNS1_3genE8ELNS1_11target_archE1030ELNS1_3gpuE2ELNS1_3repE0EEENS1_47radix_sort_onesweep_sort_config_static_selectorELNS0_4arch9wavefront6targetE1EEEvSK_
; %bb.0:
	.section	.rodata,"a",@progbits
	.p2align	6, 0x0
	.amdhsa_kernel _ZN7rocprim17ROCPRIM_400000_NS6detail17trampoline_kernelINS0_14default_configENS1_35radix_sort_onesweep_config_selectorIiNS0_10empty_typeEEEZZNS1_29radix_sort_onesweep_iterationIS3_Lb0EN6thrust23THRUST_200600_302600_NS6detail15normal_iteratorINS9_10device_ptrIiEEEESE_PS5_SF_jNS0_19identity_decomposerENS1_16block_id_wrapperIjLb1EEEEE10hipError_tT1_PNSt15iterator_traitsISK_E10value_typeET2_T3_PNSL_ISQ_E10value_typeET4_T5_PSV_SW_PNS1_23onesweep_lookback_stateEbbT6_jjT7_P12ihipStream_tbENKUlT_T0_SK_SP_E_clISE_SE_SF_SF_EEDaS13_S14_SK_SP_EUlS13_E_NS1_11comp_targetILNS1_3genE8ELNS1_11target_archE1030ELNS1_3gpuE2ELNS1_3repE0EEENS1_47radix_sort_onesweep_sort_config_static_selectorELNS0_4arch9wavefront6targetE1EEEvSK_
		.amdhsa_group_segment_fixed_size 0
		.amdhsa_private_segment_fixed_size 0
		.amdhsa_kernarg_size 88
		.amdhsa_user_sgpr_count 2
		.amdhsa_user_sgpr_dispatch_ptr 0
		.amdhsa_user_sgpr_queue_ptr 0
		.amdhsa_user_sgpr_kernarg_segment_ptr 1
		.amdhsa_user_sgpr_dispatch_id 0
		.amdhsa_user_sgpr_kernarg_preload_length 0
		.amdhsa_user_sgpr_kernarg_preload_offset 0
		.amdhsa_user_sgpr_private_segment_size 0
		.amdhsa_uses_dynamic_stack 0
		.amdhsa_enable_private_segment 0
		.amdhsa_system_sgpr_workgroup_id_x 1
		.amdhsa_system_sgpr_workgroup_id_y 0
		.amdhsa_system_sgpr_workgroup_id_z 0
		.amdhsa_system_sgpr_workgroup_info 0
		.amdhsa_system_vgpr_workitem_id 0
		.amdhsa_next_free_vgpr 1
		.amdhsa_next_free_sgpr 0
		.amdhsa_accum_offset 4
		.amdhsa_reserve_vcc 0
		.amdhsa_float_round_mode_32 0
		.amdhsa_float_round_mode_16_64 0
		.amdhsa_float_denorm_mode_32 3
		.amdhsa_float_denorm_mode_16_64 3
		.amdhsa_dx10_clamp 1
		.amdhsa_ieee_mode 1
		.amdhsa_fp16_overflow 0
		.amdhsa_tg_split 0
		.amdhsa_exception_fp_ieee_invalid_op 0
		.amdhsa_exception_fp_denorm_src 0
		.amdhsa_exception_fp_ieee_div_zero 0
		.amdhsa_exception_fp_ieee_overflow 0
		.amdhsa_exception_fp_ieee_underflow 0
		.amdhsa_exception_fp_ieee_inexact 0
		.amdhsa_exception_int_div_zero 0
	.end_amdhsa_kernel
	.section	.text._ZN7rocprim17ROCPRIM_400000_NS6detail17trampoline_kernelINS0_14default_configENS1_35radix_sort_onesweep_config_selectorIiNS0_10empty_typeEEEZZNS1_29radix_sort_onesweep_iterationIS3_Lb0EN6thrust23THRUST_200600_302600_NS6detail15normal_iteratorINS9_10device_ptrIiEEEESE_PS5_SF_jNS0_19identity_decomposerENS1_16block_id_wrapperIjLb1EEEEE10hipError_tT1_PNSt15iterator_traitsISK_E10value_typeET2_T3_PNSL_ISQ_E10value_typeET4_T5_PSV_SW_PNS1_23onesweep_lookback_stateEbbT6_jjT7_P12ihipStream_tbENKUlT_T0_SK_SP_E_clISE_SE_SF_SF_EEDaS13_S14_SK_SP_EUlS13_E_NS1_11comp_targetILNS1_3genE8ELNS1_11target_archE1030ELNS1_3gpuE2ELNS1_3repE0EEENS1_47radix_sort_onesweep_sort_config_static_selectorELNS0_4arch9wavefront6targetE1EEEvSK_,"axG",@progbits,_ZN7rocprim17ROCPRIM_400000_NS6detail17trampoline_kernelINS0_14default_configENS1_35radix_sort_onesweep_config_selectorIiNS0_10empty_typeEEEZZNS1_29radix_sort_onesweep_iterationIS3_Lb0EN6thrust23THRUST_200600_302600_NS6detail15normal_iteratorINS9_10device_ptrIiEEEESE_PS5_SF_jNS0_19identity_decomposerENS1_16block_id_wrapperIjLb1EEEEE10hipError_tT1_PNSt15iterator_traitsISK_E10value_typeET2_T3_PNSL_ISQ_E10value_typeET4_T5_PSV_SW_PNS1_23onesweep_lookback_stateEbbT6_jjT7_P12ihipStream_tbENKUlT_T0_SK_SP_E_clISE_SE_SF_SF_EEDaS13_S14_SK_SP_EUlS13_E_NS1_11comp_targetILNS1_3genE8ELNS1_11target_archE1030ELNS1_3gpuE2ELNS1_3repE0EEENS1_47radix_sort_onesweep_sort_config_static_selectorELNS0_4arch9wavefront6targetE1EEEvSK_,comdat
.Lfunc_end167:
	.size	_ZN7rocprim17ROCPRIM_400000_NS6detail17trampoline_kernelINS0_14default_configENS1_35radix_sort_onesweep_config_selectorIiNS0_10empty_typeEEEZZNS1_29radix_sort_onesweep_iterationIS3_Lb0EN6thrust23THRUST_200600_302600_NS6detail15normal_iteratorINS9_10device_ptrIiEEEESE_PS5_SF_jNS0_19identity_decomposerENS1_16block_id_wrapperIjLb1EEEEE10hipError_tT1_PNSt15iterator_traitsISK_E10value_typeET2_T3_PNSL_ISQ_E10value_typeET4_T5_PSV_SW_PNS1_23onesweep_lookback_stateEbbT6_jjT7_P12ihipStream_tbENKUlT_T0_SK_SP_E_clISE_SE_SF_SF_EEDaS13_S14_SK_SP_EUlS13_E_NS1_11comp_targetILNS1_3genE8ELNS1_11target_archE1030ELNS1_3gpuE2ELNS1_3repE0EEENS1_47radix_sort_onesweep_sort_config_static_selectorELNS0_4arch9wavefront6targetE1EEEvSK_, .Lfunc_end167-_ZN7rocprim17ROCPRIM_400000_NS6detail17trampoline_kernelINS0_14default_configENS1_35radix_sort_onesweep_config_selectorIiNS0_10empty_typeEEEZZNS1_29radix_sort_onesweep_iterationIS3_Lb0EN6thrust23THRUST_200600_302600_NS6detail15normal_iteratorINS9_10device_ptrIiEEEESE_PS5_SF_jNS0_19identity_decomposerENS1_16block_id_wrapperIjLb1EEEEE10hipError_tT1_PNSt15iterator_traitsISK_E10value_typeET2_T3_PNSL_ISQ_E10value_typeET4_T5_PSV_SW_PNS1_23onesweep_lookback_stateEbbT6_jjT7_P12ihipStream_tbENKUlT_T0_SK_SP_E_clISE_SE_SF_SF_EEDaS13_S14_SK_SP_EUlS13_E_NS1_11comp_targetILNS1_3genE8ELNS1_11target_archE1030ELNS1_3gpuE2ELNS1_3repE0EEENS1_47radix_sort_onesweep_sort_config_static_selectorELNS0_4arch9wavefront6targetE1EEEvSK_
                                        ; -- End function
	.set _ZN7rocprim17ROCPRIM_400000_NS6detail17trampoline_kernelINS0_14default_configENS1_35radix_sort_onesweep_config_selectorIiNS0_10empty_typeEEEZZNS1_29radix_sort_onesweep_iterationIS3_Lb0EN6thrust23THRUST_200600_302600_NS6detail15normal_iteratorINS9_10device_ptrIiEEEESE_PS5_SF_jNS0_19identity_decomposerENS1_16block_id_wrapperIjLb1EEEEE10hipError_tT1_PNSt15iterator_traitsISK_E10value_typeET2_T3_PNSL_ISQ_E10value_typeET4_T5_PSV_SW_PNS1_23onesweep_lookback_stateEbbT6_jjT7_P12ihipStream_tbENKUlT_T0_SK_SP_E_clISE_SE_SF_SF_EEDaS13_S14_SK_SP_EUlS13_E_NS1_11comp_targetILNS1_3genE8ELNS1_11target_archE1030ELNS1_3gpuE2ELNS1_3repE0EEENS1_47radix_sort_onesweep_sort_config_static_selectorELNS0_4arch9wavefront6targetE1EEEvSK_.num_vgpr, 0
	.set _ZN7rocprim17ROCPRIM_400000_NS6detail17trampoline_kernelINS0_14default_configENS1_35radix_sort_onesweep_config_selectorIiNS0_10empty_typeEEEZZNS1_29radix_sort_onesweep_iterationIS3_Lb0EN6thrust23THRUST_200600_302600_NS6detail15normal_iteratorINS9_10device_ptrIiEEEESE_PS5_SF_jNS0_19identity_decomposerENS1_16block_id_wrapperIjLb1EEEEE10hipError_tT1_PNSt15iterator_traitsISK_E10value_typeET2_T3_PNSL_ISQ_E10value_typeET4_T5_PSV_SW_PNS1_23onesweep_lookback_stateEbbT6_jjT7_P12ihipStream_tbENKUlT_T0_SK_SP_E_clISE_SE_SF_SF_EEDaS13_S14_SK_SP_EUlS13_E_NS1_11comp_targetILNS1_3genE8ELNS1_11target_archE1030ELNS1_3gpuE2ELNS1_3repE0EEENS1_47radix_sort_onesweep_sort_config_static_selectorELNS0_4arch9wavefront6targetE1EEEvSK_.num_agpr, 0
	.set _ZN7rocprim17ROCPRIM_400000_NS6detail17trampoline_kernelINS0_14default_configENS1_35radix_sort_onesweep_config_selectorIiNS0_10empty_typeEEEZZNS1_29radix_sort_onesweep_iterationIS3_Lb0EN6thrust23THRUST_200600_302600_NS6detail15normal_iteratorINS9_10device_ptrIiEEEESE_PS5_SF_jNS0_19identity_decomposerENS1_16block_id_wrapperIjLb1EEEEE10hipError_tT1_PNSt15iterator_traitsISK_E10value_typeET2_T3_PNSL_ISQ_E10value_typeET4_T5_PSV_SW_PNS1_23onesweep_lookback_stateEbbT6_jjT7_P12ihipStream_tbENKUlT_T0_SK_SP_E_clISE_SE_SF_SF_EEDaS13_S14_SK_SP_EUlS13_E_NS1_11comp_targetILNS1_3genE8ELNS1_11target_archE1030ELNS1_3gpuE2ELNS1_3repE0EEENS1_47radix_sort_onesweep_sort_config_static_selectorELNS0_4arch9wavefront6targetE1EEEvSK_.numbered_sgpr, 0
	.set _ZN7rocprim17ROCPRIM_400000_NS6detail17trampoline_kernelINS0_14default_configENS1_35radix_sort_onesweep_config_selectorIiNS0_10empty_typeEEEZZNS1_29radix_sort_onesweep_iterationIS3_Lb0EN6thrust23THRUST_200600_302600_NS6detail15normal_iteratorINS9_10device_ptrIiEEEESE_PS5_SF_jNS0_19identity_decomposerENS1_16block_id_wrapperIjLb1EEEEE10hipError_tT1_PNSt15iterator_traitsISK_E10value_typeET2_T3_PNSL_ISQ_E10value_typeET4_T5_PSV_SW_PNS1_23onesweep_lookback_stateEbbT6_jjT7_P12ihipStream_tbENKUlT_T0_SK_SP_E_clISE_SE_SF_SF_EEDaS13_S14_SK_SP_EUlS13_E_NS1_11comp_targetILNS1_3genE8ELNS1_11target_archE1030ELNS1_3gpuE2ELNS1_3repE0EEENS1_47radix_sort_onesweep_sort_config_static_selectorELNS0_4arch9wavefront6targetE1EEEvSK_.num_named_barrier, 0
	.set _ZN7rocprim17ROCPRIM_400000_NS6detail17trampoline_kernelINS0_14default_configENS1_35radix_sort_onesweep_config_selectorIiNS0_10empty_typeEEEZZNS1_29radix_sort_onesweep_iterationIS3_Lb0EN6thrust23THRUST_200600_302600_NS6detail15normal_iteratorINS9_10device_ptrIiEEEESE_PS5_SF_jNS0_19identity_decomposerENS1_16block_id_wrapperIjLb1EEEEE10hipError_tT1_PNSt15iterator_traitsISK_E10value_typeET2_T3_PNSL_ISQ_E10value_typeET4_T5_PSV_SW_PNS1_23onesweep_lookback_stateEbbT6_jjT7_P12ihipStream_tbENKUlT_T0_SK_SP_E_clISE_SE_SF_SF_EEDaS13_S14_SK_SP_EUlS13_E_NS1_11comp_targetILNS1_3genE8ELNS1_11target_archE1030ELNS1_3gpuE2ELNS1_3repE0EEENS1_47radix_sort_onesweep_sort_config_static_selectorELNS0_4arch9wavefront6targetE1EEEvSK_.private_seg_size, 0
	.set _ZN7rocprim17ROCPRIM_400000_NS6detail17trampoline_kernelINS0_14default_configENS1_35radix_sort_onesweep_config_selectorIiNS0_10empty_typeEEEZZNS1_29radix_sort_onesweep_iterationIS3_Lb0EN6thrust23THRUST_200600_302600_NS6detail15normal_iteratorINS9_10device_ptrIiEEEESE_PS5_SF_jNS0_19identity_decomposerENS1_16block_id_wrapperIjLb1EEEEE10hipError_tT1_PNSt15iterator_traitsISK_E10value_typeET2_T3_PNSL_ISQ_E10value_typeET4_T5_PSV_SW_PNS1_23onesweep_lookback_stateEbbT6_jjT7_P12ihipStream_tbENKUlT_T0_SK_SP_E_clISE_SE_SF_SF_EEDaS13_S14_SK_SP_EUlS13_E_NS1_11comp_targetILNS1_3genE8ELNS1_11target_archE1030ELNS1_3gpuE2ELNS1_3repE0EEENS1_47radix_sort_onesweep_sort_config_static_selectorELNS0_4arch9wavefront6targetE1EEEvSK_.uses_vcc, 0
	.set _ZN7rocprim17ROCPRIM_400000_NS6detail17trampoline_kernelINS0_14default_configENS1_35radix_sort_onesweep_config_selectorIiNS0_10empty_typeEEEZZNS1_29radix_sort_onesweep_iterationIS3_Lb0EN6thrust23THRUST_200600_302600_NS6detail15normal_iteratorINS9_10device_ptrIiEEEESE_PS5_SF_jNS0_19identity_decomposerENS1_16block_id_wrapperIjLb1EEEEE10hipError_tT1_PNSt15iterator_traitsISK_E10value_typeET2_T3_PNSL_ISQ_E10value_typeET4_T5_PSV_SW_PNS1_23onesweep_lookback_stateEbbT6_jjT7_P12ihipStream_tbENKUlT_T0_SK_SP_E_clISE_SE_SF_SF_EEDaS13_S14_SK_SP_EUlS13_E_NS1_11comp_targetILNS1_3genE8ELNS1_11target_archE1030ELNS1_3gpuE2ELNS1_3repE0EEENS1_47radix_sort_onesweep_sort_config_static_selectorELNS0_4arch9wavefront6targetE1EEEvSK_.uses_flat_scratch, 0
	.set _ZN7rocprim17ROCPRIM_400000_NS6detail17trampoline_kernelINS0_14default_configENS1_35radix_sort_onesweep_config_selectorIiNS0_10empty_typeEEEZZNS1_29radix_sort_onesweep_iterationIS3_Lb0EN6thrust23THRUST_200600_302600_NS6detail15normal_iteratorINS9_10device_ptrIiEEEESE_PS5_SF_jNS0_19identity_decomposerENS1_16block_id_wrapperIjLb1EEEEE10hipError_tT1_PNSt15iterator_traitsISK_E10value_typeET2_T3_PNSL_ISQ_E10value_typeET4_T5_PSV_SW_PNS1_23onesweep_lookback_stateEbbT6_jjT7_P12ihipStream_tbENKUlT_T0_SK_SP_E_clISE_SE_SF_SF_EEDaS13_S14_SK_SP_EUlS13_E_NS1_11comp_targetILNS1_3genE8ELNS1_11target_archE1030ELNS1_3gpuE2ELNS1_3repE0EEENS1_47radix_sort_onesweep_sort_config_static_selectorELNS0_4arch9wavefront6targetE1EEEvSK_.has_dyn_sized_stack, 0
	.set _ZN7rocprim17ROCPRIM_400000_NS6detail17trampoline_kernelINS0_14default_configENS1_35radix_sort_onesweep_config_selectorIiNS0_10empty_typeEEEZZNS1_29radix_sort_onesweep_iterationIS3_Lb0EN6thrust23THRUST_200600_302600_NS6detail15normal_iteratorINS9_10device_ptrIiEEEESE_PS5_SF_jNS0_19identity_decomposerENS1_16block_id_wrapperIjLb1EEEEE10hipError_tT1_PNSt15iterator_traitsISK_E10value_typeET2_T3_PNSL_ISQ_E10value_typeET4_T5_PSV_SW_PNS1_23onesweep_lookback_stateEbbT6_jjT7_P12ihipStream_tbENKUlT_T0_SK_SP_E_clISE_SE_SF_SF_EEDaS13_S14_SK_SP_EUlS13_E_NS1_11comp_targetILNS1_3genE8ELNS1_11target_archE1030ELNS1_3gpuE2ELNS1_3repE0EEENS1_47radix_sort_onesweep_sort_config_static_selectorELNS0_4arch9wavefront6targetE1EEEvSK_.has_recursion, 0
	.set _ZN7rocprim17ROCPRIM_400000_NS6detail17trampoline_kernelINS0_14default_configENS1_35radix_sort_onesweep_config_selectorIiNS0_10empty_typeEEEZZNS1_29radix_sort_onesweep_iterationIS3_Lb0EN6thrust23THRUST_200600_302600_NS6detail15normal_iteratorINS9_10device_ptrIiEEEESE_PS5_SF_jNS0_19identity_decomposerENS1_16block_id_wrapperIjLb1EEEEE10hipError_tT1_PNSt15iterator_traitsISK_E10value_typeET2_T3_PNSL_ISQ_E10value_typeET4_T5_PSV_SW_PNS1_23onesweep_lookback_stateEbbT6_jjT7_P12ihipStream_tbENKUlT_T0_SK_SP_E_clISE_SE_SF_SF_EEDaS13_S14_SK_SP_EUlS13_E_NS1_11comp_targetILNS1_3genE8ELNS1_11target_archE1030ELNS1_3gpuE2ELNS1_3repE0EEENS1_47radix_sort_onesweep_sort_config_static_selectorELNS0_4arch9wavefront6targetE1EEEvSK_.has_indirect_call, 0
	.section	.AMDGPU.csdata,"",@progbits
; Kernel info:
; codeLenInByte = 0
; TotalNumSgprs: 6
; NumVgprs: 0
; NumAgprs: 0
; TotalNumVgprs: 0
; ScratchSize: 0
; MemoryBound: 0
; FloatMode: 240
; IeeeMode: 1
; LDSByteSize: 0 bytes/workgroup (compile time only)
; SGPRBlocks: 0
; VGPRBlocks: 0
; NumSGPRsForWavesPerEU: 6
; NumVGPRsForWavesPerEU: 1
; AccumOffset: 4
; Occupancy: 8
; WaveLimiterHint : 0
; COMPUTE_PGM_RSRC2:SCRATCH_EN: 0
; COMPUTE_PGM_RSRC2:USER_SGPR: 2
; COMPUTE_PGM_RSRC2:TRAP_HANDLER: 0
; COMPUTE_PGM_RSRC2:TGID_X_EN: 1
; COMPUTE_PGM_RSRC2:TGID_Y_EN: 0
; COMPUTE_PGM_RSRC2:TGID_Z_EN: 0
; COMPUTE_PGM_RSRC2:TIDIG_COMP_CNT: 0
; COMPUTE_PGM_RSRC3_GFX90A:ACCUM_OFFSET: 0
; COMPUTE_PGM_RSRC3_GFX90A:TG_SPLIT: 0
	.section	.text._ZN7rocprim17ROCPRIM_400000_NS6detail17trampoline_kernelINS0_14default_configENS1_35radix_sort_onesweep_config_selectorIiNS0_10empty_typeEEEZZNS1_29radix_sort_onesweep_iterationIS3_Lb0EN6thrust23THRUST_200600_302600_NS6detail15normal_iteratorINS9_10device_ptrIiEEEESE_PS5_SF_jNS0_19identity_decomposerENS1_16block_id_wrapperIjLb1EEEEE10hipError_tT1_PNSt15iterator_traitsISK_E10value_typeET2_T3_PNSL_ISQ_E10value_typeET4_T5_PSV_SW_PNS1_23onesweep_lookback_stateEbbT6_jjT7_P12ihipStream_tbENKUlT_T0_SK_SP_E_clISE_PiSF_SF_EEDaS13_S14_SK_SP_EUlS13_E_NS1_11comp_targetILNS1_3genE0ELNS1_11target_archE4294967295ELNS1_3gpuE0ELNS1_3repE0EEENS1_47radix_sort_onesweep_sort_config_static_selectorELNS0_4arch9wavefront6targetE1EEEvSK_,"axG",@progbits,_ZN7rocprim17ROCPRIM_400000_NS6detail17trampoline_kernelINS0_14default_configENS1_35radix_sort_onesweep_config_selectorIiNS0_10empty_typeEEEZZNS1_29radix_sort_onesweep_iterationIS3_Lb0EN6thrust23THRUST_200600_302600_NS6detail15normal_iteratorINS9_10device_ptrIiEEEESE_PS5_SF_jNS0_19identity_decomposerENS1_16block_id_wrapperIjLb1EEEEE10hipError_tT1_PNSt15iterator_traitsISK_E10value_typeET2_T3_PNSL_ISQ_E10value_typeET4_T5_PSV_SW_PNS1_23onesweep_lookback_stateEbbT6_jjT7_P12ihipStream_tbENKUlT_T0_SK_SP_E_clISE_PiSF_SF_EEDaS13_S14_SK_SP_EUlS13_E_NS1_11comp_targetILNS1_3genE0ELNS1_11target_archE4294967295ELNS1_3gpuE0ELNS1_3repE0EEENS1_47radix_sort_onesweep_sort_config_static_selectorELNS0_4arch9wavefront6targetE1EEEvSK_,comdat
	.protected	_ZN7rocprim17ROCPRIM_400000_NS6detail17trampoline_kernelINS0_14default_configENS1_35radix_sort_onesweep_config_selectorIiNS0_10empty_typeEEEZZNS1_29radix_sort_onesweep_iterationIS3_Lb0EN6thrust23THRUST_200600_302600_NS6detail15normal_iteratorINS9_10device_ptrIiEEEESE_PS5_SF_jNS0_19identity_decomposerENS1_16block_id_wrapperIjLb1EEEEE10hipError_tT1_PNSt15iterator_traitsISK_E10value_typeET2_T3_PNSL_ISQ_E10value_typeET4_T5_PSV_SW_PNS1_23onesweep_lookback_stateEbbT6_jjT7_P12ihipStream_tbENKUlT_T0_SK_SP_E_clISE_PiSF_SF_EEDaS13_S14_SK_SP_EUlS13_E_NS1_11comp_targetILNS1_3genE0ELNS1_11target_archE4294967295ELNS1_3gpuE0ELNS1_3repE0EEENS1_47radix_sort_onesweep_sort_config_static_selectorELNS0_4arch9wavefront6targetE1EEEvSK_ ; -- Begin function _ZN7rocprim17ROCPRIM_400000_NS6detail17trampoline_kernelINS0_14default_configENS1_35radix_sort_onesweep_config_selectorIiNS0_10empty_typeEEEZZNS1_29radix_sort_onesweep_iterationIS3_Lb0EN6thrust23THRUST_200600_302600_NS6detail15normal_iteratorINS9_10device_ptrIiEEEESE_PS5_SF_jNS0_19identity_decomposerENS1_16block_id_wrapperIjLb1EEEEE10hipError_tT1_PNSt15iterator_traitsISK_E10value_typeET2_T3_PNSL_ISQ_E10value_typeET4_T5_PSV_SW_PNS1_23onesweep_lookback_stateEbbT6_jjT7_P12ihipStream_tbENKUlT_T0_SK_SP_E_clISE_PiSF_SF_EEDaS13_S14_SK_SP_EUlS13_E_NS1_11comp_targetILNS1_3genE0ELNS1_11target_archE4294967295ELNS1_3gpuE0ELNS1_3repE0EEENS1_47radix_sort_onesweep_sort_config_static_selectorELNS0_4arch9wavefront6targetE1EEEvSK_
	.globl	_ZN7rocprim17ROCPRIM_400000_NS6detail17trampoline_kernelINS0_14default_configENS1_35radix_sort_onesweep_config_selectorIiNS0_10empty_typeEEEZZNS1_29radix_sort_onesweep_iterationIS3_Lb0EN6thrust23THRUST_200600_302600_NS6detail15normal_iteratorINS9_10device_ptrIiEEEESE_PS5_SF_jNS0_19identity_decomposerENS1_16block_id_wrapperIjLb1EEEEE10hipError_tT1_PNSt15iterator_traitsISK_E10value_typeET2_T3_PNSL_ISQ_E10value_typeET4_T5_PSV_SW_PNS1_23onesweep_lookback_stateEbbT6_jjT7_P12ihipStream_tbENKUlT_T0_SK_SP_E_clISE_PiSF_SF_EEDaS13_S14_SK_SP_EUlS13_E_NS1_11comp_targetILNS1_3genE0ELNS1_11target_archE4294967295ELNS1_3gpuE0ELNS1_3repE0EEENS1_47radix_sort_onesweep_sort_config_static_selectorELNS0_4arch9wavefront6targetE1EEEvSK_
	.p2align	8
	.type	_ZN7rocprim17ROCPRIM_400000_NS6detail17trampoline_kernelINS0_14default_configENS1_35radix_sort_onesweep_config_selectorIiNS0_10empty_typeEEEZZNS1_29radix_sort_onesweep_iterationIS3_Lb0EN6thrust23THRUST_200600_302600_NS6detail15normal_iteratorINS9_10device_ptrIiEEEESE_PS5_SF_jNS0_19identity_decomposerENS1_16block_id_wrapperIjLb1EEEEE10hipError_tT1_PNSt15iterator_traitsISK_E10value_typeET2_T3_PNSL_ISQ_E10value_typeET4_T5_PSV_SW_PNS1_23onesweep_lookback_stateEbbT6_jjT7_P12ihipStream_tbENKUlT_T0_SK_SP_E_clISE_PiSF_SF_EEDaS13_S14_SK_SP_EUlS13_E_NS1_11comp_targetILNS1_3genE0ELNS1_11target_archE4294967295ELNS1_3gpuE0ELNS1_3repE0EEENS1_47radix_sort_onesweep_sort_config_static_selectorELNS0_4arch9wavefront6targetE1EEEvSK_,@function
_ZN7rocprim17ROCPRIM_400000_NS6detail17trampoline_kernelINS0_14default_configENS1_35radix_sort_onesweep_config_selectorIiNS0_10empty_typeEEEZZNS1_29radix_sort_onesweep_iterationIS3_Lb0EN6thrust23THRUST_200600_302600_NS6detail15normal_iteratorINS9_10device_ptrIiEEEESE_PS5_SF_jNS0_19identity_decomposerENS1_16block_id_wrapperIjLb1EEEEE10hipError_tT1_PNSt15iterator_traitsISK_E10value_typeET2_T3_PNSL_ISQ_E10value_typeET4_T5_PSV_SW_PNS1_23onesweep_lookback_stateEbbT6_jjT7_P12ihipStream_tbENKUlT_T0_SK_SP_E_clISE_PiSF_SF_EEDaS13_S14_SK_SP_EUlS13_E_NS1_11comp_targetILNS1_3genE0ELNS1_11target_archE4294967295ELNS1_3gpuE0ELNS1_3repE0EEENS1_47radix_sort_onesweep_sort_config_static_selectorELNS0_4arch9wavefront6targetE1EEEvSK_: ; @_ZN7rocprim17ROCPRIM_400000_NS6detail17trampoline_kernelINS0_14default_configENS1_35radix_sort_onesweep_config_selectorIiNS0_10empty_typeEEEZZNS1_29radix_sort_onesweep_iterationIS3_Lb0EN6thrust23THRUST_200600_302600_NS6detail15normal_iteratorINS9_10device_ptrIiEEEESE_PS5_SF_jNS0_19identity_decomposerENS1_16block_id_wrapperIjLb1EEEEE10hipError_tT1_PNSt15iterator_traitsISK_E10value_typeET2_T3_PNSL_ISQ_E10value_typeET4_T5_PSV_SW_PNS1_23onesweep_lookback_stateEbbT6_jjT7_P12ihipStream_tbENKUlT_T0_SK_SP_E_clISE_PiSF_SF_EEDaS13_S14_SK_SP_EUlS13_E_NS1_11comp_targetILNS1_3genE0ELNS1_11target_archE4294967295ELNS1_3gpuE0ELNS1_3repE0EEENS1_47radix_sort_onesweep_sort_config_static_selectorELNS0_4arch9wavefront6targetE1EEEvSK_
; %bb.0:
	.section	.rodata,"a",@progbits
	.p2align	6, 0x0
	.amdhsa_kernel _ZN7rocprim17ROCPRIM_400000_NS6detail17trampoline_kernelINS0_14default_configENS1_35radix_sort_onesweep_config_selectorIiNS0_10empty_typeEEEZZNS1_29radix_sort_onesweep_iterationIS3_Lb0EN6thrust23THRUST_200600_302600_NS6detail15normal_iteratorINS9_10device_ptrIiEEEESE_PS5_SF_jNS0_19identity_decomposerENS1_16block_id_wrapperIjLb1EEEEE10hipError_tT1_PNSt15iterator_traitsISK_E10value_typeET2_T3_PNSL_ISQ_E10value_typeET4_T5_PSV_SW_PNS1_23onesweep_lookback_stateEbbT6_jjT7_P12ihipStream_tbENKUlT_T0_SK_SP_E_clISE_PiSF_SF_EEDaS13_S14_SK_SP_EUlS13_E_NS1_11comp_targetILNS1_3genE0ELNS1_11target_archE4294967295ELNS1_3gpuE0ELNS1_3repE0EEENS1_47radix_sort_onesweep_sort_config_static_selectorELNS0_4arch9wavefront6targetE1EEEvSK_
		.amdhsa_group_segment_fixed_size 0
		.amdhsa_private_segment_fixed_size 0
		.amdhsa_kernarg_size 88
		.amdhsa_user_sgpr_count 2
		.amdhsa_user_sgpr_dispatch_ptr 0
		.amdhsa_user_sgpr_queue_ptr 0
		.amdhsa_user_sgpr_kernarg_segment_ptr 1
		.amdhsa_user_sgpr_dispatch_id 0
		.amdhsa_user_sgpr_kernarg_preload_length 0
		.amdhsa_user_sgpr_kernarg_preload_offset 0
		.amdhsa_user_sgpr_private_segment_size 0
		.amdhsa_uses_dynamic_stack 0
		.amdhsa_enable_private_segment 0
		.amdhsa_system_sgpr_workgroup_id_x 1
		.amdhsa_system_sgpr_workgroup_id_y 0
		.amdhsa_system_sgpr_workgroup_id_z 0
		.amdhsa_system_sgpr_workgroup_info 0
		.amdhsa_system_vgpr_workitem_id 0
		.amdhsa_next_free_vgpr 1
		.amdhsa_next_free_sgpr 0
		.amdhsa_accum_offset 4
		.amdhsa_reserve_vcc 0
		.amdhsa_float_round_mode_32 0
		.amdhsa_float_round_mode_16_64 0
		.amdhsa_float_denorm_mode_32 3
		.amdhsa_float_denorm_mode_16_64 3
		.amdhsa_dx10_clamp 1
		.amdhsa_ieee_mode 1
		.amdhsa_fp16_overflow 0
		.amdhsa_tg_split 0
		.amdhsa_exception_fp_ieee_invalid_op 0
		.amdhsa_exception_fp_denorm_src 0
		.amdhsa_exception_fp_ieee_div_zero 0
		.amdhsa_exception_fp_ieee_overflow 0
		.amdhsa_exception_fp_ieee_underflow 0
		.amdhsa_exception_fp_ieee_inexact 0
		.amdhsa_exception_int_div_zero 0
	.end_amdhsa_kernel
	.section	.text._ZN7rocprim17ROCPRIM_400000_NS6detail17trampoline_kernelINS0_14default_configENS1_35radix_sort_onesweep_config_selectorIiNS0_10empty_typeEEEZZNS1_29radix_sort_onesweep_iterationIS3_Lb0EN6thrust23THRUST_200600_302600_NS6detail15normal_iteratorINS9_10device_ptrIiEEEESE_PS5_SF_jNS0_19identity_decomposerENS1_16block_id_wrapperIjLb1EEEEE10hipError_tT1_PNSt15iterator_traitsISK_E10value_typeET2_T3_PNSL_ISQ_E10value_typeET4_T5_PSV_SW_PNS1_23onesweep_lookback_stateEbbT6_jjT7_P12ihipStream_tbENKUlT_T0_SK_SP_E_clISE_PiSF_SF_EEDaS13_S14_SK_SP_EUlS13_E_NS1_11comp_targetILNS1_3genE0ELNS1_11target_archE4294967295ELNS1_3gpuE0ELNS1_3repE0EEENS1_47radix_sort_onesweep_sort_config_static_selectorELNS0_4arch9wavefront6targetE1EEEvSK_,"axG",@progbits,_ZN7rocprim17ROCPRIM_400000_NS6detail17trampoline_kernelINS0_14default_configENS1_35radix_sort_onesweep_config_selectorIiNS0_10empty_typeEEEZZNS1_29radix_sort_onesweep_iterationIS3_Lb0EN6thrust23THRUST_200600_302600_NS6detail15normal_iteratorINS9_10device_ptrIiEEEESE_PS5_SF_jNS0_19identity_decomposerENS1_16block_id_wrapperIjLb1EEEEE10hipError_tT1_PNSt15iterator_traitsISK_E10value_typeET2_T3_PNSL_ISQ_E10value_typeET4_T5_PSV_SW_PNS1_23onesweep_lookback_stateEbbT6_jjT7_P12ihipStream_tbENKUlT_T0_SK_SP_E_clISE_PiSF_SF_EEDaS13_S14_SK_SP_EUlS13_E_NS1_11comp_targetILNS1_3genE0ELNS1_11target_archE4294967295ELNS1_3gpuE0ELNS1_3repE0EEENS1_47radix_sort_onesweep_sort_config_static_selectorELNS0_4arch9wavefront6targetE1EEEvSK_,comdat
.Lfunc_end168:
	.size	_ZN7rocprim17ROCPRIM_400000_NS6detail17trampoline_kernelINS0_14default_configENS1_35radix_sort_onesweep_config_selectorIiNS0_10empty_typeEEEZZNS1_29radix_sort_onesweep_iterationIS3_Lb0EN6thrust23THRUST_200600_302600_NS6detail15normal_iteratorINS9_10device_ptrIiEEEESE_PS5_SF_jNS0_19identity_decomposerENS1_16block_id_wrapperIjLb1EEEEE10hipError_tT1_PNSt15iterator_traitsISK_E10value_typeET2_T3_PNSL_ISQ_E10value_typeET4_T5_PSV_SW_PNS1_23onesweep_lookback_stateEbbT6_jjT7_P12ihipStream_tbENKUlT_T0_SK_SP_E_clISE_PiSF_SF_EEDaS13_S14_SK_SP_EUlS13_E_NS1_11comp_targetILNS1_3genE0ELNS1_11target_archE4294967295ELNS1_3gpuE0ELNS1_3repE0EEENS1_47radix_sort_onesweep_sort_config_static_selectorELNS0_4arch9wavefront6targetE1EEEvSK_, .Lfunc_end168-_ZN7rocprim17ROCPRIM_400000_NS6detail17trampoline_kernelINS0_14default_configENS1_35radix_sort_onesweep_config_selectorIiNS0_10empty_typeEEEZZNS1_29radix_sort_onesweep_iterationIS3_Lb0EN6thrust23THRUST_200600_302600_NS6detail15normal_iteratorINS9_10device_ptrIiEEEESE_PS5_SF_jNS0_19identity_decomposerENS1_16block_id_wrapperIjLb1EEEEE10hipError_tT1_PNSt15iterator_traitsISK_E10value_typeET2_T3_PNSL_ISQ_E10value_typeET4_T5_PSV_SW_PNS1_23onesweep_lookback_stateEbbT6_jjT7_P12ihipStream_tbENKUlT_T0_SK_SP_E_clISE_PiSF_SF_EEDaS13_S14_SK_SP_EUlS13_E_NS1_11comp_targetILNS1_3genE0ELNS1_11target_archE4294967295ELNS1_3gpuE0ELNS1_3repE0EEENS1_47radix_sort_onesweep_sort_config_static_selectorELNS0_4arch9wavefront6targetE1EEEvSK_
                                        ; -- End function
	.set _ZN7rocprim17ROCPRIM_400000_NS6detail17trampoline_kernelINS0_14default_configENS1_35radix_sort_onesweep_config_selectorIiNS0_10empty_typeEEEZZNS1_29radix_sort_onesweep_iterationIS3_Lb0EN6thrust23THRUST_200600_302600_NS6detail15normal_iteratorINS9_10device_ptrIiEEEESE_PS5_SF_jNS0_19identity_decomposerENS1_16block_id_wrapperIjLb1EEEEE10hipError_tT1_PNSt15iterator_traitsISK_E10value_typeET2_T3_PNSL_ISQ_E10value_typeET4_T5_PSV_SW_PNS1_23onesweep_lookback_stateEbbT6_jjT7_P12ihipStream_tbENKUlT_T0_SK_SP_E_clISE_PiSF_SF_EEDaS13_S14_SK_SP_EUlS13_E_NS1_11comp_targetILNS1_3genE0ELNS1_11target_archE4294967295ELNS1_3gpuE0ELNS1_3repE0EEENS1_47radix_sort_onesweep_sort_config_static_selectorELNS0_4arch9wavefront6targetE1EEEvSK_.num_vgpr, 0
	.set _ZN7rocprim17ROCPRIM_400000_NS6detail17trampoline_kernelINS0_14default_configENS1_35radix_sort_onesweep_config_selectorIiNS0_10empty_typeEEEZZNS1_29radix_sort_onesweep_iterationIS3_Lb0EN6thrust23THRUST_200600_302600_NS6detail15normal_iteratorINS9_10device_ptrIiEEEESE_PS5_SF_jNS0_19identity_decomposerENS1_16block_id_wrapperIjLb1EEEEE10hipError_tT1_PNSt15iterator_traitsISK_E10value_typeET2_T3_PNSL_ISQ_E10value_typeET4_T5_PSV_SW_PNS1_23onesweep_lookback_stateEbbT6_jjT7_P12ihipStream_tbENKUlT_T0_SK_SP_E_clISE_PiSF_SF_EEDaS13_S14_SK_SP_EUlS13_E_NS1_11comp_targetILNS1_3genE0ELNS1_11target_archE4294967295ELNS1_3gpuE0ELNS1_3repE0EEENS1_47radix_sort_onesweep_sort_config_static_selectorELNS0_4arch9wavefront6targetE1EEEvSK_.num_agpr, 0
	.set _ZN7rocprim17ROCPRIM_400000_NS6detail17trampoline_kernelINS0_14default_configENS1_35radix_sort_onesweep_config_selectorIiNS0_10empty_typeEEEZZNS1_29radix_sort_onesweep_iterationIS3_Lb0EN6thrust23THRUST_200600_302600_NS6detail15normal_iteratorINS9_10device_ptrIiEEEESE_PS5_SF_jNS0_19identity_decomposerENS1_16block_id_wrapperIjLb1EEEEE10hipError_tT1_PNSt15iterator_traitsISK_E10value_typeET2_T3_PNSL_ISQ_E10value_typeET4_T5_PSV_SW_PNS1_23onesweep_lookback_stateEbbT6_jjT7_P12ihipStream_tbENKUlT_T0_SK_SP_E_clISE_PiSF_SF_EEDaS13_S14_SK_SP_EUlS13_E_NS1_11comp_targetILNS1_3genE0ELNS1_11target_archE4294967295ELNS1_3gpuE0ELNS1_3repE0EEENS1_47radix_sort_onesweep_sort_config_static_selectorELNS0_4arch9wavefront6targetE1EEEvSK_.numbered_sgpr, 0
	.set _ZN7rocprim17ROCPRIM_400000_NS6detail17trampoline_kernelINS0_14default_configENS1_35radix_sort_onesweep_config_selectorIiNS0_10empty_typeEEEZZNS1_29radix_sort_onesweep_iterationIS3_Lb0EN6thrust23THRUST_200600_302600_NS6detail15normal_iteratorINS9_10device_ptrIiEEEESE_PS5_SF_jNS0_19identity_decomposerENS1_16block_id_wrapperIjLb1EEEEE10hipError_tT1_PNSt15iterator_traitsISK_E10value_typeET2_T3_PNSL_ISQ_E10value_typeET4_T5_PSV_SW_PNS1_23onesweep_lookback_stateEbbT6_jjT7_P12ihipStream_tbENKUlT_T0_SK_SP_E_clISE_PiSF_SF_EEDaS13_S14_SK_SP_EUlS13_E_NS1_11comp_targetILNS1_3genE0ELNS1_11target_archE4294967295ELNS1_3gpuE0ELNS1_3repE0EEENS1_47radix_sort_onesweep_sort_config_static_selectorELNS0_4arch9wavefront6targetE1EEEvSK_.num_named_barrier, 0
	.set _ZN7rocprim17ROCPRIM_400000_NS6detail17trampoline_kernelINS0_14default_configENS1_35radix_sort_onesweep_config_selectorIiNS0_10empty_typeEEEZZNS1_29radix_sort_onesweep_iterationIS3_Lb0EN6thrust23THRUST_200600_302600_NS6detail15normal_iteratorINS9_10device_ptrIiEEEESE_PS5_SF_jNS0_19identity_decomposerENS1_16block_id_wrapperIjLb1EEEEE10hipError_tT1_PNSt15iterator_traitsISK_E10value_typeET2_T3_PNSL_ISQ_E10value_typeET4_T5_PSV_SW_PNS1_23onesweep_lookback_stateEbbT6_jjT7_P12ihipStream_tbENKUlT_T0_SK_SP_E_clISE_PiSF_SF_EEDaS13_S14_SK_SP_EUlS13_E_NS1_11comp_targetILNS1_3genE0ELNS1_11target_archE4294967295ELNS1_3gpuE0ELNS1_3repE0EEENS1_47radix_sort_onesweep_sort_config_static_selectorELNS0_4arch9wavefront6targetE1EEEvSK_.private_seg_size, 0
	.set _ZN7rocprim17ROCPRIM_400000_NS6detail17trampoline_kernelINS0_14default_configENS1_35radix_sort_onesweep_config_selectorIiNS0_10empty_typeEEEZZNS1_29radix_sort_onesweep_iterationIS3_Lb0EN6thrust23THRUST_200600_302600_NS6detail15normal_iteratorINS9_10device_ptrIiEEEESE_PS5_SF_jNS0_19identity_decomposerENS1_16block_id_wrapperIjLb1EEEEE10hipError_tT1_PNSt15iterator_traitsISK_E10value_typeET2_T3_PNSL_ISQ_E10value_typeET4_T5_PSV_SW_PNS1_23onesweep_lookback_stateEbbT6_jjT7_P12ihipStream_tbENKUlT_T0_SK_SP_E_clISE_PiSF_SF_EEDaS13_S14_SK_SP_EUlS13_E_NS1_11comp_targetILNS1_3genE0ELNS1_11target_archE4294967295ELNS1_3gpuE0ELNS1_3repE0EEENS1_47radix_sort_onesweep_sort_config_static_selectorELNS0_4arch9wavefront6targetE1EEEvSK_.uses_vcc, 0
	.set _ZN7rocprim17ROCPRIM_400000_NS6detail17trampoline_kernelINS0_14default_configENS1_35radix_sort_onesweep_config_selectorIiNS0_10empty_typeEEEZZNS1_29radix_sort_onesweep_iterationIS3_Lb0EN6thrust23THRUST_200600_302600_NS6detail15normal_iteratorINS9_10device_ptrIiEEEESE_PS5_SF_jNS0_19identity_decomposerENS1_16block_id_wrapperIjLb1EEEEE10hipError_tT1_PNSt15iterator_traitsISK_E10value_typeET2_T3_PNSL_ISQ_E10value_typeET4_T5_PSV_SW_PNS1_23onesweep_lookback_stateEbbT6_jjT7_P12ihipStream_tbENKUlT_T0_SK_SP_E_clISE_PiSF_SF_EEDaS13_S14_SK_SP_EUlS13_E_NS1_11comp_targetILNS1_3genE0ELNS1_11target_archE4294967295ELNS1_3gpuE0ELNS1_3repE0EEENS1_47radix_sort_onesweep_sort_config_static_selectorELNS0_4arch9wavefront6targetE1EEEvSK_.uses_flat_scratch, 0
	.set _ZN7rocprim17ROCPRIM_400000_NS6detail17trampoline_kernelINS0_14default_configENS1_35radix_sort_onesweep_config_selectorIiNS0_10empty_typeEEEZZNS1_29radix_sort_onesweep_iterationIS3_Lb0EN6thrust23THRUST_200600_302600_NS6detail15normal_iteratorINS9_10device_ptrIiEEEESE_PS5_SF_jNS0_19identity_decomposerENS1_16block_id_wrapperIjLb1EEEEE10hipError_tT1_PNSt15iterator_traitsISK_E10value_typeET2_T3_PNSL_ISQ_E10value_typeET4_T5_PSV_SW_PNS1_23onesweep_lookback_stateEbbT6_jjT7_P12ihipStream_tbENKUlT_T0_SK_SP_E_clISE_PiSF_SF_EEDaS13_S14_SK_SP_EUlS13_E_NS1_11comp_targetILNS1_3genE0ELNS1_11target_archE4294967295ELNS1_3gpuE0ELNS1_3repE0EEENS1_47radix_sort_onesweep_sort_config_static_selectorELNS0_4arch9wavefront6targetE1EEEvSK_.has_dyn_sized_stack, 0
	.set _ZN7rocprim17ROCPRIM_400000_NS6detail17trampoline_kernelINS0_14default_configENS1_35radix_sort_onesweep_config_selectorIiNS0_10empty_typeEEEZZNS1_29radix_sort_onesweep_iterationIS3_Lb0EN6thrust23THRUST_200600_302600_NS6detail15normal_iteratorINS9_10device_ptrIiEEEESE_PS5_SF_jNS0_19identity_decomposerENS1_16block_id_wrapperIjLb1EEEEE10hipError_tT1_PNSt15iterator_traitsISK_E10value_typeET2_T3_PNSL_ISQ_E10value_typeET4_T5_PSV_SW_PNS1_23onesweep_lookback_stateEbbT6_jjT7_P12ihipStream_tbENKUlT_T0_SK_SP_E_clISE_PiSF_SF_EEDaS13_S14_SK_SP_EUlS13_E_NS1_11comp_targetILNS1_3genE0ELNS1_11target_archE4294967295ELNS1_3gpuE0ELNS1_3repE0EEENS1_47radix_sort_onesweep_sort_config_static_selectorELNS0_4arch9wavefront6targetE1EEEvSK_.has_recursion, 0
	.set _ZN7rocprim17ROCPRIM_400000_NS6detail17trampoline_kernelINS0_14default_configENS1_35radix_sort_onesweep_config_selectorIiNS0_10empty_typeEEEZZNS1_29radix_sort_onesweep_iterationIS3_Lb0EN6thrust23THRUST_200600_302600_NS6detail15normal_iteratorINS9_10device_ptrIiEEEESE_PS5_SF_jNS0_19identity_decomposerENS1_16block_id_wrapperIjLb1EEEEE10hipError_tT1_PNSt15iterator_traitsISK_E10value_typeET2_T3_PNSL_ISQ_E10value_typeET4_T5_PSV_SW_PNS1_23onesweep_lookback_stateEbbT6_jjT7_P12ihipStream_tbENKUlT_T0_SK_SP_E_clISE_PiSF_SF_EEDaS13_S14_SK_SP_EUlS13_E_NS1_11comp_targetILNS1_3genE0ELNS1_11target_archE4294967295ELNS1_3gpuE0ELNS1_3repE0EEENS1_47radix_sort_onesweep_sort_config_static_selectorELNS0_4arch9wavefront6targetE1EEEvSK_.has_indirect_call, 0
	.section	.AMDGPU.csdata,"",@progbits
; Kernel info:
; codeLenInByte = 0
; TotalNumSgprs: 6
; NumVgprs: 0
; NumAgprs: 0
; TotalNumVgprs: 0
; ScratchSize: 0
; MemoryBound: 0
; FloatMode: 240
; IeeeMode: 1
; LDSByteSize: 0 bytes/workgroup (compile time only)
; SGPRBlocks: 0
; VGPRBlocks: 0
; NumSGPRsForWavesPerEU: 6
; NumVGPRsForWavesPerEU: 1
; AccumOffset: 4
; Occupancy: 8
; WaveLimiterHint : 0
; COMPUTE_PGM_RSRC2:SCRATCH_EN: 0
; COMPUTE_PGM_RSRC2:USER_SGPR: 2
; COMPUTE_PGM_RSRC2:TRAP_HANDLER: 0
; COMPUTE_PGM_RSRC2:TGID_X_EN: 1
; COMPUTE_PGM_RSRC2:TGID_Y_EN: 0
; COMPUTE_PGM_RSRC2:TGID_Z_EN: 0
; COMPUTE_PGM_RSRC2:TIDIG_COMP_CNT: 0
; COMPUTE_PGM_RSRC3_GFX90A:ACCUM_OFFSET: 0
; COMPUTE_PGM_RSRC3_GFX90A:TG_SPLIT: 0
	.section	.text._ZN7rocprim17ROCPRIM_400000_NS6detail17trampoline_kernelINS0_14default_configENS1_35radix_sort_onesweep_config_selectorIiNS0_10empty_typeEEEZZNS1_29radix_sort_onesweep_iterationIS3_Lb0EN6thrust23THRUST_200600_302600_NS6detail15normal_iteratorINS9_10device_ptrIiEEEESE_PS5_SF_jNS0_19identity_decomposerENS1_16block_id_wrapperIjLb1EEEEE10hipError_tT1_PNSt15iterator_traitsISK_E10value_typeET2_T3_PNSL_ISQ_E10value_typeET4_T5_PSV_SW_PNS1_23onesweep_lookback_stateEbbT6_jjT7_P12ihipStream_tbENKUlT_T0_SK_SP_E_clISE_PiSF_SF_EEDaS13_S14_SK_SP_EUlS13_E_NS1_11comp_targetILNS1_3genE6ELNS1_11target_archE950ELNS1_3gpuE13ELNS1_3repE0EEENS1_47radix_sort_onesweep_sort_config_static_selectorELNS0_4arch9wavefront6targetE1EEEvSK_,"axG",@progbits,_ZN7rocprim17ROCPRIM_400000_NS6detail17trampoline_kernelINS0_14default_configENS1_35radix_sort_onesweep_config_selectorIiNS0_10empty_typeEEEZZNS1_29radix_sort_onesweep_iterationIS3_Lb0EN6thrust23THRUST_200600_302600_NS6detail15normal_iteratorINS9_10device_ptrIiEEEESE_PS5_SF_jNS0_19identity_decomposerENS1_16block_id_wrapperIjLb1EEEEE10hipError_tT1_PNSt15iterator_traitsISK_E10value_typeET2_T3_PNSL_ISQ_E10value_typeET4_T5_PSV_SW_PNS1_23onesweep_lookback_stateEbbT6_jjT7_P12ihipStream_tbENKUlT_T0_SK_SP_E_clISE_PiSF_SF_EEDaS13_S14_SK_SP_EUlS13_E_NS1_11comp_targetILNS1_3genE6ELNS1_11target_archE950ELNS1_3gpuE13ELNS1_3repE0EEENS1_47radix_sort_onesweep_sort_config_static_selectorELNS0_4arch9wavefront6targetE1EEEvSK_,comdat
	.protected	_ZN7rocprim17ROCPRIM_400000_NS6detail17trampoline_kernelINS0_14default_configENS1_35radix_sort_onesweep_config_selectorIiNS0_10empty_typeEEEZZNS1_29radix_sort_onesweep_iterationIS3_Lb0EN6thrust23THRUST_200600_302600_NS6detail15normal_iteratorINS9_10device_ptrIiEEEESE_PS5_SF_jNS0_19identity_decomposerENS1_16block_id_wrapperIjLb1EEEEE10hipError_tT1_PNSt15iterator_traitsISK_E10value_typeET2_T3_PNSL_ISQ_E10value_typeET4_T5_PSV_SW_PNS1_23onesweep_lookback_stateEbbT6_jjT7_P12ihipStream_tbENKUlT_T0_SK_SP_E_clISE_PiSF_SF_EEDaS13_S14_SK_SP_EUlS13_E_NS1_11comp_targetILNS1_3genE6ELNS1_11target_archE950ELNS1_3gpuE13ELNS1_3repE0EEENS1_47radix_sort_onesweep_sort_config_static_selectorELNS0_4arch9wavefront6targetE1EEEvSK_ ; -- Begin function _ZN7rocprim17ROCPRIM_400000_NS6detail17trampoline_kernelINS0_14default_configENS1_35radix_sort_onesweep_config_selectorIiNS0_10empty_typeEEEZZNS1_29radix_sort_onesweep_iterationIS3_Lb0EN6thrust23THRUST_200600_302600_NS6detail15normal_iteratorINS9_10device_ptrIiEEEESE_PS5_SF_jNS0_19identity_decomposerENS1_16block_id_wrapperIjLb1EEEEE10hipError_tT1_PNSt15iterator_traitsISK_E10value_typeET2_T3_PNSL_ISQ_E10value_typeET4_T5_PSV_SW_PNS1_23onesweep_lookback_stateEbbT6_jjT7_P12ihipStream_tbENKUlT_T0_SK_SP_E_clISE_PiSF_SF_EEDaS13_S14_SK_SP_EUlS13_E_NS1_11comp_targetILNS1_3genE6ELNS1_11target_archE950ELNS1_3gpuE13ELNS1_3repE0EEENS1_47radix_sort_onesweep_sort_config_static_selectorELNS0_4arch9wavefront6targetE1EEEvSK_
	.globl	_ZN7rocprim17ROCPRIM_400000_NS6detail17trampoline_kernelINS0_14default_configENS1_35radix_sort_onesweep_config_selectorIiNS0_10empty_typeEEEZZNS1_29radix_sort_onesweep_iterationIS3_Lb0EN6thrust23THRUST_200600_302600_NS6detail15normal_iteratorINS9_10device_ptrIiEEEESE_PS5_SF_jNS0_19identity_decomposerENS1_16block_id_wrapperIjLb1EEEEE10hipError_tT1_PNSt15iterator_traitsISK_E10value_typeET2_T3_PNSL_ISQ_E10value_typeET4_T5_PSV_SW_PNS1_23onesweep_lookback_stateEbbT6_jjT7_P12ihipStream_tbENKUlT_T0_SK_SP_E_clISE_PiSF_SF_EEDaS13_S14_SK_SP_EUlS13_E_NS1_11comp_targetILNS1_3genE6ELNS1_11target_archE950ELNS1_3gpuE13ELNS1_3repE0EEENS1_47radix_sort_onesweep_sort_config_static_selectorELNS0_4arch9wavefront6targetE1EEEvSK_
	.p2align	8
	.type	_ZN7rocprim17ROCPRIM_400000_NS6detail17trampoline_kernelINS0_14default_configENS1_35radix_sort_onesweep_config_selectorIiNS0_10empty_typeEEEZZNS1_29radix_sort_onesweep_iterationIS3_Lb0EN6thrust23THRUST_200600_302600_NS6detail15normal_iteratorINS9_10device_ptrIiEEEESE_PS5_SF_jNS0_19identity_decomposerENS1_16block_id_wrapperIjLb1EEEEE10hipError_tT1_PNSt15iterator_traitsISK_E10value_typeET2_T3_PNSL_ISQ_E10value_typeET4_T5_PSV_SW_PNS1_23onesweep_lookback_stateEbbT6_jjT7_P12ihipStream_tbENKUlT_T0_SK_SP_E_clISE_PiSF_SF_EEDaS13_S14_SK_SP_EUlS13_E_NS1_11comp_targetILNS1_3genE6ELNS1_11target_archE950ELNS1_3gpuE13ELNS1_3repE0EEENS1_47radix_sort_onesweep_sort_config_static_selectorELNS0_4arch9wavefront6targetE1EEEvSK_,@function
_ZN7rocprim17ROCPRIM_400000_NS6detail17trampoline_kernelINS0_14default_configENS1_35radix_sort_onesweep_config_selectorIiNS0_10empty_typeEEEZZNS1_29radix_sort_onesweep_iterationIS3_Lb0EN6thrust23THRUST_200600_302600_NS6detail15normal_iteratorINS9_10device_ptrIiEEEESE_PS5_SF_jNS0_19identity_decomposerENS1_16block_id_wrapperIjLb1EEEEE10hipError_tT1_PNSt15iterator_traitsISK_E10value_typeET2_T3_PNSL_ISQ_E10value_typeET4_T5_PSV_SW_PNS1_23onesweep_lookback_stateEbbT6_jjT7_P12ihipStream_tbENKUlT_T0_SK_SP_E_clISE_PiSF_SF_EEDaS13_S14_SK_SP_EUlS13_E_NS1_11comp_targetILNS1_3genE6ELNS1_11target_archE950ELNS1_3gpuE13ELNS1_3repE0EEENS1_47radix_sort_onesweep_sort_config_static_selectorELNS0_4arch9wavefront6targetE1EEEvSK_: ; @_ZN7rocprim17ROCPRIM_400000_NS6detail17trampoline_kernelINS0_14default_configENS1_35radix_sort_onesweep_config_selectorIiNS0_10empty_typeEEEZZNS1_29radix_sort_onesweep_iterationIS3_Lb0EN6thrust23THRUST_200600_302600_NS6detail15normal_iteratorINS9_10device_ptrIiEEEESE_PS5_SF_jNS0_19identity_decomposerENS1_16block_id_wrapperIjLb1EEEEE10hipError_tT1_PNSt15iterator_traitsISK_E10value_typeET2_T3_PNSL_ISQ_E10value_typeET4_T5_PSV_SW_PNS1_23onesweep_lookback_stateEbbT6_jjT7_P12ihipStream_tbENKUlT_T0_SK_SP_E_clISE_PiSF_SF_EEDaS13_S14_SK_SP_EUlS13_E_NS1_11comp_targetILNS1_3genE6ELNS1_11target_archE950ELNS1_3gpuE13ELNS1_3repE0EEENS1_47radix_sort_onesweep_sort_config_static_selectorELNS0_4arch9wavefront6targetE1EEEvSK_
; %bb.0:
	s_load_dwordx4 s[20:23], s[0:1], 0x28
	s_load_dwordx2 s[18:19], s[0:1], 0x38
	s_load_dwordx4 s[24:27], s[0:1], 0x44
	v_and_b32_e32 v10, 0x3ff, v0
	v_cmp_eq_u32_e64 s[10:11], 0, v10
	s_and_saveexec_b64 s[4:5], s[10:11]
	s_cbranch_execz .LBB169_4
; %bb.1:
	s_mov_b64 s[8:9], exec
	v_mbcnt_lo_u32_b32 v1, s8, 0
	v_mbcnt_hi_u32_b32 v1, s9, v1
	v_cmp_eq_u32_e32 vcc, 0, v1
                                        ; implicit-def: $vgpr2
	s_and_saveexec_b64 s[6:7], vcc
	s_cbranch_execz .LBB169_3
; %bb.2:
	s_load_dwordx2 s[12:13], s[0:1], 0x50
	s_bcnt1_i32_b64 s3, s[8:9]
	v_mov_b32_e32 v2, 0
	v_mov_b32_e32 v3, s3
	s_waitcnt lgkmcnt(0)
	global_atomic_add v2, v2, v3, s[12:13] sc0
.LBB169_3:
	s_or_b64 exec, exec, s[6:7]
	s_waitcnt vmcnt(0)
	v_readfirstlane_b32 s3, v2
	v_mov_b32_e32 v2, 0
	s_nop 0
	v_add_u32_e32 v1, s3, v1
	ds_write_b32 v2, v1 offset:20544
.LBB169_4:
	s_or_b64 exec, exec, s[4:5]
	v_mov_b32_e32 v3, 0
	s_load_dwordx4 s[28:31], s[0:1], 0x0
	s_load_dword s3, s[0:1], 0x20
	s_waitcnt lgkmcnt(0)
	s_barrier
	ds_read_b32 v1, v3 offset:20544
	s_mov_b64 s[4:5], -1
	s_waitcnt lgkmcnt(0)
	s_barrier
	v_cmp_le_u32_e32 vcc, s26, v1
	v_readfirstlane_b32 s27, v1
	v_mbcnt_lo_u32_b32 v1, -1, 0
	s_cbranch_vccz .LBB169_86
; %bb.5:
	s_lshl_b32 s4, s26, 13
	s_sub_i32 s3, s3, s4
	s_lshl_b32 s4, s27, 13
	s_mov_b32 s5, 0
	s_lshl_b64 s[4:5], s[4:5], 2
	v_mbcnt_hi_u32_b32 v16, -1, v1
	s_add_u32 s4, s28, s4
	v_and_b32_e32 v6, 63, v16
	v_lshlrev_b32_e32 v2, 3, v10
	s_addc_u32 s5, s29, s5
	v_and_b32_e32 v7, 0x1e00, v2
	v_lshlrev_b32_e32 v2, 2, v6
	v_lshl_add_u64 v[4:5], s[4:5], 0, v[2:3]
	v_lshlrev_b32_e32 v2, 2, v7
	v_lshl_add_u64 v[12:13], v[4:5], 0, v[2:3]
	v_or_b32_e32 v11, v6, v7
	v_bfrev_b32_e32 v2, -2
	v_cmp_gt_u32_e32 vcc, s3, v11
	v_mov_b32_e32 v3, v2
	v_mov_b32_e32 v4, v2
	;; [unrolled: 1-line block ×7, first 2 shown]
	s_and_saveexec_b64 s[4:5], vcc
	s_cbranch_execz .LBB169_7
; %bb.6:
	global_load_dword v18, v[12:13], off
	v_mov_b32_e32 v19, v2
	v_mov_b32_e32 v20, v2
	;; [unrolled: 1-line block ×7, first 2 shown]
	s_waitcnt vmcnt(0)
	v_mov_b64_e32 v[2:3], v[18:19]
	v_mov_b64_e32 v[4:5], v[20:21]
	;; [unrolled: 1-line block ×4, first 2 shown]
.LBB169_7:
	s_or_b64 exec, exec, s[4:5]
	v_or_b32_e32 v14, 64, v11
	v_cmp_gt_u32_e32 vcc, s3, v14
	s_and_saveexec_b64 s[4:5], vcc
	s_cbranch_execz .LBB169_9
; %bb.8:
	global_load_dword v3, v[12:13], off offset:256
.LBB169_9:
	s_or_b64 exec, exec, s[4:5]
	v_or_b32_e32 v14, 0x80, v11
	v_cmp_gt_u32_e32 vcc, s3, v14
	s_and_saveexec_b64 s[4:5], vcc
	s_cbranch_execz .LBB169_11
; %bb.10:
	global_load_dword v4, v[12:13], off offset:512
.LBB169_11:
	;; [unrolled: 8-line block ×7, first 2 shown]
	s_or_b64 exec, exec, s[4:5]
	s_load_dword s4, s[0:1], 0x64
	s_load_dword s26, s[0:1], 0x58
	s_add_u32 s5, s0, 0x58
	s_addc_u32 s6, s1, 0
	v_mov_b32_e32 v13, 0
	s_waitcnt lgkmcnt(0)
	s_lshr_b32 s7, s4, 16
	s_cmp_lt_u32 s2, s26
	s_cselect_b32 s4, 12, 18
	s_add_u32 s4, s5, s4
	s_addc_u32 s5, s6, 0
	global_load_ushort v30, v13, s[4:5]
	v_xor_b32_e32 v11, 0x80000000, v2
	v_lshrrev_b32_e32 v15, s24, v11
	s_lshl_b32 s4, -1, s25
	v_bfe_u32 v2, v0, 10, 10
	v_bfe_u32 v12, v0, 20, 10
	v_bitop3_b32 v31, v15, s4, v15 bitop3:0x30
	v_mad_u32_u24 v2, v12, s7, v2
	v_and_b32_e32 v12, 1, v31
	v_lshlrev_b32_e32 v15, 30, v31
	v_mov_b32_e32 v14, v13
	v_mov_b32_e32 v20, v13
	v_lshlrev_b32_e32 v19, 29, v31
	v_lshlrev_b32_e32 v21, 28, v31
	v_lshl_add_u64 v[28:29], v[12:13], 0, -1
	v_cmp_ne_u32_e32 vcc, 0, v12
	v_not_b32_e32 v12, v15
	v_mov_b32_e32 v18, v13
	v_mov_b32_e32 v22, v13
	s_not_b32 s33, s4
	v_lshlrev_b32_e32 v23, 27, v31
	v_cmp_gt_i64_e64 s[4:5], 0, v[14:15]
	v_not_b32_e32 v14, v19
	v_cmp_gt_i64_e64 s[8:9], 0, v[20:21]
	v_not_b32_e32 v15, v21
	v_xor_b32_e32 v21, vcc_hi, v29
	v_ashrrev_i32_e32 v12, 31, v12
	v_mov_b32_e32 v24, v13
	v_lshlrev_b32_e32 v25, 26, v31
	v_cmp_gt_i64_e64 s[6:7], 0, v[18:19]
	v_cmp_gt_i64_e64 s[12:13], 0, v[22:23]
	v_not_b32_e32 v18, v23
	v_xor_b32_e32 v22, vcc_lo, v28
	v_ashrrev_i32_e32 v14, 31, v14
	v_and_b32_e32 v21, exec_hi, v21
	v_xor_b32_e32 v23, s5, v12
	v_cmp_gt_i64_e64 s[14:15], 0, v[24:25]
	v_ashrrev_i32_e32 v15, 31, v15
	v_and_b32_e32 v22, exec_lo, v22
	v_xor_b32_e32 v12, s4, v12
	v_xor_b32_e32 v24, s7, v14
	v_and_b32_e32 v21, v21, v23
	v_mov_b32_e32 v26, v13
	v_lshlrev_b32_e32 v27, 25, v31
	v_not_b32_e32 v19, v25
	v_ashrrev_i32_e32 v18, 31, v18
	v_xor_b32_e32 v14, s6, v14
	v_xor_b32_e32 v25, s9, v15
	v_and_b32_e32 v12, v22, v12
	v_and_b32_e32 v21, v21, v24
	v_cmp_gt_i64_e64 s[16:17], 0, v[26:27]
	v_not_b32_e32 v20, v27
	v_ashrrev_i32_e32 v19, 31, v19
	v_xor_b32_e32 v26, s13, v18
	v_and_b32_e32 v12, v12, v14
	v_and_b32_e32 v14, v21, v25
	v_ashrrev_i32_e32 v20, 31, v20
	v_xor_b32_e32 v15, s8, v15
	v_xor_b32_e32 v27, s15, v19
	v_and_b32_e32 v14, v14, v26
	v_xor_b32_e32 v18, s12, v18
	v_xor_b32_e32 v28, s17, v20
	v_and_b32_e32 v12, v12, v15
	v_and_b32_e32 v14, v14, v27
	;; [unrolled: 1-line block ×4, first 2 shown]
	v_xor_b32_e32 v19, s14, v19
	v_xor_b32_e32 v20, s16, v20
	v_and_b32_e32 v12, v12, v19
	v_and_b32_e32 v12, v12, v20
	s_movk_i32 s34, 0x44
	v_mul_lo_u32 v32, v31, s34
	v_mul_u32_u24_e32 v17, 20, v10
	ds_write2_b32 v17, v13, v13 offset0:16 offset1:17
	ds_write2_b32 v17, v13, v13 offset0:18 offset1:19
	ds_write_b32 v17, v13 offset:80
	s_waitcnt lgkmcnt(0)
	s_barrier
	s_waitcnt vmcnt(0)
	; wave barrier
	v_mad_u64_u32 v[14:15], s[4:5], v2, v30, v[10:11]
	v_lshrrev_b32_e32 v2, 4, v14
	v_lshlrev_b32_e32 v15, 24, v31
	v_and_b32_e32 v30, 0xffffffc, v2
	v_mov_b32_e32 v14, v13
	v_not_b32_e32 v2, v15
	v_cmp_gt_i64_e32 vcc, 0, v[14:15]
	v_ashrrev_i32_e32 v2, 31, v2
	v_add_u32_e32 v22, v30, v32
	v_xor_b32_e32 v14, vcc_hi, v2
	v_xor_b32_e32 v2, vcc_lo, v2
	v_and_b32_e32 v15, v18, v14
	v_and_b32_e32 v14, v12, v2
	v_mbcnt_lo_u32_b32 v2, v14, 0
	v_mbcnt_hi_u32_b32 v18, v15, v2
	v_cmp_eq_u32_e32 vcc, 0, v18
	v_cmp_ne_u64_e64 s[4:5], 0, v[14:15]
	s_and_b64 s[6:7], s[4:5], vcc
	s_and_saveexec_b64 s[4:5], s[6:7]
; %bb.22:
	v_bcnt_u32_b32 v2, v14, 0
	v_bcnt_u32_b32 v2, v15, v2
	ds_write_b32 v22, v2 offset:64
; %bb.23:
	s_or_b64 exec, exec, s[4:5]
	v_xor_b32_e32 v14, 0x80000000, v3
	v_lshrrev_b32_e32 v2, s24, v14
	v_and_b32_e32 v15, s33, v2
	v_mul_lo_u32 v2, v15, s34
	v_and_b32_e32 v12, 1, v15
	v_add_u32_e32 v23, v30, v2
	v_lshl_add_u64 v[2:3], v[12:13], 0, -1
	v_cmp_ne_u32_e32 vcc, 0, v12
	; wave barrier
	s_nop 1
	v_xor_b32_e32 v3, vcc_hi, v3
	v_xor_b32_e32 v2, vcc_lo, v2
	v_and_b32_e32 v12, exec_hi, v3
	v_and_b32_e32 v20, exec_lo, v2
	v_lshlrev_b32_e32 v3, 30, v15
	v_mov_b32_e32 v2, v13
	v_cmp_gt_i64_e32 vcc, 0, v[2:3]
	v_not_b32_e32 v2, v3
	v_ashrrev_i32_e32 v2, 31, v2
	v_xor_b32_e32 v3, vcc_hi, v2
	v_xor_b32_e32 v2, vcc_lo, v2
	v_and_b32_e32 v12, v12, v3
	v_and_b32_e32 v20, v20, v2
	v_lshlrev_b32_e32 v3, 29, v15
	v_mov_b32_e32 v2, v13
	v_cmp_gt_i64_e32 vcc, 0, v[2:3]
	v_not_b32_e32 v2, v3
	v_ashrrev_i32_e32 v2, 31, v2
	v_xor_b32_e32 v3, vcc_hi, v2
	v_xor_b32_e32 v2, vcc_lo, v2
	v_and_b32_e32 v12, v12, v3
	v_and_b32_e32 v20, v20, v2
	;; [unrolled: 9-line block ×6, first 2 shown]
	v_lshlrev_b32_e32 v3, 24, v15
	v_mov_b32_e32 v2, v13
	v_cmp_gt_i64_e32 vcc, 0, v[2:3]
	v_not_b32_e32 v2, v3
	v_ashrrev_i32_e32 v2, 31, v2
	v_xor_b32_e32 v3, vcc_hi, v2
	v_xor_b32_e32 v2, vcc_lo, v2
	ds_read_b32 v19, v23 offset:64
	v_and_b32_e32 v2, v20, v2
	v_and_b32_e32 v3, v12, v3
	v_mbcnt_lo_u32_b32 v12, v2, 0
	v_mbcnt_hi_u32_b32 v20, v3, v12
	v_cmp_eq_u32_e32 vcc, 0, v20
	v_cmp_ne_u64_e64 s[4:5], 0, v[2:3]
	s_and_b64 s[6:7], s[4:5], vcc
	; wave barrier
	s_and_saveexec_b64 s[4:5], s[6:7]
	s_cbranch_execz .LBB169_25
; %bb.24:
	v_bcnt_u32_b32 v2, v2, 0
	v_bcnt_u32_b32 v2, v3, v2
	s_waitcnt lgkmcnt(0)
	v_add_u32_e32 v2, v19, v2
	ds_write_b32 v23, v2 offset:64
.LBB169_25:
	s_or_b64 exec, exec, s[4:5]
	v_xor_b32_e32 v15, 0x80000000, v4
	v_lshrrev_b32_e32 v2, s24, v15
	v_and_b32_e32 v4, s33, v2
	s_movk_i32 s6, 0x44
	v_mul_lo_u32 v2, v4, s6
	v_add_u32_e32 v27, v30, v2
	v_and_b32_e32 v2, 1, v4
	v_mov_b32_e32 v3, 0
	v_lshl_add_u64 v[12:13], v[2:3], 0, -1
	v_cmp_ne_u32_e32 vcc, 0, v2
	; wave barrier
	s_nop 1
	v_xor_b32_e32 v12, vcc_lo, v12
	v_xor_b32_e32 v2, vcc_hi, v13
	v_and_b32_e32 v24, exec_lo, v12
	v_lshlrev_b32_e32 v13, 30, v4
	v_mov_b32_e32 v12, v3
	v_cmp_gt_i64_e32 vcc, 0, v[12:13]
	v_not_b32_e32 v12, v13
	v_ashrrev_i32_e32 v12, 31, v12
	v_and_b32_e32 v2, exec_hi, v2
	v_xor_b32_e32 v13, vcc_hi, v12
	v_xor_b32_e32 v12, vcc_lo, v12
	v_and_b32_e32 v2, v2, v13
	v_and_b32_e32 v24, v24, v12
	v_lshlrev_b32_e32 v13, 29, v4
	v_mov_b32_e32 v12, v3
	v_cmp_gt_i64_e32 vcc, 0, v[12:13]
	v_not_b32_e32 v12, v13
	v_ashrrev_i32_e32 v12, 31, v12
	v_xor_b32_e32 v13, vcc_hi, v12
	v_xor_b32_e32 v12, vcc_lo, v12
	v_and_b32_e32 v2, v2, v13
	v_and_b32_e32 v24, v24, v12
	v_lshlrev_b32_e32 v13, 28, v4
	v_mov_b32_e32 v12, v3
	v_cmp_gt_i64_e32 vcc, 0, v[12:13]
	v_not_b32_e32 v12, v13
	v_ashrrev_i32_e32 v12, 31, v12
	;; [unrolled: 9-line block ×5, first 2 shown]
	v_xor_b32_e32 v13, vcc_hi, v12
	v_xor_b32_e32 v12, vcc_lo, v12
	v_and_b32_e32 v2, v2, v13
	v_lshlrev_b32_e32 v13, 24, v4
	v_and_b32_e32 v24, v24, v12
	v_mov_b32_e32 v12, v3
	v_not_b32_e32 v4, v13
	v_cmp_gt_i64_e32 vcc, 0, v[12:13]
	v_ashrrev_i32_e32 v4, 31, v4
	ds_read_b32 v21, v27 offset:64
	v_xor_b32_e32 v12, vcc_hi, v4
	v_xor_b32_e32 v4, vcc_lo, v4
	v_and_b32_e32 v13, v2, v12
	v_and_b32_e32 v12, v24, v4
	v_mbcnt_lo_u32_b32 v2, v12, 0
	v_mbcnt_hi_u32_b32 v25, v13, v2
	v_cmp_eq_u32_e32 vcc, 0, v25
	v_cmp_ne_u64_e64 s[4:5], 0, v[12:13]
	s_and_b64 s[8:9], s[4:5], vcc
	; wave barrier
	s_and_saveexec_b64 s[4:5], s[8:9]
	s_cbranch_execz .LBB169_27
; %bb.26:
	v_bcnt_u32_b32 v2, v12, 0
	v_bcnt_u32_b32 v2, v13, v2
	s_waitcnt lgkmcnt(0)
	v_add_u32_e32 v2, v21, v2
	ds_write_b32 v27, v2 offset:64
.LBB169_27:
	s_or_b64 exec, exec, s[4:5]
	v_xor_b32_e32 v12, 0x80000000, v5
	v_lshrrev_b32_e32 v2, s24, v12
	v_and_b32_e32 v13, s33, v2
	v_mul_lo_u32 v2, v13, s6
	v_add_u32_e32 v31, v30, v2
	v_and_b32_e32 v2, 1, v13
	v_lshl_add_u64 v[4:5], v[2:3], 0, -1
	v_cmp_ne_u32_e32 vcc, 0, v2
	; wave barrier
	s_nop 1
	v_xor_b32_e32 v4, vcc_lo, v4
	v_xor_b32_e32 v2, vcc_hi, v5
	v_and_b32_e32 v24, exec_lo, v4
	v_lshlrev_b32_e32 v5, 30, v13
	v_mov_b32_e32 v4, v3
	v_cmp_gt_i64_e32 vcc, 0, v[4:5]
	v_not_b32_e32 v4, v5
	v_ashrrev_i32_e32 v4, 31, v4
	v_and_b32_e32 v2, exec_hi, v2
	v_xor_b32_e32 v5, vcc_hi, v4
	v_xor_b32_e32 v4, vcc_lo, v4
	v_and_b32_e32 v2, v2, v5
	v_and_b32_e32 v24, v24, v4
	v_lshlrev_b32_e32 v5, 29, v13
	v_mov_b32_e32 v4, v3
	v_cmp_gt_i64_e32 vcc, 0, v[4:5]
	v_not_b32_e32 v4, v5
	v_ashrrev_i32_e32 v4, 31, v4
	v_xor_b32_e32 v5, vcc_hi, v4
	v_xor_b32_e32 v4, vcc_lo, v4
	v_and_b32_e32 v2, v2, v5
	v_and_b32_e32 v24, v24, v4
	v_lshlrev_b32_e32 v5, 28, v13
	v_mov_b32_e32 v4, v3
	v_cmp_gt_i64_e32 vcc, 0, v[4:5]
	v_not_b32_e32 v4, v5
	v_ashrrev_i32_e32 v4, 31, v4
	;; [unrolled: 9-line block ×5, first 2 shown]
	v_xor_b32_e32 v5, vcc_hi, v4
	v_xor_b32_e32 v4, vcc_lo, v4
	v_and_b32_e32 v2, v2, v5
	v_lshlrev_b32_e32 v5, 24, v13
	v_and_b32_e32 v24, v24, v4
	v_mov_b32_e32 v4, v3
	v_not_b32_e32 v3, v5
	v_cmp_gt_i64_e32 vcc, 0, v[4:5]
	v_ashrrev_i32_e32 v3, 31, v3
	ds_read_b32 v26, v31 offset:64
	v_xor_b32_e32 v4, vcc_hi, v3
	v_xor_b32_e32 v5, vcc_lo, v3
	v_and_b32_e32 v3, v2, v4
	v_and_b32_e32 v2, v24, v5
	v_mbcnt_lo_u32_b32 v4, v2, 0
	v_mbcnt_hi_u32_b32 v28, v3, v4
	v_cmp_eq_u32_e32 vcc, 0, v28
	v_cmp_ne_u64_e64 s[4:5], 0, v[2:3]
	s_and_b64 s[6:7], s[4:5], vcc
	; wave barrier
	s_and_saveexec_b64 s[4:5], s[6:7]
	s_cbranch_execz .LBB169_29
; %bb.28:
	v_bcnt_u32_b32 v2, v2, 0
	v_bcnt_u32_b32 v2, v3, v2
	s_waitcnt lgkmcnt(0)
	v_add_u32_e32 v2, v26, v2
	ds_write_b32 v31, v2 offset:64
.LBB169_29:
	s_or_b64 exec, exec, s[4:5]
	v_xor_b32_e32 v13, 0x80000000, v6
	v_lshrrev_b32_e32 v2, s24, v13
	v_and_b32_e32 v24, s33, v2
	s_movk_i32 s6, 0x44
	v_mul_lo_u32 v2, v24, s6
	v_add_u32_e32 v6, v30, v2
	v_and_b32_e32 v2, 1, v24
	v_mov_b32_e32 v3, 0
	v_lshl_add_u64 v[4:5], v[2:3], 0, -1
	v_cmp_ne_u32_e32 vcc, 0, v2
	; wave barrier
	s_nop 1
	v_xor_b32_e32 v4, vcc_lo, v4
	v_xor_b32_e32 v2, vcc_hi, v5
	v_and_b32_e32 v32, exec_lo, v4
	v_lshlrev_b32_e32 v5, 30, v24
	v_mov_b32_e32 v4, v3
	v_cmp_gt_i64_e32 vcc, 0, v[4:5]
	v_not_b32_e32 v4, v5
	v_ashrrev_i32_e32 v4, 31, v4
	v_and_b32_e32 v2, exec_hi, v2
	v_xor_b32_e32 v5, vcc_hi, v4
	v_xor_b32_e32 v4, vcc_lo, v4
	v_and_b32_e32 v2, v2, v5
	v_and_b32_e32 v32, v32, v4
	v_lshlrev_b32_e32 v5, 29, v24
	v_mov_b32_e32 v4, v3
	v_cmp_gt_i64_e32 vcc, 0, v[4:5]
	v_not_b32_e32 v4, v5
	v_ashrrev_i32_e32 v4, 31, v4
	v_xor_b32_e32 v5, vcc_hi, v4
	v_xor_b32_e32 v4, vcc_lo, v4
	v_and_b32_e32 v2, v2, v5
	v_and_b32_e32 v32, v32, v4
	v_lshlrev_b32_e32 v5, 28, v24
	v_mov_b32_e32 v4, v3
	v_cmp_gt_i64_e32 vcc, 0, v[4:5]
	v_not_b32_e32 v4, v5
	v_ashrrev_i32_e32 v4, 31, v4
	;; [unrolled: 9-line block ×6, first 2 shown]
	v_xor_b32_e32 v5, vcc_hi, v4
	v_xor_b32_e32 v4, vcc_lo, v4
	ds_read_b32 v29, v6 offset:64
	v_and_b32_e32 v4, v32, v4
	v_and_b32_e32 v5, v2, v5
	v_mbcnt_lo_u32_b32 v2, v4, 0
	v_mbcnt_hi_u32_b32 v32, v5, v2
	v_cmp_eq_u32_e32 vcc, 0, v32
	v_cmp_ne_u64_e64 s[4:5], 0, v[4:5]
	s_and_b64 s[8:9], s[4:5], vcc
	; wave barrier
	s_and_saveexec_b64 s[4:5], s[8:9]
	s_cbranch_execz .LBB169_31
; %bb.30:
	v_bcnt_u32_b32 v2, v4, 0
	v_bcnt_u32_b32 v2, v5, v2
	s_waitcnt lgkmcnt(0)
	v_add_u32_e32 v2, v29, v2
	ds_write_b32 v6, v2 offset:64
.LBB169_31:
	s_or_b64 exec, exec, s[4:5]
	v_xor_b32_e32 v24, 0x80000000, v7
	v_lshrrev_b32_e32 v2, s24, v24
	v_and_b32_e32 v34, s33, v2
	v_mul_lo_u32 v2, v34, s6
	v_add_u32_e32 v7, v30, v2
	v_and_b32_e32 v2, 1, v34
	v_lshl_add_u64 v[4:5], v[2:3], 0, -1
	v_cmp_ne_u32_e32 vcc, 0, v2
	; wave barrier
	s_nop 1
	v_xor_b32_e32 v4, vcc_lo, v4
	v_xor_b32_e32 v2, vcc_hi, v5
	v_and_b32_e32 v35, exec_lo, v4
	v_lshlrev_b32_e32 v5, 30, v34
	v_mov_b32_e32 v4, v3
	v_cmp_gt_i64_e32 vcc, 0, v[4:5]
	v_not_b32_e32 v4, v5
	v_ashrrev_i32_e32 v4, 31, v4
	v_and_b32_e32 v2, exec_hi, v2
	v_xor_b32_e32 v5, vcc_hi, v4
	v_xor_b32_e32 v4, vcc_lo, v4
	v_and_b32_e32 v2, v2, v5
	v_and_b32_e32 v35, v35, v4
	v_lshlrev_b32_e32 v5, 29, v34
	v_mov_b32_e32 v4, v3
	v_cmp_gt_i64_e32 vcc, 0, v[4:5]
	v_not_b32_e32 v4, v5
	v_ashrrev_i32_e32 v4, 31, v4
	v_xor_b32_e32 v5, vcc_hi, v4
	v_xor_b32_e32 v4, vcc_lo, v4
	v_and_b32_e32 v2, v2, v5
	v_and_b32_e32 v35, v35, v4
	v_lshlrev_b32_e32 v5, 28, v34
	v_mov_b32_e32 v4, v3
	v_cmp_gt_i64_e32 vcc, 0, v[4:5]
	v_not_b32_e32 v4, v5
	v_ashrrev_i32_e32 v4, 31, v4
	;; [unrolled: 9-line block ×5, first 2 shown]
	v_xor_b32_e32 v5, vcc_hi, v4
	v_xor_b32_e32 v4, vcc_lo, v4
	v_and_b32_e32 v2, v2, v5
	v_lshlrev_b32_e32 v5, 24, v34
	v_and_b32_e32 v35, v35, v4
	v_mov_b32_e32 v4, v3
	v_not_b32_e32 v3, v5
	v_cmp_gt_i64_e32 vcc, 0, v[4:5]
	v_ashrrev_i32_e32 v3, 31, v3
	ds_read_b32 v33, v7 offset:64
	v_xor_b32_e32 v4, vcc_hi, v3
	v_xor_b32_e32 v5, vcc_lo, v3
	v_and_b32_e32 v3, v2, v4
	v_and_b32_e32 v2, v35, v5
	v_mbcnt_lo_u32_b32 v4, v2, 0
	v_mbcnt_hi_u32_b32 v34, v3, v4
	v_cmp_eq_u32_e32 vcc, 0, v34
	v_cmp_ne_u64_e64 s[4:5], 0, v[2:3]
	s_and_b64 s[6:7], s[4:5], vcc
	; wave barrier
	s_and_saveexec_b64 s[4:5], s[6:7]
	s_cbranch_execz .LBB169_33
; %bb.32:
	v_bcnt_u32_b32 v2, v2, 0
	v_bcnt_u32_b32 v2, v3, v2
	s_waitcnt lgkmcnt(0)
	v_add_u32_e32 v2, v33, v2
	ds_write_b32 v7, v2 offset:64
.LBB169_33:
	s_or_b64 exec, exec, s[4:5]
	v_xor_b32_e32 v8, 0x80000000, v8
	v_lshrrev_b32_e32 v2, s24, v8
	v_and_b32_e32 v36, s33, v2
	s_movk_i32 s6, 0x44
	v_mul_lo_u32 v2, v36, s6
	v_add_u32_e32 v37, v30, v2
	v_and_b32_e32 v2, 1, v36
	v_mov_b32_e32 v3, 0
	v_lshl_add_u64 v[4:5], v[2:3], 0, -1
	v_cmp_ne_u32_e32 vcc, 0, v2
	; wave barrier
	s_nop 1
	v_xor_b32_e32 v4, vcc_lo, v4
	v_xor_b32_e32 v2, vcc_hi, v5
	v_and_b32_e32 v38, exec_lo, v4
	v_lshlrev_b32_e32 v5, 30, v36
	v_mov_b32_e32 v4, v3
	v_cmp_gt_i64_e32 vcc, 0, v[4:5]
	v_not_b32_e32 v4, v5
	v_ashrrev_i32_e32 v4, 31, v4
	v_and_b32_e32 v2, exec_hi, v2
	v_xor_b32_e32 v5, vcc_hi, v4
	v_xor_b32_e32 v4, vcc_lo, v4
	v_and_b32_e32 v2, v2, v5
	v_and_b32_e32 v38, v38, v4
	v_lshlrev_b32_e32 v5, 29, v36
	v_mov_b32_e32 v4, v3
	v_cmp_gt_i64_e32 vcc, 0, v[4:5]
	v_not_b32_e32 v4, v5
	v_ashrrev_i32_e32 v4, 31, v4
	v_xor_b32_e32 v5, vcc_hi, v4
	v_xor_b32_e32 v4, vcc_lo, v4
	v_and_b32_e32 v2, v2, v5
	v_and_b32_e32 v38, v38, v4
	v_lshlrev_b32_e32 v5, 28, v36
	v_mov_b32_e32 v4, v3
	v_cmp_gt_i64_e32 vcc, 0, v[4:5]
	v_not_b32_e32 v4, v5
	v_ashrrev_i32_e32 v4, 31, v4
	;; [unrolled: 9-line block ×6, first 2 shown]
	v_xor_b32_e32 v5, vcc_hi, v4
	v_xor_b32_e32 v4, vcc_lo, v4
	ds_read_b32 v35, v37 offset:64
	v_and_b32_e32 v4, v38, v4
	v_and_b32_e32 v5, v2, v5
	v_mbcnt_lo_u32_b32 v2, v4, 0
	v_mbcnt_hi_u32_b32 v36, v5, v2
	v_cmp_eq_u32_e32 vcc, 0, v36
	v_cmp_ne_u64_e64 s[4:5], 0, v[4:5]
	s_and_b64 s[8:9], s[4:5], vcc
	; wave barrier
	s_and_saveexec_b64 s[4:5], s[8:9]
	s_cbranch_execz .LBB169_35
; %bb.34:
	v_bcnt_u32_b32 v2, v4, 0
	v_bcnt_u32_b32 v2, v5, v2
	s_waitcnt lgkmcnt(0)
	v_add_u32_e32 v2, v35, v2
	ds_write_b32 v37, v2 offset:64
.LBB169_35:
	s_or_b64 exec, exec, s[4:5]
	v_xor_b32_e32 v9, 0x80000000, v9
	v_lshrrev_b32_e32 v2, s24, v9
	v_and_b32_e32 v38, s33, v2
	v_mul_lo_u32 v2, v38, s6
	v_add_u32_e32 v39, v30, v2
	v_and_b32_e32 v2, 1, v38
	v_lshl_add_u64 v[4:5], v[2:3], 0, -1
	v_cmp_ne_u32_e32 vcc, 0, v2
	; wave barrier
	s_nop 1
	v_xor_b32_e32 v4, vcc_lo, v4
	v_xor_b32_e32 v2, vcc_hi, v5
	v_and_b32_e32 v40, exec_lo, v4
	v_lshlrev_b32_e32 v5, 30, v38
	v_mov_b32_e32 v4, v3
	v_cmp_gt_i64_e32 vcc, 0, v[4:5]
	v_not_b32_e32 v4, v5
	v_ashrrev_i32_e32 v4, 31, v4
	v_and_b32_e32 v2, exec_hi, v2
	v_xor_b32_e32 v5, vcc_hi, v4
	v_xor_b32_e32 v4, vcc_lo, v4
	v_and_b32_e32 v2, v2, v5
	v_and_b32_e32 v40, v40, v4
	v_lshlrev_b32_e32 v5, 29, v38
	v_mov_b32_e32 v4, v3
	v_cmp_gt_i64_e32 vcc, 0, v[4:5]
	v_not_b32_e32 v4, v5
	v_ashrrev_i32_e32 v4, 31, v4
	v_xor_b32_e32 v5, vcc_hi, v4
	v_xor_b32_e32 v4, vcc_lo, v4
	v_and_b32_e32 v2, v2, v5
	v_and_b32_e32 v40, v40, v4
	v_lshlrev_b32_e32 v5, 28, v38
	v_mov_b32_e32 v4, v3
	v_cmp_gt_i64_e32 vcc, 0, v[4:5]
	v_not_b32_e32 v4, v5
	v_ashrrev_i32_e32 v4, 31, v4
	;; [unrolled: 9-line block ×5, first 2 shown]
	v_xor_b32_e32 v5, vcc_hi, v4
	v_xor_b32_e32 v4, vcc_lo, v4
	v_and_b32_e32 v2, v2, v5
	v_lshlrev_b32_e32 v5, 24, v38
	v_and_b32_e32 v40, v40, v4
	v_mov_b32_e32 v4, v3
	v_not_b32_e32 v3, v5
	v_cmp_gt_i64_e32 vcc, 0, v[4:5]
	v_ashrrev_i32_e32 v3, 31, v3
	ds_read_b32 v30, v39 offset:64
	v_xor_b32_e32 v4, vcc_hi, v3
	v_xor_b32_e32 v5, vcc_lo, v3
	v_and_b32_e32 v3, v2, v4
	v_and_b32_e32 v2, v40, v5
	v_mbcnt_lo_u32_b32 v4, v2, 0
	v_mbcnt_hi_u32_b32 v38, v3, v4
	v_cmp_eq_u32_e32 vcc, 0, v38
	v_cmp_ne_u64_e64 s[4:5], 0, v[2:3]
	s_and_b64 s[6:7], s[4:5], vcc
	; wave barrier
	s_and_saveexec_b64 s[4:5], s[6:7]
	s_cbranch_execz .LBB169_37
; %bb.36:
	v_bcnt_u32_b32 v2, v2, 0
	v_bcnt_u32_b32 v2, v3, v2
	s_waitcnt lgkmcnt(0)
	v_add_u32_e32 v2, v30, v2
	ds_write_b32 v39, v2 offset:64
.LBB169_37:
	s_or_b64 exec, exec, s[4:5]
	; wave barrier
	s_waitcnt lgkmcnt(0)
	s_barrier
	ds_read2_b32 v[4:5], v17 offset0:16 offset1:17
	ds_read2_b32 v[2:3], v17 offset0:18 offset1:19
	ds_read_b32 v40, v17 offset:80
	v_cmp_lt_u32_e64 s[12:13], 31, v16
	s_waitcnt lgkmcnt(1)
	v_add3_u32 v41, v5, v4, v2
	s_waitcnt lgkmcnt(0)
	v_add3_u32 v40, v41, v3, v40
	v_and_b32_e32 v41, 15, v16
	v_cmp_eq_u32_e32 vcc, 0, v41
	v_mov_b32_dpp v42, v40 row_shr:1 row_mask:0xf bank_mask:0xf
	v_cmp_lt_u32_e64 s[4:5], 1, v41
	v_cndmask_b32_e64 v42, v42, 0, vcc
	v_add_u32_e32 v40, v42, v40
	v_cmp_lt_u32_e64 s[6:7], 3, v41
	v_cmp_lt_u32_e64 s[8:9], 7, v41
	v_mov_b32_dpp v42, v40 row_shr:2 row_mask:0xf bank_mask:0xf
	v_cndmask_b32_e64 v42, 0, v42, s[4:5]
	v_add_u32_e32 v40, v40, v42
	s_nop 1
	v_mov_b32_dpp v42, v40 row_shr:4 row_mask:0xf bank_mask:0xf
	v_cndmask_b32_e64 v42, 0, v42, s[6:7]
	v_add_u32_e32 v40, v40, v42
	s_nop 1
	v_mov_b32_dpp v42, v40 row_shr:8 row_mask:0xf bank_mask:0xf
	v_cndmask_b32_e64 v41, 0, v42, s[8:9]
	v_add_u32_e32 v40, v40, v41
	v_bfe_i32 v42, v16, 4, 1
	s_nop 0
	v_mov_b32_dpp v41, v40 row_bcast:15 row_mask:0xf bank_mask:0xf
	v_and_b32_e32 v41, v42, v41
	v_add_u32_e32 v40, v40, v41
	v_and_b32_e32 v42, 63, v10
	s_nop 0
	v_mov_b32_dpp v41, v40 row_bcast:31 row_mask:0xf bank_mask:0xf
	v_cndmask_b32_e64 v41, 0, v41, s[12:13]
	v_add_u32_e32 v40, v40, v41
	v_lshrrev_b32_e32 v41, 6, v10
	v_cmp_eq_u32_e64 s[12:13], 63, v42
	s_and_saveexec_b64 s[14:15], s[12:13]
; %bb.38:
	v_lshlrev_b32_e32 v42, 2, v41
	ds_write_b32 v42, v40
; %bb.39:
	s_or_b64 exec, exec, s[14:15]
	v_cmp_gt_u32_e64 s[12:13], 16, v10
	s_waitcnt lgkmcnt(0)
	s_barrier
	s_and_saveexec_b64 s[14:15], s[12:13]
	s_cbranch_execz .LBB169_41
; %bb.40:
	v_lshlrev_b32_e32 v42, 2, v10
	ds_read_b32 v43, v42
	s_waitcnt lgkmcnt(0)
	s_nop 0
	v_mov_b32_dpp v44, v43 row_shr:1 row_mask:0xf bank_mask:0xf
	v_cndmask_b32_e64 v44, v44, 0, vcc
	v_add_u32_e32 v43, v44, v43
	s_nop 1
	v_mov_b32_dpp v44, v43 row_shr:2 row_mask:0xf bank_mask:0xf
	v_cndmask_b32_e64 v44, 0, v44, s[4:5]
	v_add_u32_e32 v43, v43, v44
	s_nop 1
	v_mov_b32_dpp v44, v43 row_shr:4 row_mask:0xf bank_mask:0xf
	v_cndmask_b32_e64 v44, 0, v44, s[6:7]
	;; [unrolled: 4-line block ×3, first 2 shown]
	v_add_u32_e32 v43, v43, v44
	ds_write_b32 v42, v43
.LBB169_41:
	s_or_b64 exec, exec, s[14:15]
	v_cmp_lt_u32_e32 vcc, 63, v10
	v_mov_b32_e32 v42, 0
	s_waitcnt lgkmcnt(0)
	s_barrier
	s_and_saveexec_b64 s[4:5], vcc
; %bb.42:
	v_lshl_add_u32 v41, v41, 2, -4
	ds_read_b32 v42, v41
; %bb.43:
	s_or_b64 exec, exec, s[4:5]
	v_subrev_co_u32_e32 v41, vcc, 1, v16
	v_and_b32_e32 v43, 64, v16
	v_cmp_lt_i32_e64 s[4:5], v41, v43
	s_waitcnt lgkmcnt(0)
	v_add_u32_e32 v40, v42, v40
	s_movk_i32 s6, 0x100
	v_cndmask_b32_e64 v16, v41, v16, s[4:5]
	v_lshlrev_b32_e32 v16, 2, v16
	ds_bpermute_b32 v16, v16, v40
	s_movk_i32 s4, 0xff
	v_cmp_lt_u32_e64 s[4:5], s4, v10
	s_waitcnt lgkmcnt(0)
	v_cndmask_b32_e32 v16, v16, v42, vcc
	v_cndmask_b32_e64 v16, v16, 0, s[10:11]
	v_add_u32_e32 v4, v16, v4
	v_add_u32_e32 v5, v4, v5
	;; [unrolled: 1-line block ×4, first 2 shown]
	ds_write2_b32 v17, v16, v4 offset0:16 offset1:17
	ds_write2_b32 v17, v5, v2 offset0:18 offset1:19
	ds_write_b32 v17, v3 offset:80
	s_waitcnt lgkmcnt(0)
	s_barrier
	ds_read_b32 v40, v22 offset:64
	ds_read_b32 v23, v23 offset:64
	;; [unrolled: 1-line block ×8, first 2 shown]
	v_cmp_gt_u32_e32 vcc, s6, v10
                                        ; implicit-def: $vgpr16
                                        ; implicit-def: $vgpr17
	s_and_saveexec_b64 s[8:9], vcc
	s_cbranch_execz .LBB169_47
; %bb.44:
	v_mul_u32_u24_e32 v2, 0x44, v10
	ds_read_b32 v16, v2 offset:64
	v_add_u32_e32 v3, 1, v10
	v_cmp_ne_u32_e64 s[6:7], s6, v3
	v_mov_b32_e32 v2, 0x2000
	s_and_saveexec_b64 s[12:13], s[6:7]
; %bb.45:
	v_mul_u32_u24_e32 v2, 0x44, v3
	ds_read_b32 v2, v2 offset:64
; %bb.46:
	s_or_b64 exec, exec, s[12:13]
	s_waitcnt lgkmcnt(0)
	v_sub_u32_e32 v17, v2, v16
.LBB169_47:
	s_or_b64 exec, exec, s[8:9]
	v_mov_b32_e32 v3, 0
	v_lshlrev_b32_e32 v22, 2, v10
	s_waitcnt lgkmcnt(0)
	s_barrier
	s_and_saveexec_b64 s[6:7], vcc
	s_cbranch_execz .LBB169_57
; %bb.48:
	v_lshl_add_u32 v2, s27, 8, v10
	v_lshl_add_u64 v[4:5], v[2:3], 2, s[18:19]
	v_or_b32_e32 v2, 2.0, v17
	s_mov_b64 s[8:9], 0
	s_brev_b32 s16, -4
	s_mov_b32 s17, s27
	v_mov_b32_e32 v43, 0
	global_store_dword v[4:5], v2, off sc1
                                        ; implicit-def: $sgpr12_sgpr13
	s_branch .LBB169_51
.LBB169_49:                             ;   in Loop: Header=BB169_51 Depth=1
	s_or_b64 exec, exec, s[14:15]
.LBB169_50:                             ;   in Loop: Header=BB169_51 Depth=1
	s_or_b64 exec, exec, s[12:13]
	v_and_b32_e32 v6, 0x3fffffff, v2
	v_add_u32_e32 v43, v6, v43
	v_cmp_gt_i32_e64 s[12:13], -2.0, v2
	s_and_b64 s[14:15], exec, s[12:13]
	s_or_b64 s[8:9], s[14:15], s[8:9]
	s_andn2_b64 exec, exec, s[8:9]
	s_cbranch_execz .LBB169_56
.LBB169_51:                             ; =>This Loop Header: Depth=1
                                        ;     Child Loop BB169_54 Depth 2
	s_or_b64 s[12:13], s[12:13], exec
	s_cmp_eq_u32 s17, 0
	s_cbranch_scc1 .LBB169_55
; %bb.52:                               ;   in Loop: Header=BB169_51 Depth=1
	s_add_i32 s17, s17, -1
	v_lshl_or_b32 v2, s17, 8, v10
	v_lshl_add_u64 v[6:7], v[2:3], 2, s[18:19]
	global_load_dword v2, v[6:7], off sc1
	s_waitcnt vmcnt(0)
	v_cmp_gt_u32_e32 vcc, 2.0, v2
	s_and_saveexec_b64 s[12:13], vcc
	s_cbranch_execz .LBB169_50
; %bb.53:                               ;   in Loop: Header=BB169_51 Depth=1
	s_mov_b64 s[14:15], 0
.LBB169_54:                             ;   Parent Loop BB169_51 Depth=1
                                        ; =>  This Inner Loop Header: Depth=2
	global_load_dword v2, v[6:7], off sc1
	s_waitcnt vmcnt(0)
	v_cmp_lt_u32_e32 vcc, s16, v2
	s_or_b64 s[14:15], vcc, s[14:15]
	s_andn2_b64 exec, exec, s[14:15]
	s_cbranch_execnz .LBB169_54
	s_branch .LBB169_49
.LBB169_55:                             ;   in Loop: Header=BB169_51 Depth=1
                                        ; implicit-def: $sgpr17
	s_and_b64 s[14:15], exec, s[12:13]
	s_or_b64 s[8:9], s[14:15], s[8:9]
	s_andn2_b64 exec, exec, s[8:9]
	s_cbranch_execnz .LBB169_51
.LBB169_56:
	s_or_b64 exec, exec, s[8:9]
	v_add_u32_e32 v2, v43, v17
	v_or_b32_e32 v2, 0x80000000, v2
	global_store_dword v[4:5], v2, off sc1
	global_load_dword v2, v22, s[20:21]
	v_sub_u32_e32 v3, v43, v16
	s_waitcnt vmcnt(0)
	v_add_u32_e32 v2, v3, v2
	ds_write_b32 v22, v2
.LBB169_57:
	s_or_b64 exec, exec, s[6:7]
	v_add_u32_e32 v4, v40, v18
	v_add3_u32 v5, v20, v19, v23
	v_add3_u32 v6, v25, v21, v27
	;; [unrolled: 1-line block ×7, first 2 shown]
	v_lshlrev_b32_e32 v23, 2, v21
	v_lshlrev_b32_e32 v25, 2, v20
	;; [unrolled: 1-line block ×8, first 2 shown]
	s_mov_b64 s[6:7], -1
	s_mov_b32 s12, 0
	v_mov_b32_e32 v3, 0
	s_movk_i32 s13, 0x400
	s_movk_i32 s14, 0x800
	;; [unrolled: 1-line block ×3, first 2 shown]
	v_mov_b32_e32 v32, v10
	s_branch .LBB169_59
.LBB169_58:                             ;   in Loop: Header=BB169_59 Depth=1
	s_or_b64 exec, exec, s[8:9]
	s_xor_b64 s[8:9], s[6:7], -1
	s_addk_i32 s12, 0xc000
	v_add_u32_e32 v32, 0x1000, v32
	s_mov_b64 s[6:7], 0
	s_and_b64 vcc, exec, s[8:9]
	s_barrier
	s_cbranch_vccnz .LBB169_83
.LBB169_59:                             ; =>This Inner Loop Header: Depth=1
	v_subrev_co_u32_e32 v4, vcc, 0x1000, v4
	s_and_saveexec_b64 s[8:9], vcc
	s_cbranch_execz .LBB169_67
; %bb.60:                               ;   in Loop: Header=BB169_59 Depth=1
	v_add_u32_e32 v2, s12, v31
	ds_write_b32 v2, v11 offset:1024
	s_or_b64 exec, exec, s[8:9]
	v_subrev_co_u32_e32 v5, vcc, 0x1000, v5
	s_and_saveexec_b64 s[8:9], vcc
	s_cbranch_execnz .LBB169_68
.LBB169_61:                             ;   in Loop: Header=BB169_59 Depth=1
	s_or_b64 exec, exec, s[8:9]
	v_subrev_co_u32_e32 v6, vcc, 0x1000, v6
	s_and_saveexec_b64 s[8:9], vcc
	s_cbranch_execz .LBB169_69
.LBB169_62:                             ;   in Loop: Header=BB169_59 Depth=1
	v_add_u32_e32 v2, s12, v29
	ds_write_b32 v2, v15 offset:1024
	s_or_b64 exec, exec, s[8:9]
	v_subrev_co_u32_e32 v7, vcc, 0x1000, v7
	s_and_saveexec_b64 s[8:9], vcc
	s_cbranch_execnz .LBB169_70
.LBB169_63:                             ;   in Loop: Header=BB169_59 Depth=1
	s_or_b64 exec, exec, s[8:9]
	v_subrev_co_u32_e32 v18, vcc, 0x1000, v18
	s_and_saveexec_b64 s[8:9], vcc
	s_cbranch_execz .LBB169_71
.LBB169_64:                             ;   in Loop: Header=BB169_59 Depth=1
	v_add_u32_e32 v2, s12, v27
	ds_write_b32 v2, v13 offset:1024
	s_or_b64 exec, exec, s[8:9]
	v_subrev_co_u32_e32 v19, vcc, 0x1000, v19
	s_and_saveexec_b64 s[8:9], vcc
	s_cbranch_execnz .LBB169_72
.LBB169_65:                             ;   in Loop: Header=BB169_59 Depth=1
	s_or_b64 exec, exec, s[8:9]
	v_subrev_co_u32_e32 v20, vcc, 0x1000, v20
	s_and_saveexec_b64 s[8:9], vcc
	s_cbranch_execz .LBB169_73
.LBB169_66:                             ;   in Loop: Header=BB169_59 Depth=1
	v_add_u32_e32 v2, s12, v25
	ds_write_b32 v2, v8 offset:1024
	s_or_b64 exec, exec, s[8:9]
	v_subrev_co_u32_e32 v21, vcc, 0x1000, v21
	s_and_saveexec_b64 s[8:9], vcc
	s_cbranch_execnz .LBB169_74
	s_branch .LBB169_75
.LBB169_67:                             ;   in Loop: Header=BB169_59 Depth=1
	s_or_b64 exec, exec, s[8:9]
	v_subrev_co_u32_e32 v5, vcc, 0x1000, v5
	s_and_saveexec_b64 s[8:9], vcc
	s_cbranch_execz .LBB169_61
.LBB169_68:                             ;   in Loop: Header=BB169_59 Depth=1
	v_add_u32_e32 v2, s12, v30
	ds_write_b32 v2, v14 offset:1024
	s_or_b64 exec, exec, s[8:9]
	v_subrev_co_u32_e32 v6, vcc, 0x1000, v6
	s_and_saveexec_b64 s[8:9], vcc
	s_cbranch_execnz .LBB169_62
.LBB169_69:                             ;   in Loop: Header=BB169_59 Depth=1
	s_or_b64 exec, exec, s[8:9]
	v_subrev_co_u32_e32 v7, vcc, 0x1000, v7
	s_and_saveexec_b64 s[8:9], vcc
	s_cbranch_execz .LBB169_63
.LBB169_70:                             ;   in Loop: Header=BB169_59 Depth=1
	v_add_u32_e32 v2, s12, v28
	ds_write_b32 v2, v12 offset:1024
	s_or_b64 exec, exec, s[8:9]
	v_subrev_co_u32_e32 v18, vcc, 0x1000, v18
	s_and_saveexec_b64 s[8:9], vcc
	s_cbranch_execnz .LBB169_64
.LBB169_71:                             ;   in Loop: Header=BB169_59 Depth=1
	s_or_b64 exec, exec, s[8:9]
	v_subrev_co_u32_e32 v19, vcc, 0x1000, v19
	s_and_saveexec_b64 s[8:9], vcc
	s_cbranch_execz .LBB169_65
.LBB169_72:                             ;   in Loop: Header=BB169_59 Depth=1
	v_add_u32_e32 v2, s12, v26
	ds_write_b32 v2, v24 offset:1024
	s_or_b64 exec, exec, s[8:9]
	v_subrev_co_u32_e32 v20, vcc, 0x1000, v20
	s_and_saveexec_b64 s[8:9], vcc
	s_cbranch_execnz .LBB169_66
.LBB169_73:                             ;   in Loop: Header=BB169_59 Depth=1
	s_or_b64 exec, exec, s[8:9]
	v_subrev_co_u32_e32 v21, vcc, 0x1000, v21
	s_and_saveexec_b64 s[8:9], vcc
.LBB169_74:                             ;   in Loop: Header=BB169_59 Depth=1
	v_add_u32_e32 v2, s12, v23
	ds_write_b32 v2, v9 offset:1024
.LBB169_75:                             ;   in Loop: Header=BB169_59 Depth=1
	s_or_b64 exec, exec, s[8:9]
	v_cmp_gt_u32_e32 vcc, s3, v32
	s_waitcnt lgkmcnt(0)
	s_barrier
	s_and_saveexec_b64 s[8:9], vcc
	s_cbranch_execz .LBB169_77
; %bb.76:                               ;   in Loop: Header=BB169_59 Depth=1
	ds_read_b32 v2, v22 offset:1024
	s_waitcnt lgkmcnt(0)
	v_lshrrev_b32_e32 v33, s24, v2
	v_and_b32_e32 v33, s33, v33
	v_lshlrev_b32_e32 v33, 2, v33
	ds_read_b32 v33, v33
	v_xor_b32_e32 v36, 0x80000000, v2
	s_waitcnt lgkmcnt(0)
	v_add_u32_e32 v2, v32, v33
	v_lshl_add_u64 v[34:35], v[2:3], 2, s[30:31]
	global_store_dword v[34:35], v36, off
.LBB169_77:                             ;   in Loop: Header=BB169_59 Depth=1
	s_or_b64 exec, exec, s[8:9]
	v_add_u32_e32 v2, 0x400, v32
	v_cmp_gt_u32_e32 vcc, s3, v2
	s_and_saveexec_b64 s[8:9], vcc
	s_cbranch_execz .LBB169_79
; %bb.78:                               ;   in Loop: Header=BB169_59 Depth=1
	ds_read_b32 v2, v22 offset:5120
	s_waitcnt lgkmcnt(0)
	v_lshrrev_b32_e32 v33, s24, v2
	v_and_b32_e32 v33, s33, v33
	v_lshlrev_b32_e32 v33, 2, v33
	ds_read_b32 v33, v33
	v_xor_b32_e32 v36, 0x80000000, v2
	s_waitcnt lgkmcnt(0)
	v_add3_u32 v2, v32, v33, s13
	v_lshl_add_u64 v[34:35], v[2:3], 2, s[30:31]
	global_store_dword v[34:35], v36, off
.LBB169_79:                             ;   in Loop: Header=BB169_59 Depth=1
	s_or_b64 exec, exec, s[8:9]
	v_add_u32_e32 v2, 0x800, v32
	v_cmp_gt_u32_e32 vcc, s3, v2
	s_and_saveexec_b64 s[8:9], vcc
	s_cbranch_execz .LBB169_81
; %bb.80:                               ;   in Loop: Header=BB169_59 Depth=1
	ds_read_b32 v2, v22 offset:9216
	s_waitcnt lgkmcnt(0)
	v_lshrrev_b32_e32 v33, s24, v2
	v_and_b32_e32 v33, s33, v33
	v_lshlrev_b32_e32 v33, 2, v33
	ds_read_b32 v33, v33
	v_xor_b32_e32 v36, 0x80000000, v2
	s_waitcnt lgkmcnt(0)
	v_add3_u32 v2, v32, v33, s14
	v_lshl_add_u64 v[34:35], v[2:3], 2, s[30:31]
	global_store_dword v[34:35], v36, off
.LBB169_81:                             ;   in Loop: Header=BB169_59 Depth=1
	s_or_b64 exec, exec, s[8:9]
	v_add_u32_e32 v2, 0xc00, v32
	v_cmp_gt_u32_e32 vcc, s3, v2
	s_and_saveexec_b64 s[8:9], vcc
	s_cbranch_execz .LBB169_58
; %bb.82:                               ;   in Loop: Header=BB169_59 Depth=1
	ds_read_b32 v2, v22 offset:13312
	s_waitcnt lgkmcnt(0)
	v_lshrrev_b32_e32 v33, s24, v2
	v_and_b32_e32 v33, s33, v33
	v_lshlrev_b32_e32 v33, 2, v33
	ds_read_b32 v33, v33
	v_xor_b32_e32 v36, 0x80000000, v2
	s_waitcnt lgkmcnt(0)
	v_add3_u32 v2, v32, v33, s15
	v_lshl_add_u64 v[34:35], v[2:3], 2, s[30:31]
	global_store_dword v[34:35], v36, off
	s_branch .LBB169_58
.LBB169_83:
	s_add_i32 s26, s26, -1
	s_cmp_eq_u32 s27, s26
	s_cselect_b64 s[6:7], -1, 0
	s_xor_b64 s[4:5], s[4:5], -1
	s_and_b64 s[6:7], s[4:5], s[6:7]
	s_and_saveexec_b64 s[4:5], s[6:7]
	s_cbranch_execz .LBB169_85
; %bb.84:
	ds_read_b32 v2, v22
	s_waitcnt lgkmcnt(0)
	v_add3_u32 v2, v16, v17, v2
	global_store_dword v22, v2, s[22:23]
.LBB169_85:
	s_or_b64 exec, exec, s[4:5]
	s_mov_b64 s[4:5], 0
.LBB169_86:
	s_and_b64 vcc, exec, s[4:5]
	s_cbranch_vccz .LBB169_143
; %bb.87:
	s_lshl_b32 s4, s27, 13
	s_mov_b32 s5, 0
	s_lshl_b64 s[4:5], s[4:5], 2
	v_mbcnt_hi_u32_b32 v4, -1, v1
	s_add_u32 s4, s28, s4
	v_and_b32_e32 v1, 63, v4
	s_addc_u32 s5, s29, s5
	v_lshlrev_b32_e32 v2, 2, v1
	v_mov_b32_e32 v3, 0
	v_lshlrev_b32_e32 v1, 5, v10
	v_lshl_add_u64 v[6:7], s[4:5], 0, v[2:3]
	v_and_b32_e32 v2, 0x7800, v1
	v_lshl_add_u64 v[16:17], v[6:7], 0, v[2:3]
	global_load_dword v1, v[16:17], off
	s_load_dword s3, s[0:1], 0x64
	s_load_dword s12, s[0:1], 0x58
	s_add_u32 s0, s0, 0x58
	s_addc_u32 s1, s1, 0
	v_mul_u32_u24_e32 v5, 20, v10
	s_waitcnt lgkmcnt(0)
	s_lshr_b32 s3, s3, 16
	s_cmp_lt_u32 s2, s12
	s_cselect_b32 s2, 12, 18
	s_add_u32 s0, s0, s2
	s_addc_u32 s1, s1, 0
	global_load_ushort v9, v3, s[0:1]
	ds_write2_b32 v5, v3, v3 offset0:16 offset1:17
	ds_write2_b32 v5, v3, v3 offset0:18 offset1:19
	ds_write_b32 v5, v3 offset:80
	global_load_dword v7, v[16:17], off offset:256
	global_load_dword v8, v[16:17], off offset:512
	;; [unrolled: 1-line block ×7, first 2 shown]
	v_bfe_u32 v2, v0, 10, 10
	v_bfe_u32 v6, v0, 20, 10
	v_mad_u32_u24 v11, v6, s3, v2
	s_lshl_b32 s0, -1, s25
	v_mov_b32_e32 v0, v3
	s_not_b32 s13, s0
	v_mov_b32_e32 v18, v3
	v_mov_b32_e32 v24, v3
	;; [unrolled: 1-line block ×4, first 2 shown]
	s_movk_i32 s8, 0x44
	s_waitcnt lgkmcnt(0)
	s_barrier
	s_waitcnt vmcnt(8)
	; wave barrier
	v_xor_b32_e32 v6, 0x80000000, v1
	v_lshrrev_b32_e32 v1, s24, v6
	v_bitop3_b32 v13, v1, s0, v1 bitop3:0x30
	v_and_b32_e32 v2, 1, v13
	v_lshlrev_b32_e32 v1, 30, v13
	v_lshlrev_b32_e32 v19, 29, v13
	v_lshl_add_u64 v[32:33], v[2:3], 0, -1
	v_cmp_ne_u32_e32 vcc, 0, v2
	v_lshlrev_b32_e32 v25, 28, v13
	v_cmp_gt_i64_e64 s[2:3], 0, v[18:19]
	s_waitcnt vmcnt(7)
	v_mad_u64_u32 v[16:17], s[0:1], v11, v9, v[10:11]
	v_cmp_gt_i64_e64 s[0:1], 0, v[0:1]
	v_not_b32_e32 v0, v1
	v_not_b32_e32 v1, v19
	v_lshrrev_b32_e32 v11, 4, v16
	v_xor_b32_e32 v16, vcc_hi, v33
	v_xor_b32_e32 v17, vcc_lo, v32
	v_ashrrev_i32_e32 v0, 31, v0
	v_cmp_gt_i64_e64 s[4:5], 0, v[24:25]
	v_not_b32_e32 v2, v25
	v_ashrrev_i32_e32 v1, 31, v1
	v_and_b32_e32 v24, 0xffffffc, v11
	v_and_b32_e32 v11, exec_hi, v16
	v_and_b32_e32 v16, exec_lo, v17
	v_xor_b32_e32 v17, s1, v0
	v_xor_b32_e32 v0, s0, v0
	v_lshlrev_b32_e32 v29, 27, v13
	v_ashrrev_i32_e32 v2, 31, v2
	v_xor_b32_e32 v18, s3, v1
	v_xor_b32_e32 v1, s2, v1
	v_and_b32_e32 v0, v16, v0
	v_lshlrev_b32_e32 v31, 26, v13
	v_not_b32_e32 v9, v29
	v_xor_b32_e32 v19, s5, v2
	v_xor_b32_e32 v2, s4, v2
	v_and_b32_e32 v11, v11, v17
	v_and_b32_e32 v0, v0, v1
	v_cmp_gt_i64_e64 s[6:7], 0, v[28:29]
	v_ashrrev_i32_e32 v9, 31, v9
	v_and_b32_e32 v11, v11, v18
	v_and_b32_e32 v0, v0, v2
	v_not_b32_e32 v2, v31
	v_xor_b32_e32 v21, s7, v9
	v_xor_b32_e32 v9, s6, v9
	v_and_b32_e32 v1, v11, v19
	v_cmp_gt_i64_e32 vcc, 0, v[30:31]
	v_ashrrev_i32_e32 v2, 31, v2
	v_and_b32_e32 v1, v1, v21
	v_and_b32_e32 v0, v0, v9
	v_xor_b32_e32 v9, vcc_hi, v2
	v_xor_b32_e32 v2, vcc_lo, v2
	v_and_b32_e32 v9, v1, v9
	v_and_b32_e32 v2, v0, v2
	v_lshlrev_b32_e32 v1, 25, v13
	v_mov_b32_e32 v0, v3
	v_cmp_gt_i64_e32 vcc, 0, v[0:1]
	v_not_b32_e32 v0, v1
	v_ashrrev_i32_e32 v0, 31, v0
	v_xor_b32_e32 v1, vcc_hi, v0
	v_xor_b32_e32 v0, vcc_lo, v0
	v_and_b32_e32 v9, v9, v1
	v_and_b32_e32 v2, v2, v0
	v_lshlrev_b32_e32 v1, 24, v13
	v_mov_b32_e32 v0, v3
	v_cmp_gt_i64_e32 vcc, 0, v[0:1]
	v_not_b32_e32 v0, v1
	v_ashrrev_i32_e32 v0, 31, v0
	v_xor_b32_e32 v1, vcc_hi, v0
	v_xor_b32_e32 v0, vcc_lo, v0
	v_and_b32_e32 v0, v2, v0
	v_and_b32_e32 v1, v9, v1
	v_mbcnt_lo_u32_b32 v2, v0, 0
	v_mbcnt_hi_u32_b32 v9, v1, v2
	v_mul_lo_u32 v14, v13, s8
	v_cmp_eq_u32_e32 vcc, 0, v9
	v_cmp_ne_u64_e64 s[0:1], 0, v[0:1]
	s_and_b64 s[2:3], s[0:1], vcc
	v_add_u32_e32 v16, v24, v14
	s_and_saveexec_b64 s[0:1], s[2:3]
; %bb.88:
	v_bcnt_u32_b32 v0, v0, 0
	v_bcnt_u32_b32 v0, v1, v0
	ds_write_b32 v16, v0 offset:64
; %bb.89:
	s_or_b64 exec, exec, s[0:1]
	s_waitcnt vmcnt(6)
	v_xor_b32_e32 v7, 0x80000000, v7
	v_lshrrev_b32_e32 v0, s24, v7
	v_and_b32_e32 v13, s13, v0
	v_mul_lo_u32 v0, v13, s8
	v_and_b32_e32 v2, 1, v13
	v_add_u32_e32 v17, v24, v0
	v_lshl_add_u64 v[0:1], v[2:3], 0, -1
	v_cmp_ne_u32_e32 vcc, 0, v2
	; wave barrier
	s_nop 1
	v_xor_b32_e32 v1, vcc_hi, v1
	v_xor_b32_e32 v0, vcc_lo, v0
	v_and_b32_e32 v2, exec_hi, v1
	v_and_b32_e32 v14, exec_lo, v0
	v_lshlrev_b32_e32 v1, 30, v13
	v_mov_b32_e32 v0, v3
	v_cmp_gt_i64_e32 vcc, 0, v[0:1]
	v_not_b32_e32 v0, v1
	v_ashrrev_i32_e32 v0, 31, v0
	v_xor_b32_e32 v1, vcc_hi, v0
	v_xor_b32_e32 v0, vcc_lo, v0
	v_and_b32_e32 v2, v2, v1
	v_and_b32_e32 v14, v14, v0
	v_lshlrev_b32_e32 v1, 29, v13
	v_mov_b32_e32 v0, v3
	v_cmp_gt_i64_e32 vcc, 0, v[0:1]
	v_not_b32_e32 v0, v1
	v_ashrrev_i32_e32 v0, 31, v0
	v_xor_b32_e32 v1, vcc_hi, v0
	v_xor_b32_e32 v0, vcc_lo, v0
	v_and_b32_e32 v2, v2, v1
	v_and_b32_e32 v14, v14, v0
	;; [unrolled: 9-line block ×6, first 2 shown]
	v_lshlrev_b32_e32 v1, 24, v13
	v_mov_b32_e32 v0, v3
	v_cmp_gt_i64_e32 vcc, 0, v[0:1]
	v_not_b32_e32 v0, v1
	v_ashrrev_i32_e32 v0, 31, v0
	v_xor_b32_e32 v1, vcc_hi, v0
	v_xor_b32_e32 v0, vcc_lo, v0
	ds_read_b32 v11, v17 offset:64
	v_and_b32_e32 v0, v14, v0
	v_and_b32_e32 v1, v2, v1
	v_mbcnt_lo_u32_b32 v2, v0, 0
	v_mbcnt_hi_u32_b32 v13, v1, v2
	v_cmp_eq_u32_e32 vcc, 0, v13
	v_cmp_ne_u64_e64 s[0:1], 0, v[0:1]
	s_and_b64 s[2:3], s[0:1], vcc
	; wave barrier
	s_and_saveexec_b64 s[0:1], s[2:3]
	s_cbranch_execz .LBB169_91
; %bb.90:
	v_bcnt_u32_b32 v0, v0, 0
	v_bcnt_u32_b32 v0, v1, v0
	s_waitcnt lgkmcnt(0)
	v_add_u32_e32 v0, v11, v0
	ds_write_b32 v17, v0 offset:64
.LBB169_91:
	s_or_b64 exec, exec, s[0:1]
	s_waitcnt vmcnt(5)
	v_xor_b32_e32 v8, 0x80000000, v8
	v_lshrrev_b32_e32 v0, s24, v8
	v_and_b32_e32 v18, s13, v0
	s_movk_i32 s2, 0x44
	v_mul_lo_u32 v0, v18, s2
	v_add_u32_e32 v21, v24, v0
	v_and_b32_e32 v0, 1, v18
	v_mov_b32_e32 v1, 0
	v_lshl_add_u64 v[2:3], v[0:1], 0, -1
	v_cmp_ne_u32_e32 vcc, 0, v0
	; wave barrier
	s_nop 1
	v_xor_b32_e32 v2, vcc_lo, v2
	v_xor_b32_e32 v0, vcc_hi, v3
	v_and_b32_e32 v19, exec_lo, v2
	v_lshlrev_b32_e32 v3, 30, v18
	v_mov_b32_e32 v2, v1
	v_cmp_gt_i64_e32 vcc, 0, v[2:3]
	v_not_b32_e32 v2, v3
	v_ashrrev_i32_e32 v2, 31, v2
	v_and_b32_e32 v0, exec_hi, v0
	v_xor_b32_e32 v3, vcc_hi, v2
	v_xor_b32_e32 v2, vcc_lo, v2
	v_and_b32_e32 v0, v0, v3
	v_and_b32_e32 v19, v19, v2
	v_lshlrev_b32_e32 v3, 29, v18
	v_mov_b32_e32 v2, v1
	v_cmp_gt_i64_e32 vcc, 0, v[2:3]
	v_not_b32_e32 v2, v3
	v_ashrrev_i32_e32 v2, 31, v2
	v_xor_b32_e32 v3, vcc_hi, v2
	v_xor_b32_e32 v2, vcc_lo, v2
	v_and_b32_e32 v0, v0, v3
	v_and_b32_e32 v19, v19, v2
	v_lshlrev_b32_e32 v3, 28, v18
	v_mov_b32_e32 v2, v1
	v_cmp_gt_i64_e32 vcc, 0, v[2:3]
	v_not_b32_e32 v2, v3
	v_ashrrev_i32_e32 v2, 31, v2
	v_xor_b32_e32 v3, vcc_hi, v2
	v_xor_b32_e32 v2, vcc_lo, v2
	v_and_b32_e32 v0, v0, v3
	v_and_b32_e32 v19, v19, v2
	v_lshlrev_b32_e32 v3, 27, v18
	v_mov_b32_e32 v2, v1
	v_cmp_gt_i64_e32 vcc, 0, v[2:3]
	v_not_b32_e32 v2, v3
	v_ashrrev_i32_e32 v2, 31, v2
	v_xor_b32_e32 v3, vcc_hi, v2
	v_xor_b32_e32 v2, vcc_lo, v2
	v_and_b32_e32 v0, v0, v3
	v_and_b32_e32 v19, v19, v2
	v_lshlrev_b32_e32 v3, 26, v18
	v_mov_b32_e32 v2, v1
	v_cmp_gt_i64_e32 vcc, 0, v[2:3]
	v_not_b32_e32 v2, v3
	v_ashrrev_i32_e32 v2, 31, v2
	v_xor_b32_e32 v3, vcc_hi, v2
	v_xor_b32_e32 v2, vcc_lo, v2
	v_and_b32_e32 v0, v0, v3
	v_and_b32_e32 v19, v19, v2
	v_lshlrev_b32_e32 v3, 25, v18
	v_mov_b32_e32 v2, v1
	v_cmp_gt_i64_e32 vcc, 0, v[2:3]
	v_not_b32_e32 v2, v3
	v_ashrrev_i32_e32 v2, 31, v2
	v_xor_b32_e32 v3, vcc_hi, v2
	v_xor_b32_e32 v2, vcc_lo, v2
	v_and_b32_e32 v0, v0, v3
	v_and_b32_e32 v19, v19, v2
	v_lshlrev_b32_e32 v3, 24, v18
	v_mov_b32_e32 v2, v1
	v_cmp_gt_i64_e32 vcc, 0, v[2:3]
	v_not_b32_e32 v2, v3
	v_ashrrev_i32_e32 v2, 31, v2
	v_xor_b32_e32 v3, vcc_hi, v2
	v_xor_b32_e32 v2, vcc_lo, v2
	ds_read_b32 v14, v21 offset:64
	v_and_b32_e32 v2, v19, v2
	v_and_b32_e32 v3, v0, v3
	v_mbcnt_lo_u32_b32 v0, v2, 0
	v_mbcnt_hi_u32_b32 v18, v3, v0
	v_cmp_eq_u32_e32 vcc, 0, v18
	v_cmp_ne_u64_e64 s[0:1], 0, v[2:3]
	s_and_b64 s[4:5], s[0:1], vcc
	; wave barrier
	s_and_saveexec_b64 s[0:1], s[4:5]
	s_cbranch_execz .LBB169_93
; %bb.92:
	v_bcnt_u32_b32 v0, v2, 0
	v_bcnt_u32_b32 v0, v3, v0
	s_waitcnt lgkmcnt(0)
	v_add_u32_e32 v0, v14, v0
	ds_write_b32 v21, v0 offset:64
.LBB169_93:
	s_or_b64 exec, exec, s[0:1]
	s_waitcnt vmcnt(4)
	v_xor_b32_e32 v12, 0x80000000, v12
	v_lshrrev_b32_e32 v0, s24, v12
	v_and_b32_e32 v23, s13, v0
	v_mul_lo_u32 v0, v23, s2
	v_add_u32_e32 v27, v24, v0
	v_and_b32_e32 v0, 1, v23
	v_lshl_add_u64 v[2:3], v[0:1], 0, -1
	v_cmp_ne_u32_e32 vcc, 0, v0
	; wave barrier
	s_nop 1
	v_xor_b32_e32 v2, vcc_lo, v2
	v_xor_b32_e32 v0, vcc_hi, v3
	v_and_b32_e32 v25, exec_lo, v2
	v_lshlrev_b32_e32 v3, 30, v23
	v_mov_b32_e32 v2, v1
	v_cmp_gt_i64_e32 vcc, 0, v[2:3]
	v_not_b32_e32 v2, v3
	v_ashrrev_i32_e32 v2, 31, v2
	v_and_b32_e32 v0, exec_hi, v0
	v_xor_b32_e32 v3, vcc_hi, v2
	v_xor_b32_e32 v2, vcc_lo, v2
	v_and_b32_e32 v0, v0, v3
	v_and_b32_e32 v25, v25, v2
	v_lshlrev_b32_e32 v3, 29, v23
	v_mov_b32_e32 v2, v1
	v_cmp_gt_i64_e32 vcc, 0, v[2:3]
	v_not_b32_e32 v2, v3
	v_ashrrev_i32_e32 v2, 31, v2
	v_xor_b32_e32 v3, vcc_hi, v2
	v_xor_b32_e32 v2, vcc_lo, v2
	v_and_b32_e32 v0, v0, v3
	v_and_b32_e32 v25, v25, v2
	v_lshlrev_b32_e32 v3, 28, v23
	v_mov_b32_e32 v2, v1
	v_cmp_gt_i64_e32 vcc, 0, v[2:3]
	v_not_b32_e32 v2, v3
	v_ashrrev_i32_e32 v2, 31, v2
	;; [unrolled: 9-line block ×5, first 2 shown]
	v_xor_b32_e32 v3, vcc_hi, v2
	v_xor_b32_e32 v2, vcc_lo, v2
	v_and_b32_e32 v0, v0, v3
	v_lshlrev_b32_e32 v3, 24, v23
	v_and_b32_e32 v25, v25, v2
	v_mov_b32_e32 v2, v1
	v_not_b32_e32 v1, v3
	v_cmp_gt_i64_e32 vcc, 0, v[2:3]
	v_ashrrev_i32_e32 v1, 31, v1
	ds_read_b32 v19, v27 offset:64
	v_xor_b32_e32 v2, vcc_hi, v1
	v_xor_b32_e32 v3, vcc_lo, v1
	v_and_b32_e32 v1, v0, v2
	v_and_b32_e32 v0, v25, v3
	v_mbcnt_lo_u32_b32 v2, v0, 0
	v_mbcnt_hi_u32_b32 v23, v1, v2
	v_cmp_eq_u32_e32 vcc, 0, v23
	v_cmp_ne_u64_e64 s[0:1], 0, v[0:1]
	s_and_b64 s[2:3], s[0:1], vcc
	; wave barrier
	s_and_saveexec_b64 s[0:1], s[2:3]
	s_cbranch_execz .LBB169_95
; %bb.94:
	v_bcnt_u32_b32 v0, v0, 0
	v_bcnt_u32_b32 v0, v1, v0
	s_waitcnt lgkmcnt(0)
	v_add_u32_e32 v0, v19, v0
	ds_write_b32 v27, v0 offset:64
.LBB169_95:
	s_or_b64 exec, exec, s[0:1]
	s_waitcnt vmcnt(3)
	v_xor_b32_e32 v15, 0x80000000, v15
	v_lshrrev_b32_e32 v0, s24, v15
	v_and_b32_e32 v28, s13, v0
	s_movk_i32 s2, 0x44
	v_mul_lo_u32 v0, v28, s2
	v_add_u32_e32 v30, v24, v0
	v_and_b32_e32 v0, 1, v28
	v_mov_b32_e32 v1, 0
	v_lshl_add_u64 v[2:3], v[0:1], 0, -1
	v_cmp_ne_u32_e32 vcc, 0, v0
	; wave barrier
	s_nop 1
	v_xor_b32_e32 v2, vcc_lo, v2
	v_xor_b32_e32 v0, vcc_hi, v3
	v_and_b32_e32 v29, exec_lo, v2
	v_lshlrev_b32_e32 v3, 30, v28
	v_mov_b32_e32 v2, v1
	v_cmp_gt_i64_e32 vcc, 0, v[2:3]
	v_not_b32_e32 v2, v3
	v_ashrrev_i32_e32 v2, 31, v2
	v_and_b32_e32 v0, exec_hi, v0
	v_xor_b32_e32 v3, vcc_hi, v2
	v_xor_b32_e32 v2, vcc_lo, v2
	v_and_b32_e32 v0, v0, v3
	v_and_b32_e32 v29, v29, v2
	v_lshlrev_b32_e32 v3, 29, v28
	v_mov_b32_e32 v2, v1
	v_cmp_gt_i64_e32 vcc, 0, v[2:3]
	v_not_b32_e32 v2, v3
	v_ashrrev_i32_e32 v2, 31, v2
	v_xor_b32_e32 v3, vcc_hi, v2
	v_xor_b32_e32 v2, vcc_lo, v2
	v_and_b32_e32 v0, v0, v3
	v_and_b32_e32 v29, v29, v2
	v_lshlrev_b32_e32 v3, 28, v28
	v_mov_b32_e32 v2, v1
	v_cmp_gt_i64_e32 vcc, 0, v[2:3]
	v_not_b32_e32 v2, v3
	v_ashrrev_i32_e32 v2, 31, v2
	;; [unrolled: 9-line block ×6, first 2 shown]
	v_xor_b32_e32 v3, vcc_hi, v2
	v_xor_b32_e32 v2, vcc_lo, v2
	ds_read_b32 v25, v30 offset:64
	v_and_b32_e32 v2, v29, v2
	v_and_b32_e32 v3, v0, v3
	v_mbcnt_lo_u32_b32 v0, v2, 0
	v_mbcnt_hi_u32_b32 v28, v3, v0
	v_cmp_eq_u32_e32 vcc, 0, v28
	v_cmp_ne_u64_e64 s[0:1], 0, v[2:3]
	s_and_b64 s[4:5], s[0:1], vcc
	; wave barrier
	s_and_saveexec_b64 s[0:1], s[4:5]
	s_cbranch_execz .LBB169_97
; %bb.96:
	v_bcnt_u32_b32 v0, v2, 0
	v_bcnt_u32_b32 v0, v3, v0
	s_waitcnt lgkmcnt(0)
	v_add_u32_e32 v0, v25, v0
	ds_write_b32 v30, v0 offset:64
.LBB169_97:
	s_or_b64 exec, exec, s[0:1]
	s_waitcnt vmcnt(2)
	v_xor_b32_e32 v20, 0x80000000, v20
	v_lshrrev_b32_e32 v0, s24, v20
	v_and_b32_e32 v31, s13, v0
	v_mul_lo_u32 v0, v31, s2
	v_add_u32_e32 v33, v24, v0
	v_and_b32_e32 v0, 1, v31
	v_lshl_add_u64 v[2:3], v[0:1], 0, -1
	v_cmp_ne_u32_e32 vcc, 0, v0
	; wave barrier
	s_nop 1
	v_xor_b32_e32 v2, vcc_lo, v2
	v_xor_b32_e32 v0, vcc_hi, v3
	v_and_b32_e32 v32, exec_lo, v2
	v_lshlrev_b32_e32 v3, 30, v31
	v_mov_b32_e32 v2, v1
	v_cmp_gt_i64_e32 vcc, 0, v[2:3]
	v_not_b32_e32 v2, v3
	v_ashrrev_i32_e32 v2, 31, v2
	v_and_b32_e32 v0, exec_hi, v0
	v_xor_b32_e32 v3, vcc_hi, v2
	v_xor_b32_e32 v2, vcc_lo, v2
	v_and_b32_e32 v0, v0, v3
	v_and_b32_e32 v32, v32, v2
	v_lshlrev_b32_e32 v3, 29, v31
	v_mov_b32_e32 v2, v1
	v_cmp_gt_i64_e32 vcc, 0, v[2:3]
	v_not_b32_e32 v2, v3
	v_ashrrev_i32_e32 v2, 31, v2
	v_xor_b32_e32 v3, vcc_hi, v2
	v_xor_b32_e32 v2, vcc_lo, v2
	v_and_b32_e32 v0, v0, v3
	v_and_b32_e32 v32, v32, v2
	v_lshlrev_b32_e32 v3, 28, v31
	v_mov_b32_e32 v2, v1
	v_cmp_gt_i64_e32 vcc, 0, v[2:3]
	v_not_b32_e32 v2, v3
	v_ashrrev_i32_e32 v2, 31, v2
	;; [unrolled: 9-line block ×5, first 2 shown]
	v_xor_b32_e32 v3, vcc_hi, v2
	v_xor_b32_e32 v2, vcc_lo, v2
	v_and_b32_e32 v0, v0, v3
	v_lshlrev_b32_e32 v3, 24, v31
	v_and_b32_e32 v32, v32, v2
	v_mov_b32_e32 v2, v1
	v_not_b32_e32 v1, v3
	v_cmp_gt_i64_e32 vcc, 0, v[2:3]
	v_ashrrev_i32_e32 v1, 31, v1
	ds_read_b32 v29, v33 offset:64
	v_xor_b32_e32 v2, vcc_hi, v1
	v_xor_b32_e32 v3, vcc_lo, v1
	v_and_b32_e32 v1, v0, v2
	v_and_b32_e32 v0, v32, v3
	v_mbcnt_lo_u32_b32 v2, v0, 0
	v_mbcnt_hi_u32_b32 v31, v1, v2
	v_cmp_eq_u32_e32 vcc, 0, v31
	v_cmp_ne_u64_e64 s[0:1], 0, v[0:1]
	s_and_b64 s[2:3], s[0:1], vcc
	; wave barrier
	s_and_saveexec_b64 s[0:1], s[2:3]
	s_cbranch_execz .LBB169_99
; %bb.98:
	v_bcnt_u32_b32 v0, v0, 0
	v_bcnt_u32_b32 v0, v1, v0
	s_waitcnt lgkmcnt(0)
	v_add_u32_e32 v0, v29, v0
	ds_write_b32 v33, v0 offset:64
.LBB169_99:
	s_or_b64 exec, exec, s[0:1]
	s_waitcnt vmcnt(1)
	v_xor_b32_e32 v26, 0x80000000, v26
	v_lshrrev_b32_e32 v0, s24, v26
	v_and_b32_e32 v34, s13, v0
	s_movk_i32 s2, 0x44
	v_mul_lo_u32 v0, v34, s2
	v_add_u32_e32 v36, v24, v0
	v_and_b32_e32 v0, 1, v34
	v_mov_b32_e32 v1, 0
	v_lshl_add_u64 v[2:3], v[0:1], 0, -1
	v_cmp_ne_u32_e32 vcc, 0, v0
	; wave barrier
	s_nop 1
	v_xor_b32_e32 v2, vcc_lo, v2
	v_xor_b32_e32 v0, vcc_hi, v3
	v_and_b32_e32 v35, exec_lo, v2
	v_lshlrev_b32_e32 v3, 30, v34
	v_mov_b32_e32 v2, v1
	v_cmp_gt_i64_e32 vcc, 0, v[2:3]
	v_not_b32_e32 v2, v3
	v_ashrrev_i32_e32 v2, 31, v2
	v_and_b32_e32 v0, exec_hi, v0
	v_xor_b32_e32 v3, vcc_hi, v2
	v_xor_b32_e32 v2, vcc_lo, v2
	v_and_b32_e32 v0, v0, v3
	v_and_b32_e32 v35, v35, v2
	v_lshlrev_b32_e32 v3, 29, v34
	v_mov_b32_e32 v2, v1
	v_cmp_gt_i64_e32 vcc, 0, v[2:3]
	v_not_b32_e32 v2, v3
	v_ashrrev_i32_e32 v2, 31, v2
	v_xor_b32_e32 v3, vcc_hi, v2
	v_xor_b32_e32 v2, vcc_lo, v2
	v_and_b32_e32 v0, v0, v3
	v_and_b32_e32 v35, v35, v2
	v_lshlrev_b32_e32 v3, 28, v34
	v_mov_b32_e32 v2, v1
	v_cmp_gt_i64_e32 vcc, 0, v[2:3]
	v_not_b32_e32 v2, v3
	v_ashrrev_i32_e32 v2, 31, v2
	;; [unrolled: 9-line block ×6, first 2 shown]
	v_xor_b32_e32 v3, vcc_hi, v2
	v_xor_b32_e32 v2, vcc_lo, v2
	ds_read_b32 v32, v36 offset:64
	v_and_b32_e32 v2, v35, v2
	v_and_b32_e32 v3, v0, v3
	v_mbcnt_lo_u32_b32 v0, v2, 0
	v_mbcnt_hi_u32_b32 v34, v3, v0
	v_cmp_eq_u32_e32 vcc, 0, v34
	v_cmp_ne_u64_e64 s[0:1], 0, v[2:3]
	s_and_b64 s[4:5], s[0:1], vcc
	; wave barrier
	s_and_saveexec_b64 s[0:1], s[4:5]
	s_cbranch_execz .LBB169_101
; %bb.100:
	v_bcnt_u32_b32 v0, v2, 0
	v_bcnt_u32_b32 v0, v3, v0
	s_waitcnt lgkmcnt(0)
	v_add_u32_e32 v0, v32, v0
	ds_write_b32 v36, v0 offset:64
.LBB169_101:
	s_or_b64 exec, exec, s[0:1]
	s_waitcnt vmcnt(0)
	v_xor_b32_e32 v22, 0x80000000, v22
	v_lshrrev_b32_e32 v0, s24, v22
	v_and_b32_e32 v37, s13, v0
	v_mul_lo_u32 v0, v37, s2
	v_add_u32_e32 v38, v24, v0
	v_and_b32_e32 v0, 1, v37
	v_lshl_add_u64 v[2:3], v[0:1], 0, -1
	v_cmp_ne_u32_e32 vcc, 0, v0
	; wave barrier
	s_nop 1
	v_xor_b32_e32 v2, vcc_lo, v2
	v_xor_b32_e32 v0, vcc_hi, v3
	v_and_b32_e32 v24, exec_lo, v2
	v_lshlrev_b32_e32 v3, 30, v37
	v_mov_b32_e32 v2, v1
	v_cmp_gt_i64_e32 vcc, 0, v[2:3]
	v_not_b32_e32 v2, v3
	v_ashrrev_i32_e32 v2, 31, v2
	v_and_b32_e32 v0, exec_hi, v0
	v_xor_b32_e32 v3, vcc_hi, v2
	v_xor_b32_e32 v2, vcc_lo, v2
	v_and_b32_e32 v0, v0, v3
	v_and_b32_e32 v24, v24, v2
	v_lshlrev_b32_e32 v3, 29, v37
	v_mov_b32_e32 v2, v1
	v_cmp_gt_i64_e32 vcc, 0, v[2:3]
	v_not_b32_e32 v2, v3
	v_ashrrev_i32_e32 v2, 31, v2
	v_xor_b32_e32 v3, vcc_hi, v2
	v_xor_b32_e32 v2, vcc_lo, v2
	v_and_b32_e32 v0, v0, v3
	v_and_b32_e32 v24, v24, v2
	v_lshlrev_b32_e32 v3, 28, v37
	v_mov_b32_e32 v2, v1
	v_cmp_gt_i64_e32 vcc, 0, v[2:3]
	v_not_b32_e32 v2, v3
	v_ashrrev_i32_e32 v2, 31, v2
	;; [unrolled: 9-line block ×5, first 2 shown]
	v_xor_b32_e32 v3, vcc_hi, v2
	v_xor_b32_e32 v2, vcc_lo, v2
	v_and_b32_e32 v0, v0, v3
	v_lshlrev_b32_e32 v3, 24, v37
	v_and_b32_e32 v24, v24, v2
	v_mov_b32_e32 v2, v1
	v_not_b32_e32 v1, v3
	v_cmp_gt_i64_e32 vcc, 0, v[2:3]
	v_ashrrev_i32_e32 v1, 31, v1
	ds_read_b32 v35, v38 offset:64
	v_xor_b32_e32 v2, vcc_hi, v1
	v_xor_b32_e32 v3, vcc_lo, v1
	v_and_b32_e32 v1, v0, v2
	v_and_b32_e32 v0, v24, v3
	v_mbcnt_lo_u32_b32 v2, v0, 0
	v_mbcnt_hi_u32_b32 v37, v1, v2
	v_cmp_eq_u32_e32 vcc, 0, v37
	v_cmp_ne_u64_e64 s[0:1], 0, v[0:1]
	s_and_b64 s[2:3], s[0:1], vcc
	; wave barrier
	s_and_saveexec_b64 s[0:1], s[2:3]
	s_cbranch_execz .LBB169_103
; %bb.102:
	v_bcnt_u32_b32 v0, v0, 0
	v_bcnt_u32_b32 v0, v1, v0
	s_waitcnt lgkmcnt(0)
	v_add_u32_e32 v0, v35, v0
	ds_write_b32 v38, v0 offset:64
.LBB169_103:
	s_or_b64 exec, exec, s[0:1]
	; wave barrier
	s_waitcnt lgkmcnt(0)
	s_barrier
	ds_read2_b32 v[2:3], v5 offset0:16 offset1:17
	ds_read2_b32 v[0:1], v5 offset0:18 offset1:19
	ds_read_b32 v24, v5 offset:80
	v_cmp_lt_u32_e64 s[2:3], 31, v4
	s_waitcnt lgkmcnt(1)
	v_add3_u32 v39, v3, v2, v0
	s_waitcnt lgkmcnt(0)
	v_add3_u32 v24, v39, v1, v24
	v_and_b32_e32 v39, 15, v4
	v_cmp_eq_u32_e32 vcc, 0, v39
	v_mov_b32_dpp v40, v24 row_shr:1 row_mask:0xf bank_mask:0xf
	v_cmp_lt_u32_e64 s[0:1], 1, v39
	v_cndmask_b32_e64 v40, v40, 0, vcc
	v_add_u32_e32 v24, v40, v24
	v_cmp_lt_u32_e64 s[4:5], 3, v39
	v_cmp_lt_u32_e64 s[6:7], 7, v39
	v_mov_b32_dpp v40, v24 row_shr:2 row_mask:0xf bank_mask:0xf
	v_cndmask_b32_e64 v40, 0, v40, s[0:1]
	v_add_u32_e32 v24, v24, v40
	s_nop 1
	v_mov_b32_dpp v40, v24 row_shr:4 row_mask:0xf bank_mask:0xf
	v_cndmask_b32_e64 v40, 0, v40, s[4:5]
	v_add_u32_e32 v24, v24, v40
	s_nop 1
	v_mov_b32_dpp v40, v24 row_shr:8 row_mask:0xf bank_mask:0xf
	v_cndmask_b32_e64 v39, 0, v40, s[6:7]
	v_add_u32_e32 v24, v24, v39
	v_bfe_i32 v40, v4, 4, 1
	s_nop 0
	v_mov_b32_dpp v39, v24 row_bcast:15 row_mask:0xf bank_mask:0xf
	v_and_b32_e32 v39, v40, v39
	v_add_u32_e32 v24, v24, v39
	v_lshrrev_b32_e32 v40, 6, v10
	s_nop 0
	v_mov_b32_dpp v39, v24 row_bcast:31 row_mask:0xf bank_mask:0xf
	v_cndmask_b32_e64 v39, 0, v39, s[2:3]
	v_add_u32_e32 v39, v24, v39
	v_and_b32_e32 v24, 63, v10
	v_cmp_eq_u32_e64 s[2:3], 63, v24
	s_and_saveexec_b64 s[8:9], s[2:3]
; %bb.104:
	v_lshlrev_b32_e32 v24, 2, v40
	ds_write_b32 v24, v39
; %bb.105:
	s_or_b64 exec, exec, s[8:9]
	v_cmp_gt_u32_e64 s[2:3], 16, v10
	v_lshlrev_b32_e32 v24, 2, v10
	s_waitcnt lgkmcnt(0)
	s_barrier
	s_and_saveexec_b64 s[8:9], s[2:3]
	s_cbranch_execz .LBB169_107
; %bb.106:
	ds_read_b32 v41, v24
	s_waitcnt lgkmcnt(0)
	s_nop 0
	v_mov_b32_dpp v42, v41 row_shr:1 row_mask:0xf bank_mask:0xf
	v_cndmask_b32_e64 v42, v42, 0, vcc
	v_add_u32_e32 v41, v42, v41
	s_nop 1
	v_mov_b32_dpp v42, v41 row_shr:2 row_mask:0xf bank_mask:0xf
	v_cndmask_b32_e64 v42, 0, v42, s[0:1]
	v_add_u32_e32 v41, v41, v42
	s_nop 1
	v_mov_b32_dpp v42, v41 row_shr:4 row_mask:0xf bank_mask:0xf
	v_cndmask_b32_e64 v42, 0, v42, s[4:5]
	;; [unrolled: 4-line block ×3, first 2 shown]
	v_add_u32_e32 v41, v41, v42
	ds_write_b32 v24, v41
.LBB169_107:
	s_or_b64 exec, exec, s[8:9]
	v_cmp_lt_u32_e32 vcc, 63, v10
	v_mov_b32_e32 v41, 0
	s_waitcnt lgkmcnt(0)
	s_barrier
	s_and_saveexec_b64 s[0:1], vcc
; %bb.108:
	v_lshl_add_u32 v40, v40, 2, -4
	ds_read_b32 v41, v40
; %bb.109:
	s_or_b64 exec, exec, s[0:1]
	v_subrev_co_u32_e32 v40, vcc, 1, v4
	v_and_b32_e32 v42, 64, v4
	v_cmp_lt_i32_e64 s[0:1], v40, v42
	s_waitcnt lgkmcnt(0)
	v_add_u32_e32 v39, v41, v39
	s_movk_i32 s2, 0x100
	v_cndmask_b32_e64 v4, v40, v4, s[0:1]
	v_lshlrev_b32_e32 v4, 2, v4
	ds_bpermute_b32 v4, v4, v39
	s_movk_i32 s0, 0xff
	v_cmp_lt_u32_e64 s[0:1], s0, v10
	s_waitcnt lgkmcnt(0)
	v_cndmask_b32_e32 v4, v4, v41, vcc
	v_cndmask_b32_e64 v4, v4, 0, s[10:11]
	v_add_u32_e32 v2, v4, v2
	v_add_u32_e32 v3, v2, v3
	;; [unrolled: 1-line block ×4, first 2 shown]
	ds_write2_b32 v5, v4, v2 offset0:16 offset1:17
	ds_write2_b32 v5, v3, v0 offset0:18 offset1:19
	ds_write_b32 v5, v1 offset:80
	s_waitcnt lgkmcnt(0)
	s_barrier
	ds_read_b32 v42, v16 offset:64
	ds_read_b32 v39, v17 offset:64
	;; [unrolled: 1-line block ×8, first 2 shown]
	v_cmp_gt_u32_e32 vcc, s2, v10
                                        ; implicit-def: $vgpr16
                                        ; implicit-def: $vgpr17
	s_and_saveexec_b64 s[4:5], vcc
	s_cbranch_execz .LBB169_113
; %bb.110:
	v_mul_u32_u24_e32 v0, 0x44, v10
	ds_read_b32 v16, v0 offset:64
	v_add_u32_e32 v1, 1, v10
	v_cmp_ne_u32_e64 s[2:3], s2, v1
	v_mov_b32_e32 v0, 0x2000
	s_and_saveexec_b64 s[6:7], s[2:3]
; %bb.111:
	v_mul_u32_u24_e32 v0, 0x44, v1
	ds_read_b32 v0, v0 offset:64
; %bb.112:
	s_or_b64 exec, exec, s[6:7]
	s_waitcnt lgkmcnt(0)
	v_sub_u32_e32 v17, v0, v16
.LBB169_113:
	s_or_b64 exec, exec, s[4:5]
	v_mov_b32_e32 v1, 0
	s_waitcnt lgkmcnt(0)
	s_barrier
	s_and_saveexec_b64 s[2:3], vcc
	s_cbranch_execz .LBB169_123
; %bb.114:
	v_lshl_add_u32 v0, s27, 8, v10
	v_lshl_add_u64 v[2:3], v[0:1], 2, s[18:19]
	v_or_b32_e32 v0, 2.0, v17
	s_mov_b64 s[4:5], 0
	s_brev_b32 s10, -4
	s_mov_b32 s11, s27
	v_mov_b32_e32 v36, 0
	global_store_dword v[2:3], v0, off sc1
                                        ; implicit-def: $sgpr6_sgpr7
	s_branch .LBB169_117
.LBB169_115:                            ;   in Loop: Header=BB169_117 Depth=1
	s_or_b64 exec, exec, s[8:9]
.LBB169_116:                            ;   in Loop: Header=BB169_117 Depth=1
	s_or_b64 exec, exec, s[6:7]
	v_and_b32_e32 v4, 0x3fffffff, v0
	v_add_u32_e32 v36, v4, v36
	v_cmp_gt_i32_e64 s[6:7], -2.0, v0
	s_and_b64 s[8:9], exec, s[6:7]
	s_or_b64 s[4:5], s[8:9], s[4:5]
	s_andn2_b64 exec, exec, s[4:5]
	s_cbranch_execz .LBB169_122
.LBB169_117:                            ; =>This Loop Header: Depth=1
                                        ;     Child Loop BB169_120 Depth 2
	s_or_b64 s[6:7], s[6:7], exec
	s_cmp_eq_u32 s11, 0
	s_cbranch_scc1 .LBB169_121
; %bb.118:                              ;   in Loop: Header=BB169_117 Depth=1
	s_add_i32 s11, s11, -1
	v_lshl_or_b32 v0, s11, 8, v10
	v_lshl_add_u64 v[4:5], v[0:1], 2, s[18:19]
	global_load_dword v0, v[4:5], off sc1
	s_waitcnt vmcnt(0)
	v_cmp_gt_u32_e32 vcc, 2.0, v0
	s_and_saveexec_b64 s[6:7], vcc
	s_cbranch_execz .LBB169_116
; %bb.119:                              ;   in Loop: Header=BB169_117 Depth=1
	s_mov_b64 s[8:9], 0
.LBB169_120:                            ;   Parent Loop BB169_117 Depth=1
                                        ; =>  This Inner Loop Header: Depth=2
	global_load_dword v0, v[4:5], off sc1
	s_waitcnt vmcnt(0)
	v_cmp_lt_u32_e32 vcc, s10, v0
	s_or_b64 s[8:9], vcc, s[8:9]
	s_andn2_b64 exec, exec, s[8:9]
	s_cbranch_execnz .LBB169_120
	s_branch .LBB169_115
.LBB169_121:                            ;   in Loop: Header=BB169_117 Depth=1
                                        ; implicit-def: $sgpr11
	s_and_b64 s[8:9], exec, s[6:7]
	s_or_b64 s[4:5], s[8:9], s[4:5]
	s_andn2_b64 exec, exec, s[4:5]
	s_cbranch_execnz .LBB169_117
.LBB169_122:
	s_or_b64 exec, exec, s[4:5]
	v_add_u32_e32 v0, v36, v17
	v_or_b32_e32 v0, 0x80000000, v0
	global_store_dword v[2:3], v0, off sc1
	global_load_dword v0, v24, s[20:21]
	v_sub_u32_e32 v1, v36, v16
	s_waitcnt vmcnt(0)
	v_add_u32_e32 v0, v1, v0
	ds_write_b32 v24, v0
.LBB169_123:
	s_or_b64 exec, exec, s[2:3]
	v_add_u32_e32 v0, v37, v35
	v_add_u32_e32 v1, v34, v32
	;; [unrolled: 1-line block ×8, first 2 shown]
	v_add_lshl_u32 v3, v0, v33, 2
	v_add3_u32 v4, v37, v33, v35
	v_add_lshl_u32 v5, v1, v21, 2
	v_add3_u32 v9, v34, v21, v32
	;; [unrolled: 2-line block ×7, first 2 shown]
	v_lshlrev_b32_e32 v13, 2, v2
	s_mov_b64 s[2:3], -1
	s_mov_b32 s6, 0
	s_movk_i32 s7, 0x1000
	v_mov_b32_e32 v1, 0
	s_movk_i32 s8, 0x400
	s_movk_i32 s9, 0x800
	;; [unrolled: 1-line block ×3, first 2 shown]
	s_mov_b32 s11, 0
	s_branch .LBB169_125
.LBB169_124:                            ;   in Loop: Header=BB169_125 Depth=1
	s_or_b64 exec, exec, s[4:5]
	s_waitcnt lgkmcnt(0)
	s_barrier
	ds_read2st64_b32 v[30:31], v24 offset0:4 offset1:20
	s_xor_b64 s[4:5], s[2:3], -1
	s_addk_i32 s11, 0xc000
	s_addk_i32 s6, 0xf000
	s_mov_b64 s[2:3], 0
	s_waitcnt lgkmcnt(0)
	v_lshrrev_b32_e32 v0, s24, v30
	v_and_b32_e32 v0, s13, v0
	v_lshlrev_b32_e32 v0, 2, v0
	ds_read2st64_b32 v[32:33], v24 offset0:36 offset1:52
	ds_read_b32 v0, v0
	v_lshrrev_b32_e32 v34, s24, v31
	v_and_b32_e32 v34, s13, v34
	v_lshlrev_b32_e32 v34, 2, v34
	s_waitcnt lgkmcnt(1)
	v_lshrrev_b32_e32 v36, s24, v33
	v_lshrrev_b32_e32 v35, s24, v32
	v_and_b32_e32 v36, s13, v36
	v_and_b32_e32 v35, s13, v35
	v_lshlrev_b32_e32 v36, 2, v36
	v_lshlrev_b32_e32 v35, 2, v35
	ds_read_b32 v37, v34
	ds_read_b32 v38, v35
	;; [unrolled: 1-line block ×3, first 2 shown]
	s_waitcnt lgkmcnt(3)
	v_add_u32_e32 v0, v10, v0
	v_xor_b32_e32 v30, 0x80000000, v30
	v_lshl_add_u64 v[34:35], v[0:1], 2, s[30:31]
	s_waitcnt lgkmcnt(2)
	v_add3_u32 v0, v10, v37, s8
	global_store_dword v[34:35], v30, off
	v_xor_b32_e32 v34, 0x80000000, v31
	v_lshl_add_u64 v[30:31], v[0:1], 2, s[30:31]
	s_waitcnt lgkmcnt(1)
	v_add3_u32 v0, v10, v38, s9
	global_store_dword v[30:31], v34, off
	;; [unrolled: 5-line block ×3, first 2 shown]
	v_xor_b32_e32 v32, 0x80000000, v33
	v_lshl_add_u64 v[30:31], v[0:1], 2, s[30:31]
	v_add_u32_e32 v10, 0x1000, v10
	s_and_b64 vcc, exec, s[4:5]
	global_store_dword v[30:31], v32, off
	s_barrier
	s_cbranch_vccnz .LBB169_141
.LBB169_125:                            ; =>This Inner Loop Header: Depth=1
	v_add_u32_e32 v0, s6, v2
	v_cmp_gt_u32_e32 vcc, s7, v0
	s_and_saveexec_b64 s[4:5], vcc
; %bb.126:                              ;   in Loop: Header=BB169_125 Depth=1
	v_add_u32_e32 v0, s11, v13
	ds_write_b32 v0, v6 offset:1024
; %bb.127:                              ;   in Loop: Header=BB169_125 Depth=1
	s_or_b64 exec, exec, s[4:5]
	v_add_u32_e32 v0, s6, v11
	v_cmp_gt_u32_e32 vcc, s7, v0
	s_and_saveexec_b64 s[4:5], vcc
; %bb.128:                              ;   in Loop: Header=BB169_125 Depth=1
	v_add_u32_e32 v0, s11, v18
	ds_write_b32 v0, v7 offset:1024
; %bb.129:                              ;   in Loop: Header=BB169_125 Depth=1
	s_or_b64 exec, exec, s[4:5]
	;; [unrolled: 8-line block ×7, first 2 shown]
	v_add_u32_e32 v0, s6, v4
	v_cmp_gt_u32_e32 vcc, s7, v0
	s_and_saveexec_b64 s[4:5], vcc
	s_cbranch_execz .LBB169_124
; %bb.140:                              ;   in Loop: Header=BB169_125 Depth=1
	v_add_u32_e32 v0, s11, v3
	ds_write_b32 v0, v22 offset:1024
	s_branch .LBB169_124
.LBB169_141:
	s_add_i32 s12, s12, -1
	s_cmp_eq_u32 s27, s12
	s_cselect_b64 s[2:3], -1, 0
	s_xor_b64 s[0:1], s[0:1], -1
	s_and_b64 s[0:1], s[0:1], s[2:3]
	s_and_saveexec_b64 s[2:3], s[0:1]
	s_cbranch_execz .LBB169_143
; %bb.142:
	ds_read_b32 v0, v24
	s_waitcnt lgkmcnt(0)
	v_add3_u32 v0, v16, v17, v0
	global_store_dword v24, v0, s[22:23]
.LBB169_143:
	s_endpgm
	.section	.rodata,"a",@progbits
	.p2align	6, 0x0
	.amdhsa_kernel _ZN7rocprim17ROCPRIM_400000_NS6detail17trampoline_kernelINS0_14default_configENS1_35radix_sort_onesweep_config_selectorIiNS0_10empty_typeEEEZZNS1_29radix_sort_onesweep_iterationIS3_Lb0EN6thrust23THRUST_200600_302600_NS6detail15normal_iteratorINS9_10device_ptrIiEEEESE_PS5_SF_jNS0_19identity_decomposerENS1_16block_id_wrapperIjLb1EEEEE10hipError_tT1_PNSt15iterator_traitsISK_E10value_typeET2_T3_PNSL_ISQ_E10value_typeET4_T5_PSV_SW_PNS1_23onesweep_lookback_stateEbbT6_jjT7_P12ihipStream_tbENKUlT_T0_SK_SP_E_clISE_PiSF_SF_EEDaS13_S14_SK_SP_EUlS13_E_NS1_11comp_targetILNS1_3genE6ELNS1_11target_archE950ELNS1_3gpuE13ELNS1_3repE0EEENS1_47radix_sort_onesweep_sort_config_static_selectorELNS0_4arch9wavefront6targetE1EEEvSK_
		.amdhsa_group_segment_fixed_size 20552
		.amdhsa_private_segment_fixed_size 0
		.amdhsa_kernarg_size 344
		.amdhsa_user_sgpr_count 2
		.amdhsa_user_sgpr_dispatch_ptr 0
		.amdhsa_user_sgpr_queue_ptr 0
		.amdhsa_user_sgpr_kernarg_segment_ptr 1
		.amdhsa_user_sgpr_dispatch_id 0
		.amdhsa_user_sgpr_kernarg_preload_length 0
		.amdhsa_user_sgpr_kernarg_preload_offset 0
		.amdhsa_user_sgpr_private_segment_size 0
		.amdhsa_uses_dynamic_stack 0
		.amdhsa_enable_private_segment 0
		.amdhsa_system_sgpr_workgroup_id_x 1
		.amdhsa_system_sgpr_workgroup_id_y 0
		.amdhsa_system_sgpr_workgroup_id_z 0
		.amdhsa_system_sgpr_workgroup_info 0
		.amdhsa_system_vgpr_workitem_id 2
		.amdhsa_next_free_vgpr 46
		.amdhsa_next_free_sgpr 35
		.amdhsa_accum_offset 48
		.amdhsa_reserve_vcc 1
		.amdhsa_float_round_mode_32 0
		.amdhsa_float_round_mode_16_64 0
		.amdhsa_float_denorm_mode_32 3
		.amdhsa_float_denorm_mode_16_64 3
		.amdhsa_dx10_clamp 1
		.amdhsa_ieee_mode 1
		.amdhsa_fp16_overflow 0
		.amdhsa_tg_split 0
		.amdhsa_exception_fp_ieee_invalid_op 0
		.amdhsa_exception_fp_denorm_src 0
		.amdhsa_exception_fp_ieee_div_zero 0
		.amdhsa_exception_fp_ieee_overflow 0
		.amdhsa_exception_fp_ieee_underflow 0
		.amdhsa_exception_fp_ieee_inexact 0
		.amdhsa_exception_int_div_zero 0
	.end_amdhsa_kernel
	.section	.text._ZN7rocprim17ROCPRIM_400000_NS6detail17trampoline_kernelINS0_14default_configENS1_35radix_sort_onesweep_config_selectorIiNS0_10empty_typeEEEZZNS1_29radix_sort_onesweep_iterationIS3_Lb0EN6thrust23THRUST_200600_302600_NS6detail15normal_iteratorINS9_10device_ptrIiEEEESE_PS5_SF_jNS0_19identity_decomposerENS1_16block_id_wrapperIjLb1EEEEE10hipError_tT1_PNSt15iterator_traitsISK_E10value_typeET2_T3_PNSL_ISQ_E10value_typeET4_T5_PSV_SW_PNS1_23onesweep_lookback_stateEbbT6_jjT7_P12ihipStream_tbENKUlT_T0_SK_SP_E_clISE_PiSF_SF_EEDaS13_S14_SK_SP_EUlS13_E_NS1_11comp_targetILNS1_3genE6ELNS1_11target_archE950ELNS1_3gpuE13ELNS1_3repE0EEENS1_47radix_sort_onesweep_sort_config_static_selectorELNS0_4arch9wavefront6targetE1EEEvSK_,"axG",@progbits,_ZN7rocprim17ROCPRIM_400000_NS6detail17trampoline_kernelINS0_14default_configENS1_35radix_sort_onesweep_config_selectorIiNS0_10empty_typeEEEZZNS1_29radix_sort_onesweep_iterationIS3_Lb0EN6thrust23THRUST_200600_302600_NS6detail15normal_iteratorINS9_10device_ptrIiEEEESE_PS5_SF_jNS0_19identity_decomposerENS1_16block_id_wrapperIjLb1EEEEE10hipError_tT1_PNSt15iterator_traitsISK_E10value_typeET2_T3_PNSL_ISQ_E10value_typeET4_T5_PSV_SW_PNS1_23onesweep_lookback_stateEbbT6_jjT7_P12ihipStream_tbENKUlT_T0_SK_SP_E_clISE_PiSF_SF_EEDaS13_S14_SK_SP_EUlS13_E_NS1_11comp_targetILNS1_3genE6ELNS1_11target_archE950ELNS1_3gpuE13ELNS1_3repE0EEENS1_47radix_sort_onesweep_sort_config_static_selectorELNS0_4arch9wavefront6targetE1EEEvSK_,comdat
.Lfunc_end169:
	.size	_ZN7rocprim17ROCPRIM_400000_NS6detail17trampoline_kernelINS0_14default_configENS1_35radix_sort_onesweep_config_selectorIiNS0_10empty_typeEEEZZNS1_29radix_sort_onesweep_iterationIS3_Lb0EN6thrust23THRUST_200600_302600_NS6detail15normal_iteratorINS9_10device_ptrIiEEEESE_PS5_SF_jNS0_19identity_decomposerENS1_16block_id_wrapperIjLb1EEEEE10hipError_tT1_PNSt15iterator_traitsISK_E10value_typeET2_T3_PNSL_ISQ_E10value_typeET4_T5_PSV_SW_PNS1_23onesweep_lookback_stateEbbT6_jjT7_P12ihipStream_tbENKUlT_T0_SK_SP_E_clISE_PiSF_SF_EEDaS13_S14_SK_SP_EUlS13_E_NS1_11comp_targetILNS1_3genE6ELNS1_11target_archE950ELNS1_3gpuE13ELNS1_3repE0EEENS1_47radix_sort_onesweep_sort_config_static_selectorELNS0_4arch9wavefront6targetE1EEEvSK_, .Lfunc_end169-_ZN7rocprim17ROCPRIM_400000_NS6detail17trampoline_kernelINS0_14default_configENS1_35radix_sort_onesweep_config_selectorIiNS0_10empty_typeEEEZZNS1_29radix_sort_onesweep_iterationIS3_Lb0EN6thrust23THRUST_200600_302600_NS6detail15normal_iteratorINS9_10device_ptrIiEEEESE_PS5_SF_jNS0_19identity_decomposerENS1_16block_id_wrapperIjLb1EEEEE10hipError_tT1_PNSt15iterator_traitsISK_E10value_typeET2_T3_PNSL_ISQ_E10value_typeET4_T5_PSV_SW_PNS1_23onesweep_lookback_stateEbbT6_jjT7_P12ihipStream_tbENKUlT_T0_SK_SP_E_clISE_PiSF_SF_EEDaS13_S14_SK_SP_EUlS13_E_NS1_11comp_targetILNS1_3genE6ELNS1_11target_archE950ELNS1_3gpuE13ELNS1_3repE0EEENS1_47radix_sort_onesweep_sort_config_static_selectorELNS0_4arch9wavefront6targetE1EEEvSK_
                                        ; -- End function
	.set _ZN7rocprim17ROCPRIM_400000_NS6detail17trampoline_kernelINS0_14default_configENS1_35radix_sort_onesweep_config_selectorIiNS0_10empty_typeEEEZZNS1_29radix_sort_onesweep_iterationIS3_Lb0EN6thrust23THRUST_200600_302600_NS6detail15normal_iteratorINS9_10device_ptrIiEEEESE_PS5_SF_jNS0_19identity_decomposerENS1_16block_id_wrapperIjLb1EEEEE10hipError_tT1_PNSt15iterator_traitsISK_E10value_typeET2_T3_PNSL_ISQ_E10value_typeET4_T5_PSV_SW_PNS1_23onesweep_lookback_stateEbbT6_jjT7_P12ihipStream_tbENKUlT_T0_SK_SP_E_clISE_PiSF_SF_EEDaS13_S14_SK_SP_EUlS13_E_NS1_11comp_targetILNS1_3genE6ELNS1_11target_archE950ELNS1_3gpuE13ELNS1_3repE0EEENS1_47radix_sort_onesweep_sort_config_static_selectorELNS0_4arch9wavefront6targetE1EEEvSK_.num_vgpr, 46
	.set _ZN7rocprim17ROCPRIM_400000_NS6detail17trampoline_kernelINS0_14default_configENS1_35radix_sort_onesweep_config_selectorIiNS0_10empty_typeEEEZZNS1_29radix_sort_onesweep_iterationIS3_Lb0EN6thrust23THRUST_200600_302600_NS6detail15normal_iteratorINS9_10device_ptrIiEEEESE_PS5_SF_jNS0_19identity_decomposerENS1_16block_id_wrapperIjLb1EEEEE10hipError_tT1_PNSt15iterator_traitsISK_E10value_typeET2_T3_PNSL_ISQ_E10value_typeET4_T5_PSV_SW_PNS1_23onesweep_lookback_stateEbbT6_jjT7_P12ihipStream_tbENKUlT_T0_SK_SP_E_clISE_PiSF_SF_EEDaS13_S14_SK_SP_EUlS13_E_NS1_11comp_targetILNS1_3genE6ELNS1_11target_archE950ELNS1_3gpuE13ELNS1_3repE0EEENS1_47radix_sort_onesweep_sort_config_static_selectorELNS0_4arch9wavefront6targetE1EEEvSK_.num_agpr, 0
	.set _ZN7rocprim17ROCPRIM_400000_NS6detail17trampoline_kernelINS0_14default_configENS1_35radix_sort_onesweep_config_selectorIiNS0_10empty_typeEEEZZNS1_29radix_sort_onesweep_iterationIS3_Lb0EN6thrust23THRUST_200600_302600_NS6detail15normal_iteratorINS9_10device_ptrIiEEEESE_PS5_SF_jNS0_19identity_decomposerENS1_16block_id_wrapperIjLb1EEEEE10hipError_tT1_PNSt15iterator_traitsISK_E10value_typeET2_T3_PNSL_ISQ_E10value_typeET4_T5_PSV_SW_PNS1_23onesweep_lookback_stateEbbT6_jjT7_P12ihipStream_tbENKUlT_T0_SK_SP_E_clISE_PiSF_SF_EEDaS13_S14_SK_SP_EUlS13_E_NS1_11comp_targetILNS1_3genE6ELNS1_11target_archE950ELNS1_3gpuE13ELNS1_3repE0EEENS1_47radix_sort_onesweep_sort_config_static_selectorELNS0_4arch9wavefront6targetE1EEEvSK_.numbered_sgpr, 35
	.set _ZN7rocprim17ROCPRIM_400000_NS6detail17trampoline_kernelINS0_14default_configENS1_35radix_sort_onesweep_config_selectorIiNS0_10empty_typeEEEZZNS1_29radix_sort_onesweep_iterationIS3_Lb0EN6thrust23THRUST_200600_302600_NS6detail15normal_iteratorINS9_10device_ptrIiEEEESE_PS5_SF_jNS0_19identity_decomposerENS1_16block_id_wrapperIjLb1EEEEE10hipError_tT1_PNSt15iterator_traitsISK_E10value_typeET2_T3_PNSL_ISQ_E10value_typeET4_T5_PSV_SW_PNS1_23onesweep_lookback_stateEbbT6_jjT7_P12ihipStream_tbENKUlT_T0_SK_SP_E_clISE_PiSF_SF_EEDaS13_S14_SK_SP_EUlS13_E_NS1_11comp_targetILNS1_3genE6ELNS1_11target_archE950ELNS1_3gpuE13ELNS1_3repE0EEENS1_47radix_sort_onesweep_sort_config_static_selectorELNS0_4arch9wavefront6targetE1EEEvSK_.num_named_barrier, 0
	.set _ZN7rocprim17ROCPRIM_400000_NS6detail17trampoline_kernelINS0_14default_configENS1_35radix_sort_onesweep_config_selectorIiNS0_10empty_typeEEEZZNS1_29radix_sort_onesweep_iterationIS3_Lb0EN6thrust23THRUST_200600_302600_NS6detail15normal_iteratorINS9_10device_ptrIiEEEESE_PS5_SF_jNS0_19identity_decomposerENS1_16block_id_wrapperIjLb1EEEEE10hipError_tT1_PNSt15iterator_traitsISK_E10value_typeET2_T3_PNSL_ISQ_E10value_typeET4_T5_PSV_SW_PNS1_23onesweep_lookback_stateEbbT6_jjT7_P12ihipStream_tbENKUlT_T0_SK_SP_E_clISE_PiSF_SF_EEDaS13_S14_SK_SP_EUlS13_E_NS1_11comp_targetILNS1_3genE6ELNS1_11target_archE950ELNS1_3gpuE13ELNS1_3repE0EEENS1_47radix_sort_onesweep_sort_config_static_selectorELNS0_4arch9wavefront6targetE1EEEvSK_.private_seg_size, 0
	.set _ZN7rocprim17ROCPRIM_400000_NS6detail17trampoline_kernelINS0_14default_configENS1_35radix_sort_onesweep_config_selectorIiNS0_10empty_typeEEEZZNS1_29radix_sort_onesweep_iterationIS3_Lb0EN6thrust23THRUST_200600_302600_NS6detail15normal_iteratorINS9_10device_ptrIiEEEESE_PS5_SF_jNS0_19identity_decomposerENS1_16block_id_wrapperIjLb1EEEEE10hipError_tT1_PNSt15iterator_traitsISK_E10value_typeET2_T3_PNSL_ISQ_E10value_typeET4_T5_PSV_SW_PNS1_23onesweep_lookback_stateEbbT6_jjT7_P12ihipStream_tbENKUlT_T0_SK_SP_E_clISE_PiSF_SF_EEDaS13_S14_SK_SP_EUlS13_E_NS1_11comp_targetILNS1_3genE6ELNS1_11target_archE950ELNS1_3gpuE13ELNS1_3repE0EEENS1_47radix_sort_onesweep_sort_config_static_selectorELNS0_4arch9wavefront6targetE1EEEvSK_.uses_vcc, 1
	.set _ZN7rocprim17ROCPRIM_400000_NS6detail17trampoline_kernelINS0_14default_configENS1_35radix_sort_onesweep_config_selectorIiNS0_10empty_typeEEEZZNS1_29radix_sort_onesweep_iterationIS3_Lb0EN6thrust23THRUST_200600_302600_NS6detail15normal_iteratorINS9_10device_ptrIiEEEESE_PS5_SF_jNS0_19identity_decomposerENS1_16block_id_wrapperIjLb1EEEEE10hipError_tT1_PNSt15iterator_traitsISK_E10value_typeET2_T3_PNSL_ISQ_E10value_typeET4_T5_PSV_SW_PNS1_23onesweep_lookback_stateEbbT6_jjT7_P12ihipStream_tbENKUlT_T0_SK_SP_E_clISE_PiSF_SF_EEDaS13_S14_SK_SP_EUlS13_E_NS1_11comp_targetILNS1_3genE6ELNS1_11target_archE950ELNS1_3gpuE13ELNS1_3repE0EEENS1_47radix_sort_onesweep_sort_config_static_selectorELNS0_4arch9wavefront6targetE1EEEvSK_.uses_flat_scratch, 0
	.set _ZN7rocprim17ROCPRIM_400000_NS6detail17trampoline_kernelINS0_14default_configENS1_35radix_sort_onesweep_config_selectorIiNS0_10empty_typeEEEZZNS1_29radix_sort_onesweep_iterationIS3_Lb0EN6thrust23THRUST_200600_302600_NS6detail15normal_iteratorINS9_10device_ptrIiEEEESE_PS5_SF_jNS0_19identity_decomposerENS1_16block_id_wrapperIjLb1EEEEE10hipError_tT1_PNSt15iterator_traitsISK_E10value_typeET2_T3_PNSL_ISQ_E10value_typeET4_T5_PSV_SW_PNS1_23onesweep_lookback_stateEbbT6_jjT7_P12ihipStream_tbENKUlT_T0_SK_SP_E_clISE_PiSF_SF_EEDaS13_S14_SK_SP_EUlS13_E_NS1_11comp_targetILNS1_3genE6ELNS1_11target_archE950ELNS1_3gpuE13ELNS1_3repE0EEENS1_47radix_sort_onesweep_sort_config_static_selectorELNS0_4arch9wavefront6targetE1EEEvSK_.has_dyn_sized_stack, 0
	.set _ZN7rocprim17ROCPRIM_400000_NS6detail17trampoline_kernelINS0_14default_configENS1_35radix_sort_onesweep_config_selectorIiNS0_10empty_typeEEEZZNS1_29radix_sort_onesweep_iterationIS3_Lb0EN6thrust23THRUST_200600_302600_NS6detail15normal_iteratorINS9_10device_ptrIiEEEESE_PS5_SF_jNS0_19identity_decomposerENS1_16block_id_wrapperIjLb1EEEEE10hipError_tT1_PNSt15iterator_traitsISK_E10value_typeET2_T3_PNSL_ISQ_E10value_typeET4_T5_PSV_SW_PNS1_23onesweep_lookback_stateEbbT6_jjT7_P12ihipStream_tbENKUlT_T0_SK_SP_E_clISE_PiSF_SF_EEDaS13_S14_SK_SP_EUlS13_E_NS1_11comp_targetILNS1_3genE6ELNS1_11target_archE950ELNS1_3gpuE13ELNS1_3repE0EEENS1_47radix_sort_onesweep_sort_config_static_selectorELNS0_4arch9wavefront6targetE1EEEvSK_.has_recursion, 0
	.set _ZN7rocprim17ROCPRIM_400000_NS6detail17trampoline_kernelINS0_14default_configENS1_35radix_sort_onesweep_config_selectorIiNS0_10empty_typeEEEZZNS1_29radix_sort_onesweep_iterationIS3_Lb0EN6thrust23THRUST_200600_302600_NS6detail15normal_iteratorINS9_10device_ptrIiEEEESE_PS5_SF_jNS0_19identity_decomposerENS1_16block_id_wrapperIjLb1EEEEE10hipError_tT1_PNSt15iterator_traitsISK_E10value_typeET2_T3_PNSL_ISQ_E10value_typeET4_T5_PSV_SW_PNS1_23onesweep_lookback_stateEbbT6_jjT7_P12ihipStream_tbENKUlT_T0_SK_SP_E_clISE_PiSF_SF_EEDaS13_S14_SK_SP_EUlS13_E_NS1_11comp_targetILNS1_3genE6ELNS1_11target_archE950ELNS1_3gpuE13ELNS1_3repE0EEENS1_47radix_sort_onesweep_sort_config_static_selectorELNS0_4arch9wavefront6targetE1EEEvSK_.has_indirect_call, 0
	.section	.AMDGPU.csdata,"",@progbits
; Kernel info:
; codeLenInByte = 11324
; TotalNumSgprs: 41
; NumVgprs: 46
; NumAgprs: 0
; TotalNumVgprs: 46
; ScratchSize: 0
; MemoryBound: 0
; FloatMode: 240
; IeeeMode: 1
; LDSByteSize: 20552 bytes/workgroup (compile time only)
; SGPRBlocks: 5
; VGPRBlocks: 5
; NumSGPRsForWavesPerEU: 41
; NumVGPRsForWavesPerEU: 46
; AccumOffset: 48
; Occupancy: 8
; WaveLimiterHint : 1
; COMPUTE_PGM_RSRC2:SCRATCH_EN: 0
; COMPUTE_PGM_RSRC2:USER_SGPR: 2
; COMPUTE_PGM_RSRC2:TRAP_HANDLER: 0
; COMPUTE_PGM_RSRC2:TGID_X_EN: 1
; COMPUTE_PGM_RSRC2:TGID_Y_EN: 0
; COMPUTE_PGM_RSRC2:TGID_Z_EN: 0
; COMPUTE_PGM_RSRC2:TIDIG_COMP_CNT: 2
; COMPUTE_PGM_RSRC3_GFX90A:ACCUM_OFFSET: 11
; COMPUTE_PGM_RSRC3_GFX90A:TG_SPLIT: 0
	.section	.text._ZN7rocprim17ROCPRIM_400000_NS6detail17trampoline_kernelINS0_14default_configENS1_35radix_sort_onesweep_config_selectorIiNS0_10empty_typeEEEZZNS1_29radix_sort_onesweep_iterationIS3_Lb0EN6thrust23THRUST_200600_302600_NS6detail15normal_iteratorINS9_10device_ptrIiEEEESE_PS5_SF_jNS0_19identity_decomposerENS1_16block_id_wrapperIjLb1EEEEE10hipError_tT1_PNSt15iterator_traitsISK_E10value_typeET2_T3_PNSL_ISQ_E10value_typeET4_T5_PSV_SW_PNS1_23onesweep_lookback_stateEbbT6_jjT7_P12ihipStream_tbENKUlT_T0_SK_SP_E_clISE_PiSF_SF_EEDaS13_S14_SK_SP_EUlS13_E_NS1_11comp_targetILNS1_3genE5ELNS1_11target_archE942ELNS1_3gpuE9ELNS1_3repE0EEENS1_47radix_sort_onesweep_sort_config_static_selectorELNS0_4arch9wavefront6targetE1EEEvSK_,"axG",@progbits,_ZN7rocprim17ROCPRIM_400000_NS6detail17trampoline_kernelINS0_14default_configENS1_35radix_sort_onesweep_config_selectorIiNS0_10empty_typeEEEZZNS1_29radix_sort_onesweep_iterationIS3_Lb0EN6thrust23THRUST_200600_302600_NS6detail15normal_iteratorINS9_10device_ptrIiEEEESE_PS5_SF_jNS0_19identity_decomposerENS1_16block_id_wrapperIjLb1EEEEE10hipError_tT1_PNSt15iterator_traitsISK_E10value_typeET2_T3_PNSL_ISQ_E10value_typeET4_T5_PSV_SW_PNS1_23onesweep_lookback_stateEbbT6_jjT7_P12ihipStream_tbENKUlT_T0_SK_SP_E_clISE_PiSF_SF_EEDaS13_S14_SK_SP_EUlS13_E_NS1_11comp_targetILNS1_3genE5ELNS1_11target_archE942ELNS1_3gpuE9ELNS1_3repE0EEENS1_47radix_sort_onesweep_sort_config_static_selectorELNS0_4arch9wavefront6targetE1EEEvSK_,comdat
	.protected	_ZN7rocprim17ROCPRIM_400000_NS6detail17trampoline_kernelINS0_14default_configENS1_35radix_sort_onesweep_config_selectorIiNS0_10empty_typeEEEZZNS1_29radix_sort_onesweep_iterationIS3_Lb0EN6thrust23THRUST_200600_302600_NS6detail15normal_iteratorINS9_10device_ptrIiEEEESE_PS5_SF_jNS0_19identity_decomposerENS1_16block_id_wrapperIjLb1EEEEE10hipError_tT1_PNSt15iterator_traitsISK_E10value_typeET2_T3_PNSL_ISQ_E10value_typeET4_T5_PSV_SW_PNS1_23onesweep_lookback_stateEbbT6_jjT7_P12ihipStream_tbENKUlT_T0_SK_SP_E_clISE_PiSF_SF_EEDaS13_S14_SK_SP_EUlS13_E_NS1_11comp_targetILNS1_3genE5ELNS1_11target_archE942ELNS1_3gpuE9ELNS1_3repE0EEENS1_47radix_sort_onesweep_sort_config_static_selectorELNS0_4arch9wavefront6targetE1EEEvSK_ ; -- Begin function _ZN7rocprim17ROCPRIM_400000_NS6detail17trampoline_kernelINS0_14default_configENS1_35radix_sort_onesweep_config_selectorIiNS0_10empty_typeEEEZZNS1_29radix_sort_onesweep_iterationIS3_Lb0EN6thrust23THRUST_200600_302600_NS6detail15normal_iteratorINS9_10device_ptrIiEEEESE_PS5_SF_jNS0_19identity_decomposerENS1_16block_id_wrapperIjLb1EEEEE10hipError_tT1_PNSt15iterator_traitsISK_E10value_typeET2_T3_PNSL_ISQ_E10value_typeET4_T5_PSV_SW_PNS1_23onesweep_lookback_stateEbbT6_jjT7_P12ihipStream_tbENKUlT_T0_SK_SP_E_clISE_PiSF_SF_EEDaS13_S14_SK_SP_EUlS13_E_NS1_11comp_targetILNS1_3genE5ELNS1_11target_archE942ELNS1_3gpuE9ELNS1_3repE0EEENS1_47radix_sort_onesweep_sort_config_static_selectorELNS0_4arch9wavefront6targetE1EEEvSK_
	.globl	_ZN7rocprim17ROCPRIM_400000_NS6detail17trampoline_kernelINS0_14default_configENS1_35radix_sort_onesweep_config_selectorIiNS0_10empty_typeEEEZZNS1_29radix_sort_onesweep_iterationIS3_Lb0EN6thrust23THRUST_200600_302600_NS6detail15normal_iteratorINS9_10device_ptrIiEEEESE_PS5_SF_jNS0_19identity_decomposerENS1_16block_id_wrapperIjLb1EEEEE10hipError_tT1_PNSt15iterator_traitsISK_E10value_typeET2_T3_PNSL_ISQ_E10value_typeET4_T5_PSV_SW_PNS1_23onesweep_lookback_stateEbbT6_jjT7_P12ihipStream_tbENKUlT_T0_SK_SP_E_clISE_PiSF_SF_EEDaS13_S14_SK_SP_EUlS13_E_NS1_11comp_targetILNS1_3genE5ELNS1_11target_archE942ELNS1_3gpuE9ELNS1_3repE0EEENS1_47radix_sort_onesweep_sort_config_static_selectorELNS0_4arch9wavefront6targetE1EEEvSK_
	.p2align	8
	.type	_ZN7rocprim17ROCPRIM_400000_NS6detail17trampoline_kernelINS0_14default_configENS1_35radix_sort_onesweep_config_selectorIiNS0_10empty_typeEEEZZNS1_29radix_sort_onesweep_iterationIS3_Lb0EN6thrust23THRUST_200600_302600_NS6detail15normal_iteratorINS9_10device_ptrIiEEEESE_PS5_SF_jNS0_19identity_decomposerENS1_16block_id_wrapperIjLb1EEEEE10hipError_tT1_PNSt15iterator_traitsISK_E10value_typeET2_T3_PNSL_ISQ_E10value_typeET4_T5_PSV_SW_PNS1_23onesweep_lookback_stateEbbT6_jjT7_P12ihipStream_tbENKUlT_T0_SK_SP_E_clISE_PiSF_SF_EEDaS13_S14_SK_SP_EUlS13_E_NS1_11comp_targetILNS1_3genE5ELNS1_11target_archE942ELNS1_3gpuE9ELNS1_3repE0EEENS1_47radix_sort_onesweep_sort_config_static_selectorELNS0_4arch9wavefront6targetE1EEEvSK_,@function
_ZN7rocprim17ROCPRIM_400000_NS6detail17trampoline_kernelINS0_14default_configENS1_35radix_sort_onesweep_config_selectorIiNS0_10empty_typeEEEZZNS1_29radix_sort_onesweep_iterationIS3_Lb0EN6thrust23THRUST_200600_302600_NS6detail15normal_iteratorINS9_10device_ptrIiEEEESE_PS5_SF_jNS0_19identity_decomposerENS1_16block_id_wrapperIjLb1EEEEE10hipError_tT1_PNSt15iterator_traitsISK_E10value_typeET2_T3_PNSL_ISQ_E10value_typeET4_T5_PSV_SW_PNS1_23onesweep_lookback_stateEbbT6_jjT7_P12ihipStream_tbENKUlT_T0_SK_SP_E_clISE_PiSF_SF_EEDaS13_S14_SK_SP_EUlS13_E_NS1_11comp_targetILNS1_3genE5ELNS1_11target_archE942ELNS1_3gpuE9ELNS1_3repE0EEENS1_47radix_sort_onesweep_sort_config_static_selectorELNS0_4arch9wavefront6targetE1EEEvSK_: ; @_ZN7rocprim17ROCPRIM_400000_NS6detail17trampoline_kernelINS0_14default_configENS1_35radix_sort_onesweep_config_selectorIiNS0_10empty_typeEEEZZNS1_29radix_sort_onesweep_iterationIS3_Lb0EN6thrust23THRUST_200600_302600_NS6detail15normal_iteratorINS9_10device_ptrIiEEEESE_PS5_SF_jNS0_19identity_decomposerENS1_16block_id_wrapperIjLb1EEEEE10hipError_tT1_PNSt15iterator_traitsISK_E10value_typeET2_T3_PNSL_ISQ_E10value_typeET4_T5_PSV_SW_PNS1_23onesweep_lookback_stateEbbT6_jjT7_P12ihipStream_tbENKUlT_T0_SK_SP_E_clISE_PiSF_SF_EEDaS13_S14_SK_SP_EUlS13_E_NS1_11comp_targetILNS1_3genE5ELNS1_11target_archE942ELNS1_3gpuE9ELNS1_3repE0EEENS1_47radix_sort_onesweep_sort_config_static_selectorELNS0_4arch9wavefront6targetE1EEEvSK_
; %bb.0:
	.section	.rodata,"a",@progbits
	.p2align	6, 0x0
	.amdhsa_kernel _ZN7rocprim17ROCPRIM_400000_NS6detail17trampoline_kernelINS0_14default_configENS1_35radix_sort_onesweep_config_selectorIiNS0_10empty_typeEEEZZNS1_29radix_sort_onesweep_iterationIS3_Lb0EN6thrust23THRUST_200600_302600_NS6detail15normal_iteratorINS9_10device_ptrIiEEEESE_PS5_SF_jNS0_19identity_decomposerENS1_16block_id_wrapperIjLb1EEEEE10hipError_tT1_PNSt15iterator_traitsISK_E10value_typeET2_T3_PNSL_ISQ_E10value_typeET4_T5_PSV_SW_PNS1_23onesweep_lookback_stateEbbT6_jjT7_P12ihipStream_tbENKUlT_T0_SK_SP_E_clISE_PiSF_SF_EEDaS13_S14_SK_SP_EUlS13_E_NS1_11comp_targetILNS1_3genE5ELNS1_11target_archE942ELNS1_3gpuE9ELNS1_3repE0EEENS1_47radix_sort_onesweep_sort_config_static_selectorELNS0_4arch9wavefront6targetE1EEEvSK_
		.amdhsa_group_segment_fixed_size 0
		.amdhsa_private_segment_fixed_size 0
		.amdhsa_kernarg_size 88
		.amdhsa_user_sgpr_count 2
		.amdhsa_user_sgpr_dispatch_ptr 0
		.amdhsa_user_sgpr_queue_ptr 0
		.amdhsa_user_sgpr_kernarg_segment_ptr 1
		.amdhsa_user_sgpr_dispatch_id 0
		.amdhsa_user_sgpr_kernarg_preload_length 0
		.amdhsa_user_sgpr_kernarg_preload_offset 0
		.amdhsa_user_sgpr_private_segment_size 0
		.amdhsa_uses_dynamic_stack 0
		.amdhsa_enable_private_segment 0
		.amdhsa_system_sgpr_workgroup_id_x 1
		.amdhsa_system_sgpr_workgroup_id_y 0
		.amdhsa_system_sgpr_workgroup_id_z 0
		.amdhsa_system_sgpr_workgroup_info 0
		.amdhsa_system_vgpr_workitem_id 0
		.amdhsa_next_free_vgpr 1
		.amdhsa_next_free_sgpr 0
		.amdhsa_accum_offset 4
		.amdhsa_reserve_vcc 0
		.amdhsa_float_round_mode_32 0
		.amdhsa_float_round_mode_16_64 0
		.amdhsa_float_denorm_mode_32 3
		.amdhsa_float_denorm_mode_16_64 3
		.amdhsa_dx10_clamp 1
		.amdhsa_ieee_mode 1
		.amdhsa_fp16_overflow 0
		.amdhsa_tg_split 0
		.amdhsa_exception_fp_ieee_invalid_op 0
		.amdhsa_exception_fp_denorm_src 0
		.amdhsa_exception_fp_ieee_div_zero 0
		.amdhsa_exception_fp_ieee_overflow 0
		.amdhsa_exception_fp_ieee_underflow 0
		.amdhsa_exception_fp_ieee_inexact 0
		.amdhsa_exception_int_div_zero 0
	.end_amdhsa_kernel
	.section	.text._ZN7rocprim17ROCPRIM_400000_NS6detail17trampoline_kernelINS0_14default_configENS1_35radix_sort_onesweep_config_selectorIiNS0_10empty_typeEEEZZNS1_29radix_sort_onesweep_iterationIS3_Lb0EN6thrust23THRUST_200600_302600_NS6detail15normal_iteratorINS9_10device_ptrIiEEEESE_PS5_SF_jNS0_19identity_decomposerENS1_16block_id_wrapperIjLb1EEEEE10hipError_tT1_PNSt15iterator_traitsISK_E10value_typeET2_T3_PNSL_ISQ_E10value_typeET4_T5_PSV_SW_PNS1_23onesweep_lookback_stateEbbT6_jjT7_P12ihipStream_tbENKUlT_T0_SK_SP_E_clISE_PiSF_SF_EEDaS13_S14_SK_SP_EUlS13_E_NS1_11comp_targetILNS1_3genE5ELNS1_11target_archE942ELNS1_3gpuE9ELNS1_3repE0EEENS1_47radix_sort_onesweep_sort_config_static_selectorELNS0_4arch9wavefront6targetE1EEEvSK_,"axG",@progbits,_ZN7rocprim17ROCPRIM_400000_NS6detail17trampoline_kernelINS0_14default_configENS1_35radix_sort_onesweep_config_selectorIiNS0_10empty_typeEEEZZNS1_29radix_sort_onesweep_iterationIS3_Lb0EN6thrust23THRUST_200600_302600_NS6detail15normal_iteratorINS9_10device_ptrIiEEEESE_PS5_SF_jNS0_19identity_decomposerENS1_16block_id_wrapperIjLb1EEEEE10hipError_tT1_PNSt15iterator_traitsISK_E10value_typeET2_T3_PNSL_ISQ_E10value_typeET4_T5_PSV_SW_PNS1_23onesweep_lookback_stateEbbT6_jjT7_P12ihipStream_tbENKUlT_T0_SK_SP_E_clISE_PiSF_SF_EEDaS13_S14_SK_SP_EUlS13_E_NS1_11comp_targetILNS1_3genE5ELNS1_11target_archE942ELNS1_3gpuE9ELNS1_3repE0EEENS1_47radix_sort_onesweep_sort_config_static_selectorELNS0_4arch9wavefront6targetE1EEEvSK_,comdat
.Lfunc_end170:
	.size	_ZN7rocprim17ROCPRIM_400000_NS6detail17trampoline_kernelINS0_14default_configENS1_35radix_sort_onesweep_config_selectorIiNS0_10empty_typeEEEZZNS1_29radix_sort_onesweep_iterationIS3_Lb0EN6thrust23THRUST_200600_302600_NS6detail15normal_iteratorINS9_10device_ptrIiEEEESE_PS5_SF_jNS0_19identity_decomposerENS1_16block_id_wrapperIjLb1EEEEE10hipError_tT1_PNSt15iterator_traitsISK_E10value_typeET2_T3_PNSL_ISQ_E10value_typeET4_T5_PSV_SW_PNS1_23onesweep_lookback_stateEbbT6_jjT7_P12ihipStream_tbENKUlT_T0_SK_SP_E_clISE_PiSF_SF_EEDaS13_S14_SK_SP_EUlS13_E_NS1_11comp_targetILNS1_3genE5ELNS1_11target_archE942ELNS1_3gpuE9ELNS1_3repE0EEENS1_47radix_sort_onesweep_sort_config_static_selectorELNS0_4arch9wavefront6targetE1EEEvSK_, .Lfunc_end170-_ZN7rocprim17ROCPRIM_400000_NS6detail17trampoline_kernelINS0_14default_configENS1_35radix_sort_onesweep_config_selectorIiNS0_10empty_typeEEEZZNS1_29radix_sort_onesweep_iterationIS3_Lb0EN6thrust23THRUST_200600_302600_NS6detail15normal_iteratorINS9_10device_ptrIiEEEESE_PS5_SF_jNS0_19identity_decomposerENS1_16block_id_wrapperIjLb1EEEEE10hipError_tT1_PNSt15iterator_traitsISK_E10value_typeET2_T3_PNSL_ISQ_E10value_typeET4_T5_PSV_SW_PNS1_23onesweep_lookback_stateEbbT6_jjT7_P12ihipStream_tbENKUlT_T0_SK_SP_E_clISE_PiSF_SF_EEDaS13_S14_SK_SP_EUlS13_E_NS1_11comp_targetILNS1_3genE5ELNS1_11target_archE942ELNS1_3gpuE9ELNS1_3repE0EEENS1_47radix_sort_onesweep_sort_config_static_selectorELNS0_4arch9wavefront6targetE1EEEvSK_
                                        ; -- End function
	.set _ZN7rocprim17ROCPRIM_400000_NS6detail17trampoline_kernelINS0_14default_configENS1_35radix_sort_onesweep_config_selectorIiNS0_10empty_typeEEEZZNS1_29radix_sort_onesweep_iterationIS3_Lb0EN6thrust23THRUST_200600_302600_NS6detail15normal_iteratorINS9_10device_ptrIiEEEESE_PS5_SF_jNS0_19identity_decomposerENS1_16block_id_wrapperIjLb1EEEEE10hipError_tT1_PNSt15iterator_traitsISK_E10value_typeET2_T3_PNSL_ISQ_E10value_typeET4_T5_PSV_SW_PNS1_23onesweep_lookback_stateEbbT6_jjT7_P12ihipStream_tbENKUlT_T0_SK_SP_E_clISE_PiSF_SF_EEDaS13_S14_SK_SP_EUlS13_E_NS1_11comp_targetILNS1_3genE5ELNS1_11target_archE942ELNS1_3gpuE9ELNS1_3repE0EEENS1_47radix_sort_onesweep_sort_config_static_selectorELNS0_4arch9wavefront6targetE1EEEvSK_.num_vgpr, 0
	.set _ZN7rocprim17ROCPRIM_400000_NS6detail17trampoline_kernelINS0_14default_configENS1_35radix_sort_onesweep_config_selectorIiNS0_10empty_typeEEEZZNS1_29radix_sort_onesweep_iterationIS3_Lb0EN6thrust23THRUST_200600_302600_NS6detail15normal_iteratorINS9_10device_ptrIiEEEESE_PS5_SF_jNS0_19identity_decomposerENS1_16block_id_wrapperIjLb1EEEEE10hipError_tT1_PNSt15iterator_traitsISK_E10value_typeET2_T3_PNSL_ISQ_E10value_typeET4_T5_PSV_SW_PNS1_23onesweep_lookback_stateEbbT6_jjT7_P12ihipStream_tbENKUlT_T0_SK_SP_E_clISE_PiSF_SF_EEDaS13_S14_SK_SP_EUlS13_E_NS1_11comp_targetILNS1_3genE5ELNS1_11target_archE942ELNS1_3gpuE9ELNS1_3repE0EEENS1_47radix_sort_onesweep_sort_config_static_selectorELNS0_4arch9wavefront6targetE1EEEvSK_.num_agpr, 0
	.set _ZN7rocprim17ROCPRIM_400000_NS6detail17trampoline_kernelINS0_14default_configENS1_35radix_sort_onesweep_config_selectorIiNS0_10empty_typeEEEZZNS1_29radix_sort_onesweep_iterationIS3_Lb0EN6thrust23THRUST_200600_302600_NS6detail15normal_iteratorINS9_10device_ptrIiEEEESE_PS5_SF_jNS0_19identity_decomposerENS1_16block_id_wrapperIjLb1EEEEE10hipError_tT1_PNSt15iterator_traitsISK_E10value_typeET2_T3_PNSL_ISQ_E10value_typeET4_T5_PSV_SW_PNS1_23onesweep_lookback_stateEbbT6_jjT7_P12ihipStream_tbENKUlT_T0_SK_SP_E_clISE_PiSF_SF_EEDaS13_S14_SK_SP_EUlS13_E_NS1_11comp_targetILNS1_3genE5ELNS1_11target_archE942ELNS1_3gpuE9ELNS1_3repE0EEENS1_47radix_sort_onesweep_sort_config_static_selectorELNS0_4arch9wavefront6targetE1EEEvSK_.numbered_sgpr, 0
	.set _ZN7rocprim17ROCPRIM_400000_NS6detail17trampoline_kernelINS0_14default_configENS1_35radix_sort_onesweep_config_selectorIiNS0_10empty_typeEEEZZNS1_29radix_sort_onesweep_iterationIS3_Lb0EN6thrust23THRUST_200600_302600_NS6detail15normal_iteratorINS9_10device_ptrIiEEEESE_PS5_SF_jNS0_19identity_decomposerENS1_16block_id_wrapperIjLb1EEEEE10hipError_tT1_PNSt15iterator_traitsISK_E10value_typeET2_T3_PNSL_ISQ_E10value_typeET4_T5_PSV_SW_PNS1_23onesweep_lookback_stateEbbT6_jjT7_P12ihipStream_tbENKUlT_T0_SK_SP_E_clISE_PiSF_SF_EEDaS13_S14_SK_SP_EUlS13_E_NS1_11comp_targetILNS1_3genE5ELNS1_11target_archE942ELNS1_3gpuE9ELNS1_3repE0EEENS1_47radix_sort_onesweep_sort_config_static_selectorELNS0_4arch9wavefront6targetE1EEEvSK_.num_named_barrier, 0
	.set _ZN7rocprim17ROCPRIM_400000_NS6detail17trampoline_kernelINS0_14default_configENS1_35radix_sort_onesweep_config_selectorIiNS0_10empty_typeEEEZZNS1_29radix_sort_onesweep_iterationIS3_Lb0EN6thrust23THRUST_200600_302600_NS6detail15normal_iteratorINS9_10device_ptrIiEEEESE_PS5_SF_jNS0_19identity_decomposerENS1_16block_id_wrapperIjLb1EEEEE10hipError_tT1_PNSt15iterator_traitsISK_E10value_typeET2_T3_PNSL_ISQ_E10value_typeET4_T5_PSV_SW_PNS1_23onesweep_lookback_stateEbbT6_jjT7_P12ihipStream_tbENKUlT_T0_SK_SP_E_clISE_PiSF_SF_EEDaS13_S14_SK_SP_EUlS13_E_NS1_11comp_targetILNS1_3genE5ELNS1_11target_archE942ELNS1_3gpuE9ELNS1_3repE0EEENS1_47radix_sort_onesweep_sort_config_static_selectorELNS0_4arch9wavefront6targetE1EEEvSK_.private_seg_size, 0
	.set _ZN7rocprim17ROCPRIM_400000_NS6detail17trampoline_kernelINS0_14default_configENS1_35radix_sort_onesweep_config_selectorIiNS0_10empty_typeEEEZZNS1_29radix_sort_onesweep_iterationIS3_Lb0EN6thrust23THRUST_200600_302600_NS6detail15normal_iteratorINS9_10device_ptrIiEEEESE_PS5_SF_jNS0_19identity_decomposerENS1_16block_id_wrapperIjLb1EEEEE10hipError_tT1_PNSt15iterator_traitsISK_E10value_typeET2_T3_PNSL_ISQ_E10value_typeET4_T5_PSV_SW_PNS1_23onesweep_lookback_stateEbbT6_jjT7_P12ihipStream_tbENKUlT_T0_SK_SP_E_clISE_PiSF_SF_EEDaS13_S14_SK_SP_EUlS13_E_NS1_11comp_targetILNS1_3genE5ELNS1_11target_archE942ELNS1_3gpuE9ELNS1_3repE0EEENS1_47radix_sort_onesweep_sort_config_static_selectorELNS0_4arch9wavefront6targetE1EEEvSK_.uses_vcc, 0
	.set _ZN7rocprim17ROCPRIM_400000_NS6detail17trampoline_kernelINS0_14default_configENS1_35radix_sort_onesweep_config_selectorIiNS0_10empty_typeEEEZZNS1_29radix_sort_onesweep_iterationIS3_Lb0EN6thrust23THRUST_200600_302600_NS6detail15normal_iteratorINS9_10device_ptrIiEEEESE_PS5_SF_jNS0_19identity_decomposerENS1_16block_id_wrapperIjLb1EEEEE10hipError_tT1_PNSt15iterator_traitsISK_E10value_typeET2_T3_PNSL_ISQ_E10value_typeET4_T5_PSV_SW_PNS1_23onesweep_lookback_stateEbbT6_jjT7_P12ihipStream_tbENKUlT_T0_SK_SP_E_clISE_PiSF_SF_EEDaS13_S14_SK_SP_EUlS13_E_NS1_11comp_targetILNS1_3genE5ELNS1_11target_archE942ELNS1_3gpuE9ELNS1_3repE0EEENS1_47radix_sort_onesweep_sort_config_static_selectorELNS0_4arch9wavefront6targetE1EEEvSK_.uses_flat_scratch, 0
	.set _ZN7rocprim17ROCPRIM_400000_NS6detail17trampoline_kernelINS0_14default_configENS1_35radix_sort_onesweep_config_selectorIiNS0_10empty_typeEEEZZNS1_29radix_sort_onesweep_iterationIS3_Lb0EN6thrust23THRUST_200600_302600_NS6detail15normal_iteratorINS9_10device_ptrIiEEEESE_PS5_SF_jNS0_19identity_decomposerENS1_16block_id_wrapperIjLb1EEEEE10hipError_tT1_PNSt15iterator_traitsISK_E10value_typeET2_T3_PNSL_ISQ_E10value_typeET4_T5_PSV_SW_PNS1_23onesweep_lookback_stateEbbT6_jjT7_P12ihipStream_tbENKUlT_T0_SK_SP_E_clISE_PiSF_SF_EEDaS13_S14_SK_SP_EUlS13_E_NS1_11comp_targetILNS1_3genE5ELNS1_11target_archE942ELNS1_3gpuE9ELNS1_3repE0EEENS1_47radix_sort_onesweep_sort_config_static_selectorELNS0_4arch9wavefront6targetE1EEEvSK_.has_dyn_sized_stack, 0
	.set _ZN7rocprim17ROCPRIM_400000_NS6detail17trampoline_kernelINS0_14default_configENS1_35radix_sort_onesweep_config_selectorIiNS0_10empty_typeEEEZZNS1_29radix_sort_onesweep_iterationIS3_Lb0EN6thrust23THRUST_200600_302600_NS6detail15normal_iteratorINS9_10device_ptrIiEEEESE_PS5_SF_jNS0_19identity_decomposerENS1_16block_id_wrapperIjLb1EEEEE10hipError_tT1_PNSt15iterator_traitsISK_E10value_typeET2_T3_PNSL_ISQ_E10value_typeET4_T5_PSV_SW_PNS1_23onesweep_lookback_stateEbbT6_jjT7_P12ihipStream_tbENKUlT_T0_SK_SP_E_clISE_PiSF_SF_EEDaS13_S14_SK_SP_EUlS13_E_NS1_11comp_targetILNS1_3genE5ELNS1_11target_archE942ELNS1_3gpuE9ELNS1_3repE0EEENS1_47radix_sort_onesweep_sort_config_static_selectorELNS0_4arch9wavefront6targetE1EEEvSK_.has_recursion, 0
	.set _ZN7rocprim17ROCPRIM_400000_NS6detail17trampoline_kernelINS0_14default_configENS1_35radix_sort_onesweep_config_selectorIiNS0_10empty_typeEEEZZNS1_29radix_sort_onesweep_iterationIS3_Lb0EN6thrust23THRUST_200600_302600_NS6detail15normal_iteratorINS9_10device_ptrIiEEEESE_PS5_SF_jNS0_19identity_decomposerENS1_16block_id_wrapperIjLb1EEEEE10hipError_tT1_PNSt15iterator_traitsISK_E10value_typeET2_T3_PNSL_ISQ_E10value_typeET4_T5_PSV_SW_PNS1_23onesweep_lookback_stateEbbT6_jjT7_P12ihipStream_tbENKUlT_T0_SK_SP_E_clISE_PiSF_SF_EEDaS13_S14_SK_SP_EUlS13_E_NS1_11comp_targetILNS1_3genE5ELNS1_11target_archE942ELNS1_3gpuE9ELNS1_3repE0EEENS1_47radix_sort_onesweep_sort_config_static_selectorELNS0_4arch9wavefront6targetE1EEEvSK_.has_indirect_call, 0
	.section	.AMDGPU.csdata,"",@progbits
; Kernel info:
; codeLenInByte = 0
; TotalNumSgprs: 6
; NumVgprs: 0
; NumAgprs: 0
; TotalNumVgprs: 0
; ScratchSize: 0
; MemoryBound: 0
; FloatMode: 240
; IeeeMode: 1
; LDSByteSize: 0 bytes/workgroup (compile time only)
; SGPRBlocks: 0
; VGPRBlocks: 0
; NumSGPRsForWavesPerEU: 6
; NumVGPRsForWavesPerEU: 1
; AccumOffset: 4
; Occupancy: 8
; WaveLimiterHint : 0
; COMPUTE_PGM_RSRC2:SCRATCH_EN: 0
; COMPUTE_PGM_RSRC2:USER_SGPR: 2
; COMPUTE_PGM_RSRC2:TRAP_HANDLER: 0
; COMPUTE_PGM_RSRC2:TGID_X_EN: 1
; COMPUTE_PGM_RSRC2:TGID_Y_EN: 0
; COMPUTE_PGM_RSRC2:TGID_Z_EN: 0
; COMPUTE_PGM_RSRC2:TIDIG_COMP_CNT: 0
; COMPUTE_PGM_RSRC3_GFX90A:ACCUM_OFFSET: 0
; COMPUTE_PGM_RSRC3_GFX90A:TG_SPLIT: 0
	.section	.text._ZN7rocprim17ROCPRIM_400000_NS6detail17trampoline_kernelINS0_14default_configENS1_35radix_sort_onesweep_config_selectorIiNS0_10empty_typeEEEZZNS1_29radix_sort_onesweep_iterationIS3_Lb0EN6thrust23THRUST_200600_302600_NS6detail15normal_iteratorINS9_10device_ptrIiEEEESE_PS5_SF_jNS0_19identity_decomposerENS1_16block_id_wrapperIjLb1EEEEE10hipError_tT1_PNSt15iterator_traitsISK_E10value_typeET2_T3_PNSL_ISQ_E10value_typeET4_T5_PSV_SW_PNS1_23onesweep_lookback_stateEbbT6_jjT7_P12ihipStream_tbENKUlT_T0_SK_SP_E_clISE_PiSF_SF_EEDaS13_S14_SK_SP_EUlS13_E_NS1_11comp_targetILNS1_3genE2ELNS1_11target_archE906ELNS1_3gpuE6ELNS1_3repE0EEENS1_47radix_sort_onesweep_sort_config_static_selectorELNS0_4arch9wavefront6targetE1EEEvSK_,"axG",@progbits,_ZN7rocprim17ROCPRIM_400000_NS6detail17trampoline_kernelINS0_14default_configENS1_35radix_sort_onesweep_config_selectorIiNS0_10empty_typeEEEZZNS1_29radix_sort_onesweep_iterationIS3_Lb0EN6thrust23THRUST_200600_302600_NS6detail15normal_iteratorINS9_10device_ptrIiEEEESE_PS5_SF_jNS0_19identity_decomposerENS1_16block_id_wrapperIjLb1EEEEE10hipError_tT1_PNSt15iterator_traitsISK_E10value_typeET2_T3_PNSL_ISQ_E10value_typeET4_T5_PSV_SW_PNS1_23onesweep_lookback_stateEbbT6_jjT7_P12ihipStream_tbENKUlT_T0_SK_SP_E_clISE_PiSF_SF_EEDaS13_S14_SK_SP_EUlS13_E_NS1_11comp_targetILNS1_3genE2ELNS1_11target_archE906ELNS1_3gpuE6ELNS1_3repE0EEENS1_47radix_sort_onesweep_sort_config_static_selectorELNS0_4arch9wavefront6targetE1EEEvSK_,comdat
	.protected	_ZN7rocprim17ROCPRIM_400000_NS6detail17trampoline_kernelINS0_14default_configENS1_35radix_sort_onesweep_config_selectorIiNS0_10empty_typeEEEZZNS1_29radix_sort_onesweep_iterationIS3_Lb0EN6thrust23THRUST_200600_302600_NS6detail15normal_iteratorINS9_10device_ptrIiEEEESE_PS5_SF_jNS0_19identity_decomposerENS1_16block_id_wrapperIjLb1EEEEE10hipError_tT1_PNSt15iterator_traitsISK_E10value_typeET2_T3_PNSL_ISQ_E10value_typeET4_T5_PSV_SW_PNS1_23onesweep_lookback_stateEbbT6_jjT7_P12ihipStream_tbENKUlT_T0_SK_SP_E_clISE_PiSF_SF_EEDaS13_S14_SK_SP_EUlS13_E_NS1_11comp_targetILNS1_3genE2ELNS1_11target_archE906ELNS1_3gpuE6ELNS1_3repE0EEENS1_47radix_sort_onesweep_sort_config_static_selectorELNS0_4arch9wavefront6targetE1EEEvSK_ ; -- Begin function _ZN7rocprim17ROCPRIM_400000_NS6detail17trampoline_kernelINS0_14default_configENS1_35radix_sort_onesweep_config_selectorIiNS0_10empty_typeEEEZZNS1_29radix_sort_onesweep_iterationIS3_Lb0EN6thrust23THRUST_200600_302600_NS6detail15normal_iteratorINS9_10device_ptrIiEEEESE_PS5_SF_jNS0_19identity_decomposerENS1_16block_id_wrapperIjLb1EEEEE10hipError_tT1_PNSt15iterator_traitsISK_E10value_typeET2_T3_PNSL_ISQ_E10value_typeET4_T5_PSV_SW_PNS1_23onesweep_lookback_stateEbbT6_jjT7_P12ihipStream_tbENKUlT_T0_SK_SP_E_clISE_PiSF_SF_EEDaS13_S14_SK_SP_EUlS13_E_NS1_11comp_targetILNS1_3genE2ELNS1_11target_archE906ELNS1_3gpuE6ELNS1_3repE0EEENS1_47radix_sort_onesweep_sort_config_static_selectorELNS0_4arch9wavefront6targetE1EEEvSK_
	.globl	_ZN7rocprim17ROCPRIM_400000_NS6detail17trampoline_kernelINS0_14default_configENS1_35radix_sort_onesweep_config_selectorIiNS0_10empty_typeEEEZZNS1_29radix_sort_onesweep_iterationIS3_Lb0EN6thrust23THRUST_200600_302600_NS6detail15normal_iteratorINS9_10device_ptrIiEEEESE_PS5_SF_jNS0_19identity_decomposerENS1_16block_id_wrapperIjLb1EEEEE10hipError_tT1_PNSt15iterator_traitsISK_E10value_typeET2_T3_PNSL_ISQ_E10value_typeET4_T5_PSV_SW_PNS1_23onesweep_lookback_stateEbbT6_jjT7_P12ihipStream_tbENKUlT_T0_SK_SP_E_clISE_PiSF_SF_EEDaS13_S14_SK_SP_EUlS13_E_NS1_11comp_targetILNS1_3genE2ELNS1_11target_archE906ELNS1_3gpuE6ELNS1_3repE0EEENS1_47radix_sort_onesweep_sort_config_static_selectorELNS0_4arch9wavefront6targetE1EEEvSK_
	.p2align	8
	.type	_ZN7rocprim17ROCPRIM_400000_NS6detail17trampoline_kernelINS0_14default_configENS1_35radix_sort_onesweep_config_selectorIiNS0_10empty_typeEEEZZNS1_29radix_sort_onesweep_iterationIS3_Lb0EN6thrust23THRUST_200600_302600_NS6detail15normal_iteratorINS9_10device_ptrIiEEEESE_PS5_SF_jNS0_19identity_decomposerENS1_16block_id_wrapperIjLb1EEEEE10hipError_tT1_PNSt15iterator_traitsISK_E10value_typeET2_T3_PNSL_ISQ_E10value_typeET4_T5_PSV_SW_PNS1_23onesweep_lookback_stateEbbT6_jjT7_P12ihipStream_tbENKUlT_T0_SK_SP_E_clISE_PiSF_SF_EEDaS13_S14_SK_SP_EUlS13_E_NS1_11comp_targetILNS1_3genE2ELNS1_11target_archE906ELNS1_3gpuE6ELNS1_3repE0EEENS1_47radix_sort_onesweep_sort_config_static_selectorELNS0_4arch9wavefront6targetE1EEEvSK_,@function
_ZN7rocprim17ROCPRIM_400000_NS6detail17trampoline_kernelINS0_14default_configENS1_35radix_sort_onesweep_config_selectorIiNS0_10empty_typeEEEZZNS1_29radix_sort_onesweep_iterationIS3_Lb0EN6thrust23THRUST_200600_302600_NS6detail15normal_iteratorINS9_10device_ptrIiEEEESE_PS5_SF_jNS0_19identity_decomposerENS1_16block_id_wrapperIjLb1EEEEE10hipError_tT1_PNSt15iterator_traitsISK_E10value_typeET2_T3_PNSL_ISQ_E10value_typeET4_T5_PSV_SW_PNS1_23onesweep_lookback_stateEbbT6_jjT7_P12ihipStream_tbENKUlT_T0_SK_SP_E_clISE_PiSF_SF_EEDaS13_S14_SK_SP_EUlS13_E_NS1_11comp_targetILNS1_3genE2ELNS1_11target_archE906ELNS1_3gpuE6ELNS1_3repE0EEENS1_47radix_sort_onesweep_sort_config_static_selectorELNS0_4arch9wavefront6targetE1EEEvSK_: ; @_ZN7rocprim17ROCPRIM_400000_NS6detail17trampoline_kernelINS0_14default_configENS1_35radix_sort_onesweep_config_selectorIiNS0_10empty_typeEEEZZNS1_29radix_sort_onesweep_iterationIS3_Lb0EN6thrust23THRUST_200600_302600_NS6detail15normal_iteratorINS9_10device_ptrIiEEEESE_PS5_SF_jNS0_19identity_decomposerENS1_16block_id_wrapperIjLb1EEEEE10hipError_tT1_PNSt15iterator_traitsISK_E10value_typeET2_T3_PNSL_ISQ_E10value_typeET4_T5_PSV_SW_PNS1_23onesweep_lookback_stateEbbT6_jjT7_P12ihipStream_tbENKUlT_T0_SK_SP_E_clISE_PiSF_SF_EEDaS13_S14_SK_SP_EUlS13_E_NS1_11comp_targetILNS1_3genE2ELNS1_11target_archE906ELNS1_3gpuE6ELNS1_3repE0EEENS1_47radix_sort_onesweep_sort_config_static_selectorELNS0_4arch9wavefront6targetE1EEEvSK_
; %bb.0:
	.section	.rodata,"a",@progbits
	.p2align	6, 0x0
	.amdhsa_kernel _ZN7rocprim17ROCPRIM_400000_NS6detail17trampoline_kernelINS0_14default_configENS1_35radix_sort_onesweep_config_selectorIiNS0_10empty_typeEEEZZNS1_29radix_sort_onesweep_iterationIS3_Lb0EN6thrust23THRUST_200600_302600_NS6detail15normal_iteratorINS9_10device_ptrIiEEEESE_PS5_SF_jNS0_19identity_decomposerENS1_16block_id_wrapperIjLb1EEEEE10hipError_tT1_PNSt15iterator_traitsISK_E10value_typeET2_T3_PNSL_ISQ_E10value_typeET4_T5_PSV_SW_PNS1_23onesweep_lookback_stateEbbT6_jjT7_P12ihipStream_tbENKUlT_T0_SK_SP_E_clISE_PiSF_SF_EEDaS13_S14_SK_SP_EUlS13_E_NS1_11comp_targetILNS1_3genE2ELNS1_11target_archE906ELNS1_3gpuE6ELNS1_3repE0EEENS1_47radix_sort_onesweep_sort_config_static_selectorELNS0_4arch9wavefront6targetE1EEEvSK_
		.amdhsa_group_segment_fixed_size 0
		.amdhsa_private_segment_fixed_size 0
		.amdhsa_kernarg_size 88
		.amdhsa_user_sgpr_count 2
		.amdhsa_user_sgpr_dispatch_ptr 0
		.amdhsa_user_sgpr_queue_ptr 0
		.amdhsa_user_sgpr_kernarg_segment_ptr 1
		.amdhsa_user_sgpr_dispatch_id 0
		.amdhsa_user_sgpr_kernarg_preload_length 0
		.amdhsa_user_sgpr_kernarg_preload_offset 0
		.amdhsa_user_sgpr_private_segment_size 0
		.amdhsa_uses_dynamic_stack 0
		.amdhsa_enable_private_segment 0
		.amdhsa_system_sgpr_workgroup_id_x 1
		.amdhsa_system_sgpr_workgroup_id_y 0
		.amdhsa_system_sgpr_workgroup_id_z 0
		.amdhsa_system_sgpr_workgroup_info 0
		.amdhsa_system_vgpr_workitem_id 0
		.amdhsa_next_free_vgpr 1
		.amdhsa_next_free_sgpr 0
		.amdhsa_accum_offset 4
		.amdhsa_reserve_vcc 0
		.amdhsa_float_round_mode_32 0
		.amdhsa_float_round_mode_16_64 0
		.amdhsa_float_denorm_mode_32 3
		.amdhsa_float_denorm_mode_16_64 3
		.amdhsa_dx10_clamp 1
		.amdhsa_ieee_mode 1
		.amdhsa_fp16_overflow 0
		.amdhsa_tg_split 0
		.amdhsa_exception_fp_ieee_invalid_op 0
		.amdhsa_exception_fp_denorm_src 0
		.amdhsa_exception_fp_ieee_div_zero 0
		.amdhsa_exception_fp_ieee_overflow 0
		.amdhsa_exception_fp_ieee_underflow 0
		.amdhsa_exception_fp_ieee_inexact 0
		.amdhsa_exception_int_div_zero 0
	.end_amdhsa_kernel
	.section	.text._ZN7rocprim17ROCPRIM_400000_NS6detail17trampoline_kernelINS0_14default_configENS1_35radix_sort_onesweep_config_selectorIiNS0_10empty_typeEEEZZNS1_29radix_sort_onesweep_iterationIS3_Lb0EN6thrust23THRUST_200600_302600_NS6detail15normal_iteratorINS9_10device_ptrIiEEEESE_PS5_SF_jNS0_19identity_decomposerENS1_16block_id_wrapperIjLb1EEEEE10hipError_tT1_PNSt15iterator_traitsISK_E10value_typeET2_T3_PNSL_ISQ_E10value_typeET4_T5_PSV_SW_PNS1_23onesweep_lookback_stateEbbT6_jjT7_P12ihipStream_tbENKUlT_T0_SK_SP_E_clISE_PiSF_SF_EEDaS13_S14_SK_SP_EUlS13_E_NS1_11comp_targetILNS1_3genE2ELNS1_11target_archE906ELNS1_3gpuE6ELNS1_3repE0EEENS1_47radix_sort_onesweep_sort_config_static_selectorELNS0_4arch9wavefront6targetE1EEEvSK_,"axG",@progbits,_ZN7rocprim17ROCPRIM_400000_NS6detail17trampoline_kernelINS0_14default_configENS1_35radix_sort_onesweep_config_selectorIiNS0_10empty_typeEEEZZNS1_29radix_sort_onesweep_iterationIS3_Lb0EN6thrust23THRUST_200600_302600_NS6detail15normal_iteratorINS9_10device_ptrIiEEEESE_PS5_SF_jNS0_19identity_decomposerENS1_16block_id_wrapperIjLb1EEEEE10hipError_tT1_PNSt15iterator_traitsISK_E10value_typeET2_T3_PNSL_ISQ_E10value_typeET4_T5_PSV_SW_PNS1_23onesweep_lookback_stateEbbT6_jjT7_P12ihipStream_tbENKUlT_T0_SK_SP_E_clISE_PiSF_SF_EEDaS13_S14_SK_SP_EUlS13_E_NS1_11comp_targetILNS1_3genE2ELNS1_11target_archE906ELNS1_3gpuE6ELNS1_3repE0EEENS1_47radix_sort_onesweep_sort_config_static_selectorELNS0_4arch9wavefront6targetE1EEEvSK_,comdat
.Lfunc_end171:
	.size	_ZN7rocprim17ROCPRIM_400000_NS6detail17trampoline_kernelINS0_14default_configENS1_35radix_sort_onesweep_config_selectorIiNS0_10empty_typeEEEZZNS1_29radix_sort_onesweep_iterationIS3_Lb0EN6thrust23THRUST_200600_302600_NS6detail15normal_iteratorINS9_10device_ptrIiEEEESE_PS5_SF_jNS0_19identity_decomposerENS1_16block_id_wrapperIjLb1EEEEE10hipError_tT1_PNSt15iterator_traitsISK_E10value_typeET2_T3_PNSL_ISQ_E10value_typeET4_T5_PSV_SW_PNS1_23onesweep_lookback_stateEbbT6_jjT7_P12ihipStream_tbENKUlT_T0_SK_SP_E_clISE_PiSF_SF_EEDaS13_S14_SK_SP_EUlS13_E_NS1_11comp_targetILNS1_3genE2ELNS1_11target_archE906ELNS1_3gpuE6ELNS1_3repE0EEENS1_47radix_sort_onesweep_sort_config_static_selectorELNS0_4arch9wavefront6targetE1EEEvSK_, .Lfunc_end171-_ZN7rocprim17ROCPRIM_400000_NS6detail17trampoline_kernelINS0_14default_configENS1_35radix_sort_onesweep_config_selectorIiNS0_10empty_typeEEEZZNS1_29radix_sort_onesweep_iterationIS3_Lb0EN6thrust23THRUST_200600_302600_NS6detail15normal_iteratorINS9_10device_ptrIiEEEESE_PS5_SF_jNS0_19identity_decomposerENS1_16block_id_wrapperIjLb1EEEEE10hipError_tT1_PNSt15iterator_traitsISK_E10value_typeET2_T3_PNSL_ISQ_E10value_typeET4_T5_PSV_SW_PNS1_23onesweep_lookback_stateEbbT6_jjT7_P12ihipStream_tbENKUlT_T0_SK_SP_E_clISE_PiSF_SF_EEDaS13_S14_SK_SP_EUlS13_E_NS1_11comp_targetILNS1_3genE2ELNS1_11target_archE906ELNS1_3gpuE6ELNS1_3repE0EEENS1_47radix_sort_onesweep_sort_config_static_selectorELNS0_4arch9wavefront6targetE1EEEvSK_
                                        ; -- End function
	.set _ZN7rocprim17ROCPRIM_400000_NS6detail17trampoline_kernelINS0_14default_configENS1_35radix_sort_onesweep_config_selectorIiNS0_10empty_typeEEEZZNS1_29radix_sort_onesweep_iterationIS3_Lb0EN6thrust23THRUST_200600_302600_NS6detail15normal_iteratorINS9_10device_ptrIiEEEESE_PS5_SF_jNS0_19identity_decomposerENS1_16block_id_wrapperIjLb1EEEEE10hipError_tT1_PNSt15iterator_traitsISK_E10value_typeET2_T3_PNSL_ISQ_E10value_typeET4_T5_PSV_SW_PNS1_23onesweep_lookback_stateEbbT6_jjT7_P12ihipStream_tbENKUlT_T0_SK_SP_E_clISE_PiSF_SF_EEDaS13_S14_SK_SP_EUlS13_E_NS1_11comp_targetILNS1_3genE2ELNS1_11target_archE906ELNS1_3gpuE6ELNS1_3repE0EEENS1_47radix_sort_onesweep_sort_config_static_selectorELNS0_4arch9wavefront6targetE1EEEvSK_.num_vgpr, 0
	.set _ZN7rocprim17ROCPRIM_400000_NS6detail17trampoline_kernelINS0_14default_configENS1_35radix_sort_onesweep_config_selectorIiNS0_10empty_typeEEEZZNS1_29radix_sort_onesweep_iterationIS3_Lb0EN6thrust23THRUST_200600_302600_NS6detail15normal_iteratorINS9_10device_ptrIiEEEESE_PS5_SF_jNS0_19identity_decomposerENS1_16block_id_wrapperIjLb1EEEEE10hipError_tT1_PNSt15iterator_traitsISK_E10value_typeET2_T3_PNSL_ISQ_E10value_typeET4_T5_PSV_SW_PNS1_23onesweep_lookback_stateEbbT6_jjT7_P12ihipStream_tbENKUlT_T0_SK_SP_E_clISE_PiSF_SF_EEDaS13_S14_SK_SP_EUlS13_E_NS1_11comp_targetILNS1_3genE2ELNS1_11target_archE906ELNS1_3gpuE6ELNS1_3repE0EEENS1_47radix_sort_onesweep_sort_config_static_selectorELNS0_4arch9wavefront6targetE1EEEvSK_.num_agpr, 0
	.set _ZN7rocprim17ROCPRIM_400000_NS6detail17trampoline_kernelINS0_14default_configENS1_35radix_sort_onesweep_config_selectorIiNS0_10empty_typeEEEZZNS1_29radix_sort_onesweep_iterationIS3_Lb0EN6thrust23THRUST_200600_302600_NS6detail15normal_iteratorINS9_10device_ptrIiEEEESE_PS5_SF_jNS0_19identity_decomposerENS1_16block_id_wrapperIjLb1EEEEE10hipError_tT1_PNSt15iterator_traitsISK_E10value_typeET2_T3_PNSL_ISQ_E10value_typeET4_T5_PSV_SW_PNS1_23onesweep_lookback_stateEbbT6_jjT7_P12ihipStream_tbENKUlT_T0_SK_SP_E_clISE_PiSF_SF_EEDaS13_S14_SK_SP_EUlS13_E_NS1_11comp_targetILNS1_3genE2ELNS1_11target_archE906ELNS1_3gpuE6ELNS1_3repE0EEENS1_47radix_sort_onesweep_sort_config_static_selectorELNS0_4arch9wavefront6targetE1EEEvSK_.numbered_sgpr, 0
	.set _ZN7rocprim17ROCPRIM_400000_NS6detail17trampoline_kernelINS0_14default_configENS1_35radix_sort_onesweep_config_selectorIiNS0_10empty_typeEEEZZNS1_29radix_sort_onesweep_iterationIS3_Lb0EN6thrust23THRUST_200600_302600_NS6detail15normal_iteratorINS9_10device_ptrIiEEEESE_PS5_SF_jNS0_19identity_decomposerENS1_16block_id_wrapperIjLb1EEEEE10hipError_tT1_PNSt15iterator_traitsISK_E10value_typeET2_T3_PNSL_ISQ_E10value_typeET4_T5_PSV_SW_PNS1_23onesweep_lookback_stateEbbT6_jjT7_P12ihipStream_tbENKUlT_T0_SK_SP_E_clISE_PiSF_SF_EEDaS13_S14_SK_SP_EUlS13_E_NS1_11comp_targetILNS1_3genE2ELNS1_11target_archE906ELNS1_3gpuE6ELNS1_3repE0EEENS1_47radix_sort_onesweep_sort_config_static_selectorELNS0_4arch9wavefront6targetE1EEEvSK_.num_named_barrier, 0
	.set _ZN7rocprim17ROCPRIM_400000_NS6detail17trampoline_kernelINS0_14default_configENS1_35radix_sort_onesweep_config_selectorIiNS0_10empty_typeEEEZZNS1_29radix_sort_onesweep_iterationIS3_Lb0EN6thrust23THRUST_200600_302600_NS6detail15normal_iteratorINS9_10device_ptrIiEEEESE_PS5_SF_jNS0_19identity_decomposerENS1_16block_id_wrapperIjLb1EEEEE10hipError_tT1_PNSt15iterator_traitsISK_E10value_typeET2_T3_PNSL_ISQ_E10value_typeET4_T5_PSV_SW_PNS1_23onesweep_lookback_stateEbbT6_jjT7_P12ihipStream_tbENKUlT_T0_SK_SP_E_clISE_PiSF_SF_EEDaS13_S14_SK_SP_EUlS13_E_NS1_11comp_targetILNS1_3genE2ELNS1_11target_archE906ELNS1_3gpuE6ELNS1_3repE0EEENS1_47radix_sort_onesweep_sort_config_static_selectorELNS0_4arch9wavefront6targetE1EEEvSK_.private_seg_size, 0
	.set _ZN7rocprim17ROCPRIM_400000_NS6detail17trampoline_kernelINS0_14default_configENS1_35radix_sort_onesweep_config_selectorIiNS0_10empty_typeEEEZZNS1_29radix_sort_onesweep_iterationIS3_Lb0EN6thrust23THRUST_200600_302600_NS6detail15normal_iteratorINS9_10device_ptrIiEEEESE_PS5_SF_jNS0_19identity_decomposerENS1_16block_id_wrapperIjLb1EEEEE10hipError_tT1_PNSt15iterator_traitsISK_E10value_typeET2_T3_PNSL_ISQ_E10value_typeET4_T5_PSV_SW_PNS1_23onesweep_lookback_stateEbbT6_jjT7_P12ihipStream_tbENKUlT_T0_SK_SP_E_clISE_PiSF_SF_EEDaS13_S14_SK_SP_EUlS13_E_NS1_11comp_targetILNS1_3genE2ELNS1_11target_archE906ELNS1_3gpuE6ELNS1_3repE0EEENS1_47radix_sort_onesweep_sort_config_static_selectorELNS0_4arch9wavefront6targetE1EEEvSK_.uses_vcc, 0
	.set _ZN7rocprim17ROCPRIM_400000_NS6detail17trampoline_kernelINS0_14default_configENS1_35radix_sort_onesweep_config_selectorIiNS0_10empty_typeEEEZZNS1_29radix_sort_onesweep_iterationIS3_Lb0EN6thrust23THRUST_200600_302600_NS6detail15normal_iteratorINS9_10device_ptrIiEEEESE_PS5_SF_jNS0_19identity_decomposerENS1_16block_id_wrapperIjLb1EEEEE10hipError_tT1_PNSt15iterator_traitsISK_E10value_typeET2_T3_PNSL_ISQ_E10value_typeET4_T5_PSV_SW_PNS1_23onesweep_lookback_stateEbbT6_jjT7_P12ihipStream_tbENKUlT_T0_SK_SP_E_clISE_PiSF_SF_EEDaS13_S14_SK_SP_EUlS13_E_NS1_11comp_targetILNS1_3genE2ELNS1_11target_archE906ELNS1_3gpuE6ELNS1_3repE0EEENS1_47radix_sort_onesweep_sort_config_static_selectorELNS0_4arch9wavefront6targetE1EEEvSK_.uses_flat_scratch, 0
	.set _ZN7rocprim17ROCPRIM_400000_NS6detail17trampoline_kernelINS0_14default_configENS1_35radix_sort_onesweep_config_selectorIiNS0_10empty_typeEEEZZNS1_29radix_sort_onesweep_iterationIS3_Lb0EN6thrust23THRUST_200600_302600_NS6detail15normal_iteratorINS9_10device_ptrIiEEEESE_PS5_SF_jNS0_19identity_decomposerENS1_16block_id_wrapperIjLb1EEEEE10hipError_tT1_PNSt15iterator_traitsISK_E10value_typeET2_T3_PNSL_ISQ_E10value_typeET4_T5_PSV_SW_PNS1_23onesweep_lookback_stateEbbT6_jjT7_P12ihipStream_tbENKUlT_T0_SK_SP_E_clISE_PiSF_SF_EEDaS13_S14_SK_SP_EUlS13_E_NS1_11comp_targetILNS1_3genE2ELNS1_11target_archE906ELNS1_3gpuE6ELNS1_3repE0EEENS1_47radix_sort_onesweep_sort_config_static_selectorELNS0_4arch9wavefront6targetE1EEEvSK_.has_dyn_sized_stack, 0
	.set _ZN7rocprim17ROCPRIM_400000_NS6detail17trampoline_kernelINS0_14default_configENS1_35radix_sort_onesweep_config_selectorIiNS0_10empty_typeEEEZZNS1_29radix_sort_onesweep_iterationIS3_Lb0EN6thrust23THRUST_200600_302600_NS6detail15normal_iteratorINS9_10device_ptrIiEEEESE_PS5_SF_jNS0_19identity_decomposerENS1_16block_id_wrapperIjLb1EEEEE10hipError_tT1_PNSt15iterator_traitsISK_E10value_typeET2_T3_PNSL_ISQ_E10value_typeET4_T5_PSV_SW_PNS1_23onesweep_lookback_stateEbbT6_jjT7_P12ihipStream_tbENKUlT_T0_SK_SP_E_clISE_PiSF_SF_EEDaS13_S14_SK_SP_EUlS13_E_NS1_11comp_targetILNS1_3genE2ELNS1_11target_archE906ELNS1_3gpuE6ELNS1_3repE0EEENS1_47radix_sort_onesweep_sort_config_static_selectorELNS0_4arch9wavefront6targetE1EEEvSK_.has_recursion, 0
	.set _ZN7rocprim17ROCPRIM_400000_NS6detail17trampoline_kernelINS0_14default_configENS1_35radix_sort_onesweep_config_selectorIiNS0_10empty_typeEEEZZNS1_29radix_sort_onesweep_iterationIS3_Lb0EN6thrust23THRUST_200600_302600_NS6detail15normal_iteratorINS9_10device_ptrIiEEEESE_PS5_SF_jNS0_19identity_decomposerENS1_16block_id_wrapperIjLb1EEEEE10hipError_tT1_PNSt15iterator_traitsISK_E10value_typeET2_T3_PNSL_ISQ_E10value_typeET4_T5_PSV_SW_PNS1_23onesweep_lookback_stateEbbT6_jjT7_P12ihipStream_tbENKUlT_T0_SK_SP_E_clISE_PiSF_SF_EEDaS13_S14_SK_SP_EUlS13_E_NS1_11comp_targetILNS1_3genE2ELNS1_11target_archE906ELNS1_3gpuE6ELNS1_3repE0EEENS1_47radix_sort_onesweep_sort_config_static_selectorELNS0_4arch9wavefront6targetE1EEEvSK_.has_indirect_call, 0
	.section	.AMDGPU.csdata,"",@progbits
; Kernel info:
; codeLenInByte = 0
; TotalNumSgprs: 6
; NumVgprs: 0
; NumAgprs: 0
; TotalNumVgprs: 0
; ScratchSize: 0
; MemoryBound: 0
; FloatMode: 240
; IeeeMode: 1
; LDSByteSize: 0 bytes/workgroup (compile time only)
; SGPRBlocks: 0
; VGPRBlocks: 0
; NumSGPRsForWavesPerEU: 6
; NumVGPRsForWavesPerEU: 1
; AccumOffset: 4
; Occupancy: 8
; WaveLimiterHint : 0
; COMPUTE_PGM_RSRC2:SCRATCH_EN: 0
; COMPUTE_PGM_RSRC2:USER_SGPR: 2
; COMPUTE_PGM_RSRC2:TRAP_HANDLER: 0
; COMPUTE_PGM_RSRC2:TGID_X_EN: 1
; COMPUTE_PGM_RSRC2:TGID_Y_EN: 0
; COMPUTE_PGM_RSRC2:TGID_Z_EN: 0
; COMPUTE_PGM_RSRC2:TIDIG_COMP_CNT: 0
; COMPUTE_PGM_RSRC3_GFX90A:ACCUM_OFFSET: 0
; COMPUTE_PGM_RSRC3_GFX90A:TG_SPLIT: 0
	.section	.text._ZN7rocprim17ROCPRIM_400000_NS6detail17trampoline_kernelINS0_14default_configENS1_35radix_sort_onesweep_config_selectorIiNS0_10empty_typeEEEZZNS1_29radix_sort_onesweep_iterationIS3_Lb0EN6thrust23THRUST_200600_302600_NS6detail15normal_iteratorINS9_10device_ptrIiEEEESE_PS5_SF_jNS0_19identity_decomposerENS1_16block_id_wrapperIjLb1EEEEE10hipError_tT1_PNSt15iterator_traitsISK_E10value_typeET2_T3_PNSL_ISQ_E10value_typeET4_T5_PSV_SW_PNS1_23onesweep_lookback_stateEbbT6_jjT7_P12ihipStream_tbENKUlT_T0_SK_SP_E_clISE_PiSF_SF_EEDaS13_S14_SK_SP_EUlS13_E_NS1_11comp_targetILNS1_3genE4ELNS1_11target_archE910ELNS1_3gpuE8ELNS1_3repE0EEENS1_47radix_sort_onesweep_sort_config_static_selectorELNS0_4arch9wavefront6targetE1EEEvSK_,"axG",@progbits,_ZN7rocprim17ROCPRIM_400000_NS6detail17trampoline_kernelINS0_14default_configENS1_35radix_sort_onesweep_config_selectorIiNS0_10empty_typeEEEZZNS1_29radix_sort_onesweep_iterationIS3_Lb0EN6thrust23THRUST_200600_302600_NS6detail15normal_iteratorINS9_10device_ptrIiEEEESE_PS5_SF_jNS0_19identity_decomposerENS1_16block_id_wrapperIjLb1EEEEE10hipError_tT1_PNSt15iterator_traitsISK_E10value_typeET2_T3_PNSL_ISQ_E10value_typeET4_T5_PSV_SW_PNS1_23onesweep_lookback_stateEbbT6_jjT7_P12ihipStream_tbENKUlT_T0_SK_SP_E_clISE_PiSF_SF_EEDaS13_S14_SK_SP_EUlS13_E_NS1_11comp_targetILNS1_3genE4ELNS1_11target_archE910ELNS1_3gpuE8ELNS1_3repE0EEENS1_47radix_sort_onesweep_sort_config_static_selectorELNS0_4arch9wavefront6targetE1EEEvSK_,comdat
	.protected	_ZN7rocprim17ROCPRIM_400000_NS6detail17trampoline_kernelINS0_14default_configENS1_35radix_sort_onesweep_config_selectorIiNS0_10empty_typeEEEZZNS1_29radix_sort_onesweep_iterationIS3_Lb0EN6thrust23THRUST_200600_302600_NS6detail15normal_iteratorINS9_10device_ptrIiEEEESE_PS5_SF_jNS0_19identity_decomposerENS1_16block_id_wrapperIjLb1EEEEE10hipError_tT1_PNSt15iterator_traitsISK_E10value_typeET2_T3_PNSL_ISQ_E10value_typeET4_T5_PSV_SW_PNS1_23onesweep_lookback_stateEbbT6_jjT7_P12ihipStream_tbENKUlT_T0_SK_SP_E_clISE_PiSF_SF_EEDaS13_S14_SK_SP_EUlS13_E_NS1_11comp_targetILNS1_3genE4ELNS1_11target_archE910ELNS1_3gpuE8ELNS1_3repE0EEENS1_47radix_sort_onesweep_sort_config_static_selectorELNS0_4arch9wavefront6targetE1EEEvSK_ ; -- Begin function _ZN7rocprim17ROCPRIM_400000_NS6detail17trampoline_kernelINS0_14default_configENS1_35radix_sort_onesweep_config_selectorIiNS0_10empty_typeEEEZZNS1_29radix_sort_onesweep_iterationIS3_Lb0EN6thrust23THRUST_200600_302600_NS6detail15normal_iteratorINS9_10device_ptrIiEEEESE_PS5_SF_jNS0_19identity_decomposerENS1_16block_id_wrapperIjLb1EEEEE10hipError_tT1_PNSt15iterator_traitsISK_E10value_typeET2_T3_PNSL_ISQ_E10value_typeET4_T5_PSV_SW_PNS1_23onesweep_lookback_stateEbbT6_jjT7_P12ihipStream_tbENKUlT_T0_SK_SP_E_clISE_PiSF_SF_EEDaS13_S14_SK_SP_EUlS13_E_NS1_11comp_targetILNS1_3genE4ELNS1_11target_archE910ELNS1_3gpuE8ELNS1_3repE0EEENS1_47radix_sort_onesweep_sort_config_static_selectorELNS0_4arch9wavefront6targetE1EEEvSK_
	.globl	_ZN7rocprim17ROCPRIM_400000_NS6detail17trampoline_kernelINS0_14default_configENS1_35radix_sort_onesweep_config_selectorIiNS0_10empty_typeEEEZZNS1_29radix_sort_onesweep_iterationIS3_Lb0EN6thrust23THRUST_200600_302600_NS6detail15normal_iteratorINS9_10device_ptrIiEEEESE_PS5_SF_jNS0_19identity_decomposerENS1_16block_id_wrapperIjLb1EEEEE10hipError_tT1_PNSt15iterator_traitsISK_E10value_typeET2_T3_PNSL_ISQ_E10value_typeET4_T5_PSV_SW_PNS1_23onesweep_lookback_stateEbbT6_jjT7_P12ihipStream_tbENKUlT_T0_SK_SP_E_clISE_PiSF_SF_EEDaS13_S14_SK_SP_EUlS13_E_NS1_11comp_targetILNS1_3genE4ELNS1_11target_archE910ELNS1_3gpuE8ELNS1_3repE0EEENS1_47radix_sort_onesweep_sort_config_static_selectorELNS0_4arch9wavefront6targetE1EEEvSK_
	.p2align	8
	.type	_ZN7rocprim17ROCPRIM_400000_NS6detail17trampoline_kernelINS0_14default_configENS1_35radix_sort_onesweep_config_selectorIiNS0_10empty_typeEEEZZNS1_29radix_sort_onesweep_iterationIS3_Lb0EN6thrust23THRUST_200600_302600_NS6detail15normal_iteratorINS9_10device_ptrIiEEEESE_PS5_SF_jNS0_19identity_decomposerENS1_16block_id_wrapperIjLb1EEEEE10hipError_tT1_PNSt15iterator_traitsISK_E10value_typeET2_T3_PNSL_ISQ_E10value_typeET4_T5_PSV_SW_PNS1_23onesweep_lookback_stateEbbT6_jjT7_P12ihipStream_tbENKUlT_T0_SK_SP_E_clISE_PiSF_SF_EEDaS13_S14_SK_SP_EUlS13_E_NS1_11comp_targetILNS1_3genE4ELNS1_11target_archE910ELNS1_3gpuE8ELNS1_3repE0EEENS1_47radix_sort_onesweep_sort_config_static_selectorELNS0_4arch9wavefront6targetE1EEEvSK_,@function
_ZN7rocprim17ROCPRIM_400000_NS6detail17trampoline_kernelINS0_14default_configENS1_35radix_sort_onesweep_config_selectorIiNS0_10empty_typeEEEZZNS1_29radix_sort_onesweep_iterationIS3_Lb0EN6thrust23THRUST_200600_302600_NS6detail15normal_iteratorINS9_10device_ptrIiEEEESE_PS5_SF_jNS0_19identity_decomposerENS1_16block_id_wrapperIjLb1EEEEE10hipError_tT1_PNSt15iterator_traitsISK_E10value_typeET2_T3_PNSL_ISQ_E10value_typeET4_T5_PSV_SW_PNS1_23onesweep_lookback_stateEbbT6_jjT7_P12ihipStream_tbENKUlT_T0_SK_SP_E_clISE_PiSF_SF_EEDaS13_S14_SK_SP_EUlS13_E_NS1_11comp_targetILNS1_3genE4ELNS1_11target_archE910ELNS1_3gpuE8ELNS1_3repE0EEENS1_47radix_sort_onesweep_sort_config_static_selectorELNS0_4arch9wavefront6targetE1EEEvSK_: ; @_ZN7rocprim17ROCPRIM_400000_NS6detail17trampoline_kernelINS0_14default_configENS1_35radix_sort_onesweep_config_selectorIiNS0_10empty_typeEEEZZNS1_29radix_sort_onesweep_iterationIS3_Lb0EN6thrust23THRUST_200600_302600_NS6detail15normal_iteratorINS9_10device_ptrIiEEEESE_PS5_SF_jNS0_19identity_decomposerENS1_16block_id_wrapperIjLb1EEEEE10hipError_tT1_PNSt15iterator_traitsISK_E10value_typeET2_T3_PNSL_ISQ_E10value_typeET4_T5_PSV_SW_PNS1_23onesweep_lookback_stateEbbT6_jjT7_P12ihipStream_tbENKUlT_T0_SK_SP_E_clISE_PiSF_SF_EEDaS13_S14_SK_SP_EUlS13_E_NS1_11comp_targetILNS1_3genE4ELNS1_11target_archE910ELNS1_3gpuE8ELNS1_3repE0EEENS1_47radix_sort_onesweep_sort_config_static_selectorELNS0_4arch9wavefront6targetE1EEEvSK_
; %bb.0:
	.section	.rodata,"a",@progbits
	.p2align	6, 0x0
	.amdhsa_kernel _ZN7rocprim17ROCPRIM_400000_NS6detail17trampoline_kernelINS0_14default_configENS1_35radix_sort_onesweep_config_selectorIiNS0_10empty_typeEEEZZNS1_29radix_sort_onesweep_iterationIS3_Lb0EN6thrust23THRUST_200600_302600_NS6detail15normal_iteratorINS9_10device_ptrIiEEEESE_PS5_SF_jNS0_19identity_decomposerENS1_16block_id_wrapperIjLb1EEEEE10hipError_tT1_PNSt15iterator_traitsISK_E10value_typeET2_T3_PNSL_ISQ_E10value_typeET4_T5_PSV_SW_PNS1_23onesweep_lookback_stateEbbT6_jjT7_P12ihipStream_tbENKUlT_T0_SK_SP_E_clISE_PiSF_SF_EEDaS13_S14_SK_SP_EUlS13_E_NS1_11comp_targetILNS1_3genE4ELNS1_11target_archE910ELNS1_3gpuE8ELNS1_3repE0EEENS1_47radix_sort_onesweep_sort_config_static_selectorELNS0_4arch9wavefront6targetE1EEEvSK_
		.amdhsa_group_segment_fixed_size 0
		.amdhsa_private_segment_fixed_size 0
		.amdhsa_kernarg_size 88
		.amdhsa_user_sgpr_count 2
		.amdhsa_user_sgpr_dispatch_ptr 0
		.amdhsa_user_sgpr_queue_ptr 0
		.amdhsa_user_sgpr_kernarg_segment_ptr 1
		.amdhsa_user_sgpr_dispatch_id 0
		.amdhsa_user_sgpr_kernarg_preload_length 0
		.amdhsa_user_sgpr_kernarg_preload_offset 0
		.amdhsa_user_sgpr_private_segment_size 0
		.amdhsa_uses_dynamic_stack 0
		.amdhsa_enable_private_segment 0
		.amdhsa_system_sgpr_workgroup_id_x 1
		.amdhsa_system_sgpr_workgroup_id_y 0
		.amdhsa_system_sgpr_workgroup_id_z 0
		.amdhsa_system_sgpr_workgroup_info 0
		.amdhsa_system_vgpr_workitem_id 0
		.amdhsa_next_free_vgpr 1
		.amdhsa_next_free_sgpr 0
		.amdhsa_accum_offset 4
		.amdhsa_reserve_vcc 0
		.amdhsa_float_round_mode_32 0
		.amdhsa_float_round_mode_16_64 0
		.amdhsa_float_denorm_mode_32 3
		.amdhsa_float_denorm_mode_16_64 3
		.amdhsa_dx10_clamp 1
		.amdhsa_ieee_mode 1
		.amdhsa_fp16_overflow 0
		.amdhsa_tg_split 0
		.amdhsa_exception_fp_ieee_invalid_op 0
		.amdhsa_exception_fp_denorm_src 0
		.amdhsa_exception_fp_ieee_div_zero 0
		.amdhsa_exception_fp_ieee_overflow 0
		.amdhsa_exception_fp_ieee_underflow 0
		.amdhsa_exception_fp_ieee_inexact 0
		.amdhsa_exception_int_div_zero 0
	.end_amdhsa_kernel
	.section	.text._ZN7rocprim17ROCPRIM_400000_NS6detail17trampoline_kernelINS0_14default_configENS1_35radix_sort_onesweep_config_selectorIiNS0_10empty_typeEEEZZNS1_29radix_sort_onesweep_iterationIS3_Lb0EN6thrust23THRUST_200600_302600_NS6detail15normal_iteratorINS9_10device_ptrIiEEEESE_PS5_SF_jNS0_19identity_decomposerENS1_16block_id_wrapperIjLb1EEEEE10hipError_tT1_PNSt15iterator_traitsISK_E10value_typeET2_T3_PNSL_ISQ_E10value_typeET4_T5_PSV_SW_PNS1_23onesweep_lookback_stateEbbT6_jjT7_P12ihipStream_tbENKUlT_T0_SK_SP_E_clISE_PiSF_SF_EEDaS13_S14_SK_SP_EUlS13_E_NS1_11comp_targetILNS1_3genE4ELNS1_11target_archE910ELNS1_3gpuE8ELNS1_3repE0EEENS1_47radix_sort_onesweep_sort_config_static_selectorELNS0_4arch9wavefront6targetE1EEEvSK_,"axG",@progbits,_ZN7rocprim17ROCPRIM_400000_NS6detail17trampoline_kernelINS0_14default_configENS1_35radix_sort_onesweep_config_selectorIiNS0_10empty_typeEEEZZNS1_29radix_sort_onesweep_iterationIS3_Lb0EN6thrust23THRUST_200600_302600_NS6detail15normal_iteratorINS9_10device_ptrIiEEEESE_PS5_SF_jNS0_19identity_decomposerENS1_16block_id_wrapperIjLb1EEEEE10hipError_tT1_PNSt15iterator_traitsISK_E10value_typeET2_T3_PNSL_ISQ_E10value_typeET4_T5_PSV_SW_PNS1_23onesweep_lookback_stateEbbT6_jjT7_P12ihipStream_tbENKUlT_T0_SK_SP_E_clISE_PiSF_SF_EEDaS13_S14_SK_SP_EUlS13_E_NS1_11comp_targetILNS1_3genE4ELNS1_11target_archE910ELNS1_3gpuE8ELNS1_3repE0EEENS1_47radix_sort_onesweep_sort_config_static_selectorELNS0_4arch9wavefront6targetE1EEEvSK_,comdat
.Lfunc_end172:
	.size	_ZN7rocprim17ROCPRIM_400000_NS6detail17trampoline_kernelINS0_14default_configENS1_35radix_sort_onesweep_config_selectorIiNS0_10empty_typeEEEZZNS1_29radix_sort_onesweep_iterationIS3_Lb0EN6thrust23THRUST_200600_302600_NS6detail15normal_iteratorINS9_10device_ptrIiEEEESE_PS5_SF_jNS0_19identity_decomposerENS1_16block_id_wrapperIjLb1EEEEE10hipError_tT1_PNSt15iterator_traitsISK_E10value_typeET2_T3_PNSL_ISQ_E10value_typeET4_T5_PSV_SW_PNS1_23onesweep_lookback_stateEbbT6_jjT7_P12ihipStream_tbENKUlT_T0_SK_SP_E_clISE_PiSF_SF_EEDaS13_S14_SK_SP_EUlS13_E_NS1_11comp_targetILNS1_3genE4ELNS1_11target_archE910ELNS1_3gpuE8ELNS1_3repE0EEENS1_47radix_sort_onesweep_sort_config_static_selectorELNS0_4arch9wavefront6targetE1EEEvSK_, .Lfunc_end172-_ZN7rocprim17ROCPRIM_400000_NS6detail17trampoline_kernelINS0_14default_configENS1_35radix_sort_onesweep_config_selectorIiNS0_10empty_typeEEEZZNS1_29radix_sort_onesweep_iterationIS3_Lb0EN6thrust23THRUST_200600_302600_NS6detail15normal_iteratorINS9_10device_ptrIiEEEESE_PS5_SF_jNS0_19identity_decomposerENS1_16block_id_wrapperIjLb1EEEEE10hipError_tT1_PNSt15iterator_traitsISK_E10value_typeET2_T3_PNSL_ISQ_E10value_typeET4_T5_PSV_SW_PNS1_23onesweep_lookback_stateEbbT6_jjT7_P12ihipStream_tbENKUlT_T0_SK_SP_E_clISE_PiSF_SF_EEDaS13_S14_SK_SP_EUlS13_E_NS1_11comp_targetILNS1_3genE4ELNS1_11target_archE910ELNS1_3gpuE8ELNS1_3repE0EEENS1_47radix_sort_onesweep_sort_config_static_selectorELNS0_4arch9wavefront6targetE1EEEvSK_
                                        ; -- End function
	.set _ZN7rocprim17ROCPRIM_400000_NS6detail17trampoline_kernelINS0_14default_configENS1_35radix_sort_onesweep_config_selectorIiNS0_10empty_typeEEEZZNS1_29radix_sort_onesweep_iterationIS3_Lb0EN6thrust23THRUST_200600_302600_NS6detail15normal_iteratorINS9_10device_ptrIiEEEESE_PS5_SF_jNS0_19identity_decomposerENS1_16block_id_wrapperIjLb1EEEEE10hipError_tT1_PNSt15iterator_traitsISK_E10value_typeET2_T3_PNSL_ISQ_E10value_typeET4_T5_PSV_SW_PNS1_23onesweep_lookback_stateEbbT6_jjT7_P12ihipStream_tbENKUlT_T0_SK_SP_E_clISE_PiSF_SF_EEDaS13_S14_SK_SP_EUlS13_E_NS1_11comp_targetILNS1_3genE4ELNS1_11target_archE910ELNS1_3gpuE8ELNS1_3repE0EEENS1_47radix_sort_onesweep_sort_config_static_selectorELNS0_4arch9wavefront6targetE1EEEvSK_.num_vgpr, 0
	.set _ZN7rocprim17ROCPRIM_400000_NS6detail17trampoline_kernelINS0_14default_configENS1_35radix_sort_onesweep_config_selectorIiNS0_10empty_typeEEEZZNS1_29radix_sort_onesweep_iterationIS3_Lb0EN6thrust23THRUST_200600_302600_NS6detail15normal_iteratorINS9_10device_ptrIiEEEESE_PS5_SF_jNS0_19identity_decomposerENS1_16block_id_wrapperIjLb1EEEEE10hipError_tT1_PNSt15iterator_traitsISK_E10value_typeET2_T3_PNSL_ISQ_E10value_typeET4_T5_PSV_SW_PNS1_23onesweep_lookback_stateEbbT6_jjT7_P12ihipStream_tbENKUlT_T0_SK_SP_E_clISE_PiSF_SF_EEDaS13_S14_SK_SP_EUlS13_E_NS1_11comp_targetILNS1_3genE4ELNS1_11target_archE910ELNS1_3gpuE8ELNS1_3repE0EEENS1_47radix_sort_onesweep_sort_config_static_selectorELNS0_4arch9wavefront6targetE1EEEvSK_.num_agpr, 0
	.set _ZN7rocprim17ROCPRIM_400000_NS6detail17trampoline_kernelINS0_14default_configENS1_35radix_sort_onesweep_config_selectorIiNS0_10empty_typeEEEZZNS1_29radix_sort_onesweep_iterationIS3_Lb0EN6thrust23THRUST_200600_302600_NS6detail15normal_iteratorINS9_10device_ptrIiEEEESE_PS5_SF_jNS0_19identity_decomposerENS1_16block_id_wrapperIjLb1EEEEE10hipError_tT1_PNSt15iterator_traitsISK_E10value_typeET2_T3_PNSL_ISQ_E10value_typeET4_T5_PSV_SW_PNS1_23onesweep_lookback_stateEbbT6_jjT7_P12ihipStream_tbENKUlT_T0_SK_SP_E_clISE_PiSF_SF_EEDaS13_S14_SK_SP_EUlS13_E_NS1_11comp_targetILNS1_3genE4ELNS1_11target_archE910ELNS1_3gpuE8ELNS1_3repE0EEENS1_47radix_sort_onesweep_sort_config_static_selectorELNS0_4arch9wavefront6targetE1EEEvSK_.numbered_sgpr, 0
	.set _ZN7rocprim17ROCPRIM_400000_NS6detail17trampoline_kernelINS0_14default_configENS1_35radix_sort_onesweep_config_selectorIiNS0_10empty_typeEEEZZNS1_29radix_sort_onesweep_iterationIS3_Lb0EN6thrust23THRUST_200600_302600_NS6detail15normal_iteratorINS9_10device_ptrIiEEEESE_PS5_SF_jNS0_19identity_decomposerENS1_16block_id_wrapperIjLb1EEEEE10hipError_tT1_PNSt15iterator_traitsISK_E10value_typeET2_T3_PNSL_ISQ_E10value_typeET4_T5_PSV_SW_PNS1_23onesweep_lookback_stateEbbT6_jjT7_P12ihipStream_tbENKUlT_T0_SK_SP_E_clISE_PiSF_SF_EEDaS13_S14_SK_SP_EUlS13_E_NS1_11comp_targetILNS1_3genE4ELNS1_11target_archE910ELNS1_3gpuE8ELNS1_3repE0EEENS1_47radix_sort_onesweep_sort_config_static_selectorELNS0_4arch9wavefront6targetE1EEEvSK_.num_named_barrier, 0
	.set _ZN7rocprim17ROCPRIM_400000_NS6detail17trampoline_kernelINS0_14default_configENS1_35radix_sort_onesweep_config_selectorIiNS0_10empty_typeEEEZZNS1_29radix_sort_onesweep_iterationIS3_Lb0EN6thrust23THRUST_200600_302600_NS6detail15normal_iteratorINS9_10device_ptrIiEEEESE_PS5_SF_jNS0_19identity_decomposerENS1_16block_id_wrapperIjLb1EEEEE10hipError_tT1_PNSt15iterator_traitsISK_E10value_typeET2_T3_PNSL_ISQ_E10value_typeET4_T5_PSV_SW_PNS1_23onesweep_lookback_stateEbbT6_jjT7_P12ihipStream_tbENKUlT_T0_SK_SP_E_clISE_PiSF_SF_EEDaS13_S14_SK_SP_EUlS13_E_NS1_11comp_targetILNS1_3genE4ELNS1_11target_archE910ELNS1_3gpuE8ELNS1_3repE0EEENS1_47radix_sort_onesweep_sort_config_static_selectorELNS0_4arch9wavefront6targetE1EEEvSK_.private_seg_size, 0
	.set _ZN7rocprim17ROCPRIM_400000_NS6detail17trampoline_kernelINS0_14default_configENS1_35radix_sort_onesweep_config_selectorIiNS0_10empty_typeEEEZZNS1_29radix_sort_onesweep_iterationIS3_Lb0EN6thrust23THRUST_200600_302600_NS6detail15normal_iteratorINS9_10device_ptrIiEEEESE_PS5_SF_jNS0_19identity_decomposerENS1_16block_id_wrapperIjLb1EEEEE10hipError_tT1_PNSt15iterator_traitsISK_E10value_typeET2_T3_PNSL_ISQ_E10value_typeET4_T5_PSV_SW_PNS1_23onesweep_lookback_stateEbbT6_jjT7_P12ihipStream_tbENKUlT_T0_SK_SP_E_clISE_PiSF_SF_EEDaS13_S14_SK_SP_EUlS13_E_NS1_11comp_targetILNS1_3genE4ELNS1_11target_archE910ELNS1_3gpuE8ELNS1_3repE0EEENS1_47radix_sort_onesweep_sort_config_static_selectorELNS0_4arch9wavefront6targetE1EEEvSK_.uses_vcc, 0
	.set _ZN7rocprim17ROCPRIM_400000_NS6detail17trampoline_kernelINS0_14default_configENS1_35radix_sort_onesweep_config_selectorIiNS0_10empty_typeEEEZZNS1_29radix_sort_onesweep_iterationIS3_Lb0EN6thrust23THRUST_200600_302600_NS6detail15normal_iteratorINS9_10device_ptrIiEEEESE_PS5_SF_jNS0_19identity_decomposerENS1_16block_id_wrapperIjLb1EEEEE10hipError_tT1_PNSt15iterator_traitsISK_E10value_typeET2_T3_PNSL_ISQ_E10value_typeET4_T5_PSV_SW_PNS1_23onesweep_lookback_stateEbbT6_jjT7_P12ihipStream_tbENKUlT_T0_SK_SP_E_clISE_PiSF_SF_EEDaS13_S14_SK_SP_EUlS13_E_NS1_11comp_targetILNS1_3genE4ELNS1_11target_archE910ELNS1_3gpuE8ELNS1_3repE0EEENS1_47radix_sort_onesweep_sort_config_static_selectorELNS0_4arch9wavefront6targetE1EEEvSK_.uses_flat_scratch, 0
	.set _ZN7rocprim17ROCPRIM_400000_NS6detail17trampoline_kernelINS0_14default_configENS1_35radix_sort_onesweep_config_selectorIiNS0_10empty_typeEEEZZNS1_29radix_sort_onesweep_iterationIS3_Lb0EN6thrust23THRUST_200600_302600_NS6detail15normal_iteratorINS9_10device_ptrIiEEEESE_PS5_SF_jNS0_19identity_decomposerENS1_16block_id_wrapperIjLb1EEEEE10hipError_tT1_PNSt15iterator_traitsISK_E10value_typeET2_T3_PNSL_ISQ_E10value_typeET4_T5_PSV_SW_PNS1_23onesweep_lookback_stateEbbT6_jjT7_P12ihipStream_tbENKUlT_T0_SK_SP_E_clISE_PiSF_SF_EEDaS13_S14_SK_SP_EUlS13_E_NS1_11comp_targetILNS1_3genE4ELNS1_11target_archE910ELNS1_3gpuE8ELNS1_3repE0EEENS1_47radix_sort_onesweep_sort_config_static_selectorELNS0_4arch9wavefront6targetE1EEEvSK_.has_dyn_sized_stack, 0
	.set _ZN7rocprim17ROCPRIM_400000_NS6detail17trampoline_kernelINS0_14default_configENS1_35radix_sort_onesweep_config_selectorIiNS0_10empty_typeEEEZZNS1_29radix_sort_onesweep_iterationIS3_Lb0EN6thrust23THRUST_200600_302600_NS6detail15normal_iteratorINS9_10device_ptrIiEEEESE_PS5_SF_jNS0_19identity_decomposerENS1_16block_id_wrapperIjLb1EEEEE10hipError_tT1_PNSt15iterator_traitsISK_E10value_typeET2_T3_PNSL_ISQ_E10value_typeET4_T5_PSV_SW_PNS1_23onesweep_lookback_stateEbbT6_jjT7_P12ihipStream_tbENKUlT_T0_SK_SP_E_clISE_PiSF_SF_EEDaS13_S14_SK_SP_EUlS13_E_NS1_11comp_targetILNS1_3genE4ELNS1_11target_archE910ELNS1_3gpuE8ELNS1_3repE0EEENS1_47radix_sort_onesweep_sort_config_static_selectorELNS0_4arch9wavefront6targetE1EEEvSK_.has_recursion, 0
	.set _ZN7rocprim17ROCPRIM_400000_NS6detail17trampoline_kernelINS0_14default_configENS1_35radix_sort_onesweep_config_selectorIiNS0_10empty_typeEEEZZNS1_29radix_sort_onesweep_iterationIS3_Lb0EN6thrust23THRUST_200600_302600_NS6detail15normal_iteratorINS9_10device_ptrIiEEEESE_PS5_SF_jNS0_19identity_decomposerENS1_16block_id_wrapperIjLb1EEEEE10hipError_tT1_PNSt15iterator_traitsISK_E10value_typeET2_T3_PNSL_ISQ_E10value_typeET4_T5_PSV_SW_PNS1_23onesweep_lookback_stateEbbT6_jjT7_P12ihipStream_tbENKUlT_T0_SK_SP_E_clISE_PiSF_SF_EEDaS13_S14_SK_SP_EUlS13_E_NS1_11comp_targetILNS1_3genE4ELNS1_11target_archE910ELNS1_3gpuE8ELNS1_3repE0EEENS1_47radix_sort_onesweep_sort_config_static_selectorELNS0_4arch9wavefront6targetE1EEEvSK_.has_indirect_call, 0
	.section	.AMDGPU.csdata,"",@progbits
; Kernel info:
; codeLenInByte = 0
; TotalNumSgprs: 6
; NumVgprs: 0
; NumAgprs: 0
; TotalNumVgprs: 0
; ScratchSize: 0
; MemoryBound: 0
; FloatMode: 240
; IeeeMode: 1
; LDSByteSize: 0 bytes/workgroup (compile time only)
; SGPRBlocks: 0
; VGPRBlocks: 0
; NumSGPRsForWavesPerEU: 6
; NumVGPRsForWavesPerEU: 1
; AccumOffset: 4
; Occupancy: 8
; WaveLimiterHint : 0
; COMPUTE_PGM_RSRC2:SCRATCH_EN: 0
; COMPUTE_PGM_RSRC2:USER_SGPR: 2
; COMPUTE_PGM_RSRC2:TRAP_HANDLER: 0
; COMPUTE_PGM_RSRC2:TGID_X_EN: 1
; COMPUTE_PGM_RSRC2:TGID_Y_EN: 0
; COMPUTE_PGM_RSRC2:TGID_Z_EN: 0
; COMPUTE_PGM_RSRC2:TIDIG_COMP_CNT: 0
; COMPUTE_PGM_RSRC3_GFX90A:ACCUM_OFFSET: 0
; COMPUTE_PGM_RSRC3_GFX90A:TG_SPLIT: 0
	.section	.text._ZN7rocprim17ROCPRIM_400000_NS6detail17trampoline_kernelINS0_14default_configENS1_35radix_sort_onesweep_config_selectorIiNS0_10empty_typeEEEZZNS1_29radix_sort_onesweep_iterationIS3_Lb0EN6thrust23THRUST_200600_302600_NS6detail15normal_iteratorINS9_10device_ptrIiEEEESE_PS5_SF_jNS0_19identity_decomposerENS1_16block_id_wrapperIjLb1EEEEE10hipError_tT1_PNSt15iterator_traitsISK_E10value_typeET2_T3_PNSL_ISQ_E10value_typeET4_T5_PSV_SW_PNS1_23onesweep_lookback_stateEbbT6_jjT7_P12ihipStream_tbENKUlT_T0_SK_SP_E_clISE_PiSF_SF_EEDaS13_S14_SK_SP_EUlS13_E_NS1_11comp_targetILNS1_3genE3ELNS1_11target_archE908ELNS1_3gpuE7ELNS1_3repE0EEENS1_47radix_sort_onesweep_sort_config_static_selectorELNS0_4arch9wavefront6targetE1EEEvSK_,"axG",@progbits,_ZN7rocprim17ROCPRIM_400000_NS6detail17trampoline_kernelINS0_14default_configENS1_35radix_sort_onesweep_config_selectorIiNS0_10empty_typeEEEZZNS1_29radix_sort_onesweep_iterationIS3_Lb0EN6thrust23THRUST_200600_302600_NS6detail15normal_iteratorINS9_10device_ptrIiEEEESE_PS5_SF_jNS0_19identity_decomposerENS1_16block_id_wrapperIjLb1EEEEE10hipError_tT1_PNSt15iterator_traitsISK_E10value_typeET2_T3_PNSL_ISQ_E10value_typeET4_T5_PSV_SW_PNS1_23onesweep_lookback_stateEbbT6_jjT7_P12ihipStream_tbENKUlT_T0_SK_SP_E_clISE_PiSF_SF_EEDaS13_S14_SK_SP_EUlS13_E_NS1_11comp_targetILNS1_3genE3ELNS1_11target_archE908ELNS1_3gpuE7ELNS1_3repE0EEENS1_47radix_sort_onesweep_sort_config_static_selectorELNS0_4arch9wavefront6targetE1EEEvSK_,comdat
	.protected	_ZN7rocprim17ROCPRIM_400000_NS6detail17trampoline_kernelINS0_14default_configENS1_35radix_sort_onesweep_config_selectorIiNS0_10empty_typeEEEZZNS1_29radix_sort_onesweep_iterationIS3_Lb0EN6thrust23THRUST_200600_302600_NS6detail15normal_iteratorINS9_10device_ptrIiEEEESE_PS5_SF_jNS0_19identity_decomposerENS1_16block_id_wrapperIjLb1EEEEE10hipError_tT1_PNSt15iterator_traitsISK_E10value_typeET2_T3_PNSL_ISQ_E10value_typeET4_T5_PSV_SW_PNS1_23onesweep_lookback_stateEbbT6_jjT7_P12ihipStream_tbENKUlT_T0_SK_SP_E_clISE_PiSF_SF_EEDaS13_S14_SK_SP_EUlS13_E_NS1_11comp_targetILNS1_3genE3ELNS1_11target_archE908ELNS1_3gpuE7ELNS1_3repE0EEENS1_47radix_sort_onesweep_sort_config_static_selectorELNS0_4arch9wavefront6targetE1EEEvSK_ ; -- Begin function _ZN7rocprim17ROCPRIM_400000_NS6detail17trampoline_kernelINS0_14default_configENS1_35radix_sort_onesweep_config_selectorIiNS0_10empty_typeEEEZZNS1_29radix_sort_onesweep_iterationIS3_Lb0EN6thrust23THRUST_200600_302600_NS6detail15normal_iteratorINS9_10device_ptrIiEEEESE_PS5_SF_jNS0_19identity_decomposerENS1_16block_id_wrapperIjLb1EEEEE10hipError_tT1_PNSt15iterator_traitsISK_E10value_typeET2_T3_PNSL_ISQ_E10value_typeET4_T5_PSV_SW_PNS1_23onesweep_lookback_stateEbbT6_jjT7_P12ihipStream_tbENKUlT_T0_SK_SP_E_clISE_PiSF_SF_EEDaS13_S14_SK_SP_EUlS13_E_NS1_11comp_targetILNS1_3genE3ELNS1_11target_archE908ELNS1_3gpuE7ELNS1_3repE0EEENS1_47radix_sort_onesweep_sort_config_static_selectorELNS0_4arch9wavefront6targetE1EEEvSK_
	.globl	_ZN7rocprim17ROCPRIM_400000_NS6detail17trampoline_kernelINS0_14default_configENS1_35radix_sort_onesweep_config_selectorIiNS0_10empty_typeEEEZZNS1_29radix_sort_onesweep_iterationIS3_Lb0EN6thrust23THRUST_200600_302600_NS6detail15normal_iteratorINS9_10device_ptrIiEEEESE_PS5_SF_jNS0_19identity_decomposerENS1_16block_id_wrapperIjLb1EEEEE10hipError_tT1_PNSt15iterator_traitsISK_E10value_typeET2_T3_PNSL_ISQ_E10value_typeET4_T5_PSV_SW_PNS1_23onesweep_lookback_stateEbbT6_jjT7_P12ihipStream_tbENKUlT_T0_SK_SP_E_clISE_PiSF_SF_EEDaS13_S14_SK_SP_EUlS13_E_NS1_11comp_targetILNS1_3genE3ELNS1_11target_archE908ELNS1_3gpuE7ELNS1_3repE0EEENS1_47radix_sort_onesweep_sort_config_static_selectorELNS0_4arch9wavefront6targetE1EEEvSK_
	.p2align	8
	.type	_ZN7rocprim17ROCPRIM_400000_NS6detail17trampoline_kernelINS0_14default_configENS1_35radix_sort_onesweep_config_selectorIiNS0_10empty_typeEEEZZNS1_29radix_sort_onesweep_iterationIS3_Lb0EN6thrust23THRUST_200600_302600_NS6detail15normal_iteratorINS9_10device_ptrIiEEEESE_PS5_SF_jNS0_19identity_decomposerENS1_16block_id_wrapperIjLb1EEEEE10hipError_tT1_PNSt15iterator_traitsISK_E10value_typeET2_T3_PNSL_ISQ_E10value_typeET4_T5_PSV_SW_PNS1_23onesweep_lookback_stateEbbT6_jjT7_P12ihipStream_tbENKUlT_T0_SK_SP_E_clISE_PiSF_SF_EEDaS13_S14_SK_SP_EUlS13_E_NS1_11comp_targetILNS1_3genE3ELNS1_11target_archE908ELNS1_3gpuE7ELNS1_3repE0EEENS1_47radix_sort_onesweep_sort_config_static_selectorELNS0_4arch9wavefront6targetE1EEEvSK_,@function
_ZN7rocprim17ROCPRIM_400000_NS6detail17trampoline_kernelINS0_14default_configENS1_35radix_sort_onesweep_config_selectorIiNS0_10empty_typeEEEZZNS1_29radix_sort_onesweep_iterationIS3_Lb0EN6thrust23THRUST_200600_302600_NS6detail15normal_iteratorINS9_10device_ptrIiEEEESE_PS5_SF_jNS0_19identity_decomposerENS1_16block_id_wrapperIjLb1EEEEE10hipError_tT1_PNSt15iterator_traitsISK_E10value_typeET2_T3_PNSL_ISQ_E10value_typeET4_T5_PSV_SW_PNS1_23onesweep_lookback_stateEbbT6_jjT7_P12ihipStream_tbENKUlT_T0_SK_SP_E_clISE_PiSF_SF_EEDaS13_S14_SK_SP_EUlS13_E_NS1_11comp_targetILNS1_3genE3ELNS1_11target_archE908ELNS1_3gpuE7ELNS1_3repE0EEENS1_47radix_sort_onesweep_sort_config_static_selectorELNS0_4arch9wavefront6targetE1EEEvSK_: ; @_ZN7rocprim17ROCPRIM_400000_NS6detail17trampoline_kernelINS0_14default_configENS1_35radix_sort_onesweep_config_selectorIiNS0_10empty_typeEEEZZNS1_29radix_sort_onesweep_iterationIS3_Lb0EN6thrust23THRUST_200600_302600_NS6detail15normal_iteratorINS9_10device_ptrIiEEEESE_PS5_SF_jNS0_19identity_decomposerENS1_16block_id_wrapperIjLb1EEEEE10hipError_tT1_PNSt15iterator_traitsISK_E10value_typeET2_T3_PNSL_ISQ_E10value_typeET4_T5_PSV_SW_PNS1_23onesweep_lookback_stateEbbT6_jjT7_P12ihipStream_tbENKUlT_T0_SK_SP_E_clISE_PiSF_SF_EEDaS13_S14_SK_SP_EUlS13_E_NS1_11comp_targetILNS1_3genE3ELNS1_11target_archE908ELNS1_3gpuE7ELNS1_3repE0EEENS1_47radix_sort_onesweep_sort_config_static_selectorELNS0_4arch9wavefront6targetE1EEEvSK_
; %bb.0:
	.section	.rodata,"a",@progbits
	.p2align	6, 0x0
	.amdhsa_kernel _ZN7rocprim17ROCPRIM_400000_NS6detail17trampoline_kernelINS0_14default_configENS1_35radix_sort_onesweep_config_selectorIiNS0_10empty_typeEEEZZNS1_29radix_sort_onesweep_iterationIS3_Lb0EN6thrust23THRUST_200600_302600_NS6detail15normal_iteratorINS9_10device_ptrIiEEEESE_PS5_SF_jNS0_19identity_decomposerENS1_16block_id_wrapperIjLb1EEEEE10hipError_tT1_PNSt15iterator_traitsISK_E10value_typeET2_T3_PNSL_ISQ_E10value_typeET4_T5_PSV_SW_PNS1_23onesweep_lookback_stateEbbT6_jjT7_P12ihipStream_tbENKUlT_T0_SK_SP_E_clISE_PiSF_SF_EEDaS13_S14_SK_SP_EUlS13_E_NS1_11comp_targetILNS1_3genE3ELNS1_11target_archE908ELNS1_3gpuE7ELNS1_3repE0EEENS1_47radix_sort_onesweep_sort_config_static_selectorELNS0_4arch9wavefront6targetE1EEEvSK_
		.amdhsa_group_segment_fixed_size 0
		.amdhsa_private_segment_fixed_size 0
		.amdhsa_kernarg_size 88
		.amdhsa_user_sgpr_count 2
		.amdhsa_user_sgpr_dispatch_ptr 0
		.amdhsa_user_sgpr_queue_ptr 0
		.amdhsa_user_sgpr_kernarg_segment_ptr 1
		.amdhsa_user_sgpr_dispatch_id 0
		.amdhsa_user_sgpr_kernarg_preload_length 0
		.amdhsa_user_sgpr_kernarg_preload_offset 0
		.amdhsa_user_sgpr_private_segment_size 0
		.amdhsa_uses_dynamic_stack 0
		.amdhsa_enable_private_segment 0
		.amdhsa_system_sgpr_workgroup_id_x 1
		.amdhsa_system_sgpr_workgroup_id_y 0
		.amdhsa_system_sgpr_workgroup_id_z 0
		.amdhsa_system_sgpr_workgroup_info 0
		.amdhsa_system_vgpr_workitem_id 0
		.amdhsa_next_free_vgpr 1
		.amdhsa_next_free_sgpr 0
		.amdhsa_accum_offset 4
		.amdhsa_reserve_vcc 0
		.amdhsa_float_round_mode_32 0
		.amdhsa_float_round_mode_16_64 0
		.amdhsa_float_denorm_mode_32 3
		.amdhsa_float_denorm_mode_16_64 3
		.amdhsa_dx10_clamp 1
		.amdhsa_ieee_mode 1
		.amdhsa_fp16_overflow 0
		.amdhsa_tg_split 0
		.amdhsa_exception_fp_ieee_invalid_op 0
		.amdhsa_exception_fp_denorm_src 0
		.amdhsa_exception_fp_ieee_div_zero 0
		.amdhsa_exception_fp_ieee_overflow 0
		.amdhsa_exception_fp_ieee_underflow 0
		.amdhsa_exception_fp_ieee_inexact 0
		.amdhsa_exception_int_div_zero 0
	.end_amdhsa_kernel
	.section	.text._ZN7rocprim17ROCPRIM_400000_NS6detail17trampoline_kernelINS0_14default_configENS1_35radix_sort_onesweep_config_selectorIiNS0_10empty_typeEEEZZNS1_29radix_sort_onesweep_iterationIS3_Lb0EN6thrust23THRUST_200600_302600_NS6detail15normal_iteratorINS9_10device_ptrIiEEEESE_PS5_SF_jNS0_19identity_decomposerENS1_16block_id_wrapperIjLb1EEEEE10hipError_tT1_PNSt15iterator_traitsISK_E10value_typeET2_T3_PNSL_ISQ_E10value_typeET4_T5_PSV_SW_PNS1_23onesweep_lookback_stateEbbT6_jjT7_P12ihipStream_tbENKUlT_T0_SK_SP_E_clISE_PiSF_SF_EEDaS13_S14_SK_SP_EUlS13_E_NS1_11comp_targetILNS1_3genE3ELNS1_11target_archE908ELNS1_3gpuE7ELNS1_3repE0EEENS1_47radix_sort_onesweep_sort_config_static_selectorELNS0_4arch9wavefront6targetE1EEEvSK_,"axG",@progbits,_ZN7rocprim17ROCPRIM_400000_NS6detail17trampoline_kernelINS0_14default_configENS1_35radix_sort_onesweep_config_selectorIiNS0_10empty_typeEEEZZNS1_29radix_sort_onesweep_iterationIS3_Lb0EN6thrust23THRUST_200600_302600_NS6detail15normal_iteratorINS9_10device_ptrIiEEEESE_PS5_SF_jNS0_19identity_decomposerENS1_16block_id_wrapperIjLb1EEEEE10hipError_tT1_PNSt15iterator_traitsISK_E10value_typeET2_T3_PNSL_ISQ_E10value_typeET4_T5_PSV_SW_PNS1_23onesweep_lookback_stateEbbT6_jjT7_P12ihipStream_tbENKUlT_T0_SK_SP_E_clISE_PiSF_SF_EEDaS13_S14_SK_SP_EUlS13_E_NS1_11comp_targetILNS1_3genE3ELNS1_11target_archE908ELNS1_3gpuE7ELNS1_3repE0EEENS1_47radix_sort_onesweep_sort_config_static_selectorELNS0_4arch9wavefront6targetE1EEEvSK_,comdat
.Lfunc_end173:
	.size	_ZN7rocprim17ROCPRIM_400000_NS6detail17trampoline_kernelINS0_14default_configENS1_35radix_sort_onesweep_config_selectorIiNS0_10empty_typeEEEZZNS1_29radix_sort_onesweep_iterationIS3_Lb0EN6thrust23THRUST_200600_302600_NS6detail15normal_iteratorINS9_10device_ptrIiEEEESE_PS5_SF_jNS0_19identity_decomposerENS1_16block_id_wrapperIjLb1EEEEE10hipError_tT1_PNSt15iterator_traitsISK_E10value_typeET2_T3_PNSL_ISQ_E10value_typeET4_T5_PSV_SW_PNS1_23onesweep_lookback_stateEbbT6_jjT7_P12ihipStream_tbENKUlT_T0_SK_SP_E_clISE_PiSF_SF_EEDaS13_S14_SK_SP_EUlS13_E_NS1_11comp_targetILNS1_3genE3ELNS1_11target_archE908ELNS1_3gpuE7ELNS1_3repE0EEENS1_47radix_sort_onesweep_sort_config_static_selectorELNS0_4arch9wavefront6targetE1EEEvSK_, .Lfunc_end173-_ZN7rocprim17ROCPRIM_400000_NS6detail17trampoline_kernelINS0_14default_configENS1_35radix_sort_onesweep_config_selectorIiNS0_10empty_typeEEEZZNS1_29radix_sort_onesweep_iterationIS3_Lb0EN6thrust23THRUST_200600_302600_NS6detail15normal_iteratorINS9_10device_ptrIiEEEESE_PS5_SF_jNS0_19identity_decomposerENS1_16block_id_wrapperIjLb1EEEEE10hipError_tT1_PNSt15iterator_traitsISK_E10value_typeET2_T3_PNSL_ISQ_E10value_typeET4_T5_PSV_SW_PNS1_23onesweep_lookback_stateEbbT6_jjT7_P12ihipStream_tbENKUlT_T0_SK_SP_E_clISE_PiSF_SF_EEDaS13_S14_SK_SP_EUlS13_E_NS1_11comp_targetILNS1_3genE3ELNS1_11target_archE908ELNS1_3gpuE7ELNS1_3repE0EEENS1_47radix_sort_onesweep_sort_config_static_selectorELNS0_4arch9wavefront6targetE1EEEvSK_
                                        ; -- End function
	.set _ZN7rocprim17ROCPRIM_400000_NS6detail17trampoline_kernelINS0_14default_configENS1_35radix_sort_onesweep_config_selectorIiNS0_10empty_typeEEEZZNS1_29radix_sort_onesweep_iterationIS3_Lb0EN6thrust23THRUST_200600_302600_NS6detail15normal_iteratorINS9_10device_ptrIiEEEESE_PS5_SF_jNS0_19identity_decomposerENS1_16block_id_wrapperIjLb1EEEEE10hipError_tT1_PNSt15iterator_traitsISK_E10value_typeET2_T3_PNSL_ISQ_E10value_typeET4_T5_PSV_SW_PNS1_23onesweep_lookback_stateEbbT6_jjT7_P12ihipStream_tbENKUlT_T0_SK_SP_E_clISE_PiSF_SF_EEDaS13_S14_SK_SP_EUlS13_E_NS1_11comp_targetILNS1_3genE3ELNS1_11target_archE908ELNS1_3gpuE7ELNS1_3repE0EEENS1_47radix_sort_onesweep_sort_config_static_selectorELNS0_4arch9wavefront6targetE1EEEvSK_.num_vgpr, 0
	.set _ZN7rocprim17ROCPRIM_400000_NS6detail17trampoline_kernelINS0_14default_configENS1_35radix_sort_onesweep_config_selectorIiNS0_10empty_typeEEEZZNS1_29radix_sort_onesweep_iterationIS3_Lb0EN6thrust23THRUST_200600_302600_NS6detail15normal_iteratorINS9_10device_ptrIiEEEESE_PS5_SF_jNS0_19identity_decomposerENS1_16block_id_wrapperIjLb1EEEEE10hipError_tT1_PNSt15iterator_traitsISK_E10value_typeET2_T3_PNSL_ISQ_E10value_typeET4_T5_PSV_SW_PNS1_23onesweep_lookback_stateEbbT6_jjT7_P12ihipStream_tbENKUlT_T0_SK_SP_E_clISE_PiSF_SF_EEDaS13_S14_SK_SP_EUlS13_E_NS1_11comp_targetILNS1_3genE3ELNS1_11target_archE908ELNS1_3gpuE7ELNS1_3repE0EEENS1_47radix_sort_onesweep_sort_config_static_selectorELNS0_4arch9wavefront6targetE1EEEvSK_.num_agpr, 0
	.set _ZN7rocprim17ROCPRIM_400000_NS6detail17trampoline_kernelINS0_14default_configENS1_35radix_sort_onesweep_config_selectorIiNS0_10empty_typeEEEZZNS1_29radix_sort_onesweep_iterationIS3_Lb0EN6thrust23THRUST_200600_302600_NS6detail15normal_iteratorINS9_10device_ptrIiEEEESE_PS5_SF_jNS0_19identity_decomposerENS1_16block_id_wrapperIjLb1EEEEE10hipError_tT1_PNSt15iterator_traitsISK_E10value_typeET2_T3_PNSL_ISQ_E10value_typeET4_T5_PSV_SW_PNS1_23onesweep_lookback_stateEbbT6_jjT7_P12ihipStream_tbENKUlT_T0_SK_SP_E_clISE_PiSF_SF_EEDaS13_S14_SK_SP_EUlS13_E_NS1_11comp_targetILNS1_3genE3ELNS1_11target_archE908ELNS1_3gpuE7ELNS1_3repE0EEENS1_47radix_sort_onesweep_sort_config_static_selectorELNS0_4arch9wavefront6targetE1EEEvSK_.numbered_sgpr, 0
	.set _ZN7rocprim17ROCPRIM_400000_NS6detail17trampoline_kernelINS0_14default_configENS1_35radix_sort_onesweep_config_selectorIiNS0_10empty_typeEEEZZNS1_29radix_sort_onesweep_iterationIS3_Lb0EN6thrust23THRUST_200600_302600_NS6detail15normal_iteratorINS9_10device_ptrIiEEEESE_PS5_SF_jNS0_19identity_decomposerENS1_16block_id_wrapperIjLb1EEEEE10hipError_tT1_PNSt15iterator_traitsISK_E10value_typeET2_T3_PNSL_ISQ_E10value_typeET4_T5_PSV_SW_PNS1_23onesweep_lookback_stateEbbT6_jjT7_P12ihipStream_tbENKUlT_T0_SK_SP_E_clISE_PiSF_SF_EEDaS13_S14_SK_SP_EUlS13_E_NS1_11comp_targetILNS1_3genE3ELNS1_11target_archE908ELNS1_3gpuE7ELNS1_3repE0EEENS1_47radix_sort_onesweep_sort_config_static_selectorELNS0_4arch9wavefront6targetE1EEEvSK_.num_named_barrier, 0
	.set _ZN7rocprim17ROCPRIM_400000_NS6detail17trampoline_kernelINS0_14default_configENS1_35radix_sort_onesweep_config_selectorIiNS0_10empty_typeEEEZZNS1_29radix_sort_onesweep_iterationIS3_Lb0EN6thrust23THRUST_200600_302600_NS6detail15normal_iteratorINS9_10device_ptrIiEEEESE_PS5_SF_jNS0_19identity_decomposerENS1_16block_id_wrapperIjLb1EEEEE10hipError_tT1_PNSt15iterator_traitsISK_E10value_typeET2_T3_PNSL_ISQ_E10value_typeET4_T5_PSV_SW_PNS1_23onesweep_lookback_stateEbbT6_jjT7_P12ihipStream_tbENKUlT_T0_SK_SP_E_clISE_PiSF_SF_EEDaS13_S14_SK_SP_EUlS13_E_NS1_11comp_targetILNS1_3genE3ELNS1_11target_archE908ELNS1_3gpuE7ELNS1_3repE0EEENS1_47radix_sort_onesweep_sort_config_static_selectorELNS0_4arch9wavefront6targetE1EEEvSK_.private_seg_size, 0
	.set _ZN7rocprim17ROCPRIM_400000_NS6detail17trampoline_kernelINS0_14default_configENS1_35radix_sort_onesweep_config_selectorIiNS0_10empty_typeEEEZZNS1_29radix_sort_onesweep_iterationIS3_Lb0EN6thrust23THRUST_200600_302600_NS6detail15normal_iteratorINS9_10device_ptrIiEEEESE_PS5_SF_jNS0_19identity_decomposerENS1_16block_id_wrapperIjLb1EEEEE10hipError_tT1_PNSt15iterator_traitsISK_E10value_typeET2_T3_PNSL_ISQ_E10value_typeET4_T5_PSV_SW_PNS1_23onesweep_lookback_stateEbbT6_jjT7_P12ihipStream_tbENKUlT_T0_SK_SP_E_clISE_PiSF_SF_EEDaS13_S14_SK_SP_EUlS13_E_NS1_11comp_targetILNS1_3genE3ELNS1_11target_archE908ELNS1_3gpuE7ELNS1_3repE0EEENS1_47radix_sort_onesweep_sort_config_static_selectorELNS0_4arch9wavefront6targetE1EEEvSK_.uses_vcc, 0
	.set _ZN7rocprim17ROCPRIM_400000_NS6detail17trampoline_kernelINS0_14default_configENS1_35radix_sort_onesweep_config_selectorIiNS0_10empty_typeEEEZZNS1_29radix_sort_onesweep_iterationIS3_Lb0EN6thrust23THRUST_200600_302600_NS6detail15normal_iteratorINS9_10device_ptrIiEEEESE_PS5_SF_jNS0_19identity_decomposerENS1_16block_id_wrapperIjLb1EEEEE10hipError_tT1_PNSt15iterator_traitsISK_E10value_typeET2_T3_PNSL_ISQ_E10value_typeET4_T5_PSV_SW_PNS1_23onesweep_lookback_stateEbbT6_jjT7_P12ihipStream_tbENKUlT_T0_SK_SP_E_clISE_PiSF_SF_EEDaS13_S14_SK_SP_EUlS13_E_NS1_11comp_targetILNS1_3genE3ELNS1_11target_archE908ELNS1_3gpuE7ELNS1_3repE0EEENS1_47radix_sort_onesweep_sort_config_static_selectorELNS0_4arch9wavefront6targetE1EEEvSK_.uses_flat_scratch, 0
	.set _ZN7rocprim17ROCPRIM_400000_NS6detail17trampoline_kernelINS0_14default_configENS1_35radix_sort_onesweep_config_selectorIiNS0_10empty_typeEEEZZNS1_29radix_sort_onesweep_iterationIS3_Lb0EN6thrust23THRUST_200600_302600_NS6detail15normal_iteratorINS9_10device_ptrIiEEEESE_PS5_SF_jNS0_19identity_decomposerENS1_16block_id_wrapperIjLb1EEEEE10hipError_tT1_PNSt15iterator_traitsISK_E10value_typeET2_T3_PNSL_ISQ_E10value_typeET4_T5_PSV_SW_PNS1_23onesweep_lookback_stateEbbT6_jjT7_P12ihipStream_tbENKUlT_T0_SK_SP_E_clISE_PiSF_SF_EEDaS13_S14_SK_SP_EUlS13_E_NS1_11comp_targetILNS1_3genE3ELNS1_11target_archE908ELNS1_3gpuE7ELNS1_3repE0EEENS1_47radix_sort_onesweep_sort_config_static_selectorELNS0_4arch9wavefront6targetE1EEEvSK_.has_dyn_sized_stack, 0
	.set _ZN7rocprim17ROCPRIM_400000_NS6detail17trampoline_kernelINS0_14default_configENS1_35radix_sort_onesweep_config_selectorIiNS0_10empty_typeEEEZZNS1_29radix_sort_onesweep_iterationIS3_Lb0EN6thrust23THRUST_200600_302600_NS6detail15normal_iteratorINS9_10device_ptrIiEEEESE_PS5_SF_jNS0_19identity_decomposerENS1_16block_id_wrapperIjLb1EEEEE10hipError_tT1_PNSt15iterator_traitsISK_E10value_typeET2_T3_PNSL_ISQ_E10value_typeET4_T5_PSV_SW_PNS1_23onesweep_lookback_stateEbbT6_jjT7_P12ihipStream_tbENKUlT_T0_SK_SP_E_clISE_PiSF_SF_EEDaS13_S14_SK_SP_EUlS13_E_NS1_11comp_targetILNS1_3genE3ELNS1_11target_archE908ELNS1_3gpuE7ELNS1_3repE0EEENS1_47radix_sort_onesweep_sort_config_static_selectorELNS0_4arch9wavefront6targetE1EEEvSK_.has_recursion, 0
	.set _ZN7rocprim17ROCPRIM_400000_NS6detail17trampoline_kernelINS0_14default_configENS1_35radix_sort_onesweep_config_selectorIiNS0_10empty_typeEEEZZNS1_29radix_sort_onesweep_iterationIS3_Lb0EN6thrust23THRUST_200600_302600_NS6detail15normal_iteratorINS9_10device_ptrIiEEEESE_PS5_SF_jNS0_19identity_decomposerENS1_16block_id_wrapperIjLb1EEEEE10hipError_tT1_PNSt15iterator_traitsISK_E10value_typeET2_T3_PNSL_ISQ_E10value_typeET4_T5_PSV_SW_PNS1_23onesweep_lookback_stateEbbT6_jjT7_P12ihipStream_tbENKUlT_T0_SK_SP_E_clISE_PiSF_SF_EEDaS13_S14_SK_SP_EUlS13_E_NS1_11comp_targetILNS1_3genE3ELNS1_11target_archE908ELNS1_3gpuE7ELNS1_3repE0EEENS1_47radix_sort_onesweep_sort_config_static_selectorELNS0_4arch9wavefront6targetE1EEEvSK_.has_indirect_call, 0
	.section	.AMDGPU.csdata,"",@progbits
; Kernel info:
; codeLenInByte = 0
; TotalNumSgprs: 6
; NumVgprs: 0
; NumAgprs: 0
; TotalNumVgprs: 0
; ScratchSize: 0
; MemoryBound: 0
; FloatMode: 240
; IeeeMode: 1
; LDSByteSize: 0 bytes/workgroup (compile time only)
; SGPRBlocks: 0
; VGPRBlocks: 0
; NumSGPRsForWavesPerEU: 6
; NumVGPRsForWavesPerEU: 1
; AccumOffset: 4
; Occupancy: 8
; WaveLimiterHint : 0
; COMPUTE_PGM_RSRC2:SCRATCH_EN: 0
; COMPUTE_PGM_RSRC2:USER_SGPR: 2
; COMPUTE_PGM_RSRC2:TRAP_HANDLER: 0
; COMPUTE_PGM_RSRC2:TGID_X_EN: 1
; COMPUTE_PGM_RSRC2:TGID_Y_EN: 0
; COMPUTE_PGM_RSRC2:TGID_Z_EN: 0
; COMPUTE_PGM_RSRC2:TIDIG_COMP_CNT: 0
; COMPUTE_PGM_RSRC3_GFX90A:ACCUM_OFFSET: 0
; COMPUTE_PGM_RSRC3_GFX90A:TG_SPLIT: 0
	.section	.text._ZN7rocprim17ROCPRIM_400000_NS6detail17trampoline_kernelINS0_14default_configENS1_35radix_sort_onesweep_config_selectorIiNS0_10empty_typeEEEZZNS1_29radix_sort_onesweep_iterationIS3_Lb0EN6thrust23THRUST_200600_302600_NS6detail15normal_iteratorINS9_10device_ptrIiEEEESE_PS5_SF_jNS0_19identity_decomposerENS1_16block_id_wrapperIjLb1EEEEE10hipError_tT1_PNSt15iterator_traitsISK_E10value_typeET2_T3_PNSL_ISQ_E10value_typeET4_T5_PSV_SW_PNS1_23onesweep_lookback_stateEbbT6_jjT7_P12ihipStream_tbENKUlT_T0_SK_SP_E_clISE_PiSF_SF_EEDaS13_S14_SK_SP_EUlS13_E_NS1_11comp_targetILNS1_3genE10ELNS1_11target_archE1201ELNS1_3gpuE5ELNS1_3repE0EEENS1_47radix_sort_onesweep_sort_config_static_selectorELNS0_4arch9wavefront6targetE1EEEvSK_,"axG",@progbits,_ZN7rocprim17ROCPRIM_400000_NS6detail17trampoline_kernelINS0_14default_configENS1_35radix_sort_onesweep_config_selectorIiNS0_10empty_typeEEEZZNS1_29radix_sort_onesweep_iterationIS3_Lb0EN6thrust23THRUST_200600_302600_NS6detail15normal_iteratorINS9_10device_ptrIiEEEESE_PS5_SF_jNS0_19identity_decomposerENS1_16block_id_wrapperIjLb1EEEEE10hipError_tT1_PNSt15iterator_traitsISK_E10value_typeET2_T3_PNSL_ISQ_E10value_typeET4_T5_PSV_SW_PNS1_23onesweep_lookback_stateEbbT6_jjT7_P12ihipStream_tbENKUlT_T0_SK_SP_E_clISE_PiSF_SF_EEDaS13_S14_SK_SP_EUlS13_E_NS1_11comp_targetILNS1_3genE10ELNS1_11target_archE1201ELNS1_3gpuE5ELNS1_3repE0EEENS1_47radix_sort_onesweep_sort_config_static_selectorELNS0_4arch9wavefront6targetE1EEEvSK_,comdat
	.protected	_ZN7rocprim17ROCPRIM_400000_NS6detail17trampoline_kernelINS0_14default_configENS1_35radix_sort_onesweep_config_selectorIiNS0_10empty_typeEEEZZNS1_29radix_sort_onesweep_iterationIS3_Lb0EN6thrust23THRUST_200600_302600_NS6detail15normal_iteratorINS9_10device_ptrIiEEEESE_PS5_SF_jNS0_19identity_decomposerENS1_16block_id_wrapperIjLb1EEEEE10hipError_tT1_PNSt15iterator_traitsISK_E10value_typeET2_T3_PNSL_ISQ_E10value_typeET4_T5_PSV_SW_PNS1_23onesweep_lookback_stateEbbT6_jjT7_P12ihipStream_tbENKUlT_T0_SK_SP_E_clISE_PiSF_SF_EEDaS13_S14_SK_SP_EUlS13_E_NS1_11comp_targetILNS1_3genE10ELNS1_11target_archE1201ELNS1_3gpuE5ELNS1_3repE0EEENS1_47radix_sort_onesweep_sort_config_static_selectorELNS0_4arch9wavefront6targetE1EEEvSK_ ; -- Begin function _ZN7rocprim17ROCPRIM_400000_NS6detail17trampoline_kernelINS0_14default_configENS1_35radix_sort_onesweep_config_selectorIiNS0_10empty_typeEEEZZNS1_29radix_sort_onesweep_iterationIS3_Lb0EN6thrust23THRUST_200600_302600_NS6detail15normal_iteratorINS9_10device_ptrIiEEEESE_PS5_SF_jNS0_19identity_decomposerENS1_16block_id_wrapperIjLb1EEEEE10hipError_tT1_PNSt15iterator_traitsISK_E10value_typeET2_T3_PNSL_ISQ_E10value_typeET4_T5_PSV_SW_PNS1_23onesweep_lookback_stateEbbT6_jjT7_P12ihipStream_tbENKUlT_T0_SK_SP_E_clISE_PiSF_SF_EEDaS13_S14_SK_SP_EUlS13_E_NS1_11comp_targetILNS1_3genE10ELNS1_11target_archE1201ELNS1_3gpuE5ELNS1_3repE0EEENS1_47radix_sort_onesweep_sort_config_static_selectorELNS0_4arch9wavefront6targetE1EEEvSK_
	.globl	_ZN7rocprim17ROCPRIM_400000_NS6detail17trampoline_kernelINS0_14default_configENS1_35radix_sort_onesweep_config_selectorIiNS0_10empty_typeEEEZZNS1_29radix_sort_onesweep_iterationIS3_Lb0EN6thrust23THRUST_200600_302600_NS6detail15normal_iteratorINS9_10device_ptrIiEEEESE_PS5_SF_jNS0_19identity_decomposerENS1_16block_id_wrapperIjLb1EEEEE10hipError_tT1_PNSt15iterator_traitsISK_E10value_typeET2_T3_PNSL_ISQ_E10value_typeET4_T5_PSV_SW_PNS1_23onesweep_lookback_stateEbbT6_jjT7_P12ihipStream_tbENKUlT_T0_SK_SP_E_clISE_PiSF_SF_EEDaS13_S14_SK_SP_EUlS13_E_NS1_11comp_targetILNS1_3genE10ELNS1_11target_archE1201ELNS1_3gpuE5ELNS1_3repE0EEENS1_47radix_sort_onesweep_sort_config_static_selectorELNS0_4arch9wavefront6targetE1EEEvSK_
	.p2align	8
	.type	_ZN7rocprim17ROCPRIM_400000_NS6detail17trampoline_kernelINS0_14default_configENS1_35radix_sort_onesweep_config_selectorIiNS0_10empty_typeEEEZZNS1_29radix_sort_onesweep_iterationIS3_Lb0EN6thrust23THRUST_200600_302600_NS6detail15normal_iteratorINS9_10device_ptrIiEEEESE_PS5_SF_jNS0_19identity_decomposerENS1_16block_id_wrapperIjLb1EEEEE10hipError_tT1_PNSt15iterator_traitsISK_E10value_typeET2_T3_PNSL_ISQ_E10value_typeET4_T5_PSV_SW_PNS1_23onesweep_lookback_stateEbbT6_jjT7_P12ihipStream_tbENKUlT_T0_SK_SP_E_clISE_PiSF_SF_EEDaS13_S14_SK_SP_EUlS13_E_NS1_11comp_targetILNS1_3genE10ELNS1_11target_archE1201ELNS1_3gpuE5ELNS1_3repE0EEENS1_47radix_sort_onesweep_sort_config_static_selectorELNS0_4arch9wavefront6targetE1EEEvSK_,@function
_ZN7rocprim17ROCPRIM_400000_NS6detail17trampoline_kernelINS0_14default_configENS1_35radix_sort_onesweep_config_selectorIiNS0_10empty_typeEEEZZNS1_29radix_sort_onesweep_iterationIS3_Lb0EN6thrust23THRUST_200600_302600_NS6detail15normal_iteratorINS9_10device_ptrIiEEEESE_PS5_SF_jNS0_19identity_decomposerENS1_16block_id_wrapperIjLb1EEEEE10hipError_tT1_PNSt15iterator_traitsISK_E10value_typeET2_T3_PNSL_ISQ_E10value_typeET4_T5_PSV_SW_PNS1_23onesweep_lookback_stateEbbT6_jjT7_P12ihipStream_tbENKUlT_T0_SK_SP_E_clISE_PiSF_SF_EEDaS13_S14_SK_SP_EUlS13_E_NS1_11comp_targetILNS1_3genE10ELNS1_11target_archE1201ELNS1_3gpuE5ELNS1_3repE0EEENS1_47radix_sort_onesweep_sort_config_static_selectorELNS0_4arch9wavefront6targetE1EEEvSK_: ; @_ZN7rocprim17ROCPRIM_400000_NS6detail17trampoline_kernelINS0_14default_configENS1_35radix_sort_onesweep_config_selectorIiNS0_10empty_typeEEEZZNS1_29radix_sort_onesweep_iterationIS3_Lb0EN6thrust23THRUST_200600_302600_NS6detail15normal_iteratorINS9_10device_ptrIiEEEESE_PS5_SF_jNS0_19identity_decomposerENS1_16block_id_wrapperIjLb1EEEEE10hipError_tT1_PNSt15iterator_traitsISK_E10value_typeET2_T3_PNSL_ISQ_E10value_typeET4_T5_PSV_SW_PNS1_23onesweep_lookback_stateEbbT6_jjT7_P12ihipStream_tbENKUlT_T0_SK_SP_E_clISE_PiSF_SF_EEDaS13_S14_SK_SP_EUlS13_E_NS1_11comp_targetILNS1_3genE10ELNS1_11target_archE1201ELNS1_3gpuE5ELNS1_3repE0EEENS1_47radix_sort_onesweep_sort_config_static_selectorELNS0_4arch9wavefront6targetE1EEEvSK_
; %bb.0:
	.section	.rodata,"a",@progbits
	.p2align	6, 0x0
	.amdhsa_kernel _ZN7rocprim17ROCPRIM_400000_NS6detail17trampoline_kernelINS0_14default_configENS1_35radix_sort_onesweep_config_selectorIiNS0_10empty_typeEEEZZNS1_29radix_sort_onesweep_iterationIS3_Lb0EN6thrust23THRUST_200600_302600_NS6detail15normal_iteratorINS9_10device_ptrIiEEEESE_PS5_SF_jNS0_19identity_decomposerENS1_16block_id_wrapperIjLb1EEEEE10hipError_tT1_PNSt15iterator_traitsISK_E10value_typeET2_T3_PNSL_ISQ_E10value_typeET4_T5_PSV_SW_PNS1_23onesweep_lookback_stateEbbT6_jjT7_P12ihipStream_tbENKUlT_T0_SK_SP_E_clISE_PiSF_SF_EEDaS13_S14_SK_SP_EUlS13_E_NS1_11comp_targetILNS1_3genE10ELNS1_11target_archE1201ELNS1_3gpuE5ELNS1_3repE0EEENS1_47radix_sort_onesweep_sort_config_static_selectorELNS0_4arch9wavefront6targetE1EEEvSK_
		.amdhsa_group_segment_fixed_size 0
		.amdhsa_private_segment_fixed_size 0
		.amdhsa_kernarg_size 88
		.amdhsa_user_sgpr_count 2
		.amdhsa_user_sgpr_dispatch_ptr 0
		.amdhsa_user_sgpr_queue_ptr 0
		.amdhsa_user_sgpr_kernarg_segment_ptr 1
		.amdhsa_user_sgpr_dispatch_id 0
		.amdhsa_user_sgpr_kernarg_preload_length 0
		.amdhsa_user_sgpr_kernarg_preload_offset 0
		.amdhsa_user_sgpr_private_segment_size 0
		.amdhsa_uses_dynamic_stack 0
		.amdhsa_enable_private_segment 0
		.amdhsa_system_sgpr_workgroup_id_x 1
		.amdhsa_system_sgpr_workgroup_id_y 0
		.amdhsa_system_sgpr_workgroup_id_z 0
		.amdhsa_system_sgpr_workgroup_info 0
		.amdhsa_system_vgpr_workitem_id 0
		.amdhsa_next_free_vgpr 1
		.amdhsa_next_free_sgpr 0
		.amdhsa_accum_offset 4
		.amdhsa_reserve_vcc 0
		.amdhsa_float_round_mode_32 0
		.amdhsa_float_round_mode_16_64 0
		.amdhsa_float_denorm_mode_32 3
		.amdhsa_float_denorm_mode_16_64 3
		.amdhsa_dx10_clamp 1
		.amdhsa_ieee_mode 1
		.amdhsa_fp16_overflow 0
		.amdhsa_tg_split 0
		.amdhsa_exception_fp_ieee_invalid_op 0
		.amdhsa_exception_fp_denorm_src 0
		.amdhsa_exception_fp_ieee_div_zero 0
		.amdhsa_exception_fp_ieee_overflow 0
		.amdhsa_exception_fp_ieee_underflow 0
		.amdhsa_exception_fp_ieee_inexact 0
		.amdhsa_exception_int_div_zero 0
	.end_amdhsa_kernel
	.section	.text._ZN7rocprim17ROCPRIM_400000_NS6detail17trampoline_kernelINS0_14default_configENS1_35radix_sort_onesweep_config_selectorIiNS0_10empty_typeEEEZZNS1_29radix_sort_onesweep_iterationIS3_Lb0EN6thrust23THRUST_200600_302600_NS6detail15normal_iteratorINS9_10device_ptrIiEEEESE_PS5_SF_jNS0_19identity_decomposerENS1_16block_id_wrapperIjLb1EEEEE10hipError_tT1_PNSt15iterator_traitsISK_E10value_typeET2_T3_PNSL_ISQ_E10value_typeET4_T5_PSV_SW_PNS1_23onesweep_lookback_stateEbbT6_jjT7_P12ihipStream_tbENKUlT_T0_SK_SP_E_clISE_PiSF_SF_EEDaS13_S14_SK_SP_EUlS13_E_NS1_11comp_targetILNS1_3genE10ELNS1_11target_archE1201ELNS1_3gpuE5ELNS1_3repE0EEENS1_47radix_sort_onesweep_sort_config_static_selectorELNS0_4arch9wavefront6targetE1EEEvSK_,"axG",@progbits,_ZN7rocprim17ROCPRIM_400000_NS6detail17trampoline_kernelINS0_14default_configENS1_35radix_sort_onesweep_config_selectorIiNS0_10empty_typeEEEZZNS1_29radix_sort_onesweep_iterationIS3_Lb0EN6thrust23THRUST_200600_302600_NS6detail15normal_iteratorINS9_10device_ptrIiEEEESE_PS5_SF_jNS0_19identity_decomposerENS1_16block_id_wrapperIjLb1EEEEE10hipError_tT1_PNSt15iterator_traitsISK_E10value_typeET2_T3_PNSL_ISQ_E10value_typeET4_T5_PSV_SW_PNS1_23onesweep_lookback_stateEbbT6_jjT7_P12ihipStream_tbENKUlT_T0_SK_SP_E_clISE_PiSF_SF_EEDaS13_S14_SK_SP_EUlS13_E_NS1_11comp_targetILNS1_3genE10ELNS1_11target_archE1201ELNS1_3gpuE5ELNS1_3repE0EEENS1_47radix_sort_onesweep_sort_config_static_selectorELNS0_4arch9wavefront6targetE1EEEvSK_,comdat
.Lfunc_end174:
	.size	_ZN7rocprim17ROCPRIM_400000_NS6detail17trampoline_kernelINS0_14default_configENS1_35radix_sort_onesweep_config_selectorIiNS0_10empty_typeEEEZZNS1_29radix_sort_onesweep_iterationIS3_Lb0EN6thrust23THRUST_200600_302600_NS6detail15normal_iteratorINS9_10device_ptrIiEEEESE_PS5_SF_jNS0_19identity_decomposerENS1_16block_id_wrapperIjLb1EEEEE10hipError_tT1_PNSt15iterator_traitsISK_E10value_typeET2_T3_PNSL_ISQ_E10value_typeET4_T5_PSV_SW_PNS1_23onesweep_lookback_stateEbbT6_jjT7_P12ihipStream_tbENKUlT_T0_SK_SP_E_clISE_PiSF_SF_EEDaS13_S14_SK_SP_EUlS13_E_NS1_11comp_targetILNS1_3genE10ELNS1_11target_archE1201ELNS1_3gpuE5ELNS1_3repE0EEENS1_47radix_sort_onesweep_sort_config_static_selectorELNS0_4arch9wavefront6targetE1EEEvSK_, .Lfunc_end174-_ZN7rocprim17ROCPRIM_400000_NS6detail17trampoline_kernelINS0_14default_configENS1_35radix_sort_onesweep_config_selectorIiNS0_10empty_typeEEEZZNS1_29radix_sort_onesweep_iterationIS3_Lb0EN6thrust23THRUST_200600_302600_NS6detail15normal_iteratorINS9_10device_ptrIiEEEESE_PS5_SF_jNS0_19identity_decomposerENS1_16block_id_wrapperIjLb1EEEEE10hipError_tT1_PNSt15iterator_traitsISK_E10value_typeET2_T3_PNSL_ISQ_E10value_typeET4_T5_PSV_SW_PNS1_23onesweep_lookback_stateEbbT6_jjT7_P12ihipStream_tbENKUlT_T0_SK_SP_E_clISE_PiSF_SF_EEDaS13_S14_SK_SP_EUlS13_E_NS1_11comp_targetILNS1_3genE10ELNS1_11target_archE1201ELNS1_3gpuE5ELNS1_3repE0EEENS1_47radix_sort_onesweep_sort_config_static_selectorELNS0_4arch9wavefront6targetE1EEEvSK_
                                        ; -- End function
	.set _ZN7rocprim17ROCPRIM_400000_NS6detail17trampoline_kernelINS0_14default_configENS1_35radix_sort_onesweep_config_selectorIiNS0_10empty_typeEEEZZNS1_29radix_sort_onesweep_iterationIS3_Lb0EN6thrust23THRUST_200600_302600_NS6detail15normal_iteratorINS9_10device_ptrIiEEEESE_PS5_SF_jNS0_19identity_decomposerENS1_16block_id_wrapperIjLb1EEEEE10hipError_tT1_PNSt15iterator_traitsISK_E10value_typeET2_T3_PNSL_ISQ_E10value_typeET4_T5_PSV_SW_PNS1_23onesweep_lookback_stateEbbT6_jjT7_P12ihipStream_tbENKUlT_T0_SK_SP_E_clISE_PiSF_SF_EEDaS13_S14_SK_SP_EUlS13_E_NS1_11comp_targetILNS1_3genE10ELNS1_11target_archE1201ELNS1_3gpuE5ELNS1_3repE0EEENS1_47radix_sort_onesweep_sort_config_static_selectorELNS0_4arch9wavefront6targetE1EEEvSK_.num_vgpr, 0
	.set _ZN7rocprim17ROCPRIM_400000_NS6detail17trampoline_kernelINS0_14default_configENS1_35radix_sort_onesweep_config_selectorIiNS0_10empty_typeEEEZZNS1_29radix_sort_onesweep_iterationIS3_Lb0EN6thrust23THRUST_200600_302600_NS6detail15normal_iteratorINS9_10device_ptrIiEEEESE_PS5_SF_jNS0_19identity_decomposerENS1_16block_id_wrapperIjLb1EEEEE10hipError_tT1_PNSt15iterator_traitsISK_E10value_typeET2_T3_PNSL_ISQ_E10value_typeET4_T5_PSV_SW_PNS1_23onesweep_lookback_stateEbbT6_jjT7_P12ihipStream_tbENKUlT_T0_SK_SP_E_clISE_PiSF_SF_EEDaS13_S14_SK_SP_EUlS13_E_NS1_11comp_targetILNS1_3genE10ELNS1_11target_archE1201ELNS1_3gpuE5ELNS1_3repE0EEENS1_47radix_sort_onesweep_sort_config_static_selectorELNS0_4arch9wavefront6targetE1EEEvSK_.num_agpr, 0
	.set _ZN7rocprim17ROCPRIM_400000_NS6detail17trampoline_kernelINS0_14default_configENS1_35radix_sort_onesweep_config_selectorIiNS0_10empty_typeEEEZZNS1_29radix_sort_onesweep_iterationIS3_Lb0EN6thrust23THRUST_200600_302600_NS6detail15normal_iteratorINS9_10device_ptrIiEEEESE_PS5_SF_jNS0_19identity_decomposerENS1_16block_id_wrapperIjLb1EEEEE10hipError_tT1_PNSt15iterator_traitsISK_E10value_typeET2_T3_PNSL_ISQ_E10value_typeET4_T5_PSV_SW_PNS1_23onesweep_lookback_stateEbbT6_jjT7_P12ihipStream_tbENKUlT_T0_SK_SP_E_clISE_PiSF_SF_EEDaS13_S14_SK_SP_EUlS13_E_NS1_11comp_targetILNS1_3genE10ELNS1_11target_archE1201ELNS1_3gpuE5ELNS1_3repE0EEENS1_47radix_sort_onesweep_sort_config_static_selectorELNS0_4arch9wavefront6targetE1EEEvSK_.numbered_sgpr, 0
	.set _ZN7rocprim17ROCPRIM_400000_NS6detail17trampoline_kernelINS0_14default_configENS1_35radix_sort_onesweep_config_selectorIiNS0_10empty_typeEEEZZNS1_29radix_sort_onesweep_iterationIS3_Lb0EN6thrust23THRUST_200600_302600_NS6detail15normal_iteratorINS9_10device_ptrIiEEEESE_PS5_SF_jNS0_19identity_decomposerENS1_16block_id_wrapperIjLb1EEEEE10hipError_tT1_PNSt15iterator_traitsISK_E10value_typeET2_T3_PNSL_ISQ_E10value_typeET4_T5_PSV_SW_PNS1_23onesweep_lookback_stateEbbT6_jjT7_P12ihipStream_tbENKUlT_T0_SK_SP_E_clISE_PiSF_SF_EEDaS13_S14_SK_SP_EUlS13_E_NS1_11comp_targetILNS1_3genE10ELNS1_11target_archE1201ELNS1_3gpuE5ELNS1_3repE0EEENS1_47radix_sort_onesweep_sort_config_static_selectorELNS0_4arch9wavefront6targetE1EEEvSK_.num_named_barrier, 0
	.set _ZN7rocprim17ROCPRIM_400000_NS6detail17trampoline_kernelINS0_14default_configENS1_35radix_sort_onesweep_config_selectorIiNS0_10empty_typeEEEZZNS1_29radix_sort_onesweep_iterationIS3_Lb0EN6thrust23THRUST_200600_302600_NS6detail15normal_iteratorINS9_10device_ptrIiEEEESE_PS5_SF_jNS0_19identity_decomposerENS1_16block_id_wrapperIjLb1EEEEE10hipError_tT1_PNSt15iterator_traitsISK_E10value_typeET2_T3_PNSL_ISQ_E10value_typeET4_T5_PSV_SW_PNS1_23onesweep_lookback_stateEbbT6_jjT7_P12ihipStream_tbENKUlT_T0_SK_SP_E_clISE_PiSF_SF_EEDaS13_S14_SK_SP_EUlS13_E_NS1_11comp_targetILNS1_3genE10ELNS1_11target_archE1201ELNS1_3gpuE5ELNS1_3repE0EEENS1_47radix_sort_onesweep_sort_config_static_selectorELNS0_4arch9wavefront6targetE1EEEvSK_.private_seg_size, 0
	.set _ZN7rocprim17ROCPRIM_400000_NS6detail17trampoline_kernelINS0_14default_configENS1_35radix_sort_onesweep_config_selectorIiNS0_10empty_typeEEEZZNS1_29radix_sort_onesweep_iterationIS3_Lb0EN6thrust23THRUST_200600_302600_NS6detail15normal_iteratorINS9_10device_ptrIiEEEESE_PS5_SF_jNS0_19identity_decomposerENS1_16block_id_wrapperIjLb1EEEEE10hipError_tT1_PNSt15iterator_traitsISK_E10value_typeET2_T3_PNSL_ISQ_E10value_typeET4_T5_PSV_SW_PNS1_23onesweep_lookback_stateEbbT6_jjT7_P12ihipStream_tbENKUlT_T0_SK_SP_E_clISE_PiSF_SF_EEDaS13_S14_SK_SP_EUlS13_E_NS1_11comp_targetILNS1_3genE10ELNS1_11target_archE1201ELNS1_3gpuE5ELNS1_3repE0EEENS1_47radix_sort_onesweep_sort_config_static_selectorELNS0_4arch9wavefront6targetE1EEEvSK_.uses_vcc, 0
	.set _ZN7rocprim17ROCPRIM_400000_NS6detail17trampoline_kernelINS0_14default_configENS1_35radix_sort_onesweep_config_selectorIiNS0_10empty_typeEEEZZNS1_29radix_sort_onesweep_iterationIS3_Lb0EN6thrust23THRUST_200600_302600_NS6detail15normal_iteratorINS9_10device_ptrIiEEEESE_PS5_SF_jNS0_19identity_decomposerENS1_16block_id_wrapperIjLb1EEEEE10hipError_tT1_PNSt15iterator_traitsISK_E10value_typeET2_T3_PNSL_ISQ_E10value_typeET4_T5_PSV_SW_PNS1_23onesweep_lookback_stateEbbT6_jjT7_P12ihipStream_tbENKUlT_T0_SK_SP_E_clISE_PiSF_SF_EEDaS13_S14_SK_SP_EUlS13_E_NS1_11comp_targetILNS1_3genE10ELNS1_11target_archE1201ELNS1_3gpuE5ELNS1_3repE0EEENS1_47radix_sort_onesweep_sort_config_static_selectorELNS0_4arch9wavefront6targetE1EEEvSK_.uses_flat_scratch, 0
	.set _ZN7rocprim17ROCPRIM_400000_NS6detail17trampoline_kernelINS0_14default_configENS1_35radix_sort_onesweep_config_selectorIiNS0_10empty_typeEEEZZNS1_29radix_sort_onesweep_iterationIS3_Lb0EN6thrust23THRUST_200600_302600_NS6detail15normal_iteratorINS9_10device_ptrIiEEEESE_PS5_SF_jNS0_19identity_decomposerENS1_16block_id_wrapperIjLb1EEEEE10hipError_tT1_PNSt15iterator_traitsISK_E10value_typeET2_T3_PNSL_ISQ_E10value_typeET4_T5_PSV_SW_PNS1_23onesweep_lookback_stateEbbT6_jjT7_P12ihipStream_tbENKUlT_T0_SK_SP_E_clISE_PiSF_SF_EEDaS13_S14_SK_SP_EUlS13_E_NS1_11comp_targetILNS1_3genE10ELNS1_11target_archE1201ELNS1_3gpuE5ELNS1_3repE0EEENS1_47radix_sort_onesweep_sort_config_static_selectorELNS0_4arch9wavefront6targetE1EEEvSK_.has_dyn_sized_stack, 0
	.set _ZN7rocprim17ROCPRIM_400000_NS6detail17trampoline_kernelINS0_14default_configENS1_35radix_sort_onesweep_config_selectorIiNS0_10empty_typeEEEZZNS1_29radix_sort_onesweep_iterationIS3_Lb0EN6thrust23THRUST_200600_302600_NS6detail15normal_iteratorINS9_10device_ptrIiEEEESE_PS5_SF_jNS0_19identity_decomposerENS1_16block_id_wrapperIjLb1EEEEE10hipError_tT1_PNSt15iterator_traitsISK_E10value_typeET2_T3_PNSL_ISQ_E10value_typeET4_T5_PSV_SW_PNS1_23onesweep_lookback_stateEbbT6_jjT7_P12ihipStream_tbENKUlT_T0_SK_SP_E_clISE_PiSF_SF_EEDaS13_S14_SK_SP_EUlS13_E_NS1_11comp_targetILNS1_3genE10ELNS1_11target_archE1201ELNS1_3gpuE5ELNS1_3repE0EEENS1_47radix_sort_onesweep_sort_config_static_selectorELNS0_4arch9wavefront6targetE1EEEvSK_.has_recursion, 0
	.set _ZN7rocprim17ROCPRIM_400000_NS6detail17trampoline_kernelINS0_14default_configENS1_35radix_sort_onesweep_config_selectorIiNS0_10empty_typeEEEZZNS1_29radix_sort_onesweep_iterationIS3_Lb0EN6thrust23THRUST_200600_302600_NS6detail15normal_iteratorINS9_10device_ptrIiEEEESE_PS5_SF_jNS0_19identity_decomposerENS1_16block_id_wrapperIjLb1EEEEE10hipError_tT1_PNSt15iterator_traitsISK_E10value_typeET2_T3_PNSL_ISQ_E10value_typeET4_T5_PSV_SW_PNS1_23onesweep_lookback_stateEbbT6_jjT7_P12ihipStream_tbENKUlT_T0_SK_SP_E_clISE_PiSF_SF_EEDaS13_S14_SK_SP_EUlS13_E_NS1_11comp_targetILNS1_3genE10ELNS1_11target_archE1201ELNS1_3gpuE5ELNS1_3repE0EEENS1_47radix_sort_onesweep_sort_config_static_selectorELNS0_4arch9wavefront6targetE1EEEvSK_.has_indirect_call, 0
	.section	.AMDGPU.csdata,"",@progbits
; Kernel info:
; codeLenInByte = 0
; TotalNumSgprs: 6
; NumVgprs: 0
; NumAgprs: 0
; TotalNumVgprs: 0
; ScratchSize: 0
; MemoryBound: 0
; FloatMode: 240
; IeeeMode: 1
; LDSByteSize: 0 bytes/workgroup (compile time only)
; SGPRBlocks: 0
; VGPRBlocks: 0
; NumSGPRsForWavesPerEU: 6
; NumVGPRsForWavesPerEU: 1
; AccumOffset: 4
; Occupancy: 8
; WaveLimiterHint : 0
; COMPUTE_PGM_RSRC2:SCRATCH_EN: 0
; COMPUTE_PGM_RSRC2:USER_SGPR: 2
; COMPUTE_PGM_RSRC2:TRAP_HANDLER: 0
; COMPUTE_PGM_RSRC2:TGID_X_EN: 1
; COMPUTE_PGM_RSRC2:TGID_Y_EN: 0
; COMPUTE_PGM_RSRC2:TGID_Z_EN: 0
; COMPUTE_PGM_RSRC2:TIDIG_COMP_CNT: 0
; COMPUTE_PGM_RSRC3_GFX90A:ACCUM_OFFSET: 0
; COMPUTE_PGM_RSRC3_GFX90A:TG_SPLIT: 0
	.section	.text._ZN7rocprim17ROCPRIM_400000_NS6detail17trampoline_kernelINS0_14default_configENS1_35radix_sort_onesweep_config_selectorIiNS0_10empty_typeEEEZZNS1_29radix_sort_onesweep_iterationIS3_Lb0EN6thrust23THRUST_200600_302600_NS6detail15normal_iteratorINS9_10device_ptrIiEEEESE_PS5_SF_jNS0_19identity_decomposerENS1_16block_id_wrapperIjLb1EEEEE10hipError_tT1_PNSt15iterator_traitsISK_E10value_typeET2_T3_PNSL_ISQ_E10value_typeET4_T5_PSV_SW_PNS1_23onesweep_lookback_stateEbbT6_jjT7_P12ihipStream_tbENKUlT_T0_SK_SP_E_clISE_PiSF_SF_EEDaS13_S14_SK_SP_EUlS13_E_NS1_11comp_targetILNS1_3genE9ELNS1_11target_archE1100ELNS1_3gpuE3ELNS1_3repE0EEENS1_47radix_sort_onesweep_sort_config_static_selectorELNS0_4arch9wavefront6targetE1EEEvSK_,"axG",@progbits,_ZN7rocprim17ROCPRIM_400000_NS6detail17trampoline_kernelINS0_14default_configENS1_35radix_sort_onesweep_config_selectorIiNS0_10empty_typeEEEZZNS1_29radix_sort_onesweep_iterationIS3_Lb0EN6thrust23THRUST_200600_302600_NS6detail15normal_iteratorINS9_10device_ptrIiEEEESE_PS5_SF_jNS0_19identity_decomposerENS1_16block_id_wrapperIjLb1EEEEE10hipError_tT1_PNSt15iterator_traitsISK_E10value_typeET2_T3_PNSL_ISQ_E10value_typeET4_T5_PSV_SW_PNS1_23onesweep_lookback_stateEbbT6_jjT7_P12ihipStream_tbENKUlT_T0_SK_SP_E_clISE_PiSF_SF_EEDaS13_S14_SK_SP_EUlS13_E_NS1_11comp_targetILNS1_3genE9ELNS1_11target_archE1100ELNS1_3gpuE3ELNS1_3repE0EEENS1_47radix_sort_onesweep_sort_config_static_selectorELNS0_4arch9wavefront6targetE1EEEvSK_,comdat
	.protected	_ZN7rocprim17ROCPRIM_400000_NS6detail17trampoline_kernelINS0_14default_configENS1_35radix_sort_onesweep_config_selectorIiNS0_10empty_typeEEEZZNS1_29radix_sort_onesweep_iterationIS3_Lb0EN6thrust23THRUST_200600_302600_NS6detail15normal_iteratorINS9_10device_ptrIiEEEESE_PS5_SF_jNS0_19identity_decomposerENS1_16block_id_wrapperIjLb1EEEEE10hipError_tT1_PNSt15iterator_traitsISK_E10value_typeET2_T3_PNSL_ISQ_E10value_typeET4_T5_PSV_SW_PNS1_23onesweep_lookback_stateEbbT6_jjT7_P12ihipStream_tbENKUlT_T0_SK_SP_E_clISE_PiSF_SF_EEDaS13_S14_SK_SP_EUlS13_E_NS1_11comp_targetILNS1_3genE9ELNS1_11target_archE1100ELNS1_3gpuE3ELNS1_3repE0EEENS1_47radix_sort_onesweep_sort_config_static_selectorELNS0_4arch9wavefront6targetE1EEEvSK_ ; -- Begin function _ZN7rocprim17ROCPRIM_400000_NS6detail17trampoline_kernelINS0_14default_configENS1_35radix_sort_onesweep_config_selectorIiNS0_10empty_typeEEEZZNS1_29radix_sort_onesweep_iterationIS3_Lb0EN6thrust23THRUST_200600_302600_NS6detail15normal_iteratorINS9_10device_ptrIiEEEESE_PS5_SF_jNS0_19identity_decomposerENS1_16block_id_wrapperIjLb1EEEEE10hipError_tT1_PNSt15iterator_traitsISK_E10value_typeET2_T3_PNSL_ISQ_E10value_typeET4_T5_PSV_SW_PNS1_23onesweep_lookback_stateEbbT6_jjT7_P12ihipStream_tbENKUlT_T0_SK_SP_E_clISE_PiSF_SF_EEDaS13_S14_SK_SP_EUlS13_E_NS1_11comp_targetILNS1_3genE9ELNS1_11target_archE1100ELNS1_3gpuE3ELNS1_3repE0EEENS1_47radix_sort_onesweep_sort_config_static_selectorELNS0_4arch9wavefront6targetE1EEEvSK_
	.globl	_ZN7rocprim17ROCPRIM_400000_NS6detail17trampoline_kernelINS0_14default_configENS1_35radix_sort_onesweep_config_selectorIiNS0_10empty_typeEEEZZNS1_29radix_sort_onesweep_iterationIS3_Lb0EN6thrust23THRUST_200600_302600_NS6detail15normal_iteratorINS9_10device_ptrIiEEEESE_PS5_SF_jNS0_19identity_decomposerENS1_16block_id_wrapperIjLb1EEEEE10hipError_tT1_PNSt15iterator_traitsISK_E10value_typeET2_T3_PNSL_ISQ_E10value_typeET4_T5_PSV_SW_PNS1_23onesweep_lookback_stateEbbT6_jjT7_P12ihipStream_tbENKUlT_T0_SK_SP_E_clISE_PiSF_SF_EEDaS13_S14_SK_SP_EUlS13_E_NS1_11comp_targetILNS1_3genE9ELNS1_11target_archE1100ELNS1_3gpuE3ELNS1_3repE0EEENS1_47radix_sort_onesweep_sort_config_static_selectorELNS0_4arch9wavefront6targetE1EEEvSK_
	.p2align	8
	.type	_ZN7rocprim17ROCPRIM_400000_NS6detail17trampoline_kernelINS0_14default_configENS1_35radix_sort_onesweep_config_selectorIiNS0_10empty_typeEEEZZNS1_29radix_sort_onesweep_iterationIS3_Lb0EN6thrust23THRUST_200600_302600_NS6detail15normal_iteratorINS9_10device_ptrIiEEEESE_PS5_SF_jNS0_19identity_decomposerENS1_16block_id_wrapperIjLb1EEEEE10hipError_tT1_PNSt15iterator_traitsISK_E10value_typeET2_T3_PNSL_ISQ_E10value_typeET4_T5_PSV_SW_PNS1_23onesweep_lookback_stateEbbT6_jjT7_P12ihipStream_tbENKUlT_T0_SK_SP_E_clISE_PiSF_SF_EEDaS13_S14_SK_SP_EUlS13_E_NS1_11comp_targetILNS1_3genE9ELNS1_11target_archE1100ELNS1_3gpuE3ELNS1_3repE0EEENS1_47radix_sort_onesweep_sort_config_static_selectorELNS0_4arch9wavefront6targetE1EEEvSK_,@function
_ZN7rocprim17ROCPRIM_400000_NS6detail17trampoline_kernelINS0_14default_configENS1_35radix_sort_onesweep_config_selectorIiNS0_10empty_typeEEEZZNS1_29radix_sort_onesweep_iterationIS3_Lb0EN6thrust23THRUST_200600_302600_NS6detail15normal_iteratorINS9_10device_ptrIiEEEESE_PS5_SF_jNS0_19identity_decomposerENS1_16block_id_wrapperIjLb1EEEEE10hipError_tT1_PNSt15iterator_traitsISK_E10value_typeET2_T3_PNSL_ISQ_E10value_typeET4_T5_PSV_SW_PNS1_23onesweep_lookback_stateEbbT6_jjT7_P12ihipStream_tbENKUlT_T0_SK_SP_E_clISE_PiSF_SF_EEDaS13_S14_SK_SP_EUlS13_E_NS1_11comp_targetILNS1_3genE9ELNS1_11target_archE1100ELNS1_3gpuE3ELNS1_3repE0EEENS1_47radix_sort_onesweep_sort_config_static_selectorELNS0_4arch9wavefront6targetE1EEEvSK_: ; @_ZN7rocprim17ROCPRIM_400000_NS6detail17trampoline_kernelINS0_14default_configENS1_35radix_sort_onesweep_config_selectorIiNS0_10empty_typeEEEZZNS1_29radix_sort_onesweep_iterationIS3_Lb0EN6thrust23THRUST_200600_302600_NS6detail15normal_iteratorINS9_10device_ptrIiEEEESE_PS5_SF_jNS0_19identity_decomposerENS1_16block_id_wrapperIjLb1EEEEE10hipError_tT1_PNSt15iterator_traitsISK_E10value_typeET2_T3_PNSL_ISQ_E10value_typeET4_T5_PSV_SW_PNS1_23onesweep_lookback_stateEbbT6_jjT7_P12ihipStream_tbENKUlT_T0_SK_SP_E_clISE_PiSF_SF_EEDaS13_S14_SK_SP_EUlS13_E_NS1_11comp_targetILNS1_3genE9ELNS1_11target_archE1100ELNS1_3gpuE3ELNS1_3repE0EEENS1_47radix_sort_onesweep_sort_config_static_selectorELNS0_4arch9wavefront6targetE1EEEvSK_
; %bb.0:
	.section	.rodata,"a",@progbits
	.p2align	6, 0x0
	.amdhsa_kernel _ZN7rocprim17ROCPRIM_400000_NS6detail17trampoline_kernelINS0_14default_configENS1_35radix_sort_onesweep_config_selectorIiNS0_10empty_typeEEEZZNS1_29radix_sort_onesweep_iterationIS3_Lb0EN6thrust23THRUST_200600_302600_NS6detail15normal_iteratorINS9_10device_ptrIiEEEESE_PS5_SF_jNS0_19identity_decomposerENS1_16block_id_wrapperIjLb1EEEEE10hipError_tT1_PNSt15iterator_traitsISK_E10value_typeET2_T3_PNSL_ISQ_E10value_typeET4_T5_PSV_SW_PNS1_23onesweep_lookback_stateEbbT6_jjT7_P12ihipStream_tbENKUlT_T0_SK_SP_E_clISE_PiSF_SF_EEDaS13_S14_SK_SP_EUlS13_E_NS1_11comp_targetILNS1_3genE9ELNS1_11target_archE1100ELNS1_3gpuE3ELNS1_3repE0EEENS1_47radix_sort_onesweep_sort_config_static_selectorELNS0_4arch9wavefront6targetE1EEEvSK_
		.amdhsa_group_segment_fixed_size 0
		.amdhsa_private_segment_fixed_size 0
		.amdhsa_kernarg_size 88
		.amdhsa_user_sgpr_count 2
		.amdhsa_user_sgpr_dispatch_ptr 0
		.amdhsa_user_sgpr_queue_ptr 0
		.amdhsa_user_sgpr_kernarg_segment_ptr 1
		.amdhsa_user_sgpr_dispatch_id 0
		.amdhsa_user_sgpr_kernarg_preload_length 0
		.amdhsa_user_sgpr_kernarg_preload_offset 0
		.amdhsa_user_sgpr_private_segment_size 0
		.amdhsa_uses_dynamic_stack 0
		.amdhsa_enable_private_segment 0
		.amdhsa_system_sgpr_workgroup_id_x 1
		.amdhsa_system_sgpr_workgroup_id_y 0
		.amdhsa_system_sgpr_workgroup_id_z 0
		.amdhsa_system_sgpr_workgroup_info 0
		.amdhsa_system_vgpr_workitem_id 0
		.amdhsa_next_free_vgpr 1
		.amdhsa_next_free_sgpr 0
		.amdhsa_accum_offset 4
		.amdhsa_reserve_vcc 0
		.amdhsa_float_round_mode_32 0
		.amdhsa_float_round_mode_16_64 0
		.amdhsa_float_denorm_mode_32 3
		.amdhsa_float_denorm_mode_16_64 3
		.amdhsa_dx10_clamp 1
		.amdhsa_ieee_mode 1
		.amdhsa_fp16_overflow 0
		.amdhsa_tg_split 0
		.amdhsa_exception_fp_ieee_invalid_op 0
		.amdhsa_exception_fp_denorm_src 0
		.amdhsa_exception_fp_ieee_div_zero 0
		.amdhsa_exception_fp_ieee_overflow 0
		.amdhsa_exception_fp_ieee_underflow 0
		.amdhsa_exception_fp_ieee_inexact 0
		.amdhsa_exception_int_div_zero 0
	.end_amdhsa_kernel
	.section	.text._ZN7rocprim17ROCPRIM_400000_NS6detail17trampoline_kernelINS0_14default_configENS1_35radix_sort_onesweep_config_selectorIiNS0_10empty_typeEEEZZNS1_29radix_sort_onesweep_iterationIS3_Lb0EN6thrust23THRUST_200600_302600_NS6detail15normal_iteratorINS9_10device_ptrIiEEEESE_PS5_SF_jNS0_19identity_decomposerENS1_16block_id_wrapperIjLb1EEEEE10hipError_tT1_PNSt15iterator_traitsISK_E10value_typeET2_T3_PNSL_ISQ_E10value_typeET4_T5_PSV_SW_PNS1_23onesweep_lookback_stateEbbT6_jjT7_P12ihipStream_tbENKUlT_T0_SK_SP_E_clISE_PiSF_SF_EEDaS13_S14_SK_SP_EUlS13_E_NS1_11comp_targetILNS1_3genE9ELNS1_11target_archE1100ELNS1_3gpuE3ELNS1_3repE0EEENS1_47radix_sort_onesweep_sort_config_static_selectorELNS0_4arch9wavefront6targetE1EEEvSK_,"axG",@progbits,_ZN7rocprim17ROCPRIM_400000_NS6detail17trampoline_kernelINS0_14default_configENS1_35radix_sort_onesweep_config_selectorIiNS0_10empty_typeEEEZZNS1_29radix_sort_onesweep_iterationIS3_Lb0EN6thrust23THRUST_200600_302600_NS6detail15normal_iteratorINS9_10device_ptrIiEEEESE_PS5_SF_jNS0_19identity_decomposerENS1_16block_id_wrapperIjLb1EEEEE10hipError_tT1_PNSt15iterator_traitsISK_E10value_typeET2_T3_PNSL_ISQ_E10value_typeET4_T5_PSV_SW_PNS1_23onesweep_lookback_stateEbbT6_jjT7_P12ihipStream_tbENKUlT_T0_SK_SP_E_clISE_PiSF_SF_EEDaS13_S14_SK_SP_EUlS13_E_NS1_11comp_targetILNS1_3genE9ELNS1_11target_archE1100ELNS1_3gpuE3ELNS1_3repE0EEENS1_47radix_sort_onesweep_sort_config_static_selectorELNS0_4arch9wavefront6targetE1EEEvSK_,comdat
.Lfunc_end175:
	.size	_ZN7rocprim17ROCPRIM_400000_NS6detail17trampoline_kernelINS0_14default_configENS1_35radix_sort_onesweep_config_selectorIiNS0_10empty_typeEEEZZNS1_29radix_sort_onesweep_iterationIS3_Lb0EN6thrust23THRUST_200600_302600_NS6detail15normal_iteratorINS9_10device_ptrIiEEEESE_PS5_SF_jNS0_19identity_decomposerENS1_16block_id_wrapperIjLb1EEEEE10hipError_tT1_PNSt15iterator_traitsISK_E10value_typeET2_T3_PNSL_ISQ_E10value_typeET4_T5_PSV_SW_PNS1_23onesweep_lookback_stateEbbT6_jjT7_P12ihipStream_tbENKUlT_T0_SK_SP_E_clISE_PiSF_SF_EEDaS13_S14_SK_SP_EUlS13_E_NS1_11comp_targetILNS1_3genE9ELNS1_11target_archE1100ELNS1_3gpuE3ELNS1_3repE0EEENS1_47radix_sort_onesweep_sort_config_static_selectorELNS0_4arch9wavefront6targetE1EEEvSK_, .Lfunc_end175-_ZN7rocprim17ROCPRIM_400000_NS6detail17trampoline_kernelINS0_14default_configENS1_35radix_sort_onesweep_config_selectorIiNS0_10empty_typeEEEZZNS1_29radix_sort_onesweep_iterationIS3_Lb0EN6thrust23THRUST_200600_302600_NS6detail15normal_iteratorINS9_10device_ptrIiEEEESE_PS5_SF_jNS0_19identity_decomposerENS1_16block_id_wrapperIjLb1EEEEE10hipError_tT1_PNSt15iterator_traitsISK_E10value_typeET2_T3_PNSL_ISQ_E10value_typeET4_T5_PSV_SW_PNS1_23onesweep_lookback_stateEbbT6_jjT7_P12ihipStream_tbENKUlT_T0_SK_SP_E_clISE_PiSF_SF_EEDaS13_S14_SK_SP_EUlS13_E_NS1_11comp_targetILNS1_3genE9ELNS1_11target_archE1100ELNS1_3gpuE3ELNS1_3repE0EEENS1_47radix_sort_onesweep_sort_config_static_selectorELNS0_4arch9wavefront6targetE1EEEvSK_
                                        ; -- End function
	.set _ZN7rocprim17ROCPRIM_400000_NS6detail17trampoline_kernelINS0_14default_configENS1_35radix_sort_onesweep_config_selectorIiNS0_10empty_typeEEEZZNS1_29radix_sort_onesweep_iterationIS3_Lb0EN6thrust23THRUST_200600_302600_NS6detail15normal_iteratorINS9_10device_ptrIiEEEESE_PS5_SF_jNS0_19identity_decomposerENS1_16block_id_wrapperIjLb1EEEEE10hipError_tT1_PNSt15iterator_traitsISK_E10value_typeET2_T3_PNSL_ISQ_E10value_typeET4_T5_PSV_SW_PNS1_23onesweep_lookback_stateEbbT6_jjT7_P12ihipStream_tbENKUlT_T0_SK_SP_E_clISE_PiSF_SF_EEDaS13_S14_SK_SP_EUlS13_E_NS1_11comp_targetILNS1_3genE9ELNS1_11target_archE1100ELNS1_3gpuE3ELNS1_3repE0EEENS1_47radix_sort_onesweep_sort_config_static_selectorELNS0_4arch9wavefront6targetE1EEEvSK_.num_vgpr, 0
	.set _ZN7rocprim17ROCPRIM_400000_NS6detail17trampoline_kernelINS0_14default_configENS1_35radix_sort_onesweep_config_selectorIiNS0_10empty_typeEEEZZNS1_29radix_sort_onesweep_iterationIS3_Lb0EN6thrust23THRUST_200600_302600_NS6detail15normal_iteratorINS9_10device_ptrIiEEEESE_PS5_SF_jNS0_19identity_decomposerENS1_16block_id_wrapperIjLb1EEEEE10hipError_tT1_PNSt15iterator_traitsISK_E10value_typeET2_T3_PNSL_ISQ_E10value_typeET4_T5_PSV_SW_PNS1_23onesweep_lookback_stateEbbT6_jjT7_P12ihipStream_tbENKUlT_T0_SK_SP_E_clISE_PiSF_SF_EEDaS13_S14_SK_SP_EUlS13_E_NS1_11comp_targetILNS1_3genE9ELNS1_11target_archE1100ELNS1_3gpuE3ELNS1_3repE0EEENS1_47radix_sort_onesweep_sort_config_static_selectorELNS0_4arch9wavefront6targetE1EEEvSK_.num_agpr, 0
	.set _ZN7rocprim17ROCPRIM_400000_NS6detail17trampoline_kernelINS0_14default_configENS1_35radix_sort_onesweep_config_selectorIiNS0_10empty_typeEEEZZNS1_29radix_sort_onesweep_iterationIS3_Lb0EN6thrust23THRUST_200600_302600_NS6detail15normal_iteratorINS9_10device_ptrIiEEEESE_PS5_SF_jNS0_19identity_decomposerENS1_16block_id_wrapperIjLb1EEEEE10hipError_tT1_PNSt15iterator_traitsISK_E10value_typeET2_T3_PNSL_ISQ_E10value_typeET4_T5_PSV_SW_PNS1_23onesweep_lookback_stateEbbT6_jjT7_P12ihipStream_tbENKUlT_T0_SK_SP_E_clISE_PiSF_SF_EEDaS13_S14_SK_SP_EUlS13_E_NS1_11comp_targetILNS1_3genE9ELNS1_11target_archE1100ELNS1_3gpuE3ELNS1_3repE0EEENS1_47radix_sort_onesweep_sort_config_static_selectorELNS0_4arch9wavefront6targetE1EEEvSK_.numbered_sgpr, 0
	.set _ZN7rocprim17ROCPRIM_400000_NS6detail17trampoline_kernelINS0_14default_configENS1_35radix_sort_onesweep_config_selectorIiNS0_10empty_typeEEEZZNS1_29radix_sort_onesweep_iterationIS3_Lb0EN6thrust23THRUST_200600_302600_NS6detail15normal_iteratorINS9_10device_ptrIiEEEESE_PS5_SF_jNS0_19identity_decomposerENS1_16block_id_wrapperIjLb1EEEEE10hipError_tT1_PNSt15iterator_traitsISK_E10value_typeET2_T3_PNSL_ISQ_E10value_typeET4_T5_PSV_SW_PNS1_23onesweep_lookback_stateEbbT6_jjT7_P12ihipStream_tbENKUlT_T0_SK_SP_E_clISE_PiSF_SF_EEDaS13_S14_SK_SP_EUlS13_E_NS1_11comp_targetILNS1_3genE9ELNS1_11target_archE1100ELNS1_3gpuE3ELNS1_3repE0EEENS1_47radix_sort_onesweep_sort_config_static_selectorELNS0_4arch9wavefront6targetE1EEEvSK_.num_named_barrier, 0
	.set _ZN7rocprim17ROCPRIM_400000_NS6detail17trampoline_kernelINS0_14default_configENS1_35radix_sort_onesweep_config_selectorIiNS0_10empty_typeEEEZZNS1_29radix_sort_onesweep_iterationIS3_Lb0EN6thrust23THRUST_200600_302600_NS6detail15normal_iteratorINS9_10device_ptrIiEEEESE_PS5_SF_jNS0_19identity_decomposerENS1_16block_id_wrapperIjLb1EEEEE10hipError_tT1_PNSt15iterator_traitsISK_E10value_typeET2_T3_PNSL_ISQ_E10value_typeET4_T5_PSV_SW_PNS1_23onesweep_lookback_stateEbbT6_jjT7_P12ihipStream_tbENKUlT_T0_SK_SP_E_clISE_PiSF_SF_EEDaS13_S14_SK_SP_EUlS13_E_NS1_11comp_targetILNS1_3genE9ELNS1_11target_archE1100ELNS1_3gpuE3ELNS1_3repE0EEENS1_47radix_sort_onesweep_sort_config_static_selectorELNS0_4arch9wavefront6targetE1EEEvSK_.private_seg_size, 0
	.set _ZN7rocprim17ROCPRIM_400000_NS6detail17trampoline_kernelINS0_14default_configENS1_35radix_sort_onesweep_config_selectorIiNS0_10empty_typeEEEZZNS1_29radix_sort_onesweep_iterationIS3_Lb0EN6thrust23THRUST_200600_302600_NS6detail15normal_iteratorINS9_10device_ptrIiEEEESE_PS5_SF_jNS0_19identity_decomposerENS1_16block_id_wrapperIjLb1EEEEE10hipError_tT1_PNSt15iterator_traitsISK_E10value_typeET2_T3_PNSL_ISQ_E10value_typeET4_T5_PSV_SW_PNS1_23onesweep_lookback_stateEbbT6_jjT7_P12ihipStream_tbENKUlT_T0_SK_SP_E_clISE_PiSF_SF_EEDaS13_S14_SK_SP_EUlS13_E_NS1_11comp_targetILNS1_3genE9ELNS1_11target_archE1100ELNS1_3gpuE3ELNS1_3repE0EEENS1_47radix_sort_onesweep_sort_config_static_selectorELNS0_4arch9wavefront6targetE1EEEvSK_.uses_vcc, 0
	.set _ZN7rocprim17ROCPRIM_400000_NS6detail17trampoline_kernelINS0_14default_configENS1_35radix_sort_onesweep_config_selectorIiNS0_10empty_typeEEEZZNS1_29radix_sort_onesweep_iterationIS3_Lb0EN6thrust23THRUST_200600_302600_NS6detail15normal_iteratorINS9_10device_ptrIiEEEESE_PS5_SF_jNS0_19identity_decomposerENS1_16block_id_wrapperIjLb1EEEEE10hipError_tT1_PNSt15iterator_traitsISK_E10value_typeET2_T3_PNSL_ISQ_E10value_typeET4_T5_PSV_SW_PNS1_23onesweep_lookback_stateEbbT6_jjT7_P12ihipStream_tbENKUlT_T0_SK_SP_E_clISE_PiSF_SF_EEDaS13_S14_SK_SP_EUlS13_E_NS1_11comp_targetILNS1_3genE9ELNS1_11target_archE1100ELNS1_3gpuE3ELNS1_3repE0EEENS1_47radix_sort_onesweep_sort_config_static_selectorELNS0_4arch9wavefront6targetE1EEEvSK_.uses_flat_scratch, 0
	.set _ZN7rocprim17ROCPRIM_400000_NS6detail17trampoline_kernelINS0_14default_configENS1_35radix_sort_onesweep_config_selectorIiNS0_10empty_typeEEEZZNS1_29radix_sort_onesweep_iterationIS3_Lb0EN6thrust23THRUST_200600_302600_NS6detail15normal_iteratorINS9_10device_ptrIiEEEESE_PS5_SF_jNS0_19identity_decomposerENS1_16block_id_wrapperIjLb1EEEEE10hipError_tT1_PNSt15iterator_traitsISK_E10value_typeET2_T3_PNSL_ISQ_E10value_typeET4_T5_PSV_SW_PNS1_23onesweep_lookback_stateEbbT6_jjT7_P12ihipStream_tbENKUlT_T0_SK_SP_E_clISE_PiSF_SF_EEDaS13_S14_SK_SP_EUlS13_E_NS1_11comp_targetILNS1_3genE9ELNS1_11target_archE1100ELNS1_3gpuE3ELNS1_3repE0EEENS1_47radix_sort_onesweep_sort_config_static_selectorELNS0_4arch9wavefront6targetE1EEEvSK_.has_dyn_sized_stack, 0
	.set _ZN7rocprim17ROCPRIM_400000_NS6detail17trampoline_kernelINS0_14default_configENS1_35radix_sort_onesweep_config_selectorIiNS0_10empty_typeEEEZZNS1_29radix_sort_onesweep_iterationIS3_Lb0EN6thrust23THRUST_200600_302600_NS6detail15normal_iteratorINS9_10device_ptrIiEEEESE_PS5_SF_jNS0_19identity_decomposerENS1_16block_id_wrapperIjLb1EEEEE10hipError_tT1_PNSt15iterator_traitsISK_E10value_typeET2_T3_PNSL_ISQ_E10value_typeET4_T5_PSV_SW_PNS1_23onesweep_lookback_stateEbbT6_jjT7_P12ihipStream_tbENKUlT_T0_SK_SP_E_clISE_PiSF_SF_EEDaS13_S14_SK_SP_EUlS13_E_NS1_11comp_targetILNS1_3genE9ELNS1_11target_archE1100ELNS1_3gpuE3ELNS1_3repE0EEENS1_47radix_sort_onesweep_sort_config_static_selectorELNS0_4arch9wavefront6targetE1EEEvSK_.has_recursion, 0
	.set _ZN7rocprim17ROCPRIM_400000_NS6detail17trampoline_kernelINS0_14default_configENS1_35radix_sort_onesweep_config_selectorIiNS0_10empty_typeEEEZZNS1_29radix_sort_onesweep_iterationIS3_Lb0EN6thrust23THRUST_200600_302600_NS6detail15normal_iteratorINS9_10device_ptrIiEEEESE_PS5_SF_jNS0_19identity_decomposerENS1_16block_id_wrapperIjLb1EEEEE10hipError_tT1_PNSt15iterator_traitsISK_E10value_typeET2_T3_PNSL_ISQ_E10value_typeET4_T5_PSV_SW_PNS1_23onesweep_lookback_stateEbbT6_jjT7_P12ihipStream_tbENKUlT_T0_SK_SP_E_clISE_PiSF_SF_EEDaS13_S14_SK_SP_EUlS13_E_NS1_11comp_targetILNS1_3genE9ELNS1_11target_archE1100ELNS1_3gpuE3ELNS1_3repE0EEENS1_47radix_sort_onesweep_sort_config_static_selectorELNS0_4arch9wavefront6targetE1EEEvSK_.has_indirect_call, 0
	.section	.AMDGPU.csdata,"",@progbits
; Kernel info:
; codeLenInByte = 0
; TotalNumSgprs: 6
; NumVgprs: 0
; NumAgprs: 0
; TotalNumVgprs: 0
; ScratchSize: 0
; MemoryBound: 0
; FloatMode: 240
; IeeeMode: 1
; LDSByteSize: 0 bytes/workgroup (compile time only)
; SGPRBlocks: 0
; VGPRBlocks: 0
; NumSGPRsForWavesPerEU: 6
; NumVGPRsForWavesPerEU: 1
; AccumOffset: 4
; Occupancy: 8
; WaveLimiterHint : 0
; COMPUTE_PGM_RSRC2:SCRATCH_EN: 0
; COMPUTE_PGM_RSRC2:USER_SGPR: 2
; COMPUTE_PGM_RSRC2:TRAP_HANDLER: 0
; COMPUTE_PGM_RSRC2:TGID_X_EN: 1
; COMPUTE_PGM_RSRC2:TGID_Y_EN: 0
; COMPUTE_PGM_RSRC2:TGID_Z_EN: 0
; COMPUTE_PGM_RSRC2:TIDIG_COMP_CNT: 0
; COMPUTE_PGM_RSRC3_GFX90A:ACCUM_OFFSET: 0
; COMPUTE_PGM_RSRC3_GFX90A:TG_SPLIT: 0
	.section	.text._ZN7rocprim17ROCPRIM_400000_NS6detail17trampoline_kernelINS0_14default_configENS1_35radix_sort_onesweep_config_selectorIiNS0_10empty_typeEEEZZNS1_29radix_sort_onesweep_iterationIS3_Lb0EN6thrust23THRUST_200600_302600_NS6detail15normal_iteratorINS9_10device_ptrIiEEEESE_PS5_SF_jNS0_19identity_decomposerENS1_16block_id_wrapperIjLb1EEEEE10hipError_tT1_PNSt15iterator_traitsISK_E10value_typeET2_T3_PNSL_ISQ_E10value_typeET4_T5_PSV_SW_PNS1_23onesweep_lookback_stateEbbT6_jjT7_P12ihipStream_tbENKUlT_T0_SK_SP_E_clISE_PiSF_SF_EEDaS13_S14_SK_SP_EUlS13_E_NS1_11comp_targetILNS1_3genE8ELNS1_11target_archE1030ELNS1_3gpuE2ELNS1_3repE0EEENS1_47radix_sort_onesweep_sort_config_static_selectorELNS0_4arch9wavefront6targetE1EEEvSK_,"axG",@progbits,_ZN7rocprim17ROCPRIM_400000_NS6detail17trampoline_kernelINS0_14default_configENS1_35radix_sort_onesweep_config_selectorIiNS0_10empty_typeEEEZZNS1_29radix_sort_onesweep_iterationIS3_Lb0EN6thrust23THRUST_200600_302600_NS6detail15normal_iteratorINS9_10device_ptrIiEEEESE_PS5_SF_jNS0_19identity_decomposerENS1_16block_id_wrapperIjLb1EEEEE10hipError_tT1_PNSt15iterator_traitsISK_E10value_typeET2_T3_PNSL_ISQ_E10value_typeET4_T5_PSV_SW_PNS1_23onesweep_lookback_stateEbbT6_jjT7_P12ihipStream_tbENKUlT_T0_SK_SP_E_clISE_PiSF_SF_EEDaS13_S14_SK_SP_EUlS13_E_NS1_11comp_targetILNS1_3genE8ELNS1_11target_archE1030ELNS1_3gpuE2ELNS1_3repE0EEENS1_47radix_sort_onesweep_sort_config_static_selectorELNS0_4arch9wavefront6targetE1EEEvSK_,comdat
	.protected	_ZN7rocprim17ROCPRIM_400000_NS6detail17trampoline_kernelINS0_14default_configENS1_35radix_sort_onesweep_config_selectorIiNS0_10empty_typeEEEZZNS1_29radix_sort_onesweep_iterationIS3_Lb0EN6thrust23THRUST_200600_302600_NS6detail15normal_iteratorINS9_10device_ptrIiEEEESE_PS5_SF_jNS0_19identity_decomposerENS1_16block_id_wrapperIjLb1EEEEE10hipError_tT1_PNSt15iterator_traitsISK_E10value_typeET2_T3_PNSL_ISQ_E10value_typeET4_T5_PSV_SW_PNS1_23onesweep_lookback_stateEbbT6_jjT7_P12ihipStream_tbENKUlT_T0_SK_SP_E_clISE_PiSF_SF_EEDaS13_S14_SK_SP_EUlS13_E_NS1_11comp_targetILNS1_3genE8ELNS1_11target_archE1030ELNS1_3gpuE2ELNS1_3repE0EEENS1_47radix_sort_onesweep_sort_config_static_selectorELNS0_4arch9wavefront6targetE1EEEvSK_ ; -- Begin function _ZN7rocprim17ROCPRIM_400000_NS6detail17trampoline_kernelINS0_14default_configENS1_35radix_sort_onesweep_config_selectorIiNS0_10empty_typeEEEZZNS1_29radix_sort_onesweep_iterationIS3_Lb0EN6thrust23THRUST_200600_302600_NS6detail15normal_iteratorINS9_10device_ptrIiEEEESE_PS5_SF_jNS0_19identity_decomposerENS1_16block_id_wrapperIjLb1EEEEE10hipError_tT1_PNSt15iterator_traitsISK_E10value_typeET2_T3_PNSL_ISQ_E10value_typeET4_T5_PSV_SW_PNS1_23onesweep_lookback_stateEbbT6_jjT7_P12ihipStream_tbENKUlT_T0_SK_SP_E_clISE_PiSF_SF_EEDaS13_S14_SK_SP_EUlS13_E_NS1_11comp_targetILNS1_3genE8ELNS1_11target_archE1030ELNS1_3gpuE2ELNS1_3repE0EEENS1_47radix_sort_onesweep_sort_config_static_selectorELNS0_4arch9wavefront6targetE1EEEvSK_
	.globl	_ZN7rocprim17ROCPRIM_400000_NS6detail17trampoline_kernelINS0_14default_configENS1_35radix_sort_onesweep_config_selectorIiNS0_10empty_typeEEEZZNS1_29radix_sort_onesweep_iterationIS3_Lb0EN6thrust23THRUST_200600_302600_NS6detail15normal_iteratorINS9_10device_ptrIiEEEESE_PS5_SF_jNS0_19identity_decomposerENS1_16block_id_wrapperIjLb1EEEEE10hipError_tT1_PNSt15iterator_traitsISK_E10value_typeET2_T3_PNSL_ISQ_E10value_typeET4_T5_PSV_SW_PNS1_23onesweep_lookback_stateEbbT6_jjT7_P12ihipStream_tbENKUlT_T0_SK_SP_E_clISE_PiSF_SF_EEDaS13_S14_SK_SP_EUlS13_E_NS1_11comp_targetILNS1_3genE8ELNS1_11target_archE1030ELNS1_3gpuE2ELNS1_3repE0EEENS1_47radix_sort_onesweep_sort_config_static_selectorELNS0_4arch9wavefront6targetE1EEEvSK_
	.p2align	8
	.type	_ZN7rocprim17ROCPRIM_400000_NS6detail17trampoline_kernelINS0_14default_configENS1_35radix_sort_onesweep_config_selectorIiNS0_10empty_typeEEEZZNS1_29radix_sort_onesweep_iterationIS3_Lb0EN6thrust23THRUST_200600_302600_NS6detail15normal_iteratorINS9_10device_ptrIiEEEESE_PS5_SF_jNS0_19identity_decomposerENS1_16block_id_wrapperIjLb1EEEEE10hipError_tT1_PNSt15iterator_traitsISK_E10value_typeET2_T3_PNSL_ISQ_E10value_typeET4_T5_PSV_SW_PNS1_23onesweep_lookback_stateEbbT6_jjT7_P12ihipStream_tbENKUlT_T0_SK_SP_E_clISE_PiSF_SF_EEDaS13_S14_SK_SP_EUlS13_E_NS1_11comp_targetILNS1_3genE8ELNS1_11target_archE1030ELNS1_3gpuE2ELNS1_3repE0EEENS1_47radix_sort_onesweep_sort_config_static_selectorELNS0_4arch9wavefront6targetE1EEEvSK_,@function
_ZN7rocprim17ROCPRIM_400000_NS6detail17trampoline_kernelINS0_14default_configENS1_35radix_sort_onesweep_config_selectorIiNS0_10empty_typeEEEZZNS1_29radix_sort_onesweep_iterationIS3_Lb0EN6thrust23THRUST_200600_302600_NS6detail15normal_iteratorINS9_10device_ptrIiEEEESE_PS5_SF_jNS0_19identity_decomposerENS1_16block_id_wrapperIjLb1EEEEE10hipError_tT1_PNSt15iterator_traitsISK_E10value_typeET2_T3_PNSL_ISQ_E10value_typeET4_T5_PSV_SW_PNS1_23onesweep_lookback_stateEbbT6_jjT7_P12ihipStream_tbENKUlT_T0_SK_SP_E_clISE_PiSF_SF_EEDaS13_S14_SK_SP_EUlS13_E_NS1_11comp_targetILNS1_3genE8ELNS1_11target_archE1030ELNS1_3gpuE2ELNS1_3repE0EEENS1_47radix_sort_onesweep_sort_config_static_selectorELNS0_4arch9wavefront6targetE1EEEvSK_: ; @_ZN7rocprim17ROCPRIM_400000_NS6detail17trampoline_kernelINS0_14default_configENS1_35radix_sort_onesweep_config_selectorIiNS0_10empty_typeEEEZZNS1_29radix_sort_onesweep_iterationIS3_Lb0EN6thrust23THRUST_200600_302600_NS6detail15normal_iteratorINS9_10device_ptrIiEEEESE_PS5_SF_jNS0_19identity_decomposerENS1_16block_id_wrapperIjLb1EEEEE10hipError_tT1_PNSt15iterator_traitsISK_E10value_typeET2_T3_PNSL_ISQ_E10value_typeET4_T5_PSV_SW_PNS1_23onesweep_lookback_stateEbbT6_jjT7_P12ihipStream_tbENKUlT_T0_SK_SP_E_clISE_PiSF_SF_EEDaS13_S14_SK_SP_EUlS13_E_NS1_11comp_targetILNS1_3genE8ELNS1_11target_archE1030ELNS1_3gpuE2ELNS1_3repE0EEENS1_47radix_sort_onesweep_sort_config_static_selectorELNS0_4arch9wavefront6targetE1EEEvSK_
; %bb.0:
	.section	.rodata,"a",@progbits
	.p2align	6, 0x0
	.amdhsa_kernel _ZN7rocprim17ROCPRIM_400000_NS6detail17trampoline_kernelINS0_14default_configENS1_35radix_sort_onesweep_config_selectorIiNS0_10empty_typeEEEZZNS1_29radix_sort_onesweep_iterationIS3_Lb0EN6thrust23THRUST_200600_302600_NS6detail15normal_iteratorINS9_10device_ptrIiEEEESE_PS5_SF_jNS0_19identity_decomposerENS1_16block_id_wrapperIjLb1EEEEE10hipError_tT1_PNSt15iterator_traitsISK_E10value_typeET2_T3_PNSL_ISQ_E10value_typeET4_T5_PSV_SW_PNS1_23onesweep_lookback_stateEbbT6_jjT7_P12ihipStream_tbENKUlT_T0_SK_SP_E_clISE_PiSF_SF_EEDaS13_S14_SK_SP_EUlS13_E_NS1_11comp_targetILNS1_3genE8ELNS1_11target_archE1030ELNS1_3gpuE2ELNS1_3repE0EEENS1_47radix_sort_onesweep_sort_config_static_selectorELNS0_4arch9wavefront6targetE1EEEvSK_
		.amdhsa_group_segment_fixed_size 0
		.amdhsa_private_segment_fixed_size 0
		.amdhsa_kernarg_size 88
		.amdhsa_user_sgpr_count 2
		.amdhsa_user_sgpr_dispatch_ptr 0
		.amdhsa_user_sgpr_queue_ptr 0
		.amdhsa_user_sgpr_kernarg_segment_ptr 1
		.amdhsa_user_sgpr_dispatch_id 0
		.amdhsa_user_sgpr_kernarg_preload_length 0
		.amdhsa_user_sgpr_kernarg_preload_offset 0
		.amdhsa_user_sgpr_private_segment_size 0
		.amdhsa_uses_dynamic_stack 0
		.amdhsa_enable_private_segment 0
		.amdhsa_system_sgpr_workgroup_id_x 1
		.amdhsa_system_sgpr_workgroup_id_y 0
		.amdhsa_system_sgpr_workgroup_id_z 0
		.amdhsa_system_sgpr_workgroup_info 0
		.amdhsa_system_vgpr_workitem_id 0
		.amdhsa_next_free_vgpr 1
		.amdhsa_next_free_sgpr 0
		.amdhsa_accum_offset 4
		.amdhsa_reserve_vcc 0
		.amdhsa_float_round_mode_32 0
		.amdhsa_float_round_mode_16_64 0
		.amdhsa_float_denorm_mode_32 3
		.amdhsa_float_denorm_mode_16_64 3
		.amdhsa_dx10_clamp 1
		.amdhsa_ieee_mode 1
		.amdhsa_fp16_overflow 0
		.amdhsa_tg_split 0
		.amdhsa_exception_fp_ieee_invalid_op 0
		.amdhsa_exception_fp_denorm_src 0
		.amdhsa_exception_fp_ieee_div_zero 0
		.amdhsa_exception_fp_ieee_overflow 0
		.amdhsa_exception_fp_ieee_underflow 0
		.amdhsa_exception_fp_ieee_inexact 0
		.amdhsa_exception_int_div_zero 0
	.end_amdhsa_kernel
	.section	.text._ZN7rocprim17ROCPRIM_400000_NS6detail17trampoline_kernelINS0_14default_configENS1_35radix_sort_onesweep_config_selectorIiNS0_10empty_typeEEEZZNS1_29radix_sort_onesweep_iterationIS3_Lb0EN6thrust23THRUST_200600_302600_NS6detail15normal_iteratorINS9_10device_ptrIiEEEESE_PS5_SF_jNS0_19identity_decomposerENS1_16block_id_wrapperIjLb1EEEEE10hipError_tT1_PNSt15iterator_traitsISK_E10value_typeET2_T3_PNSL_ISQ_E10value_typeET4_T5_PSV_SW_PNS1_23onesweep_lookback_stateEbbT6_jjT7_P12ihipStream_tbENKUlT_T0_SK_SP_E_clISE_PiSF_SF_EEDaS13_S14_SK_SP_EUlS13_E_NS1_11comp_targetILNS1_3genE8ELNS1_11target_archE1030ELNS1_3gpuE2ELNS1_3repE0EEENS1_47radix_sort_onesweep_sort_config_static_selectorELNS0_4arch9wavefront6targetE1EEEvSK_,"axG",@progbits,_ZN7rocprim17ROCPRIM_400000_NS6detail17trampoline_kernelINS0_14default_configENS1_35radix_sort_onesweep_config_selectorIiNS0_10empty_typeEEEZZNS1_29radix_sort_onesweep_iterationIS3_Lb0EN6thrust23THRUST_200600_302600_NS6detail15normal_iteratorINS9_10device_ptrIiEEEESE_PS5_SF_jNS0_19identity_decomposerENS1_16block_id_wrapperIjLb1EEEEE10hipError_tT1_PNSt15iterator_traitsISK_E10value_typeET2_T3_PNSL_ISQ_E10value_typeET4_T5_PSV_SW_PNS1_23onesweep_lookback_stateEbbT6_jjT7_P12ihipStream_tbENKUlT_T0_SK_SP_E_clISE_PiSF_SF_EEDaS13_S14_SK_SP_EUlS13_E_NS1_11comp_targetILNS1_3genE8ELNS1_11target_archE1030ELNS1_3gpuE2ELNS1_3repE0EEENS1_47radix_sort_onesweep_sort_config_static_selectorELNS0_4arch9wavefront6targetE1EEEvSK_,comdat
.Lfunc_end176:
	.size	_ZN7rocprim17ROCPRIM_400000_NS6detail17trampoline_kernelINS0_14default_configENS1_35radix_sort_onesweep_config_selectorIiNS0_10empty_typeEEEZZNS1_29radix_sort_onesweep_iterationIS3_Lb0EN6thrust23THRUST_200600_302600_NS6detail15normal_iteratorINS9_10device_ptrIiEEEESE_PS5_SF_jNS0_19identity_decomposerENS1_16block_id_wrapperIjLb1EEEEE10hipError_tT1_PNSt15iterator_traitsISK_E10value_typeET2_T3_PNSL_ISQ_E10value_typeET4_T5_PSV_SW_PNS1_23onesweep_lookback_stateEbbT6_jjT7_P12ihipStream_tbENKUlT_T0_SK_SP_E_clISE_PiSF_SF_EEDaS13_S14_SK_SP_EUlS13_E_NS1_11comp_targetILNS1_3genE8ELNS1_11target_archE1030ELNS1_3gpuE2ELNS1_3repE0EEENS1_47radix_sort_onesweep_sort_config_static_selectorELNS0_4arch9wavefront6targetE1EEEvSK_, .Lfunc_end176-_ZN7rocprim17ROCPRIM_400000_NS6detail17trampoline_kernelINS0_14default_configENS1_35radix_sort_onesweep_config_selectorIiNS0_10empty_typeEEEZZNS1_29radix_sort_onesweep_iterationIS3_Lb0EN6thrust23THRUST_200600_302600_NS6detail15normal_iteratorINS9_10device_ptrIiEEEESE_PS5_SF_jNS0_19identity_decomposerENS1_16block_id_wrapperIjLb1EEEEE10hipError_tT1_PNSt15iterator_traitsISK_E10value_typeET2_T3_PNSL_ISQ_E10value_typeET4_T5_PSV_SW_PNS1_23onesweep_lookback_stateEbbT6_jjT7_P12ihipStream_tbENKUlT_T0_SK_SP_E_clISE_PiSF_SF_EEDaS13_S14_SK_SP_EUlS13_E_NS1_11comp_targetILNS1_3genE8ELNS1_11target_archE1030ELNS1_3gpuE2ELNS1_3repE0EEENS1_47radix_sort_onesweep_sort_config_static_selectorELNS0_4arch9wavefront6targetE1EEEvSK_
                                        ; -- End function
	.set _ZN7rocprim17ROCPRIM_400000_NS6detail17trampoline_kernelINS0_14default_configENS1_35radix_sort_onesweep_config_selectorIiNS0_10empty_typeEEEZZNS1_29radix_sort_onesweep_iterationIS3_Lb0EN6thrust23THRUST_200600_302600_NS6detail15normal_iteratorINS9_10device_ptrIiEEEESE_PS5_SF_jNS0_19identity_decomposerENS1_16block_id_wrapperIjLb1EEEEE10hipError_tT1_PNSt15iterator_traitsISK_E10value_typeET2_T3_PNSL_ISQ_E10value_typeET4_T5_PSV_SW_PNS1_23onesweep_lookback_stateEbbT6_jjT7_P12ihipStream_tbENKUlT_T0_SK_SP_E_clISE_PiSF_SF_EEDaS13_S14_SK_SP_EUlS13_E_NS1_11comp_targetILNS1_3genE8ELNS1_11target_archE1030ELNS1_3gpuE2ELNS1_3repE0EEENS1_47radix_sort_onesweep_sort_config_static_selectorELNS0_4arch9wavefront6targetE1EEEvSK_.num_vgpr, 0
	.set _ZN7rocprim17ROCPRIM_400000_NS6detail17trampoline_kernelINS0_14default_configENS1_35radix_sort_onesweep_config_selectorIiNS0_10empty_typeEEEZZNS1_29radix_sort_onesweep_iterationIS3_Lb0EN6thrust23THRUST_200600_302600_NS6detail15normal_iteratorINS9_10device_ptrIiEEEESE_PS5_SF_jNS0_19identity_decomposerENS1_16block_id_wrapperIjLb1EEEEE10hipError_tT1_PNSt15iterator_traitsISK_E10value_typeET2_T3_PNSL_ISQ_E10value_typeET4_T5_PSV_SW_PNS1_23onesweep_lookback_stateEbbT6_jjT7_P12ihipStream_tbENKUlT_T0_SK_SP_E_clISE_PiSF_SF_EEDaS13_S14_SK_SP_EUlS13_E_NS1_11comp_targetILNS1_3genE8ELNS1_11target_archE1030ELNS1_3gpuE2ELNS1_3repE0EEENS1_47radix_sort_onesweep_sort_config_static_selectorELNS0_4arch9wavefront6targetE1EEEvSK_.num_agpr, 0
	.set _ZN7rocprim17ROCPRIM_400000_NS6detail17trampoline_kernelINS0_14default_configENS1_35radix_sort_onesweep_config_selectorIiNS0_10empty_typeEEEZZNS1_29radix_sort_onesweep_iterationIS3_Lb0EN6thrust23THRUST_200600_302600_NS6detail15normal_iteratorINS9_10device_ptrIiEEEESE_PS5_SF_jNS0_19identity_decomposerENS1_16block_id_wrapperIjLb1EEEEE10hipError_tT1_PNSt15iterator_traitsISK_E10value_typeET2_T3_PNSL_ISQ_E10value_typeET4_T5_PSV_SW_PNS1_23onesweep_lookback_stateEbbT6_jjT7_P12ihipStream_tbENKUlT_T0_SK_SP_E_clISE_PiSF_SF_EEDaS13_S14_SK_SP_EUlS13_E_NS1_11comp_targetILNS1_3genE8ELNS1_11target_archE1030ELNS1_3gpuE2ELNS1_3repE0EEENS1_47radix_sort_onesweep_sort_config_static_selectorELNS0_4arch9wavefront6targetE1EEEvSK_.numbered_sgpr, 0
	.set _ZN7rocprim17ROCPRIM_400000_NS6detail17trampoline_kernelINS0_14default_configENS1_35radix_sort_onesweep_config_selectorIiNS0_10empty_typeEEEZZNS1_29radix_sort_onesweep_iterationIS3_Lb0EN6thrust23THRUST_200600_302600_NS6detail15normal_iteratorINS9_10device_ptrIiEEEESE_PS5_SF_jNS0_19identity_decomposerENS1_16block_id_wrapperIjLb1EEEEE10hipError_tT1_PNSt15iterator_traitsISK_E10value_typeET2_T3_PNSL_ISQ_E10value_typeET4_T5_PSV_SW_PNS1_23onesweep_lookback_stateEbbT6_jjT7_P12ihipStream_tbENKUlT_T0_SK_SP_E_clISE_PiSF_SF_EEDaS13_S14_SK_SP_EUlS13_E_NS1_11comp_targetILNS1_3genE8ELNS1_11target_archE1030ELNS1_3gpuE2ELNS1_3repE0EEENS1_47radix_sort_onesweep_sort_config_static_selectorELNS0_4arch9wavefront6targetE1EEEvSK_.num_named_barrier, 0
	.set _ZN7rocprim17ROCPRIM_400000_NS6detail17trampoline_kernelINS0_14default_configENS1_35radix_sort_onesweep_config_selectorIiNS0_10empty_typeEEEZZNS1_29radix_sort_onesweep_iterationIS3_Lb0EN6thrust23THRUST_200600_302600_NS6detail15normal_iteratorINS9_10device_ptrIiEEEESE_PS5_SF_jNS0_19identity_decomposerENS1_16block_id_wrapperIjLb1EEEEE10hipError_tT1_PNSt15iterator_traitsISK_E10value_typeET2_T3_PNSL_ISQ_E10value_typeET4_T5_PSV_SW_PNS1_23onesweep_lookback_stateEbbT6_jjT7_P12ihipStream_tbENKUlT_T0_SK_SP_E_clISE_PiSF_SF_EEDaS13_S14_SK_SP_EUlS13_E_NS1_11comp_targetILNS1_3genE8ELNS1_11target_archE1030ELNS1_3gpuE2ELNS1_3repE0EEENS1_47radix_sort_onesweep_sort_config_static_selectorELNS0_4arch9wavefront6targetE1EEEvSK_.private_seg_size, 0
	.set _ZN7rocprim17ROCPRIM_400000_NS6detail17trampoline_kernelINS0_14default_configENS1_35radix_sort_onesweep_config_selectorIiNS0_10empty_typeEEEZZNS1_29radix_sort_onesweep_iterationIS3_Lb0EN6thrust23THRUST_200600_302600_NS6detail15normal_iteratorINS9_10device_ptrIiEEEESE_PS5_SF_jNS0_19identity_decomposerENS1_16block_id_wrapperIjLb1EEEEE10hipError_tT1_PNSt15iterator_traitsISK_E10value_typeET2_T3_PNSL_ISQ_E10value_typeET4_T5_PSV_SW_PNS1_23onesweep_lookback_stateEbbT6_jjT7_P12ihipStream_tbENKUlT_T0_SK_SP_E_clISE_PiSF_SF_EEDaS13_S14_SK_SP_EUlS13_E_NS1_11comp_targetILNS1_3genE8ELNS1_11target_archE1030ELNS1_3gpuE2ELNS1_3repE0EEENS1_47radix_sort_onesweep_sort_config_static_selectorELNS0_4arch9wavefront6targetE1EEEvSK_.uses_vcc, 0
	.set _ZN7rocprim17ROCPRIM_400000_NS6detail17trampoline_kernelINS0_14default_configENS1_35radix_sort_onesweep_config_selectorIiNS0_10empty_typeEEEZZNS1_29radix_sort_onesweep_iterationIS3_Lb0EN6thrust23THRUST_200600_302600_NS6detail15normal_iteratorINS9_10device_ptrIiEEEESE_PS5_SF_jNS0_19identity_decomposerENS1_16block_id_wrapperIjLb1EEEEE10hipError_tT1_PNSt15iterator_traitsISK_E10value_typeET2_T3_PNSL_ISQ_E10value_typeET4_T5_PSV_SW_PNS1_23onesweep_lookback_stateEbbT6_jjT7_P12ihipStream_tbENKUlT_T0_SK_SP_E_clISE_PiSF_SF_EEDaS13_S14_SK_SP_EUlS13_E_NS1_11comp_targetILNS1_3genE8ELNS1_11target_archE1030ELNS1_3gpuE2ELNS1_3repE0EEENS1_47radix_sort_onesweep_sort_config_static_selectorELNS0_4arch9wavefront6targetE1EEEvSK_.uses_flat_scratch, 0
	.set _ZN7rocprim17ROCPRIM_400000_NS6detail17trampoline_kernelINS0_14default_configENS1_35radix_sort_onesweep_config_selectorIiNS0_10empty_typeEEEZZNS1_29radix_sort_onesweep_iterationIS3_Lb0EN6thrust23THRUST_200600_302600_NS6detail15normal_iteratorINS9_10device_ptrIiEEEESE_PS5_SF_jNS0_19identity_decomposerENS1_16block_id_wrapperIjLb1EEEEE10hipError_tT1_PNSt15iterator_traitsISK_E10value_typeET2_T3_PNSL_ISQ_E10value_typeET4_T5_PSV_SW_PNS1_23onesweep_lookback_stateEbbT6_jjT7_P12ihipStream_tbENKUlT_T0_SK_SP_E_clISE_PiSF_SF_EEDaS13_S14_SK_SP_EUlS13_E_NS1_11comp_targetILNS1_3genE8ELNS1_11target_archE1030ELNS1_3gpuE2ELNS1_3repE0EEENS1_47radix_sort_onesweep_sort_config_static_selectorELNS0_4arch9wavefront6targetE1EEEvSK_.has_dyn_sized_stack, 0
	.set _ZN7rocprim17ROCPRIM_400000_NS6detail17trampoline_kernelINS0_14default_configENS1_35radix_sort_onesweep_config_selectorIiNS0_10empty_typeEEEZZNS1_29radix_sort_onesweep_iterationIS3_Lb0EN6thrust23THRUST_200600_302600_NS6detail15normal_iteratorINS9_10device_ptrIiEEEESE_PS5_SF_jNS0_19identity_decomposerENS1_16block_id_wrapperIjLb1EEEEE10hipError_tT1_PNSt15iterator_traitsISK_E10value_typeET2_T3_PNSL_ISQ_E10value_typeET4_T5_PSV_SW_PNS1_23onesweep_lookback_stateEbbT6_jjT7_P12ihipStream_tbENKUlT_T0_SK_SP_E_clISE_PiSF_SF_EEDaS13_S14_SK_SP_EUlS13_E_NS1_11comp_targetILNS1_3genE8ELNS1_11target_archE1030ELNS1_3gpuE2ELNS1_3repE0EEENS1_47radix_sort_onesweep_sort_config_static_selectorELNS0_4arch9wavefront6targetE1EEEvSK_.has_recursion, 0
	.set _ZN7rocprim17ROCPRIM_400000_NS6detail17trampoline_kernelINS0_14default_configENS1_35radix_sort_onesweep_config_selectorIiNS0_10empty_typeEEEZZNS1_29radix_sort_onesweep_iterationIS3_Lb0EN6thrust23THRUST_200600_302600_NS6detail15normal_iteratorINS9_10device_ptrIiEEEESE_PS5_SF_jNS0_19identity_decomposerENS1_16block_id_wrapperIjLb1EEEEE10hipError_tT1_PNSt15iterator_traitsISK_E10value_typeET2_T3_PNSL_ISQ_E10value_typeET4_T5_PSV_SW_PNS1_23onesweep_lookback_stateEbbT6_jjT7_P12ihipStream_tbENKUlT_T0_SK_SP_E_clISE_PiSF_SF_EEDaS13_S14_SK_SP_EUlS13_E_NS1_11comp_targetILNS1_3genE8ELNS1_11target_archE1030ELNS1_3gpuE2ELNS1_3repE0EEENS1_47radix_sort_onesweep_sort_config_static_selectorELNS0_4arch9wavefront6targetE1EEEvSK_.has_indirect_call, 0
	.section	.AMDGPU.csdata,"",@progbits
; Kernel info:
; codeLenInByte = 0
; TotalNumSgprs: 6
; NumVgprs: 0
; NumAgprs: 0
; TotalNumVgprs: 0
; ScratchSize: 0
; MemoryBound: 0
; FloatMode: 240
; IeeeMode: 1
; LDSByteSize: 0 bytes/workgroup (compile time only)
; SGPRBlocks: 0
; VGPRBlocks: 0
; NumSGPRsForWavesPerEU: 6
; NumVGPRsForWavesPerEU: 1
; AccumOffset: 4
; Occupancy: 8
; WaveLimiterHint : 0
; COMPUTE_PGM_RSRC2:SCRATCH_EN: 0
; COMPUTE_PGM_RSRC2:USER_SGPR: 2
; COMPUTE_PGM_RSRC2:TRAP_HANDLER: 0
; COMPUTE_PGM_RSRC2:TGID_X_EN: 1
; COMPUTE_PGM_RSRC2:TGID_Y_EN: 0
; COMPUTE_PGM_RSRC2:TGID_Z_EN: 0
; COMPUTE_PGM_RSRC2:TIDIG_COMP_CNT: 0
; COMPUTE_PGM_RSRC3_GFX90A:ACCUM_OFFSET: 0
; COMPUTE_PGM_RSRC3_GFX90A:TG_SPLIT: 0
	.section	.text._ZN7rocprim17ROCPRIM_400000_NS6detail17trampoline_kernelINS0_14default_configENS1_35radix_sort_onesweep_config_selectorIiNS0_10empty_typeEEEZZNS1_29radix_sort_onesweep_iterationIS3_Lb0EN6thrust23THRUST_200600_302600_NS6detail15normal_iteratorINS9_10device_ptrIiEEEESE_PS5_SF_jNS0_19identity_decomposerENS1_16block_id_wrapperIjLb1EEEEE10hipError_tT1_PNSt15iterator_traitsISK_E10value_typeET2_T3_PNSL_ISQ_E10value_typeET4_T5_PSV_SW_PNS1_23onesweep_lookback_stateEbbT6_jjT7_P12ihipStream_tbENKUlT_T0_SK_SP_E_clIPiSE_SF_SF_EEDaS13_S14_SK_SP_EUlS13_E_NS1_11comp_targetILNS1_3genE0ELNS1_11target_archE4294967295ELNS1_3gpuE0ELNS1_3repE0EEENS1_47radix_sort_onesweep_sort_config_static_selectorELNS0_4arch9wavefront6targetE1EEEvSK_,"axG",@progbits,_ZN7rocprim17ROCPRIM_400000_NS6detail17trampoline_kernelINS0_14default_configENS1_35radix_sort_onesweep_config_selectorIiNS0_10empty_typeEEEZZNS1_29radix_sort_onesweep_iterationIS3_Lb0EN6thrust23THRUST_200600_302600_NS6detail15normal_iteratorINS9_10device_ptrIiEEEESE_PS5_SF_jNS0_19identity_decomposerENS1_16block_id_wrapperIjLb1EEEEE10hipError_tT1_PNSt15iterator_traitsISK_E10value_typeET2_T3_PNSL_ISQ_E10value_typeET4_T5_PSV_SW_PNS1_23onesweep_lookback_stateEbbT6_jjT7_P12ihipStream_tbENKUlT_T0_SK_SP_E_clIPiSE_SF_SF_EEDaS13_S14_SK_SP_EUlS13_E_NS1_11comp_targetILNS1_3genE0ELNS1_11target_archE4294967295ELNS1_3gpuE0ELNS1_3repE0EEENS1_47radix_sort_onesweep_sort_config_static_selectorELNS0_4arch9wavefront6targetE1EEEvSK_,comdat
	.protected	_ZN7rocprim17ROCPRIM_400000_NS6detail17trampoline_kernelINS0_14default_configENS1_35radix_sort_onesweep_config_selectorIiNS0_10empty_typeEEEZZNS1_29radix_sort_onesweep_iterationIS3_Lb0EN6thrust23THRUST_200600_302600_NS6detail15normal_iteratorINS9_10device_ptrIiEEEESE_PS5_SF_jNS0_19identity_decomposerENS1_16block_id_wrapperIjLb1EEEEE10hipError_tT1_PNSt15iterator_traitsISK_E10value_typeET2_T3_PNSL_ISQ_E10value_typeET4_T5_PSV_SW_PNS1_23onesweep_lookback_stateEbbT6_jjT7_P12ihipStream_tbENKUlT_T0_SK_SP_E_clIPiSE_SF_SF_EEDaS13_S14_SK_SP_EUlS13_E_NS1_11comp_targetILNS1_3genE0ELNS1_11target_archE4294967295ELNS1_3gpuE0ELNS1_3repE0EEENS1_47radix_sort_onesweep_sort_config_static_selectorELNS0_4arch9wavefront6targetE1EEEvSK_ ; -- Begin function _ZN7rocprim17ROCPRIM_400000_NS6detail17trampoline_kernelINS0_14default_configENS1_35radix_sort_onesweep_config_selectorIiNS0_10empty_typeEEEZZNS1_29radix_sort_onesweep_iterationIS3_Lb0EN6thrust23THRUST_200600_302600_NS6detail15normal_iteratorINS9_10device_ptrIiEEEESE_PS5_SF_jNS0_19identity_decomposerENS1_16block_id_wrapperIjLb1EEEEE10hipError_tT1_PNSt15iterator_traitsISK_E10value_typeET2_T3_PNSL_ISQ_E10value_typeET4_T5_PSV_SW_PNS1_23onesweep_lookback_stateEbbT6_jjT7_P12ihipStream_tbENKUlT_T0_SK_SP_E_clIPiSE_SF_SF_EEDaS13_S14_SK_SP_EUlS13_E_NS1_11comp_targetILNS1_3genE0ELNS1_11target_archE4294967295ELNS1_3gpuE0ELNS1_3repE0EEENS1_47radix_sort_onesweep_sort_config_static_selectorELNS0_4arch9wavefront6targetE1EEEvSK_
	.globl	_ZN7rocprim17ROCPRIM_400000_NS6detail17trampoline_kernelINS0_14default_configENS1_35radix_sort_onesweep_config_selectorIiNS0_10empty_typeEEEZZNS1_29radix_sort_onesweep_iterationIS3_Lb0EN6thrust23THRUST_200600_302600_NS6detail15normal_iteratorINS9_10device_ptrIiEEEESE_PS5_SF_jNS0_19identity_decomposerENS1_16block_id_wrapperIjLb1EEEEE10hipError_tT1_PNSt15iterator_traitsISK_E10value_typeET2_T3_PNSL_ISQ_E10value_typeET4_T5_PSV_SW_PNS1_23onesweep_lookback_stateEbbT6_jjT7_P12ihipStream_tbENKUlT_T0_SK_SP_E_clIPiSE_SF_SF_EEDaS13_S14_SK_SP_EUlS13_E_NS1_11comp_targetILNS1_3genE0ELNS1_11target_archE4294967295ELNS1_3gpuE0ELNS1_3repE0EEENS1_47radix_sort_onesweep_sort_config_static_selectorELNS0_4arch9wavefront6targetE1EEEvSK_
	.p2align	8
	.type	_ZN7rocprim17ROCPRIM_400000_NS6detail17trampoline_kernelINS0_14default_configENS1_35radix_sort_onesweep_config_selectorIiNS0_10empty_typeEEEZZNS1_29radix_sort_onesweep_iterationIS3_Lb0EN6thrust23THRUST_200600_302600_NS6detail15normal_iteratorINS9_10device_ptrIiEEEESE_PS5_SF_jNS0_19identity_decomposerENS1_16block_id_wrapperIjLb1EEEEE10hipError_tT1_PNSt15iterator_traitsISK_E10value_typeET2_T3_PNSL_ISQ_E10value_typeET4_T5_PSV_SW_PNS1_23onesweep_lookback_stateEbbT6_jjT7_P12ihipStream_tbENKUlT_T0_SK_SP_E_clIPiSE_SF_SF_EEDaS13_S14_SK_SP_EUlS13_E_NS1_11comp_targetILNS1_3genE0ELNS1_11target_archE4294967295ELNS1_3gpuE0ELNS1_3repE0EEENS1_47radix_sort_onesweep_sort_config_static_selectorELNS0_4arch9wavefront6targetE1EEEvSK_,@function
_ZN7rocprim17ROCPRIM_400000_NS6detail17trampoline_kernelINS0_14default_configENS1_35radix_sort_onesweep_config_selectorIiNS0_10empty_typeEEEZZNS1_29radix_sort_onesweep_iterationIS3_Lb0EN6thrust23THRUST_200600_302600_NS6detail15normal_iteratorINS9_10device_ptrIiEEEESE_PS5_SF_jNS0_19identity_decomposerENS1_16block_id_wrapperIjLb1EEEEE10hipError_tT1_PNSt15iterator_traitsISK_E10value_typeET2_T3_PNSL_ISQ_E10value_typeET4_T5_PSV_SW_PNS1_23onesweep_lookback_stateEbbT6_jjT7_P12ihipStream_tbENKUlT_T0_SK_SP_E_clIPiSE_SF_SF_EEDaS13_S14_SK_SP_EUlS13_E_NS1_11comp_targetILNS1_3genE0ELNS1_11target_archE4294967295ELNS1_3gpuE0ELNS1_3repE0EEENS1_47radix_sort_onesweep_sort_config_static_selectorELNS0_4arch9wavefront6targetE1EEEvSK_: ; @_ZN7rocprim17ROCPRIM_400000_NS6detail17trampoline_kernelINS0_14default_configENS1_35radix_sort_onesweep_config_selectorIiNS0_10empty_typeEEEZZNS1_29radix_sort_onesweep_iterationIS3_Lb0EN6thrust23THRUST_200600_302600_NS6detail15normal_iteratorINS9_10device_ptrIiEEEESE_PS5_SF_jNS0_19identity_decomposerENS1_16block_id_wrapperIjLb1EEEEE10hipError_tT1_PNSt15iterator_traitsISK_E10value_typeET2_T3_PNSL_ISQ_E10value_typeET4_T5_PSV_SW_PNS1_23onesweep_lookback_stateEbbT6_jjT7_P12ihipStream_tbENKUlT_T0_SK_SP_E_clIPiSE_SF_SF_EEDaS13_S14_SK_SP_EUlS13_E_NS1_11comp_targetILNS1_3genE0ELNS1_11target_archE4294967295ELNS1_3gpuE0ELNS1_3repE0EEENS1_47radix_sort_onesweep_sort_config_static_selectorELNS0_4arch9wavefront6targetE1EEEvSK_
; %bb.0:
	.section	.rodata,"a",@progbits
	.p2align	6, 0x0
	.amdhsa_kernel _ZN7rocprim17ROCPRIM_400000_NS6detail17trampoline_kernelINS0_14default_configENS1_35radix_sort_onesweep_config_selectorIiNS0_10empty_typeEEEZZNS1_29radix_sort_onesweep_iterationIS3_Lb0EN6thrust23THRUST_200600_302600_NS6detail15normal_iteratorINS9_10device_ptrIiEEEESE_PS5_SF_jNS0_19identity_decomposerENS1_16block_id_wrapperIjLb1EEEEE10hipError_tT1_PNSt15iterator_traitsISK_E10value_typeET2_T3_PNSL_ISQ_E10value_typeET4_T5_PSV_SW_PNS1_23onesweep_lookback_stateEbbT6_jjT7_P12ihipStream_tbENKUlT_T0_SK_SP_E_clIPiSE_SF_SF_EEDaS13_S14_SK_SP_EUlS13_E_NS1_11comp_targetILNS1_3genE0ELNS1_11target_archE4294967295ELNS1_3gpuE0ELNS1_3repE0EEENS1_47radix_sort_onesweep_sort_config_static_selectorELNS0_4arch9wavefront6targetE1EEEvSK_
		.amdhsa_group_segment_fixed_size 0
		.amdhsa_private_segment_fixed_size 0
		.amdhsa_kernarg_size 88
		.amdhsa_user_sgpr_count 2
		.amdhsa_user_sgpr_dispatch_ptr 0
		.amdhsa_user_sgpr_queue_ptr 0
		.amdhsa_user_sgpr_kernarg_segment_ptr 1
		.amdhsa_user_sgpr_dispatch_id 0
		.amdhsa_user_sgpr_kernarg_preload_length 0
		.amdhsa_user_sgpr_kernarg_preload_offset 0
		.amdhsa_user_sgpr_private_segment_size 0
		.amdhsa_uses_dynamic_stack 0
		.amdhsa_enable_private_segment 0
		.amdhsa_system_sgpr_workgroup_id_x 1
		.amdhsa_system_sgpr_workgroup_id_y 0
		.amdhsa_system_sgpr_workgroup_id_z 0
		.amdhsa_system_sgpr_workgroup_info 0
		.amdhsa_system_vgpr_workitem_id 0
		.amdhsa_next_free_vgpr 1
		.amdhsa_next_free_sgpr 0
		.amdhsa_accum_offset 4
		.amdhsa_reserve_vcc 0
		.amdhsa_float_round_mode_32 0
		.amdhsa_float_round_mode_16_64 0
		.amdhsa_float_denorm_mode_32 3
		.amdhsa_float_denorm_mode_16_64 3
		.amdhsa_dx10_clamp 1
		.amdhsa_ieee_mode 1
		.amdhsa_fp16_overflow 0
		.amdhsa_tg_split 0
		.amdhsa_exception_fp_ieee_invalid_op 0
		.amdhsa_exception_fp_denorm_src 0
		.amdhsa_exception_fp_ieee_div_zero 0
		.amdhsa_exception_fp_ieee_overflow 0
		.amdhsa_exception_fp_ieee_underflow 0
		.amdhsa_exception_fp_ieee_inexact 0
		.amdhsa_exception_int_div_zero 0
	.end_amdhsa_kernel
	.section	.text._ZN7rocprim17ROCPRIM_400000_NS6detail17trampoline_kernelINS0_14default_configENS1_35radix_sort_onesweep_config_selectorIiNS0_10empty_typeEEEZZNS1_29radix_sort_onesweep_iterationIS3_Lb0EN6thrust23THRUST_200600_302600_NS6detail15normal_iteratorINS9_10device_ptrIiEEEESE_PS5_SF_jNS0_19identity_decomposerENS1_16block_id_wrapperIjLb1EEEEE10hipError_tT1_PNSt15iterator_traitsISK_E10value_typeET2_T3_PNSL_ISQ_E10value_typeET4_T5_PSV_SW_PNS1_23onesweep_lookback_stateEbbT6_jjT7_P12ihipStream_tbENKUlT_T0_SK_SP_E_clIPiSE_SF_SF_EEDaS13_S14_SK_SP_EUlS13_E_NS1_11comp_targetILNS1_3genE0ELNS1_11target_archE4294967295ELNS1_3gpuE0ELNS1_3repE0EEENS1_47radix_sort_onesweep_sort_config_static_selectorELNS0_4arch9wavefront6targetE1EEEvSK_,"axG",@progbits,_ZN7rocprim17ROCPRIM_400000_NS6detail17trampoline_kernelINS0_14default_configENS1_35radix_sort_onesweep_config_selectorIiNS0_10empty_typeEEEZZNS1_29radix_sort_onesweep_iterationIS3_Lb0EN6thrust23THRUST_200600_302600_NS6detail15normal_iteratorINS9_10device_ptrIiEEEESE_PS5_SF_jNS0_19identity_decomposerENS1_16block_id_wrapperIjLb1EEEEE10hipError_tT1_PNSt15iterator_traitsISK_E10value_typeET2_T3_PNSL_ISQ_E10value_typeET4_T5_PSV_SW_PNS1_23onesweep_lookback_stateEbbT6_jjT7_P12ihipStream_tbENKUlT_T0_SK_SP_E_clIPiSE_SF_SF_EEDaS13_S14_SK_SP_EUlS13_E_NS1_11comp_targetILNS1_3genE0ELNS1_11target_archE4294967295ELNS1_3gpuE0ELNS1_3repE0EEENS1_47radix_sort_onesweep_sort_config_static_selectorELNS0_4arch9wavefront6targetE1EEEvSK_,comdat
.Lfunc_end177:
	.size	_ZN7rocprim17ROCPRIM_400000_NS6detail17trampoline_kernelINS0_14default_configENS1_35radix_sort_onesweep_config_selectorIiNS0_10empty_typeEEEZZNS1_29radix_sort_onesweep_iterationIS3_Lb0EN6thrust23THRUST_200600_302600_NS6detail15normal_iteratorINS9_10device_ptrIiEEEESE_PS5_SF_jNS0_19identity_decomposerENS1_16block_id_wrapperIjLb1EEEEE10hipError_tT1_PNSt15iterator_traitsISK_E10value_typeET2_T3_PNSL_ISQ_E10value_typeET4_T5_PSV_SW_PNS1_23onesweep_lookback_stateEbbT6_jjT7_P12ihipStream_tbENKUlT_T0_SK_SP_E_clIPiSE_SF_SF_EEDaS13_S14_SK_SP_EUlS13_E_NS1_11comp_targetILNS1_3genE0ELNS1_11target_archE4294967295ELNS1_3gpuE0ELNS1_3repE0EEENS1_47radix_sort_onesweep_sort_config_static_selectorELNS0_4arch9wavefront6targetE1EEEvSK_, .Lfunc_end177-_ZN7rocprim17ROCPRIM_400000_NS6detail17trampoline_kernelINS0_14default_configENS1_35radix_sort_onesweep_config_selectorIiNS0_10empty_typeEEEZZNS1_29radix_sort_onesweep_iterationIS3_Lb0EN6thrust23THRUST_200600_302600_NS6detail15normal_iteratorINS9_10device_ptrIiEEEESE_PS5_SF_jNS0_19identity_decomposerENS1_16block_id_wrapperIjLb1EEEEE10hipError_tT1_PNSt15iterator_traitsISK_E10value_typeET2_T3_PNSL_ISQ_E10value_typeET4_T5_PSV_SW_PNS1_23onesweep_lookback_stateEbbT6_jjT7_P12ihipStream_tbENKUlT_T0_SK_SP_E_clIPiSE_SF_SF_EEDaS13_S14_SK_SP_EUlS13_E_NS1_11comp_targetILNS1_3genE0ELNS1_11target_archE4294967295ELNS1_3gpuE0ELNS1_3repE0EEENS1_47radix_sort_onesweep_sort_config_static_selectorELNS0_4arch9wavefront6targetE1EEEvSK_
                                        ; -- End function
	.set _ZN7rocprim17ROCPRIM_400000_NS6detail17trampoline_kernelINS0_14default_configENS1_35radix_sort_onesweep_config_selectorIiNS0_10empty_typeEEEZZNS1_29radix_sort_onesweep_iterationIS3_Lb0EN6thrust23THRUST_200600_302600_NS6detail15normal_iteratorINS9_10device_ptrIiEEEESE_PS5_SF_jNS0_19identity_decomposerENS1_16block_id_wrapperIjLb1EEEEE10hipError_tT1_PNSt15iterator_traitsISK_E10value_typeET2_T3_PNSL_ISQ_E10value_typeET4_T5_PSV_SW_PNS1_23onesweep_lookback_stateEbbT6_jjT7_P12ihipStream_tbENKUlT_T0_SK_SP_E_clIPiSE_SF_SF_EEDaS13_S14_SK_SP_EUlS13_E_NS1_11comp_targetILNS1_3genE0ELNS1_11target_archE4294967295ELNS1_3gpuE0ELNS1_3repE0EEENS1_47radix_sort_onesweep_sort_config_static_selectorELNS0_4arch9wavefront6targetE1EEEvSK_.num_vgpr, 0
	.set _ZN7rocprim17ROCPRIM_400000_NS6detail17trampoline_kernelINS0_14default_configENS1_35radix_sort_onesweep_config_selectorIiNS0_10empty_typeEEEZZNS1_29radix_sort_onesweep_iterationIS3_Lb0EN6thrust23THRUST_200600_302600_NS6detail15normal_iteratorINS9_10device_ptrIiEEEESE_PS5_SF_jNS0_19identity_decomposerENS1_16block_id_wrapperIjLb1EEEEE10hipError_tT1_PNSt15iterator_traitsISK_E10value_typeET2_T3_PNSL_ISQ_E10value_typeET4_T5_PSV_SW_PNS1_23onesweep_lookback_stateEbbT6_jjT7_P12ihipStream_tbENKUlT_T0_SK_SP_E_clIPiSE_SF_SF_EEDaS13_S14_SK_SP_EUlS13_E_NS1_11comp_targetILNS1_3genE0ELNS1_11target_archE4294967295ELNS1_3gpuE0ELNS1_3repE0EEENS1_47radix_sort_onesweep_sort_config_static_selectorELNS0_4arch9wavefront6targetE1EEEvSK_.num_agpr, 0
	.set _ZN7rocprim17ROCPRIM_400000_NS6detail17trampoline_kernelINS0_14default_configENS1_35radix_sort_onesweep_config_selectorIiNS0_10empty_typeEEEZZNS1_29radix_sort_onesweep_iterationIS3_Lb0EN6thrust23THRUST_200600_302600_NS6detail15normal_iteratorINS9_10device_ptrIiEEEESE_PS5_SF_jNS0_19identity_decomposerENS1_16block_id_wrapperIjLb1EEEEE10hipError_tT1_PNSt15iterator_traitsISK_E10value_typeET2_T3_PNSL_ISQ_E10value_typeET4_T5_PSV_SW_PNS1_23onesweep_lookback_stateEbbT6_jjT7_P12ihipStream_tbENKUlT_T0_SK_SP_E_clIPiSE_SF_SF_EEDaS13_S14_SK_SP_EUlS13_E_NS1_11comp_targetILNS1_3genE0ELNS1_11target_archE4294967295ELNS1_3gpuE0ELNS1_3repE0EEENS1_47radix_sort_onesweep_sort_config_static_selectorELNS0_4arch9wavefront6targetE1EEEvSK_.numbered_sgpr, 0
	.set _ZN7rocprim17ROCPRIM_400000_NS6detail17trampoline_kernelINS0_14default_configENS1_35radix_sort_onesweep_config_selectorIiNS0_10empty_typeEEEZZNS1_29radix_sort_onesweep_iterationIS3_Lb0EN6thrust23THRUST_200600_302600_NS6detail15normal_iteratorINS9_10device_ptrIiEEEESE_PS5_SF_jNS0_19identity_decomposerENS1_16block_id_wrapperIjLb1EEEEE10hipError_tT1_PNSt15iterator_traitsISK_E10value_typeET2_T3_PNSL_ISQ_E10value_typeET4_T5_PSV_SW_PNS1_23onesweep_lookback_stateEbbT6_jjT7_P12ihipStream_tbENKUlT_T0_SK_SP_E_clIPiSE_SF_SF_EEDaS13_S14_SK_SP_EUlS13_E_NS1_11comp_targetILNS1_3genE0ELNS1_11target_archE4294967295ELNS1_3gpuE0ELNS1_3repE0EEENS1_47radix_sort_onesweep_sort_config_static_selectorELNS0_4arch9wavefront6targetE1EEEvSK_.num_named_barrier, 0
	.set _ZN7rocprim17ROCPRIM_400000_NS6detail17trampoline_kernelINS0_14default_configENS1_35radix_sort_onesweep_config_selectorIiNS0_10empty_typeEEEZZNS1_29radix_sort_onesweep_iterationIS3_Lb0EN6thrust23THRUST_200600_302600_NS6detail15normal_iteratorINS9_10device_ptrIiEEEESE_PS5_SF_jNS0_19identity_decomposerENS1_16block_id_wrapperIjLb1EEEEE10hipError_tT1_PNSt15iterator_traitsISK_E10value_typeET2_T3_PNSL_ISQ_E10value_typeET4_T5_PSV_SW_PNS1_23onesweep_lookback_stateEbbT6_jjT7_P12ihipStream_tbENKUlT_T0_SK_SP_E_clIPiSE_SF_SF_EEDaS13_S14_SK_SP_EUlS13_E_NS1_11comp_targetILNS1_3genE0ELNS1_11target_archE4294967295ELNS1_3gpuE0ELNS1_3repE0EEENS1_47radix_sort_onesweep_sort_config_static_selectorELNS0_4arch9wavefront6targetE1EEEvSK_.private_seg_size, 0
	.set _ZN7rocprim17ROCPRIM_400000_NS6detail17trampoline_kernelINS0_14default_configENS1_35radix_sort_onesweep_config_selectorIiNS0_10empty_typeEEEZZNS1_29radix_sort_onesweep_iterationIS3_Lb0EN6thrust23THRUST_200600_302600_NS6detail15normal_iteratorINS9_10device_ptrIiEEEESE_PS5_SF_jNS0_19identity_decomposerENS1_16block_id_wrapperIjLb1EEEEE10hipError_tT1_PNSt15iterator_traitsISK_E10value_typeET2_T3_PNSL_ISQ_E10value_typeET4_T5_PSV_SW_PNS1_23onesweep_lookback_stateEbbT6_jjT7_P12ihipStream_tbENKUlT_T0_SK_SP_E_clIPiSE_SF_SF_EEDaS13_S14_SK_SP_EUlS13_E_NS1_11comp_targetILNS1_3genE0ELNS1_11target_archE4294967295ELNS1_3gpuE0ELNS1_3repE0EEENS1_47radix_sort_onesweep_sort_config_static_selectorELNS0_4arch9wavefront6targetE1EEEvSK_.uses_vcc, 0
	.set _ZN7rocprim17ROCPRIM_400000_NS6detail17trampoline_kernelINS0_14default_configENS1_35radix_sort_onesweep_config_selectorIiNS0_10empty_typeEEEZZNS1_29radix_sort_onesweep_iterationIS3_Lb0EN6thrust23THRUST_200600_302600_NS6detail15normal_iteratorINS9_10device_ptrIiEEEESE_PS5_SF_jNS0_19identity_decomposerENS1_16block_id_wrapperIjLb1EEEEE10hipError_tT1_PNSt15iterator_traitsISK_E10value_typeET2_T3_PNSL_ISQ_E10value_typeET4_T5_PSV_SW_PNS1_23onesweep_lookback_stateEbbT6_jjT7_P12ihipStream_tbENKUlT_T0_SK_SP_E_clIPiSE_SF_SF_EEDaS13_S14_SK_SP_EUlS13_E_NS1_11comp_targetILNS1_3genE0ELNS1_11target_archE4294967295ELNS1_3gpuE0ELNS1_3repE0EEENS1_47radix_sort_onesweep_sort_config_static_selectorELNS0_4arch9wavefront6targetE1EEEvSK_.uses_flat_scratch, 0
	.set _ZN7rocprim17ROCPRIM_400000_NS6detail17trampoline_kernelINS0_14default_configENS1_35radix_sort_onesweep_config_selectorIiNS0_10empty_typeEEEZZNS1_29radix_sort_onesweep_iterationIS3_Lb0EN6thrust23THRUST_200600_302600_NS6detail15normal_iteratorINS9_10device_ptrIiEEEESE_PS5_SF_jNS0_19identity_decomposerENS1_16block_id_wrapperIjLb1EEEEE10hipError_tT1_PNSt15iterator_traitsISK_E10value_typeET2_T3_PNSL_ISQ_E10value_typeET4_T5_PSV_SW_PNS1_23onesweep_lookback_stateEbbT6_jjT7_P12ihipStream_tbENKUlT_T0_SK_SP_E_clIPiSE_SF_SF_EEDaS13_S14_SK_SP_EUlS13_E_NS1_11comp_targetILNS1_3genE0ELNS1_11target_archE4294967295ELNS1_3gpuE0ELNS1_3repE0EEENS1_47radix_sort_onesweep_sort_config_static_selectorELNS0_4arch9wavefront6targetE1EEEvSK_.has_dyn_sized_stack, 0
	.set _ZN7rocprim17ROCPRIM_400000_NS6detail17trampoline_kernelINS0_14default_configENS1_35radix_sort_onesweep_config_selectorIiNS0_10empty_typeEEEZZNS1_29radix_sort_onesweep_iterationIS3_Lb0EN6thrust23THRUST_200600_302600_NS6detail15normal_iteratorINS9_10device_ptrIiEEEESE_PS5_SF_jNS0_19identity_decomposerENS1_16block_id_wrapperIjLb1EEEEE10hipError_tT1_PNSt15iterator_traitsISK_E10value_typeET2_T3_PNSL_ISQ_E10value_typeET4_T5_PSV_SW_PNS1_23onesweep_lookback_stateEbbT6_jjT7_P12ihipStream_tbENKUlT_T0_SK_SP_E_clIPiSE_SF_SF_EEDaS13_S14_SK_SP_EUlS13_E_NS1_11comp_targetILNS1_3genE0ELNS1_11target_archE4294967295ELNS1_3gpuE0ELNS1_3repE0EEENS1_47radix_sort_onesweep_sort_config_static_selectorELNS0_4arch9wavefront6targetE1EEEvSK_.has_recursion, 0
	.set _ZN7rocprim17ROCPRIM_400000_NS6detail17trampoline_kernelINS0_14default_configENS1_35radix_sort_onesweep_config_selectorIiNS0_10empty_typeEEEZZNS1_29radix_sort_onesweep_iterationIS3_Lb0EN6thrust23THRUST_200600_302600_NS6detail15normal_iteratorINS9_10device_ptrIiEEEESE_PS5_SF_jNS0_19identity_decomposerENS1_16block_id_wrapperIjLb1EEEEE10hipError_tT1_PNSt15iterator_traitsISK_E10value_typeET2_T3_PNSL_ISQ_E10value_typeET4_T5_PSV_SW_PNS1_23onesweep_lookback_stateEbbT6_jjT7_P12ihipStream_tbENKUlT_T0_SK_SP_E_clIPiSE_SF_SF_EEDaS13_S14_SK_SP_EUlS13_E_NS1_11comp_targetILNS1_3genE0ELNS1_11target_archE4294967295ELNS1_3gpuE0ELNS1_3repE0EEENS1_47radix_sort_onesweep_sort_config_static_selectorELNS0_4arch9wavefront6targetE1EEEvSK_.has_indirect_call, 0
	.section	.AMDGPU.csdata,"",@progbits
; Kernel info:
; codeLenInByte = 0
; TotalNumSgprs: 6
; NumVgprs: 0
; NumAgprs: 0
; TotalNumVgprs: 0
; ScratchSize: 0
; MemoryBound: 0
; FloatMode: 240
; IeeeMode: 1
; LDSByteSize: 0 bytes/workgroup (compile time only)
; SGPRBlocks: 0
; VGPRBlocks: 0
; NumSGPRsForWavesPerEU: 6
; NumVGPRsForWavesPerEU: 1
; AccumOffset: 4
; Occupancy: 8
; WaveLimiterHint : 0
; COMPUTE_PGM_RSRC2:SCRATCH_EN: 0
; COMPUTE_PGM_RSRC2:USER_SGPR: 2
; COMPUTE_PGM_RSRC2:TRAP_HANDLER: 0
; COMPUTE_PGM_RSRC2:TGID_X_EN: 1
; COMPUTE_PGM_RSRC2:TGID_Y_EN: 0
; COMPUTE_PGM_RSRC2:TGID_Z_EN: 0
; COMPUTE_PGM_RSRC2:TIDIG_COMP_CNT: 0
; COMPUTE_PGM_RSRC3_GFX90A:ACCUM_OFFSET: 0
; COMPUTE_PGM_RSRC3_GFX90A:TG_SPLIT: 0
	.section	.text._ZN7rocprim17ROCPRIM_400000_NS6detail17trampoline_kernelINS0_14default_configENS1_35radix_sort_onesweep_config_selectorIiNS0_10empty_typeEEEZZNS1_29radix_sort_onesweep_iterationIS3_Lb0EN6thrust23THRUST_200600_302600_NS6detail15normal_iteratorINS9_10device_ptrIiEEEESE_PS5_SF_jNS0_19identity_decomposerENS1_16block_id_wrapperIjLb1EEEEE10hipError_tT1_PNSt15iterator_traitsISK_E10value_typeET2_T3_PNSL_ISQ_E10value_typeET4_T5_PSV_SW_PNS1_23onesweep_lookback_stateEbbT6_jjT7_P12ihipStream_tbENKUlT_T0_SK_SP_E_clIPiSE_SF_SF_EEDaS13_S14_SK_SP_EUlS13_E_NS1_11comp_targetILNS1_3genE6ELNS1_11target_archE950ELNS1_3gpuE13ELNS1_3repE0EEENS1_47radix_sort_onesweep_sort_config_static_selectorELNS0_4arch9wavefront6targetE1EEEvSK_,"axG",@progbits,_ZN7rocprim17ROCPRIM_400000_NS6detail17trampoline_kernelINS0_14default_configENS1_35radix_sort_onesweep_config_selectorIiNS0_10empty_typeEEEZZNS1_29radix_sort_onesweep_iterationIS3_Lb0EN6thrust23THRUST_200600_302600_NS6detail15normal_iteratorINS9_10device_ptrIiEEEESE_PS5_SF_jNS0_19identity_decomposerENS1_16block_id_wrapperIjLb1EEEEE10hipError_tT1_PNSt15iterator_traitsISK_E10value_typeET2_T3_PNSL_ISQ_E10value_typeET4_T5_PSV_SW_PNS1_23onesweep_lookback_stateEbbT6_jjT7_P12ihipStream_tbENKUlT_T0_SK_SP_E_clIPiSE_SF_SF_EEDaS13_S14_SK_SP_EUlS13_E_NS1_11comp_targetILNS1_3genE6ELNS1_11target_archE950ELNS1_3gpuE13ELNS1_3repE0EEENS1_47radix_sort_onesweep_sort_config_static_selectorELNS0_4arch9wavefront6targetE1EEEvSK_,comdat
	.protected	_ZN7rocprim17ROCPRIM_400000_NS6detail17trampoline_kernelINS0_14default_configENS1_35radix_sort_onesweep_config_selectorIiNS0_10empty_typeEEEZZNS1_29radix_sort_onesweep_iterationIS3_Lb0EN6thrust23THRUST_200600_302600_NS6detail15normal_iteratorINS9_10device_ptrIiEEEESE_PS5_SF_jNS0_19identity_decomposerENS1_16block_id_wrapperIjLb1EEEEE10hipError_tT1_PNSt15iterator_traitsISK_E10value_typeET2_T3_PNSL_ISQ_E10value_typeET4_T5_PSV_SW_PNS1_23onesweep_lookback_stateEbbT6_jjT7_P12ihipStream_tbENKUlT_T0_SK_SP_E_clIPiSE_SF_SF_EEDaS13_S14_SK_SP_EUlS13_E_NS1_11comp_targetILNS1_3genE6ELNS1_11target_archE950ELNS1_3gpuE13ELNS1_3repE0EEENS1_47radix_sort_onesweep_sort_config_static_selectorELNS0_4arch9wavefront6targetE1EEEvSK_ ; -- Begin function _ZN7rocprim17ROCPRIM_400000_NS6detail17trampoline_kernelINS0_14default_configENS1_35radix_sort_onesweep_config_selectorIiNS0_10empty_typeEEEZZNS1_29radix_sort_onesweep_iterationIS3_Lb0EN6thrust23THRUST_200600_302600_NS6detail15normal_iteratorINS9_10device_ptrIiEEEESE_PS5_SF_jNS0_19identity_decomposerENS1_16block_id_wrapperIjLb1EEEEE10hipError_tT1_PNSt15iterator_traitsISK_E10value_typeET2_T3_PNSL_ISQ_E10value_typeET4_T5_PSV_SW_PNS1_23onesweep_lookback_stateEbbT6_jjT7_P12ihipStream_tbENKUlT_T0_SK_SP_E_clIPiSE_SF_SF_EEDaS13_S14_SK_SP_EUlS13_E_NS1_11comp_targetILNS1_3genE6ELNS1_11target_archE950ELNS1_3gpuE13ELNS1_3repE0EEENS1_47radix_sort_onesweep_sort_config_static_selectorELNS0_4arch9wavefront6targetE1EEEvSK_
	.globl	_ZN7rocprim17ROCPRIM_400000_NS6detail17trampoline_kernelINS0_14default_configENS1_35radix_sort_onesweep_config_selectorIiNS0_10empty_typeEEEZZNS1_29radix_sort_onesweep_iterationIS3_Lb0EN6thrust23THRUST_200600_302600_NS6detail15normal_iteratorINS9_10device_ptrIiEEEESE_PS5_SF_jNS0_19identity_decomposerENS1_16block_id_wrapperIjLb1EEEEE10hipError_tT1_PNSt15iterator_traitsISK_E10value_typeET2_T3_PNSL_ISQ_E10value_typeET4_T5_PSV_SW_PNS1_23onesweep_lookback_stateEbbT6_jjT7_P12ihipStream_tbENKUlT_T0_SK_SP_E_clIPiSE_SF_SF_EEDaS13_S14_SK_SP_EUlS13_E_NS1_11comp_targetILNS1_3genE6ELNS1_11target_archE950ELNS1_3gpuE13ELNS1_3repE0EEENS1_47radix_sort_onesweep_sort_config_static_selectorELNS0_4arch9wavefront6targetE1EEEvSK_
	.p2align	8
	.type	_ZN7rocprim17ROCPRIM_400000_NS6detail17trampoline_kernelINS0_14default_configENS1_35radix_sort_onesweep_config_selectorIiNS0_10empty_typeEEEZZNS1_29radix_sort_onesweep_iterationIS3_Lb0EN6thrust23THRUST_200600_302600_NS6detail15normal_iteratorINS9_10device_ptrIiEEEESE_PS5_SF_jNS0_19identity_decomposerENS1_16block_id_wrapperIjLb1EEEEE10hipError_tT1_PNSt15iterator_traitsISK_E10value_typeET2_T3_PNSL_ISQ_E10value_typeET4_T5_PSV_SW_PNS1_23onesweep_lookback_stateEbbT6_jjT7_P12ihipStream_tbENKUlT_T0_SK_SP_E_clIPiSE_SF_SF_EEDaS13_S14_SK_SP_EUlS13_E_NS1_11comp_targetILNS1_3genE6ELNS1_11target_archE950ELNS1_3gpuE13ELNS1_3repE0EEENS1_47radix_sort_onesweep_sort_config_static_selectorELNS0_4arch9wavefront6targetE1EEEvSK_,@function
_ZN7rocprim17ROCPRIM_400000_NS6detail17trampoline_kernelINS0_14default_configENS1_35radix_sort_onesweep_config_selectorIiNS0_10empty_typeEEEZZNS1_29radix_sort_onesweep_iterationIS3_Lb0EN6thrust23THRUST_200600_302600_NS6detail15normal_iteratorINS9_10device_ptrIiEEEESE_PS5_SF_jNS0_19identity_decomposerENS1_16block_id_wrapperIjLb1EEEEE10hipError_tT1_PNSt15iterator_traitsISK_E10value_typeET2_T3_PNSL_ISQ_E10value_typeET4_T5_PSV_SW_PNS1_23onesweep_lookback_stateEbbT6_jjT7_P12ihipStream_tbENKUlT_T0_SK_SP_E_clIPiSE_SF_SF_EEDaS13_S14_SK_SP_EUlS13_E_NS1_11comp_targetILNS1_3genE6ELNS1_11target_archE950ELNS1_3gpuE13ELNS1_3repE0EEENS1_47radix_sort_onesweep_sort_config_static_selectorELNS0_4arch9wavefront6targetE1EEEvSK_: ; @_ZN7rocprim17ROCPRIM_400000_NS6detail17trampoline_kernelINS0_14default_configENS1_35radix_sort_onesweep_config_selectorIiNS0_10empty_typeEEEZZNS1_29radix_sort_onesweep_iterationIS3_Lb0EN6thrust23THRUST_200600_302600_NS6detail15normal_iteratorINS9_10device_ptrIiEEEESE_PS5_SF_jNS0_19identity_decomposerENS1_16block_id_wrapperIjLb1EEEEE10hipError_tT1_PNSt15iterator_traitsISK_E10value_typeET2_T3_PNSL_ISQ_E10value_typeET4_T5_PSV_SW_PNS1_23onesweep_lookback_stateEbbT6_jjT7_P12ihipStream_tbENKUlT_T0_SK_SP_E_clIPiSE_SF_SF_EEDaS13_S14_SK_SP_EUlS13_E_NS1_11comp_targetILNS1_3genE6ELNS1_11target_archE950ELNS1_3gpuE13ELNS1_3repE0EEENS1_47radix_sort_onesweep_sort_config_static_selectorELNS0_4arch9wavefront6targetE1EEEvSK_
; %bb.0:
	s_load_dwordx4 s[20:23], s[0:1], 0x28
	s_load_dwordx2 s[18:19], s[0:1], 0x38
	s_load_dwordx4 s[24:27], s[0:1], 0x44
	v_and_b32_e32 v10, 0x3ff, v0
	v_cmp_eq_u32_e64 s[10:11], 0, v10
	s_and_saveexec_b64 s[4:5], s[10:11]
	s_cbranch_execz .LBB178_4
; %bb.1:
	s_mov_b64 s[8:9], exec
	v_mbcnt_lo_u32_b32 v1, s8, 0
	v_mbcnt_hi_u32_b32 v1, s9, v1
	v_cmp_eq_u32_e32 vcc, 0, v1
                                        ; implicit-def: $vgpr2
	s_and_saveexec_b64 s[6:7], vcc
	s_cbranch_execz .LBB178_3
; %bb.2:
	s_load_dwordx2 s[12:13], s[0:1], 0x50
	s_bcnt1_i32_b64 s3, s[8:9]
	v_mov_b32_e32 v2, 0
	v_mov_b32_e32 v3, s3
	s_waitcnt lgkmcnt(0)
	global_atomic_add v2, v2, v3, s[12:13] sc0
.LBB178_3:
	s_or_b64 exec, exec, s[6:7]
	s_waitcnt vmcnt(0)
	v_readfirstlane_b32 s3, v2
	v_mov_b32_e32 v2, 0
	s_nop 0
	v_add_u32_e32 v1, s3, v1
	ds_write_b32 v2, v1 offset:20544
.LBB178_4:
	s_or_b64 exec, exec, s[4:5]
	v_mov_b32_e32 v3, 0
	s_load_dwordx4 s[28:31], s[0:1], 0x0
	s_load_dword s3, s[0:1], 0x20
	s_waitcnt lgkmcnt(0)
	s_barrier
	ds_read_b32 v1, v3 offset:20544
	s_mov_b64 s[4:5], -1
	s_waitcnt lgkmcnt(0)
	s_barrier
	v_cmp_le_u32_e32 vcc, s26, v1
	v_readfirstlane_b32 s27, v1
	v_mbcnt_lo_u32_b32 v1, -1, 0
	s_cbranch_vccz .LBB178_86
; %bb.5:
	s_lshl_b32 s4, s26, 13
	s_sub_i32 s3, s3, s4
	s_lshl_b32 s4, s27, 13
	s_mov_b32 s5, 0
	s_lshl_b64 s[4:5], s[4:5], 2
	v_mbcnt_hi_u32_b32 v16, -1, v1
	s_add_u32 s4, s28, s4
	v_and_b32_e32 v6, 63, v16
	v_lshlrev_b32_e32 v2, 3, v10
	s_addc_u32 s5, s29, s5
	v_and_b32_e32 v7, 0x1e00, v2
	v_lshlrev_b32_e32 v2, 2, v6
	v_lshl_add_u64 v[4:5], s[4:5], 0, v[2:3]
	v_lshlrev_b32_e32 v2, 2, v7
	v_lshl_add_u64 v[12:13], v[4:5], 0, v[2:3]
	v_or_b32_e32 v11, v6, v7
	v_bfrev_b32_e32 v2, -2
	v_cmp_gt_u32_e32 vcc, s3, v11
	v_mov_b32_e32 v3, v2
	v_mov_b32_e32 v4, v2
	;; [unrolled: 1-line block ×7, first 2 shown]
	s_and_saveexec_b64 s[4:5], vcc
	s_cbranch_execz .LBB178_7
; %bb.6:
	global_load_dword v18, v[12:13], off
	v_mov_b32_e32 v19, v2
	v_mov_b32_e32 v20, v2
	;; [unrolled: 1-line block ×7, first 2 shown]
	s_waitcnt vmcnt(0)
	v_mov_b64_e32 v[2:3], v[18:19]
	v_mov_b64_e32 v[4:5], v[20:21]
	;; [unrolled: 1-line block ×4, first 2 shown]
.LBB178_7:
	s_or_b64 exec, exec, s[4:5]
	v_or_b32_e32 v14, 64, v11
	v_cmp_gt_u32_e32 vcc, s3, v14
	s_and_saveexec_b64 s[4:5], vcc
	s_cbranch_execz .LBB178_9
; %bb.8:
	global_load_dword v3, v[12:13], off offset:256
.LBB178_9:
	s_or_b64 exec, exec, s[4:5]
	v_or_b32_e32 v14, 0x80, v11
	v_cmp_gt_u32_e32 vcc, s3, v14
	s_and_saveexec_b64 s[4:5], vcc
	s_cbranch_execz .LBB178_11
; %bb.10:
	global_load_dword v4, v[12:13], off offset:512
.LBB178_11:
	;; [unrolled: 8-line block ×7, first 2 shown]
	s_or_b64 exec, exec, s[4:5]
	s_load_dword s4, s[0:1], 0x64
	s_load_dword s26, s[0:1], 0x58
	s_add_u32 s5, s0, 0x58
	s_addc_u32 s6, s1, 0
	v_mov_b32_e32 v13, 0
	s_waitcnt lgkmcnt(0)
	s_lshr_b32 s7, s4, 16
	s_cmp_lt_u32 s2, s26
	s_cselect_b32 s4, 12, 18
	s_add_u32 s4, s5, s4
	s_addc_u32 s5, s6, 0
	global_load_ushort v30, v13, s[4:5]
	v_xor_b32_e32 v11, 0x80000000, v2
	v_lshrrev_b32_e32 v15, s24, v11
	s_lshl_b32 s4, -1, s25
	v_bfe_u32 v2, v0, 10, 10
	v_bfe_u32 v12, v0, 20, 10
	v_bitop3_b32 v31, v15, s4, v15 bitop3:0x30
	v_mad_u32_u24 v2, v12, s7, v2
	v_and_b32_e32 v12, 1, v31
	v_lshlrev_b32_e32 v15, 30, v31
	v_mov_b32_e32 v14, v13
	v_mov_b32_e32 v20, v13
	v_lshlrev_b32_e32 v19, 29, v31
	v_lshlrev_b32_e32 v21, 28, v31
	v_lshl_add_u64 v[28:29], v[12:13], 0, -1
	v_cmp_ne_u32_e32 vcc, 0, v12
	v_not_b32_e32 v12, v15
	v_mov_b32_e32 v18, v13
	v_mov_b32_e32 v22, v13
	s_not_b32 s33, s4
	v_lshlrev_b32_e32 v23, 27, v31
	v_cmp_gt_i64_e64 s[4:5], 0, v[14:15]
	v_not_b32_e32 v14, v19
	v_cmp_gt_i64_e64 s[8:9], 0, v[20:21]
	v_not_b32_e32 v15, v21
	v_xor_b32_e32 v21, vcc_hi, v29
	v_ashrrev_i32_e32 v12, 31, v12
	v_mov_b32_e32 v24, v13
	v_lshlrev_b32_e32 v25, 26, v31
	v_cmp_gt_i64_e64 s[6:7], 0, v[18:19]
	v_cmp_gt_i64_e64 s[12:13], 0, v[22:23]
	v_not_b32_e32 v18, v23
	v_xor_b32_e32 v22, vcc_lo, v28
	v_ashrrev_i32_e32 v14, 31, v14
	v_and_b32_e32 v21, exec_hi, v21
	v_xor_b32_e32 v23, s5, v12
	v_cmp_gt_i64_e64 s[14:15], 0, v[24:25]
	v_ashrrev_i32_e32 v15, 31, v15
	v_and_b32_e32 v22, exec_lo, v22
	v_xor_b32_e32 v12, s4, v12
	v_xor_b32_e32 v24, s7, v14
	v_and_b32_e32 v21, v21, v23
	v_mov_b32_e32 v26, v13
	v_lshlrev_b32_e32 v27, 25, v31
	v_not_b32_e32 v19, v25
	v_ashrrev_i32_e32 v18, 31, v18
	v_xor_b32_e32 v14, s6, v14
	v_xor_b32_e32 v25, s9, v15
	v_and_b32_e32 v12, v22, v12
	v_and_b32_e32 v21, v21, v24
	v_cmp_gt_i64_e64 s[16:17], 0, v[26:27]
	v_not_b32_e32 v20, v27
	v_ashrrev_i32_e32 v19, 31, v19
	v_xor_b32_e32 v26, s13, v18
	v_and_b32_e32 v12, v12, v14
	v_and_b32_e32 v14, v21, v25
	v_ashrrev_i32_e32 v20, 31, v20
	v_xor_b32_e32 v15, s8, v15
	v_xor_b32_e32 v27, s15, v19
	v_and_b32_e32 v14, v14, v26
	v_xor_b32_e32 v18, s12, v18
	v_xor_b32_e32 v28, s17, v20
	v_and_b32_e32 v12, v12, v15
	v_and_b32_e32 v14, v14, v27
	;; [unrolled: 1-line block ×4, first 2 shown]
	v_xor_b32_e32 v19, s14, v19
	v_xor_b32_e32 v20, s16, v20
	v_and_b32_e32 v12, v12, v19
	v_and_b32_e32 v12, v12, v20
	s_movk_i32 s34, 0x44
	v_mul_lo_u32 v32, v31, s34
	v_mul_u32_u24_e32 v17, 20, v10
	ds_write2_b32 v17, v13, v13 offset0:16 offset1:17
	ds_write2_b32 v17, v13, v13 offset0:18 offset1:19
	ds_write_b32 v17, v13 offset:80
	s_waitcnt lgkmcnt(0)
	s_barrier
	s_waitcnt vmcnt(0)
	; wave barrier
	v_mad_u64_u32 v[14:15], s[4:5], v2, v30, v[10:11]
	v_lshrrev_b32_e32 v2, 4, v14
	v_lshlrev_b32_e32 v15, 24, v31
	v_and_b32_e32 v30, 0xffffffc, v2
	v_mov_b32_e32 v14, v13
	v_not_b32_e32 v2, v15
	v_cmp_gt_i64_e32 vcc, 0, v[14:15]
	v_ashrrev_i32_e32 v2, 31, v2
	v_add_u32_e32 v22, v30, v32
	v_xor_b32_e32 v14, vcc_hi, v2
	v_xor_b32_e32 v2, vcc_lo, v2
	v_and_b32_e32 v15, v18, v14
	v_and_b32_e32 v14, v12, v2
	v_mbcnt_lo_u32_b32 v2, v14, 0
	v_mbcnt_hi_u32_b32 v18, v15, v2
	v_cmp_eq_u32_e32 vcc, 0, v18
	v_cmp_ne_u64_e64 s[4:5], 0, v[14:15]
	s_and_b64 s[6:7], s[4:5], vcc
	s_and_saveexec_b64 s[4:5], s[6:7]
; %bb.22:
	v_bcnt_u32_b32 v2, v14, 0
	v_bcnt_u32_b32 v2, v15, v2
	ds_write_b32 v22, v2 offset:64
; %bb.23:
	s_or_b64 exec, exec, s[4:5]
	v_xor_b32_e32 v14, 0x80000000, v3
	v_lshrrev_b32_e32 v2, s24, v14
	v_and_b32_e32 v15, s33, v2
	v_mul_lo_u32 v2, v15, s34
	v_and_b32_e32 v12, 1, v15
	v_add_u32_e32 v23, v30, v2
	v_lshl_add_u64 v[2:3], v[12:13], 0, -1
	v_cmp_ne_u32_e32 vcc, 0, v12
	; wave barrier
	s_nop 1
	v_xor_b32_e32 v3, vcc_hi, v3
	v_xor_b32_e32 v2, vcc_lo, v2
	v_and_b32_e32 v12, exec_hi, v3
	v_and_b32_e32 v20, exec_lo, v2
	v_lshlrev_b32_e32 v3, 30, v15
	v_mov_b32_e32 v2, v13
	v_cmp_gt_i64_e32 vcc, 0, v[2:3]
	v_not_b32_e32 v2, v3
	v_ashrrev_i32_e32 v2, 31, v2
	v_xor_b32_e32 v3, vcc_hi, v2
	v_xor_b32_e32 v2, vcc_lo, v2
	v_and_b32_e32 v12, v12, v3
	v_and_b32_e32 v20, v20, v2
	v_lshlrev_b32_e32 v3, 29, v15
	v_mov_b32_e32 v2, v13
	v_cmp_gt_i64_e32 vcc, 0, v[2:3]
	v_not_b32_e32 v2, v3
	v_ashrrev_i32_e32 v2, 31, v2
	v_xor_b32_e32 v3, vcc_hi, v2
	v_xor_b32_e32 v2, vcc_lo, v2
	v_and_b32_e32 v12, v12, v3
	v_and_b32_e32 v20, v20, v2
	;; [unrolled: 9-line block ×6, first 2 shown]
	v_lshlrev_b32_e32 v3, 24, v15
	v_mov_b32_e32 v2, v13
	v_cmp_gt_i64_e32 vcc, 0, v[2:3]
	v_not_b32_e32 v2, v3
	v_ashrrev_i32_e32 v2, 31, v2
	v_xor_b32_e32 v3, vcc_hi, v2
	v_xor_b32_e32 v2, vcc_lo, v2
	ds_read_b32 v19, v23 offset:64
	v_and_b32_e32 v2, v20, v2
	v_and_b32_e32 v3, v12, v3
	v_mbcnt_lo_u32_b32 v12, v2, 0
	v_mbcnt_hi_u32_b32 v20, v3, v12
	v_cmp_eq_u32_e32 vcc, 0, v20
	v_cmp_ne_u64_e64 s[4:5], 0, v[2:3]
	s_and_b64 s[6:7], s[4:5], vcc
	; wave barrier
	s_and_saveexec_b64 s[4:5], s[6:7]
	s_cbranch_execz .LBB178_25
; %bb.24:
	v_bcnt_u32_b32 v2, v2, 0
	v_bcnt_u32_b32 v2, v3, v2
	s_waitcnt lgkmcnt(0)
	v_add_u32_e32 v2, v19, v2
	ds_write_b32 v23, v2 offset:64
.LBB178_25:
	s_or_b64 exec, exec, s[4:5]
	v_xor_b32_e32 v15, 0x80000000, v4
	v_lshrrev_b32_e32 v2, s24, v15
	v_and_b32_e32 v4, s33, v2
	s_movk_i32 s6, 0x44
	v_mul_lo_u32 v2, v4, s6
	v_add_u32_e32 v27, v30, v2
	v_and_b32_e32 v2, 1, v4
	v_mov_b32_e32 v3, 0
	v_lshl_add_u64 v[12:13], v[2:3], 0, -1
	v_cmp_ne_u32_e32 vcc, 0, v2
	; wave barrier
	s_nop 1
	v_xor_b32_e32 v12, vcc_lo, v12
	v_xor_b32_e32 v2, vcc_hi, v13
	v_and_b32_e32 v24, exec_lo, v12
	v_lshlrev_b32_e32 v13, 30, v4
	v_mov_b32_e32 v12, v3
	v_cmp_gt_i64_e32 vcc, 0, v[12:13]
	v_not_b32_e32 v12, v13
	v_ashrrev_i32_e32 v12, 31, v12
	v_and_b32_e32 v2, exec_hi, v2
	v_xor_b32_e32 v13, vcc_hi, v12
	v_xor_b32_e32 v12, vcc_lo, v12
	v_and_b32_e32 v2, v2, v13
	v_and_b32_e32 v24, v24, v12
	v_lshlrev_b32_e32 v13, 29, v4
	v_mov_b32_e32 v12, v3
	v_cmp_gt_i64_e32 vcc, 0, v[12:13]
	v_not_b32_e32 v12, v13
	v_ashrrev_i32_e32 v12, 31, v12
	v_xor_b32_e32 v13, vcc_hi, v12
	v_xor_b32_e32 v12, vcc_lo, v12
	v_and_b32_e32 v2, v2, v13
	v_and_b32_e32 v24, v24, v12
	v_lshlrev_b32_e32 v13, 28, v4
	v_mov_b32_e32 v12, v3
	v_cmp_gt_i64_e32 vcc, 0, v[12:13]
	v_not_b32_e32 v12, v13
	v_ashrrev_i32_e32 v12, 31, v12
	;; [unrolled: 9-line block ×5, first 2 shown]
	v_xor_b32_e32 v13, vcc_hi, v12
	v_xor_b32_e32 v12, vcc_lo, v12
	v_and_b32_e32 v2, v2, v13
	v_lshlrev_b32_e32 v13, 24, v4
	v_and_b32_e32 v24, v24, v12
	v_mov_b32_e32 v12, v3
	v_not_b32_e32 v4, v13
	v_cmp_gt_i64_e32 vcc, 0, v[12:13]
	v_ashrrev_i32_e32 v4, 31, v4
	ds_read_b32 v21, v27 offset:64
	v_xor_b32_e32 v12, vcc_hi, v4
	v_xor_b32_e32 v4, vcc_lo, v4
	v_and_b32_e32 v13, v2, v12
	v_and_b32_e32 v12, v24, v4
	v_mbcnt_lo_u32_b32 v2, v12, 0
	v_mbcnt_hi_u32_b32 v25, v13, v2
	v_cmp_eq_u32_e32 vcc, 0, v25
	v_cmp_ne_u64_e64 s[4:5], 0, v[12:13]
	s_and_b64 s[8:9], s[4:5], vcc
	; wave barrier
	s_and_saveexec_b64 s[4:5], s[8:9]
	s_cbranch_execz .LBB178_27
; %bb.26:
	v_bcnt_u32_b32 v2, v12, 0
	v_bcnt_u32_b32 v2, v13, v2
	s_waitcnt lgkmcnt(0)
	v_add_u32_e32 v2, v21, v2
	ds_write_b32 v27, v2 offset:64
.LBB178_27:
	s_or_b64 exec, exec, s[4:5]
	v_xor_b32_e32 v12, 0x80000000, v5
	v_lshrrev_b32_e32 v2, s24, v12
	v_and_b32_e32 v13, s33, v2
	v_mul_lo_u32 v2, v13, s6
	v_add_u32_e32 v31, v30, v2
	v_and_b32_e32 v2, 1, v13
	v_lshl_add_u64 v[4:5], v[2:3], 0, -1
	v_cmp_ne_u32_e32 vcc, 0, v2
	; wave barrier
	s_nop 1
	v_xor_b32_e32 v4, vcc_lo, v4
	v_xor_b32_e32 v2, vcc_hi, v5
	v_and_b32_e32 v24, exec_lo, v4
	v_lshlrev_b32_e32 v5, 30, v13
	v_mov_b32_e32 v4, v3
	v_cmp_gt_i64_e32 vcc, 0, v[4:5]
	v_not_b32_e32 v4, v5
	v_ashrrev_i32_e32 v4, 31, v4
	v_and_b32_e32 v2, exec_hi, v2
	v_xor_b32_e32 v5, vcc_hi, v4
	v_xor_b32_e32 v4, vcc_lo, v4
	v_and_b32_e32 v2, v2, v5
	v_and_b32_e32 v24, v24, v4
	v_lshlrev_b32_e32 v5, 29, v13
	v_mov_b32_e32 v4, v3
	v_cmp_gt_i64_e32 vcc, 0, v[4:5]
	v_not_b32_e32 v4, v5
	v_ashrrev_i32_e32 v4, 31, v4
	v_xor_b32_e32 v5, vcc_hi, v4
	v_xor_b32_e32 v4, vcc_lo, v4
	v_and_b32_e32 v2, v2, v5
	v_and_b32_e32 v24, v24, v4
	v_lshlrev_b32_e32 v5, 28, v13
	v_mov_b32_e32 v4, v3
	v_cmp_gt_i64_e32 vcc, 0, v[4:5]
	v_not_b32_e32 v4, v5
	v_ashrrev_i32_e32 v4, 31, v4
	;; [unrolled: 9-line block ×5, first 2 shown]
	v_xor_b32_e32 v5, vcc_hi, v4
	v_xor_b32_e32 v4, vcc_lo, v4
	v_and_b32_e32 v2, v2, v5
	v_lshlrev_b32_e32 v5, 24, v13
	v_and_b32_e32 v24, v24, v4
	v_mov_b32_e32 v4, v3
	v_not_b32_e32 v3, v5
	v_cmp_gt_i64_e32 vcc, 0, v[4:5]
	v_ashrrev_i32_e32 v3, 31, v3
	ds_read_b32 v26, v31 offset:64
	v_xor_b32_e32 v4, vcc_hi, v3
	v_xor_b32_e32 v5, vcc_lo, v3
	v_and_b32_e32 v3, v2, v4
	v_and_b32_e32 v2, v24, v5
	v_mbcnt_lo_u32_b32 v4, v2, 0
	v_mbcnt_hi_u32_b32 v28, v3, v4
	v_cmp_eq_u32_e32 vcc, 0, v28
	v_cmp_ne_u64_e64 s[4:5], 0, v[2:3]
	s_and_b64 s[6:7], s[4:5], vcc
	; wave barrier
	s_and_saveexec_b64 s[4:5], s[6:7]
	s_cbranch_execz .LBB178_29
; %bb.28:
	v_bcnt_u32_b32 v2, v2, 0
	v_bcnt_u32_b32 v2, v3, v2
	s_waitcnt lgkmcnt(0)
	v_add_u32_e32 v2, v26, v2
	ds_write_b32 v31, v2 offset:64
.LBB178_29:
	s_or_b64 exec, exec, s[4:5]
	v_xor_b32_e32 v13, 0x80000000, v6
	v_lshrrev_b32_e32 v2, s24, v13
	v_and_b32_e32 v24, s33, v2
	s_movk_i32 s6, 0x44
	v_mul_lo_u32 v2, v24, s6
	v_add_u32_e32 v6, v30, v2
	v_and_b32_e32 v2, 1, v24
	v_mov_b32_e32 v3, 0
	v_lshl_add_u64 v[4:5], v[2:3], 0, -1
	v_cmp_ne_u32_e32 vcc, 0, v2
	; wave barrier
	s_nop 1
	v_xor_b32_e32 v4, vcc_lo, v4
	v_xor_b32_e32 v2, vcc_hi, v5
	v_and_b32_e32 v32, exec_lo, v4
	v_lshlrev_b32_e32 v5, 30, v24
	v_mov_b32_e32 v4, v3
	v_cmp_gt_i64_e32 vcc, 0, v[4:5]
	v_not_b32_e32 v4, v5
	v_ashrrev_i32_e32 v4, 31, v4
	v_and_b32_e32 v2, exec_hi, v2
	v_xor_b32_e32 v5, vcc_hi, v4
	v_xor_b32_e32 v4, vcc_lo, v4
	v_and_b32_e32 v2, v2, v5
	v_and_b32_e32 v32, v32, v4
	v_lshlrev_b32_e32 v5, 29, v24
	v_mov_b32_e32 v4, v3
	v_cmp_gt_i64_e32 vcc, 0, v[4:5]
	v_not_b32_e32 v4, v5
	v_ashrrev_i32_e32 v4, 31, v4
	v_xor_b32_e32 v5, vcc_hi, v4
	v_xor_b32_e32 v4, vcc_lo, v4
	v_and_b32_e32 v2, v2, v5
	v_and_b32_e32 v32, v32, v4
	v_lshlrev_b32_e32 v5, 28, v24
	v_mov_b32_e32 v4, v3
	v_cmp_gt_i64_e32 vcc, 0, v[4:5]
	v_not_b32_e32 v4, v5
	v_ashrrev_i32_e32 v4, 31, v4
	;; [unrolled: 9-line block ×6, first 2 shown]
	v_xor_b32_e32 v5, vcc_hi, v4
	v_xor_b32_e32 v4, vcc_lo, v4
	ds_read_b32 v29, v6 offset:64
	v_and_b32_e32 v4, v32, v4
	v_and_b32_e32 v5, v2, v5
	v_mbcnt_lo_u32_b32 v2, v4, 0
	v_mbcnt_hi_u32_b32 v32, v5, v2
	v_cmp_eq_u32_e32 vcc, 0, v32
	v_cmp_ne_u64_e64 s[4:5], 0, v[4:5]
	s_and_b64 s[8:9], s[4:5], vcc
	; wave barrier
	s_and_saveexec_b64 s[4:5], s[8:9]
	s_cbranch_execz .LBB178_31
; %bb.30:
	v_bcnt_u32_b32 v2, v4, 0
	v_bcnt_u32_b32 v2, v5, v2
	s_waitcnt lgkmcnt(0)
	v_add_u32_e32 v2, v29, v2
	ds_write_b32 v6, v2 offset:64
.LBB178_31:
	s_or_b64 exec, exec, s[4:5]
	v_xor_b32_e32 v24, 0x80000000, v7
	v_lshrrev_b32_e32 v2, s24, v24
	v_and_b32_e32 v34, s33, v2
	v_mul_lo_u32 v2, v34, s6
	v_add_u32_e32 v7, v30, v2
	v_and_b32_e32 v2, 1, v34
	v_lshl_add_u64 v[4:5], v[2:3], 0, -1
	v_cmp_ne_u32_e32 vcc, 0, v2
	; wave barrier
	s_nop 1
	v_xor_b32_e32 v4, vcc_lo, v4
	v_xor_b32_e32 v2, vcc_hi, v5
	v_and_b32_e32 v35, exec_lo, v4
	v_lshlrev_b32_e32 v5, 30, v34
	v_mov_b32_e32 v4, v3
	v_cmp_gt_i64_e32 vcc, 0, v[4:5]
	v_not_b32_e32 v4, v5
	v_ashrrev_i32_e32 v4, 31, v4
	v_and_b32_e32 v2, exec_hi, v2
	v_xor_b32_e32 v5, vcc_hi, v4
	v_xor_b32_e32 v4, vcc_lo, v4
	v_and_b32_e32 v2, v2, v5
	v_and_b32_e32 v35, v35, v4
	v_lshlrev_b32_e32 v5, 29, v34
	v_mov_b32_e32 v4, v3
	v_cmp_gt_i64_e32 vcc, 0, v[4:5]
	v_not_b32_e32 v4, v5
	v_ashrrev_i32_e32 v4, 31, v4
	v_xor_b32_e32 v5, vcc_hi, v4
	v_xor_b32_e32 v4, vcc_lo, v4
	v_and_b32_e32 v2, v2, v5
	v_and_b32_e32 v35, v35, v4
	v_lshlrev_b32_e32 v5, 28, v34
	v_mov_b32_e32 v4, v3
	v_cmp_gt_i64_e32 vcc, 0, v[4:5]
	v_not_b32_e32 v4, v5
	v_ashrrev_i32_e32 v4, 31, v4
	;; [unrolled: 9-line block ×5, first 2 shown]
	v_xor_b32_e32 v5, vcc_hi, v4
	v_xor_b32_e32 v4, vcc_lo, v4
	v_and_b32_e32 v2, v2, v5
	v_lshlrev_b32_e32 v5, 24, v34
	v_and_b32_e32 v35, v35, v4
	v_mov_b32_e32 v4, v3
	v_not_b32_e32 v3, v5
	v_cmp_gt_i64_e32 vcc, 0, v[4:5]
	v_ashrrev_i32_e32 v3, 31, v3
	ds_read_b32 v33, v7 offset:64
	v_xor_b32_e32 v4, vcc_hi, v3
	v_xor_b32_e32 v5, vcc_lo, v3
	v_and_b32_e32 v3, v2, v4
	v_and_b32_e32 v2, v35, v5
	v_mbcnt_lo_u32_b32 v4, v2, 0
	v_mbcnt_hi_u32_b32 v34, v3, v4
	v_cmp_eq_u32_e32 vcc, 0, v34
	v_cmp_ne_u64_e64 s[4:5], 0, v[2:3]
	s_and_b64 s[6:7], s[4:5], vcc
	; wave barrier
	s_and_saveexec_b64 s[4:5], s[6:7]
	s_cbranch_execz .LBB178_33
; %bb.32:
	v_bcnt_u32_b32 v2, v2, 0
	v_bcnt_u32_b32 v2, v3, v2
	s_waitcnt lgkmcnt(0)
	v_add_u32_e32 v2, v33, v2
	ds_write_b32 v7, v2 offset:64
.LBB178_33:
	s_or_b64 exec, exec, s[4:5]
	v_xor_b32_e32 v8, 0x80000000, v8
	v_lshrrev_b32_e32 v2, s24, v8
	v_and_b32_e32 v36, s33, v2
	s_movk_i32 s6, 0x44
	v_mul_lo_u32 v2, v36, s6
	v_add_u32_e32 v37, v30, v2
	v_and_b32_e32 v2, 1, v36
	v_mov_b32_e32 v3, 0
	v_lshl_add_u64 v[4:5], v[2:3], 0, -1
	v_cmp_ne_u32_e32 vcc, 0, v2
	; wave barrier
	s_nop 1
	v_xor_b32_e32 v4, vcc_lo, v4
	v_xor_b32_e32 v2, vcc_hi, v5
	v_and_b32_e32 v38, exec_lo, v4
	v_lshlrev_b32_e32 v5, 30, v36
	v_mov_b32_e32 v4, v3
	v_cmp_gt_i64_e32 vcc, 0, v[4:5]
	v_not_b32_e32 v4, v5
	v_ashrrev_i32_e32 v4, 31, v4
	v_and_b32_e32 v2, exec_hi, v2
	v_xor_b32_e32 v5, vcc_hi, v4
	v_xor_b32_e32 v4, vcc_lo, v4
	v_and_b32_e32 v2, v2, v5
	v_and_b32_e32 v38, v38, v4
	v_lshlrev_b32_e32 v5, 29, v36
	v_mov_b32_e32 v4, v3
	v_cmp_gt_i64_e32 vcc, 0, v[4:5]
	v_not_b32_e32 v4, v5
	v_ashrrev_i32_e32 v4, 31, v4
	v_xor_b32_e32 v5, vcc_hi, v4
	v_xor_b32_e32 v4, vcc_lo, v4
	v_and_b32_e32 v2, v2, v5
	v_and_b32_e32 v38, v38, v4
	v_lshlrev_b32_e32 v5, 28, v36
	v_mov_b32_e32 v4, v3
	v_cmp_gt_i64_e32 vcc, 0, v[4:5]
	v_not_b32_e32 v4, v5
	v_ashrrev_i32_e32 v4, 31, v4
	;; [unrolled: 9-line block ×6, first 2 shown]
	v_xor_b32_e32 v5, vcc_hi, v4
	v_xor_b32_e32 v4, vcc_lo, v4
	ds_read_b32 v35, v37 offset:64
	v_and_b32_e32 v4, v38, v4
	v_and_b32_e32 v5, v2, v5
	v_mbcnt_lo_u32_b32 v2, v4, 0
	v_mbcnt_hi_u32_b32 v36, v5, v2
	v_cmp_eq_u32_e32 vcc, 0, v36
	v_cmp_ne_u64_e64 s[4:5], 0, v[4:5]
	s_and_b64 s[8:9], s[4:5], vcc
	; wave barrier
	s_and_saveexec_b64 s[4:5], s[8:9]
	s_cbranch_execz .LBB178_35
; %bb.34:
	v_bcnt_u32_b32 v2, v4, 0
	v_bcnt_u32_b32 v2, v5, v2
	s_waitcnt lgkmcnt(0)
	v_add_u32_e32 v2, v35, v2
	ds_write_b32 v37, v2 offset:64
.LBB178_35:
	s_or_b64 exec, exec, s[4:5]
	v_xor_b32_e32 v9, 0x80000000, v9
	v_lshrrev_b32_e32 v2, s24, v9
	v_and_b32_e32 v38, s33, v2
	v_mul_lo_u32 v2, v38, s6
	v_add_u32_e32 v39, v30, v2
	v_and_b32_e32 v2, 1, v38
	v_lshl_add_u64 v[4:5], v[2:3], 0, -1
	v_cmp_ne_u32_e32 vcc, 0, v2
	; wave barrier
	s_nop 1
	v_xor_b32_e32 v4, vcc_lo, v4
	v_xor_b32_e32 v2, vcc_hi, v5
	v_and_b32_e32 v40, exec_lo, v4
	v_lshlrev_b32_e32 v5, 30, v38
	v_mov_b32_e32 v4, v3
	v_cmp_gt_i64_e32 vcc, 0, v[4:5]
	v_not_b32_e32 v4, v5
	v_ashrrev_i32_e32 v4, 31, v4
	v_and_b32_e32 v2, exec_hi, v2
	v_xor_b32_e32 v5, vcc_hi, v4
	v_xor_b32_e32 v4, vcc_lo, v4
	v_and_b32_e32 v2, v2, v5
	v_and_b32_e32 v40, v40, v4
	v_lshlrev_b32_e32 v5, 29, v38
	v_mov_b32_e32 v4, v3
	v_cmp_gt_i64_e32 vcc, 0, v[4:5]
	v_not_b32_e32 v4, v5
	v_ashrrev_i32_e32 v4, 31, v4
	v_xor_b32_e32 v5, vcc_hi, v4
	v_xor_b32_e32 v4, vcc_lo, v4
	v_and_b32_e32 v2, v2, v5
	v_and_b32_e32 v40, v40, v4
	v_lshlrev_b32_e32 v5, 28, v38
	v_mov_b32_e32 v4, v3
	v_cmp_gt_i64_e32 vcc, 0, v[4:5]
	v_not_b32_e32 v4, v5
	v_ashrrev_i32_e32 v4, 31, v4
	;; [unrolled: 9-line block ×5, first 2 shown]
	v_xor_b32_e32 v5, vcc_hi, v4
	v_xor_b32_e32 v4, vcc_lo, v4
	v_and_b32_e32 v2, v2, v5
	v_lshlrev_b32_e32 v5, 24, v38
	v_and_b32_e32 v40, v40, v4
	v_mov_b32_e32 v4, v3
	v_not_b32_e32 v3, v5
	v_cmp_gt_i64_e32 vcc, 0, v[4:5]
	v_ashrrev_i32_e32 v3, 31, v3
	ds_read_b32 v30, v39 offset:64
	v_xor_b32_e32 v4, vcc_hi, v3
	v_xor_b32_e32 v5, vcc_lo, v3
	v_and_b32_e32 v3, v2, v4
	v_and_b32_e32 v2, v40, v5
	v_mbcnt_lo_u32_b32 v4, v2, 0
	v_mbcnt_hi_u32_b32 v38, v3, v4
	v_cmp_eq_u32_e32 vcc, 0, v38
	v_cmp_ne_u64_e64 s[4:5], 0, v[2:3]
	s_and_b64 s[6:7], s[4:5], vcc
	; wave barrier
	s_and_saveexec_b64 s[4:5], s[6:7]
	s_cbranch_execz .LBB178_37
; %bb.36:
	v_bcnt_u32_b32 v2, v2, 0
	v_bcnt_u32_b32 v2, v3, v2
	s_waitcnt lgkmcnt(0)
	v_add_u32_e32 v2, v30, v2
	ds_write_b32 v39, v2 offset:64
.LBB178_37:
	s_or_b64 exec, exec, s[4:5]
	; wave barrier
	s_waitcnt lgkmcnt(0)
	s_barrier
	ds_read2_b32 v[4:5], v17 offset0:16 offset1:17
	ds_read2_b32 v[2:3], v17 offset0:18 offset1:19
	ds_read_b32 v40, v17 offset:80
	v_cmp_lt_u32_e64 s[12:13], 31, v16
	s_waitcnt lgkmcnt(1)
	v_add3_u32 v41, v5, v4, v2
	s_waitcnt lgkmcnt(0)
	v_add3_u32 v40, v41, v3, v40
	v_and_b32_e32 v41, 15, v16
	v_cmp_eq_u32_e32 vcc, 0, v41
	v_mov_b32_dpp v42, v40 row_shr:1 row_mask:0xf bank_mask:0xf
	v_cmp_lt_u32_e64 s[4:5], 1, v41
	v_cndmask_b32_e64 v42, v42, 0, vcc
	v_add_u32_e32 v40, v42, v40
	v_cmp_lt_u32_e64 s[6:7], 3, v41
	v_cmp_lt_u32_e64 s[8:9], 7, v41
	v_mov_b32_dpp v42, v40 row_shr:2 row_mask:0xf bank_mask:0xf
	v_cndmask_b32_e64 v42, 0, v42, s[4:5]
	v_add_u32_e32 v40, v40, v42
	s_nop 1
	v_mov_b32_dpp v42, v40 row_shr:4 row_mask:0xf bank_mask:0xf
	v_cndmask_b32_e64 v42, 0, v42, s[6:7]
	v_add_u32_e32 v40, v40, v42
	s_nop 1
	v_mov_b32_dpp v42, v40 row_shr:8 row_mask:0xf bank_mask:0xf
	v_cndmask_b32_e64 v41, 0, v42, s[8:9]
	v_add_u32_e32 v40, v40, v41
	v_bfe_i32 v42, v16, 4, 1
	s_nop 0
	v_mov_b32_dpp v41, v40 row_bcast:15 row_mask:0xf bank_mask:0xf
	v_and_b32_e32 v41, v42, v41
	v_add_u32_e32 v40, v40, v41
	v_and_b32_e32 v42, 63, v10
	s_nop 0
	v_mov_b32_dpp v41, v40 row_bcast:31 row_mask:0xf bank_mask:0xf
	v_cndmask_b32_e64 v41, 0, v41, s[12:13]
	v_add_u32_e32 v40, v40, v41
	v_lshrrev_b32_e32 v41, 6, v10
	v_cmp_eq_u32_e64 s[12:13], 63, v42
	s_and_saveexec_b64 s[14:15], s[12:13]
; %bb.38:
	v_lshlrev_b32_e32 v42, 2, v41
	ds_write_b32 v42, v40
; %bb.39:
	s_or_b64 exec, exec, s[14:15]
	v_cmp_gt_u32_e64 s[12:13], 16, v10
	s_waitcnt lgkmcnt(0)
	s_barrier
	s_and_saveexec_b64 s[14:15], s[12:13]
	s_cbranch_execz .LBB178_41
; %bb.40:
	v_lshlrev_b32_e32 v42, 2, v10
	ds_read_b32 v43, v42
	s_waitcnt lgkmcnt(0)
	s_nop 0
	v_mov_b32_dpp v44, v43 row_shr:1 row_mask:0xf bank_mask:0xf
	v_cndmask_b32_e64 v44, v44, 0, vcc
	v_add_u32_e32 v43, v44, v43
	s_nop 1
	v_mov_b32_dpp v44, v43 row_shr:2 row_mask:0xf bank_mask:0xf
	v_cndmask_b32_e64 v44, 0, v44, s[4:5]
	v_add_u32_e32 v43, v43, v44
	s_nop 1
	v_mov_b32_dpp v44, v43 row_shr:4 row_mask:0xf bank_mask:0xf
	v_cndmask_b32_e64 v44, 0, v44, s[6:7]
	;; [unrolled: 4-line block ×3, first 2 shown]
	v_add_u32_e32 v43, v43, v44
	ds_write_b32 v42, v43
.LBB178_41:
	s_or_b64 exec, exec, s[14:15]
	v_cmp_lt_u32_e32 vcc, 63, v10
	v_mov_b32_e32 v42, 0
	s_waitcnt lgkmcnt(0)
	s_barrier
	s_and_saveexec_b64 s[4:5], vcc
; %bb.42:
	v_lshl_add_u32 v41, v41, 2, -4
	ds_read_b32 v42, v41
; %bb.43:
	s_or_b64 exec, exec, s[4:5]
	v_subrev_co_u32_e32 v41, vcc, 1, v16
	v_and_b32_e32 v43, 64, v16
	v_cmp_lt_i32_e64 s[4:5], v41, v43
	s_waitcnt lgkmcnt(0)
	v_add_u32_e32 v40, v42, v40
	s_movk_i32 s6, 0x100
	v_cndmask_b32_e64 v16, v41, v16, s[4:5]
	v_lshlrev_b32_e32 v16, 2, v16
	ds_bpermute_b32 v16, v16, v40
	s_movk_i32 s4, 0xff
	v_cmp_lt_u32_e64 s[4:5], s4, v10
	s_waitcnt lgkmcnt(0)
	v_cndmask_b32_e32 v16, v16, v42, vcc
	v_cndmask_b32_e64 v16, v16, 0, s[10:11]
	v_add_u32_e32 v4, v16, v4
	v_add_u32_e32 v5, v4, v5
	;; [unrolled: 1-line block ×4, first 2 shown]
	ds_write2_b32 v17, v16, v4 offset0:16 offset1:17
	ds_write2_b32 v17, v5, v2 offset0:18 offset1:19
	ds_write_b32 v17, v3 offset:80
	s_waitcnt lgkmcnt(0)
	s_barrier
	ds_read_b32 v40, v22 offset:64
	ds_read_b32 v23, v23 offset:64
	;; [unrolled: 1-line block ×8, first 2 shown]
	v_cmp_gt_u32_e32 vcc, s6, v10
                                        ; implicit-def: $vgpr16
                                        ; implicit-def: $vgpr17
	s_and_saveexec_b64 s[8:9], vcc
	s_cbranch_execz .LBB178_47
; %bb.44:
	v_mul_u32_u24_e32 v2, 0x44, v10
	ds_read_b32 v16, v2 offset:64
	v_add_u32_e32 v3, 1, v10
	v_cmp_ne_u32_e64 s[6:7], s6, v3
	v_mov_b32_e32 v2, 0x2000
	s_and_saveexec_b64 s[12:13], s[6:7]
; %bb.45:
	v_mul_u32_u24_e32 v2, 0x44, v3
	ds_read_b32 v2, v2 offset:64
; %bb.46:
	s_or_b64 exec, exec, s[12:13]
	s_waitcnt lgkmcnt(0)
	v_sub_u32_e32 v17, v2, v16
.LBB178_47:
	s_or_b64 exec, exec, s[8:9]
	v_mov_b32_e32 v3, 0
	v_lshlrev_b32_e32 v22, 2, v10
	s_waitcnt lgkmcnt(0)
	s_barrier
	s_and_saveexec_b64 s[6:7], vcc
	s_cbranch_execz .LBB178_57
; %bb.48:
	v_lshl_add_u32 v2, s27, 8, v10
	v_lshl_add_u64 v[4:5], v[2:3], 2, s[18:19]
	v_or_b32_e32 v2, 2.0, v17
	s_mov_b64 s[8:9], 0
	s_brev_b32 s16, -4
	s_mov_b32 s17, s27
	v_mov_b32_e32 v43, 0
	global_store_dword v[4:5], v2, off sc1
                                        ; implicit-def: $sgpr12_sgpr13
	s_branch .LBB178_51
.LBB178_49:                             ;   in Loop: Header=BB178_51 Depth=1
	s_or_b64 exec, exec, s[14:15]
.LBB178_50:                             ;   in Loop: Header=BB178_51 Depth=1
	s_or_b64 exec, exec, s[12:13]
	v_and_b32_e32 v6, 0x3fffffff, v2
	v_add_u32_e32 v43, v6, v43
	v_cmp_gt_i32_e64 s[12:13], -2.0, v2
	s_and_b64 s[14:15], exec, s[12:13]
	s_or_b64 s[8:9], s[14:15], s[8:9]
	s_andn2_b64 exec, exec, s[8:9]
	s_cbranch_execz .LBB178_56
.LBB178_51:                             ; =>This Loop Header: Depth=1
                                        ;     Child Loop BB178_54 Depth 2
	s_or_b64 s[12:13], s[12:13], exec
	s_cmp_eq_u32 s17, 0
	s_cbranch_scc1 .LBB178_55
; %bb.52:                               ;   in Loop: Header=BB178_51 Depth=1
	s_add_i32 s17, s17, -1
	v_lshl_or_b32 v2, s17, 8, v10
	v_lshl_add_u64 v[6:7], v[2:3], 2, s[18:19]
	global_load_dword v2, v[6:7], off sc1
	s_waitcnt vmcnt(0)
	v_cmp_gt_u32_e32 vcc, 2.0, v2
	s_and_saveexec_b64 s[12:13], vcc
	s_cbranch_execz .LBB178_50
; %bb.53:                               ;   in Loop: Header=BB178_51 Depth=1
	s_mov_b64 s[14:15], 0
.LBB178_54:                             ;   Parent Loop BB178_51 Depth=1
                                        ; =>  This Inner Loop Header: Depth=2
	global_load_dword v2, v[6:7], off sc1
	s_waitcnt vmcnt(0)
	v_cmp_lt_u32_e32 vcc, s16, v2
	s_or_b64 s[14:15], vcc, s[14:15]
	s_andn2_b64 exec, exec, s[14:15]
	s_cbranch_execnz .LBB178_54
	s_branch .LBB178_49
.LBB178_55:                             ;   in Loop: Header=BB178_51 Depth=1
                                        ; implicit-def: $sgpr17
	s_and_b64 s[14:15], exec, s[12:13]
	s_or_b64 s[8:9], s[14:15], s[8:9]
	s_andn2_b64 exec, exec, s[8:9]
	s_cbranch_execnz .LBB178_51
.LBB178_56:
	s_or_b64 exec, exec, s[8:9]
	v_add_u32_e32 v2, v43, v17
	v_or_b32_e32 v2, 0x80000000, v2
	global_store_dword v[4:5], v2, off sc1
	global_load_dword v2, v22, s[20:21]
	v_sub_u32_e32 v3, v43, v16
	s_waitcnt vmcnt(0)
	v_add_u32_e32 v2, v3, v2
	ds_write_b32 v22, v2
.LBB178_57:
	s_or_b64 exec, exec, s[6:7]
	v_add_u32_e32 v4, v40, v18
	v_add3_u32 v5, v20, v19, v23
	v_add3_u32 v6, v25, v21, v27
	;; [unrolled: 1-line block ×7, first 2 shown]
	v_lshlrev_b32_e32 v23, 2, v21
	v_lshlrev_b32_e32 v25, 2, v20
	v_lshlrev_b32_e32 v26, 2, v19
	v_lshlrev_b32_e32 v27, 2, v18
	v_lshlrev_b32_e32 v28, 2, v7
	v_lshlrev_b32_e32 v29, 2, v6
	v_lshlrev_b32_e32 v30, 2, v5
	v_lshlrev_b32_e32 v31, 2, v4
	s_mov_b64 s[6:7], -1
	s_mov_b32 s12, 0
	v_mov_b32_e32 v3, 0
	s_movk_i32 s13, 0x400
	s_movk_i32 s14, 0x800
	;; [unrolled: 1-line block ×3, first 2 shown]
	v_mov_b32_e32 v32, v10
	s_branch .LBB178_59
.LBB178_58:                             ;   in Loop: Header=BB178_59 Depth=1
	s_or_b64 exec, exec, s[8:9]
	s_xor_b64 s[8:9], s[6:7], -1
	s_addk_i32 s12, 0xc000
	v_add_u32_e32 v32, 0x1000, v32
	s_mov_b64 s[6:7], 0
	s_and_b64 vcc, exec, s[8:9]
	s_barrier
	s_cbranch_vccnz .LBB178_83
.LBB178_59:                             ; =>This Inner Loop Header: Depth=1
	v_subrev_co_u32_e32 v4, vcc, 0x1000, v4
	s_and_saveexec_b64 s[8:9], vcc
	s_cbranch_execz .LBB178_67
; %bb.60:                               ;   in Loop: Header=BB178_59 Depth=1
	v_add_u32_e32 v2, s12, v31
	ds_write_b32 v2, v11 offset:1024
	s_or_b64 exec, exec, s[8:9]
	v_subrev_co_u32_e32 v5, vcc, 0x1000, v5
	s_and_saveexec_b64 s[8:9], vcc
	s_cbranch_execnz .LBB178_68
.LBB178_61:                             ;   in Loop: Header=BB178_59 Depth=1
	s_or_b64 exec, exec, s[8:9]
	v_subrev_co_u32_e32 v6, vcc, 0x1000, v6
	s_and_saveexec_b64 s[8:9], vcc
	s_cbranch_execz .LBB178_69
.LBB178_62:                             ;   in Loop: Header=BB178_59 Depth=1
	v_add_u32_e32 v2, s12, v29
	ds_write_b32 v2, v15 offset:1024
	s_or_b64 exec, exec, s[8:9]
	v_subrev_co_u32_e32 v7, vcc, 0x1000, v7
	s_and_saveexec_b64 s[8:9], vcc
	s_cbranch_execnz .LBB178_70
.LBB178_63:                             ;   in Loop: Header=BB178_59 Depth=1
	s_or_b64 exec, exec, s[8:9]
	v_subrev_co_u32_e32 v18, vcc, 0x1000, v18
	s_and_saveexec_b64 s[8:9], vcc
	s_cbranch_execz .LBB178_71
.LBB178_64:                             ;   in Loop: Header=BB178_59 Depth=1
	v_add_u32_e32 v2, s12, v27
	ds_write_b32 v2, v13 offset:1024
	s_or_b64 exec, exec, s[8:9]
	v_subrev_co_u32_e32 v19, vcc, 0x1000, v19
	s_and_saveexec_b64 s[8:9], vcc
	s_cbranch_execnz .LBB178_72
.LBB178_65:                             ;   in Loop: Header=BB178_59 Depth=1
	s_or_b64 exec, exec, s[8:9]
	v_subrev_co_u32_e32 v20, vcc, 0x1000, v20
	s_and_saveexec_b64 s[8:9], vcc
	s_cbranch_execz .LBB178_73
.LBB178_66:                             ;   in Loop: Header=BB178_59 Depth=1
	v_add_u32_e32 v2, s12, v25
	ds_write_b32 v2, v8 offset:1024
	s_or_b64 exec, exec, s[8:9]
	v_subrev_co_u32_e32 v21, vcc, 0x1000, v21
	s_and_saveexec_b64 s[8:9], vcc
	s_cbranch_execnz .LBB178_74
	s_branch .LBB178_75
.LBB178_67:                             ;   in Loop: Header=BB178_59 Depth=1
	s_or_b64 exec, exec, s[8:9]
	v_subrev_co_u32_e32 v5, vcc, 0x1000, v5
	s_and_saveexec_b64 s[8:9], vcc
	s_cbranch_execz .LBB178_61
.LBB178_68:                             ;   in Loop: Header=BB178_59 Depth=1
	v_add_u32_e32 v2, s12, v30
	ds_write_b32 v2, v14 offset:1024
	s_or_b64 exec, exec, s[8:9]
	v_subrev_co_u32_e32 v6, vcc, 0x1000, v6
	s_and_saveexec_b64 s[8:9], vcc
	s_cbranch_execnz .LBB178_62
.LBB178_69:                             ;   in Loop: Header=BB178_59 Depth=1
	s_or_b64 exec, exec, s[8:9]
	v_subrev_co_u32_e32 v7, vcc, 0x1000, v7
	s_and_saveexec_b64 s[8:9], vcc
	s_cbranch_execz .LBB178_63
.LBB178_70:                             ;   in Loop: Header=BB178_59 Depth=1
	v_add_u32_e32 v2, s12, v28
	ds_write_b32 v2, v12 offset:1024
	s_or_b64 exec, exec, s[8:9]
	v_subrev_co_u32_e32 v18, vcc, 0x1000, v18
	s_and_saveexec_b64 s[8:9], vcc
	s_cbranch_execnz .LBB178_64
.LBB178_71:                             ;   in Loop: Header=BB178_59 Depth=1
	s_or_b64 exec, exec, s[8:9]
	v_subrev_co_u32_e32 v19, vcc, 0x1000, v19
	s_and_saveexec_b64 s[8:9], vcc
	s_cbranch_execz .LBB178_65
.LBB178_72:                             ;   in Loop: Header=BB178_59 Depth=1
	v_add_u32_e32 v2, s12, v26
	ds_write_b32 v2, v24 offset:1024
	s_or_b64 exec, exec, s[8:9]
	v_subrev_co_u32_e32 v20, vcc, 0x1000, v20
	s_and_saveexec_b64 s[8:9], vcc
	s_cbranch_execnz .LBB178_66
.LBB178_73:                             ;   in Loop: Header=BB178_59 Depth=1
	s_or_b64 exec, exec, s[8:9]
	v_subrev_co_u32_e32 v21, vcc, 0x1000, v21
	s_and_saveexec_b64 s[8:9], vcc
.LBB178_74:                             ;   in Loop: Header=BB178_59 Depth=1
	v_add_u32_e32 v2, s12, v23
	ds_write_b32 v2, v9 offset:1024
.LBB178_75:                             ;   in Loop: Header=BB178_59 Depth=1
	s_or_b64 exec, exec, s[8:9]
	v_cmp_gt_u32_e32 vcc, s3, v32
	s_waitcnt lgkmcnt(0)
	s_barrier
	s_and_saveexec_b64 s[8:9], vcc
	s_cbranch_execz .LBB178_77
; %bb.76:                               ;   in Loop: Header=BB178_59 Depth=1
	ds_read_b32 v2, v22 offset:1024
	s_waitcnt lgkmcnt(0)
	v_lshrrev_b32_e32 v33, s24, v2
	v_and_b32_e32 v33, s33, v33
	v_lshlrev_b32_e32 v33, 2, v33
	ds_read_b32 v33, v33
	v_xor_b32_e32 v36, 0x80000000, v2
	s_waitcnt lgkmcnt(0)
	v_add_u32_e32 v2, v32, v33
	v_lshl_add_u64 v[34:35], v[2:3], 2, s[30:31]
	global_store_dword v[34:35], v36, off
.LBB178_77:                             ;   in Loop: Header=BB178_59 Depth=1
	s_or_b64 exec, exec, s[8:9]
	v_add_u32_e32 v2, 0x400, v32
	v_cmp_gt_u32_e32 vcc, s3, v2
	s_and_saveexec_b64 s[8:9], vcc
	s_cbranch_execz .LBB178_79
; %bb.78:                               ;   in Loop: Header=BB178_59 Depth=1
	ds_read_b32 v2, v22 offset:5120
	s_waitcnt lgkmcnt(0)
	v_lshrrev_b32_e32 v33, s24, v2
	v_and_b32_e32 v33, s33, v33
	v_lshlrev_b32_e32 v33, 2, v33
	ds_read_b32 v33, v33
	v_xor_b32_e32 v36, 0x80000000, v2
	s_waitcnt lgkmcnt(0)
	v_add3_u32 v2, v32, v33, s13
	v_lshl_add_u64 v[34:35], v[2:3], 2, s[30:31]
	global_store_dword v[34:35], v36, off
.LBB178_79:                             ;   in Loop: Header=BB178_59 Depth=1
	s_or_b64 exec, exec, s[8:9]
	v_add_u32_e32 v2, 0x800, v32
	v_cmp_gt_u32_e32 vcc, s3, v2
	s_and_saveexec_b64 s[8:9], vcc
	s_cbranch_execz .LBB178_81
; %bb.80:                               ;   in Loop: Header=BB178_59 Depth=1
	ds_read_b32 v2, v22 offset:9216
	s_waitcnt lgkmcnt(0)
	v_lshrrev_b32_e32 v33, s24, v2
	v_and_b32_e32 v33, s33, v33
	v_lshlrev_b32_e32 v33, 2, v33
	ds_read_b32 v33, v33
	v_xor_b32_e32 v36, 0x80000000, v2
	s_waitcnt lgkmcnt(0)
	v_add3_u32 v2, v32, v33, s14
	v_lshl_add_u64 v[34:35], v[2:3], 2, s[30:31]
	global_store_dword v[34:35], v36, off
.LBB178_81:                             ;   in Loop: Header=BB178_59 Depth=1
	s_or_b64 exec, exec, s[8:9]
	v_add_u32_e32 v2, 0xc00, v32
	v_cmp_gt_u32_e32 vcc, s3, v2
	s_and_saveexec_b64 s[8:9], vcc
	s_cbranch_execz .LBB178_58
; %bb.82:                               ;   in Loop: Header=BB178_59 Depth=1
	ds_read_b32 v2, v22 offset:13312
	s_waitcnt lgkmcnt(0)
	v_lshrrev_b32_e32 v33, s24, v2
	v_and_b32_e32 v33, s33, v33
	v_lshlrev_b32_e32 v33, 2, v33
	ds_read_b32 v33, v33
	v_xor_b32_e32 v36, 0x80000000, v2
	s_waitcnt lgkmcnt(0)
	v_add3_u32 v2, v32, v33, s15
	v_lshl_add_u64 v[34:35], v[2:3], 2, s[30:31]
	global_store_dword v[34:35], v36, off
	s_branch .LBB178_58
.LBB178_83:
	s_add_i32 s26, s26, -1
	s_cmp_eq_u32 s27, s26
	s_cselect_b64 s[6:7], -1, 0
	s_xor_b64 s[4:5], s[4:5], -1
	s_and_b64 s[6:7], s[4:5], s[6:7]
	s_and_saveexec_b64 s[4:5], s[6:7]
	s_cbranch_execz .LBB178_85
; %bb.84:
	ds_read_b32 v2, v22
	s_waitcnt lgkmcnt(0)
	v_add3_u32 v2, v16, v17, v2
	global_store_dword v22, v2, s[22:23]
.LBB178_85:
	s_or_b64 exec, exec, s[4:5]
	s_mov_b64 s[4:5], 0
.LBB178_86:
	s_and_b64 vcc, exec, s[4:5]
	s_cbranch_vccz .LBB178_143
; %bb.87:
	s_lshl_b32 s4, s27, 13
	s_mov_b32 s5, 0
	s_lshl_b64 s[4:5], s[4:5], 2
	v_mbcnt_hi_u32_b32 v4, -1, v1
	s_add_u32 s4, s28, s4
	v_and_b32_e32 v1, 63, v4
	s_addc_u32 s5, s29, s5
	v_lshlrev_b32_e32 v2, 2, v1
	v_mov_b32_e32 v3, 0
	v_lshlrev_b32_e32 v1, 5, v10
	v_lshl_add_u64 v[6:7], s[4:5], 0, v[2:3]
	v_and_b32_e32 v2, 0x7800, v1
	v_lshl_add_u64 v[16:17], v[6:7], 0, v[2:3]
	global_load_dword v1, v[16:17], off
	s_load_dword s3, s[0:1], 0x64
	s_load_dword s12, s[0:1], 0x58
	s_add_u32 s0, s0, 0x58
	s_addc_u32 s1, s1, 0
	v_mul_u32_u24_e32 v5, 20, v10
	s_waitcnt lgkmcnt(0)
	s_lshr_b32 s3, s3, 16
	s_cmp_lt_u32 s2, s12
	s_cselect_b32 s2, 12, 18
	s_add_u32 s0, s0, s2
	s_addc_u32 s1, s1, 0
	global_load_ushort v9, v3, s[0:1]
	ds_write2_b32 v5, v3, v3 offset0:16 offset1:17
	ds_write2_b32 v5, v3, v3 offset0:18 offset1:19
	ds_write_b32 v5, v3 offset:80
	global_load_dword v7, v[16:17], off offset:256
	global_load_dword v8, v[16:17], off offset:512
	;; [unrolled: 1-line block ×7, first 2 shown]
	v_bfe_u32 v2, v0, 10, 10
	v_bfe_u32 v6, v0, 20, 10
	v_mad_u32_u24 v11, v6, s3, v2
	s_lshl_b32 s0, -1, s25
	v_mov_b32_e32 v0, v3
	s_not_b32 s13, s0
	v_mov_b32_e32 v18, v3
	v_mov_b32_e32 v24, v3
	;; [unrolled: 1-line block ×4, first 2 shown]
	s_movk_i32 s8, 0x44
	s_waitcnt lgkmcnt(0)
	s_barrier
	s_waitcnt vmcnt(8)
	; wave barrier
	v_xor_b32_e32 v6, 0x80000000, v1
	v_lshrrev_b32_e32 v1, s24, v6
	v_bitop3_b32 v13, v1, s0, v1 bitop3:0x30
	v_and_b32_e32 v2, 1, v13
	v_lshlrev_b32_e32 v1, 30, v13
	v_lshlrev_b32_e32 v19, 29, v13
	v_lshl_add_u64 v[32:33], v[2:3], 0, -1
	v_cmp_ne_u32_e32 vcc, 0, v2
	v_lshlrev_b32_e32 v25, 28, v13
	v_cmp_gt_i64_e64 s[2:3], 0, v[18:19]
	s_waitcnt vmcnt(7)
	v_mad_u64_u32 v[16:17], s[0:1], v11, v9, v[10:11]
	v_cmp_gt_i64_e64 s[0:1], 0, v[0:1]
	v_not_b32_e32 v0, v1
	v_not_b32_e32 v1, v19
	v_lshrrev_b32_e32 v11, 4, v16
	v_xor_b32_e32 v16, vcc_hi, v33
	v_xor_b32_e32 v17, vcc_lo, v32
	v_ashrrev_i32_e32 v0, 31, v0
	v_cmp_gt_i64_e64 s[4:5], 0, v[24:25]
	v_not_b32_e32 v2, v25
	v_ashrrev_i32_e32 v1, 31, v1
	v_and_b32_e32 v24, 0xffffffc, v11
	v_and_b32_e32 v11, exec_hi, v16
	v_and_b32_e32 v16, exec_lo, v17
	v_xor_b32_e32 v17, s1, v0
	v_xor_b32_e32 v0, s0, v0
	v_lshlrev_b32_e32 v29, 27, v13
	v_ashrrev_i32_e32 v2, 31, v2
	v_xor_b32_e32 v18, s3, v1
	v_xor_b32_e32 v1, s2, v1
	v_and_b32_e32 v0, v16, v0
	v_lshlrev_b32_e32 v31, 26, v13
	v_not_b32_e32 v9, v29
	v_xor_b32_e32 v19, s5, v2
	v_xor_b32_e32 v2, s4, v2
	v_and_b32_e32 v11, v11, v17
	v_and_b32_e32 v0, v0, v1
	v_cmp_gt_i64_e64 s[6:7], 0, v[28:29]
	v_ashrrev_i32_e32 v9, 31, v9
	v_and_b32_e32 v11, v11, v18
	v_and_b32_e32 v0, v0, v2
	v_not_b32_e32 v2, v31
	v_xor_b32_e32 v21, s7, v9
	v_xor_b32_e32 v9, s6, v9
	v_and_b32_e32 v1, v11, v19
	v_cmp_gt_i64_e32 vcc, 0, v[30:31]
	v_ashrrev_i32_e32 v2, 31, v2
	v_and_b32_e32 v1, v1, v21
	v_and_b32_e32 v0, v0, v9
	v_xor_b32_e32 v9, vcc_hi, v2
	v_xor_b32_e32 v2, vcc_lo, v2
	v_and_b32_e32 v9, v1, v9
	v_and_b32_e32 v2, v0, v2
	v_lshlrev_b32_e32 v1, 25, v13
	v_mov_b32_e32 v0, v3
	v_cmp_gt_i64_e32 vcc, 0, v[0:1]
	v_not_b32_e32 v0, v1
	v_ashrrev_i32_e32 v0, 31, v0
	v_xor_b32_e32 v1, vcc_hi, v0
	v_xor_b32_e32 v0, vcc_lo, v0
	v_and_b32_e32 v9, v9, v1
	v_and_b32_e32 v2, v2, v0
	v_lshlrev_b32_e32 v1, 24, v13
	v_mov_b32_e32 v0, v3
	v_cmp_gt_i64_e32 vcc, 0, v[0:1]
	v_not_b32_e32 v0, v1
	v_ashrrev_i32_e32 v0, 31, v0
	v_xor_b32_e32 v1, vcc_hi, v0
	v_xor_b32_e32 v0, vcc_lo, v0
	v_and_b32_e32 v0, v2, v0
	v_and_b32_e32 v1, v9, v1
	v_mbcnt_lo_u32_b32 v2, v0, 0
	v_mbcnt_hi_u32_b32 v9, v1, v2
	v_mul_lo_u32 v14, v13, s8
	v_cmp_eq_u32_e32 vcc, 0, v9
	v_cmp_ne_u64_e64 s[0:1], 0, v[0:1]
	s_and_b64 s[2:3], s[0:1], vcc
	v_add_u32_e32 v16, v24, v14
	s_and_saveexec_b64 s[0:1], s[2:3]
; %bb.88:
	v_bcnt_u32_b32 v0, v0, 0
	v_bcnt_u32_b32 v0, v1, v0
	ds_write_b32 v16, v0 offset:64
; %bb.89:
	s_or_b64 exec, exec, s[0:1]
	s_waitcnt vmcnt(6)
	v_xor_b32_e32 v7, 0x80000000, v7
	v_lshrrev_b32_e32 v0, s24, v7
	v_and_b32_e32 v13, s13, v0
	v_mul_lo_u32 v0, v13, s8
	v_and_b32_e32 v2, 1, v13
	v_add_u32_e32 v17, v24, v0
	v_lshl_add_u64 v[0:1], v[2:3], 0, -1
	v_cmp_ne_u32_e32 vcc, 0, v2
	; wave barrier
	s_nop 1
	v_xor_b32_e32 v1, vcc_hi, v1
	v_xor_b32_e32 v0, vcc_lo, v0
	v_and_b32_e32 v2, exec_hi, v1
	v_and_b32_e32 v14, exec_lo, v0
	v_lshlrev_b32_e32 v1, 30, v13
	v_mov_b32_e32 v0, v3
	v_cmp_gt_i64_e32 vcc, 0, v[0:1]
	v_not_b32_e32 v0, v1
	v_ashrrev_i32_e32 v0, 31, v0
	v_xor_b32_e32 v1, vcc_hi, v0
	v_xor_b32_e32 v0, vcc_lo, v0
	v_and_b32_e32 v2, v2, v1
	v_and_b32_e32 v14, v14, v0
	v_lshlrev_b32_e32 v1, 29, v13
	v_mov_b32_e32 v0, v3
	v_cmp_gt_i64_e32 vcc, 0, v[0:1]
	v_not_b32_e32 v0, v1
	v_ashrrev_i32_e32 v0, 31, v0
	v_xor_b32_e32 v1, vcc_hi, v0
	v_xor_b32_e32 v0, vcc_lo, v0
	v_and_b32_e32 v2, v2, v1
	v_and_b32_e32 v14, v14, v0
	;; [unrolled: 9-line block ×6, first 2 shown]
	v_lshlrev_b32_e32 v1, 24, v13
	v_mov_b32_e32 v0, v3
	v_cmp_gt_i64_e32 vcc, 0, v[0:1]
	v_not_b32_e32 v0, v1
	v_ashrrev_i32_e32 v0, 31, v0
	v_xor_b32_e32 v1, vcc_hi, v0
	v_xor_b32_e32 v0, vcc_lo, v0
	ds_read_b32 v11, v17 offset:64
	v_and_b32_e32 v0, v14, v0
	v_and_b32_e32 v1, v2, v1
	v_mbcnt_lo_u32_b32 v2, v0, 0
	v_mbcnt_hi_u32_b32 v13, v1, v2
	v_cmp_eq_u32_e32 vcc, 0, v13
	v_cmp_ne_u64_e64 s[0:1], 0, v[0:1]
	s_and_b64 s[2:3], s[0:1], vcc
	; wave barrier
	s_and_saveexec_b64 s[0:1], s[2:3]
	s_cbranch_execz .LBB178_91
; %bb.90:
	v_bcnt_u32_b32 v0, v0, 0
	v_bcnt_u32_b32 v0, v1, v0
	s_waitcnt lgkmcnt(0)
	v_add_u32_e32 v0, v11, v0
	ds_write_b32 v17, v0 offset:64
.LBB178_91:
	s_or_b64 exec, exec, s[0:1]
	s_waitcnt vmcnt(5)
	v_xor_b32_e32 v8, 0x80000000, v8
	v_lshrrev_b32_e32 v0, s24, v8
	v_and_b32_e32 v18, s13, v0
	s_movk_i32 s2, 0x44
	v_mul_lo_u32 v0, v18, s2
	v_add_u32_e32 v21, v24, v0
	v_and_b32_e32 v0, 1, v18
	v_mov_b32_e32 v1, 0
	v_lshl_add_u64 v[2:3], v[0:1], 0, -1
	v_cmp_ne_u32_e32 vcc, 0, v0
	; wave barrier
	s_nop 1
	v_xor_b32_e32 v2, vcc_lo, v2
	v_xor_b32_e32 v0, vcc_hi, v3
	v_and_b32_e32 v19, exec_lo, v2
	v_lshlrev_b32_e32 v3, 30, v18
	v_mov_b32_e32 v2, v1
	v_cmp_gt_i64_e32 vcc, 0, v[2:3]
	v_not_b32_e32 v2, v3
	v_ashrrev_i32_e32 v2, 31, v2
	v_and_b32_e32 v0, exec_hi, v0
	v_xor_b32_e32 v3, vcc_hi, v2
	v_xor_b32_e32 v2, vcc_lo, v2
	v_and_b32_e32 v0, v0, v3
	v_and_b32_e32 v19, v19, v2
	v_lshlrev_b32_e32 v3, 29, v18
	v_mov_b32_e32 v2, v1
	v_cmp_gt_i64_e32 vcc, 0, v[2:3]
	v_not_b32_e32 v2, v3
	v_ashrrev_i32_e32 v2, 31, v2
	v_xor_b32_e32 v3, vcc_hi, v2
	v_xor_b32_e32 v2, vcc_lo, v2
	v_and_b32_e32 v0, v0, v3
	v_and_b32_e32 v19, v19, v2
	v_lshlrev_b32_e32 v3, 28, v18
	v_mov_b32_e32 v2, v1
	v_cmp_gt_i64_e32 vcc, 0, v[2:3]
	v_not_b32_e32 v2, v3
	v_ashrrev_i32_e32 v2, 31, v2
	v_xor_b32_e32 v3, vcc_hi, v2
	v_xor_b32_e32 v2, vcc_lo, v2
	v_and_b32_e32 v0, v0, v3
	v_and_b32_e32 v19, v19, v2
	v_lshlrev_b32_e32 v3, 27, v18
	v_mov_b32_e32 v2, v1
	v_cmp_gt_i64_e32 vcc, 0, v[2:3]
	v_not_b32_e32 v2, v3
	v_ashrrev_i32_e32 v2, 31, v2
	v_xor_b32_e32 v3, vcc_hi, v2
	v_xor_b32_e32 v2, vcc_lo, v2
	v_and_b32_e32 v0, v0, v3
	v_and_b32_e32 v19, v19, v2
	v_lshlrev_b32_e32 v3, 26, v18
	v_mov_b32_e32 v2, v1
	v_cmp_gt_i64_e32 vcc, 0, v[2:3]
	v_not_b32_e32 v2, v3
	v_ashrrev_i32_e32 v2, 31, v2
	v_xor_b32_e32 v3, vcc_hi, v2
	v_xor_b32_e32 v2, vcc_lo, v2
	v_and_b32_e32 v0, v0, v3
	v_and_b32_e32 v19, v19, v2
	v_lshlrev_b32_e32 v3, 25, v18
	v_mov_b32_e32 v2, v1
	v_cmp_gt_i64_e32 vcc, 0, v[2:3]
	v_not_b32_e32 v2, v3
	v_ashrrev_i32_e32 v2, 31, v2
	v_xor_b32_e32 v3, vcc_hi, v2
	v_xor_b32_e32 v2, vcc_lo, v2
	v_and_b32_e32 v0, v0, v3
	v_and_b32_e32 v19, v19, v2
	v_lshlrev_b32_e32 v3, 24, v18
	v_mov_b32_e32 v2, v1
	v_cmp_gt_i64_e32 vcc, 0, v[2:3]
	v_not_b32_e32 v2, v3
	v_ashrrev_i32_e32 v2, 31, v2
	v_xor_b32_e32 v3, vcc_hi, v2
	v_xor_b32_e32 v2, vcc_lo, v2
	ds_read_b32 v14, v21 offset:64
	v_and_b32_e32 v2, v19, v2
	v_and_b32_e32 v3, v0, v3
	v_mbcnt_lo_u32_b32 v0, v2, 0
	v_mbcnt_hi_u32_b32 v18, v3, v0
	v_cmp_eq_u32_e32 vcc, 0, v18
	v_cmp_ne_u64_e64 s[0:1], 0, v[2:3]
	s_and_b64 s[4:5], s[0:1], vcc
	; wave barrier
	s_and_saveexec_b64 s[0:1], s[4:5]
	s_cbranch_execz .LBB178_93
; %bb.92:
	v_bcnt_u32_b32 v0, v2, 0
	v_bcnt_u32_b32 v0, v3, v0
	s_waitcnt lgkmcnt(0)
	v_add_u32_e32 v0, v14, v0
	ds_write_b32 v21, v0 offset:64
.LBB178_93:
	s_or_b64 exec, exec, s[0:1]
	s_waitcnt vmcnt(4)
	v_xor_b32_e32 v12, 0x80000000, v12
	v_lshrrev_b32_e32 v0, s24, v12
	v_and_b32_e32 v23, s13, v0
	v_mul_lo_u32 v0, v23, s2
	v_add_u32_e32 v27, v24, v0
	v_and_b32_e32 v0, 1, v23
	v_lshl_add_u64 v[2:3], v[0:1], 0, -1
	v_cmp_ne_u32_e32 vcc, 0, v0
	; wave barrier
	s_nop 1
	v_xor_b32_e32 v2, vcc_lo, v2
	v_xor_b32_e32 v0, vcc_hi, v3
	v_and_b32_e32 v25, exec_lo, v2
	v_lshlrev_b32_e32 v3, 30, v23
	v_mov_b32_e32 v2, v1
	v_cmp_gt_i64_e32 vcc, 0, v[2:3]
	v_not_b32_e32 v2, v3
	v_ashrrev_i32_e32 v2, 31, v2
	v_and_b32_e32 v0, exec_hi, v0
	v_xor_b32_e32 v3, vcc_hi, v2
	v_xor_b32_e32 v2, vcc_lo, v2
	v_and_b32_e32 v0, v0, v3
	v_and_b32_e32 v25, v25, v2
	v_lshlrev_b32_e32 v3, 29, v23
	v_mov_b32_e32 v2, v1
	v_cmp_gt_i64_e32 vcc, 0, v[2:3]
	v_not_b32_e32 v2, v3
	v_ashrrev_i32_e32 v2, 31, v2
	v_xor_b32_e32 v3, vcc_hi, v2
	v_xor_b32_e32 v2, vcc_lo, v2
	v_and_b32_e32 v0, v0, v3
	v_and_b32_e32 v25, v25, v2
	v_lshlrev_b32_e32 v3, 28, v23
	v_mov_b32_e32 v2, v1
	v_cmp_gt_i64_e32 vcc, 0, v[2:3]
	v_not_b32_e32 v2, v3
	v_ashrrev_i32_e32 v2, 31, v2
	;; [unrolled: 9-line block ×5, first 2 shown]
	v_xor_b32_e32 v3, vcc_hi, v2
	v_xor_b32_e32 v2, vcc_lo, v2
	v_and_b32_e32 v0, v0, v3
	v_lshlrev_b32_e32 v3, 24, v23
	v_and_b32_e32 v25, v25, v2
	v_mov_b32_e32 v2, v1
	v_not_b32_e32 v1, v3
	v_cmp_gt_i64_e32 vcc, 0, v[2:3]
	v_ashrrev_i32_e32 v1, 31, v1
	ds_read_b32 v19, v27 offset:64
	v_xor_b32_e32 v2, vcc_hi, v1
	v_xor_b32_e32 v3, vcc_lo, v1
	v_and_b32_e32 v1, v0, v2
	v_and_b32_e32 v0, v25, v3
	v_mbcnt_lo_u32_b32 v2, v0, 0
	v_mbcnt_hi_u32_b32 v23, v1, v2
	v_cmp_eq_u32_e32 vcc, 0, v23
	v_cmp_ne_u64_e64 s[0:1], 0, v[0:1]
	s_and_b64 s[2:3], s[0:1], vcc
	; wave barrier
	s_and_saveexec_b64 s[0:1], s[2:3]
	s_cbranch_execz .LBB178_95
; %bb.94:
	v_bcnt_u32_b32 v0, v0, 0
	v_bcnt_u32_b32 v0, v1, v0
	s_waitcnt lgkmcnt(0)
	v_add_u32_e32 v0, v19, v0
	ds_write_b32 v27, v0 offset:64
.LBB178_95:
	s_or_b64 exec, exec, s[0:1]
	s_waitcnt vmcnt(3)
	v_xor_b32_e32 v15, 0x80000000, v15
	v_lshrrev_b32_e32 v0, s24, v15
	v_and_b32_e32 v28, s13, v0
	s_movk_i32 s2, 0x44
	v_mul_lo_u32 v0, v28, s2
	v_add_u32_e32 v30, v24, v0
	v_and_b32_e32 v0, 1, v28
	v_mov_b32_e32 v1, 0
	v_lshl_add_u64 v[2:3], v[0:1], 0, -1
	v_cmp_ne_u32_e32 vcc, 0, v0
	; wave barrier
	s_nop 1
	v_xor_b32_e32 v2, vcc_lo, v2
	v_xor_b32_e32 v0, vcc_hi, v3
	v_and_b32_e32 v29, exec_lo, v2
	v_lshlrev_b32_e32 v3, 30, v28
	v_mov_b32_e32 v2, v1
	v_cmp_gt_i64_e32 vcc, 0, v[2:3]
	v_not_b32_e32 v2, v3
	v_ashrrev_i32_e32 v2, 31, v2
	v_and_b32_e32 v0, exec_hi, v0
	v_xor_b32_e32 v3, vcc_hi, v2
	v_xor_b32_e32 v2, vcc_lo, v2
	v_and_b32_e32 v0, v0, v3
	v_and_b32_e32 v29, v29, v2
	v_lshlrev_b32_e32 v3, 29, v28
	v_mov_b32_e32 v2, v1
	v_cmp_gt_i64_e32 vcc, 0, v[2:3]
	v_not_b32_e32 v2, v3
	v_ashrrev_i32_e32 v2, 31, v2
	v_xor_b32_e32 v3, vcc_hi, v2
	v_xor_b32_e32 v2, vcc_lo, v2
	v_and_b32_e32 v0, v0, v3
	v_and_b32_e32 v29, v29, v2
	v_lshlrev_b32_e32 v3, 28, v28
	v_mov_b32_e32 v2, v1
	v_cmp_gt_i64_e32 vcc, 0, v[2:3]
	v_not_b32_e32 v2, v3
	v_ashrrev_i32_e32 v2, 31, v2
	;; [unrolled: 9-line block ×6, first 2 shown]
	v_xor_b32_e32 v3, vcc_hi, v2
	v_xor_b32_e32 v2, vcc_lo, v2
	ds_read_b32 v25, v30 offset:64
	v_and_b32_e32 v2, v29, v2
	v_and_b32_e32 v3, v0, v3
	v_mbcnt_lo_u32_b32 v0, v2, 0
	v_mbcnt_hi_u32_b32 v28, v3, v0
	v_cmp_eq_u32_e32 vcc, 0, v28
	v_cmp_ne_u64_e64 s[0:1], 0, v[2:3]
	s_and_b64 s[4:5], s[0:1], vcc
	; wave barrier
	s_and_saveexec_b64 s[0:1], s[4:5]
	s_cbranch_execz .LBB178_97
; %bb.96:
	v_bcnt_u32_b32 v0, v2, 0
	v_bcnt_u32_b32 v0, v3, v0
	s_waitcnt lgkmcnt(0)
	v_add_u32_e32 v0, v25, v0
	ds_write_b32 v30, v0 offset:64
.LBB178_97:
	s_or_b64 exec, exec, s[0:1]
	s_waitcnt vmcnt(2)
	v_xor_b32_e32 v20, 0x80000000, v20
	v_lshrrev_b32_e32 v0, s24, v20
	v_and_b32_e32 v31, s13, v0
	v_mul_lo_u32 v0, v31, s2
	v_add_u32_e32 v33, v24, v0
	v_and_b32_e32 v0, 1, v31
	v_lshl_add_u64 v[2:3], v[0:1], 0, -1
	v_cmp_ne_u32_e32 vcc, 0, v0
	; wave barrier
	s_nop 1
	v_xor_b32_e32 v2, vcc_lo, v2
	v_xor_b32_e32 v0, vcc_hi, v3
	v_and_b32_e32 v32, exec_lo, v2
	v_lshlrev_b32_e32 v3, 30, v31
	v_mov_b32_e32 v2, v1
	v_cmp_gt_i64_e32 vcc, 0, v[2:3]
	v_not_b32_e32 v2, v3
	v_ashrrev_i32_e32 v2, 31, v2
	v_and_b32_e32 v0, exec_hi, v0
	v_xor_b32_e32 v3, vcc_hi, v2
	v_xor_b32_e32 v2, vcc_lo, v2
	v_and_b32_e32 v0, v0, v3
	v_and_b32_e32 v32, v32, v2
	v_lshlrev_b32_e32 v3, 29, v31
	v_mov_b32_e32 v2, v1
	v_cmp_gt_i64_e32 vcc, 0, v[2:3]
	v_not_b32_e32 v2, v3
	v_ashrrev_i32_e32 v2, 31, v2
	v_xor_b32_e32 v3, vcc_hi, v2
	v_xor_b32_e32 v2, vcc_lo, v2
	v_and_b32_e32 v0, v0, v3
	v_and_b32_e32 v32, v32, v2
	v_lshlrev_b32_e32 v3, 28, v31
	v_mov_b32_e32 v2, v1
	v_cmp_gt_i64_e32 vcc, 0, v[2:3]
	v_not_b32_e32 v2, v3
	v_ashrrev_i32_e32 v2, 31, v2
	;; [unrolled: 9-line block ×5, first 2 shown]
	v_xor_b32_e32 v3, vcc_hi, v2
	v_xor_b32_e32 v2, vcc_lo, v2
	v_and_b32_e32 v0, v0, v3
	v_lshlrev_b32_e32 v3, 24, v31
	v_and_b32_e32 v32, v32, v2
	v_mov_b32_e32 v2, v1
	v_not_b32_e32 v1, v3
	v_cmp_gt_i64_e32 vcc, 0, v[2:3]
	v_ashrrev_i32_e32 v1, 31, v1
	ds_read_b32 v29, v33 offset:64
	v_xor_b32_e32 v2, vcc_hi, v1
	v_xor_b32_e32 v3, vcc_lo, v1
	v_and_b32_e32 v1, v0, v2
	v_and_b32_e32 v0, v32, v3
	v_mbcnt_lo_u32_b32 v2, v0, 0
	v_mbcnt_hi_u32_b32 v31, v1, v2
	v_cmp_eq_u32_e32 vcc, 0, v31
	v_cmp_ne_u64_e64 s[0:1], 0, v[0:1]
	s_and_b64 s[2:3], s[0:1], vcc
	; wave barrier
	s_and_saveexec_b64 s[0:1], s[2:3]
	s_cbranch_execz .LBB178_99
; %bb.98:
	v_bcnt_u32_b32 v0, v0, 0
	v_bcnt_u32_b32 v0, v1, v0
	s_waitcnt lgkmcnt(0)
	v_add_u32_e32 v0, v29, v0
	ds_write_b32 v33, v0 offset:64
.LBB178_99:
	s_or_b64 exec, exec, s[0:1]
	s_waitcnt vmcnt(1)
	v_xor_b32_e32 v26, 0x80000000, v26
	v_lshrrev_b32_e32 v0, s24, v26
	v_and_b32_e32 v34, s13, v0
	s_movk_i32 s2, 0x44
	v_mul_lo_u32 v0, v34, s2
	v_add_u32_e32 v36, v24, v0
	v_and_b32_e32 v0, 1, v34
	v_mov_b32_e32 v1, 0
	v_lshl_add_u64 v[2:3], v[0:1], 0, -1
	v_cmp_ne_u32_e32 vcc, 0, v0
	; wave barrier
	s_nop 1
	v_xor_b32_e32 v2, vcc_lo, v2
	v_xor_b32_e32 v0, vcc_hi, v3
	v_and_b32_e32 v35, exec_lo, v2
	v_lshlrev_b32_e32 v3, 30, v34
	v_mov_b32_e32 v2, v1
	v_cmp_gt_i64_e32 vcc, 0, v[2:3]
	v_not_b32_e32 v2, v3
	v_ashrrev_i32_e32 v2, 31, v2
	v_and_b32_e32 v0, exec_hi, v0
	v_xor_b32_e32 v3, vcc_hi, v2
	v_xor_b32_e32 v2, vcc_lo, v2
	v_and_b32_e32 v0, v0, v3
	v_and_b32_e32 v35, v35, v2
	v_lshlrev_b32_e32 v3, 29, v34
	v_mov_b32_e32 v2, v1
	v_cmp_gt_i64_e32 vcc, 0, v[2:3]
	v_not_b32_e32 v2, v3
	v_ashrrev_i32_e32 v2, 31, v2
	v_xor_b32_e32 v3, vcc_hi, v2
	v_xor_b32_e32 v2, vcc_lo, v2
	v_and_b32_e32 v0, v0, v3
	v_and_b32_e32 v35, v35, v2
	v_lshlrev_b32_e32 v3, 28, v34
	v_mov_b32_e32 v2, v1
	v_cmp_gt_i64_e32 vcc, 0, v[2:3]
	v_not_b32_e32 v2, v3
	v_ashrrev_i32_e32 v2, 31, v2
	;; [unrolled: 9-line block ×6, first 2 shown]
	v_xor_b32_e32 v3, vcc_hi, v2
	v_xor_b32_e32 v2, vcc_lo, v2
	ds_read_b32 v32, v36 offset:64
	v_and_b32_e32 v2, v35, v2
	v_and_b32_e32 v3, v0, v3
	v_mbcnt_lo_u32_b32 v0, v2, 0
	v_mbcnt_hi_u32_b32 v34, v3, v0
	v_cmp_eq_u32_e32 vcc, 0, v34
	v_cmp_ne_u64_e64 s[0:1], 0, v[2:3]
	s_and_b64 s[4:5], s[0:1], vcc
	; wave barrier
	s_and_saveexec_b64 s[0:1], s[4:5]
	s_cbranch_execz .LBB178_101
; %bb.100:
	v_bcnt_u32_b32 v0, v2, 0
	v_bcnt_u32_b32 v0, v3, v0
	s_waitcnt lgkmcnt(0)
	v_add_u32_e32 v0, v32, v0
	ds_write_b32 v36, v0 offset:64
.LBB178_101:
	s_or_b64 exec, exec, s[0:1]
	s_waitcnt vmcnt(0)
	v_xor_b32_e32 v22, 0x80000000, v22
	v_lshrrev_b32_e32 v0, s24, v22
	v_and_b32_e32 v37, s13, v0
	v_mul_lo_u32 v0, v37, s2
	v_add_u32_e32 v38, v24, v0
	v_and_b32_e32 v0, 1, v37
	v_lshl_add_u64 v[2:3], v[0:1], 0, -1
	v_cmp_ne_u32_e32 vcc, 0, v0
	; wave barrier
	s_nop 1
	v_xor_b32_e32 v2, vcc_lo, v2
	v_xor_b32_e32 v0, vcc_hi, v3
	v_and_b32_e32 v24, exec_lo, v2
	v_lshlrev_b32_e32 v3, 30, v37
	v_mov_b32_e32 v2, v1
	v_cmp_gt_i64_e32 vcc, 0, v[2:3]
	v_not_b32_e32 v2, v3
	v_ashrrev_i32_e32 v2, 31, v2
	v_and_b32_e32 v0, exec_hi, v0
	v_xor_b32_e32 v3, vcc_hi, v2
	v_xor_b32_e32 v2, vcc_lo, v2
	v_and_b32_e32 v0, v0, v3
	v_and_b32_e32 v24, v24, v2
	v_lshlrev_b32_e32 v3, 29, v37
	v_mov_b32_e32 v2, v1
	v_cmp_gt_i64_e32 vcc, 0, v[2:3]
	v_not_b32_e32 v2, v3
	v_ashrrev_i32_e32 v2, 31, v2
	v_xor_b32_e32 v3, vcc_hi, v2
	v_xor_b32_e32 v2, vcc_lo, v2
	v_and_b32_e32 v0, v0, v3
	v_and_b32_e32 v24, v24, v2
	v_lshlrev_b32_e32 v3, 28, v37
	v_mov_b32_e32 v2, v1
	v_cmp_gt_i64_e32 vcc, 0, v[2:3]
	v_not_b32_e32 v2, v3
	v_ashrrev_i32_e32 v2, 31, v2
	;; [unrolled: 9-line block ×5, first 2 shown]
	v_xor_b32_e32 v3, vcc_hi, v2
	v_xor_b32_e32 v2, vcc_lo, v2
	v_and_b32_e32 v0, v0, v3
	v_lshlrev_b32_e32 v3, 24, v37
	v_and_b32_e32 v24, v24, v2
	v_mov_b32_e32 v2, v1
	v_not_b32_e32 v1, v3
	v_cmp_gt_i64_e32 vcc, 0, v[2:3]
	v_ashrrev_i32_e32 v1, 31, v1
	ds_read_b32 v35, v38 offset:64
	v_xor_b32_e32 v2, vcc_hi, v1
	v_xor_b32_e32 v3, vcc_lo, v1
	v_and_b32_e32 v1, v0, v2
	v_and_b32_e32 v0, v24, v3
	v_mbcnt_lo_u32_b32 v2, v0, 0
	v_mbcnt_hi_u32_b32 v37, v1, v2
	v_cmp_eq_u32_e32 vcc, 0, v37
	v_cmp_ne_u64_e64 s[0:1], 0, v[0:1]
	s_and_b64 s[2:3], s[0:1], vcc
	; wave barrier
	s_and_saveexec_b64 s[0:1], s[2:3]
	s_cbranch_execz .LBB178_103
; %bb.102:
	v_bcnt_u32_b32 v0, v0, 0
	v_bcnt_u32_b32 v0, v1, v0
	s_waitcnt lgkmcnt(0)
	v_add_u32_e32 v0, v35, v0
	ds_write_b32 v38, v0 offset:64
.LBB178_103:
	s_or_b64 exec, exec, s[0:1]
	; wave barrier
	s_waitcnt lgkmcnt(0)
	s_barrier
	ds_read2_b32 v[2:3], v5 offset0:16 offset1:17
	ds_read2_b32 v[0:1], v5 offset0:18 offset1:19
	ds_read_b32 v24, v5 offset:80
	v_cmp_lt_u32_e64 s[2:3], 31, v4
	s_waitcnt lgkmcnt(1)
	v_add3_u32 v39, v3, v2, v0
	s_waitcnt lgkmcnt(0)
	v_add3_u32 v24, v39, v1, v24
	v_and_b32_e32 v39, 15, v4
	v_cmp_eq_u32_e32 vcc, 0, v39
	v_mov_b32_dpp v40, v24 row_shr:1 row_mask:0xf bank_mask:0xf
	v_cmp_lt_u32_e64 s[0:1], 1, v39
	v_cndmask_b32_e64 v40, v40, 0, vcc
	v_add_u32_e32 v24, v40, v24
	v_cmp_lt_u32_e64 s[4:5], 3, v39
	v_cmp_lt_u32_e64 s[6:7], 7, v39
	v_mov_b32_dpp v40, v24 row_shr:2 row_mask:0xf bank_mask:0xf
	v_cndmask_b32_e64 v40, 0, v40, s[0:1]
	v_add_u32_e32 v24, v24, v40
	s_nop 1
	v_mov_b32_dpp v40, v24 row_shr:4 row_mask:0xf bank_mask:0xf
	v_cndmask_b32_e64 v40, 0, v40, s[4:5]
	v_add_u32_e32 v24, v24, v40
	s_nop 1
	v_mov_b32_dpp v40, v24 row_shr:8 row_mask:0xf bank_mask:0xf
	v_cndmask_b32_e64 v39, 0, v40, s[6:7]
	v_add_u32_e32 v24, v24, v39
	v_bfe_i32 v40, v4, 4, 1
	s_nop 0
	v_mov_b32_dpp v39, v24 row_bcast:15 row_mask:0xf bank_mask:0xf
	v_and_b32_e32 v39, v40, v39
	v_add_u32_e32 v24, v24, v39
	v_lshrrev_b32_e32 v40, 6, v10
	s_nop 0
	v_mov_b32_dpp v39, v24 row_bcast:31 row_mask:0xf bank_mask:0xf
	v_cndmask_b32_e64 v39, 0, v39, s[2:3]
	v_add_u32_e32 v39, v24, v39
	v_and_b32_e32 v24, 63, v10
	v_cmp_eq_u32_e64 s[2:3], 63, v24
	s_and_saveexec_b64 s[8:9], s[2:3]
; %bb.104:
	v_lshlrev_b32_e32 v24, 2, v40
	ds_write_b32 v24, v39
; %bb.105:
	s_or_b64 exec, exec, s[8:9]
	v_cmp_gt_u32_e64 s[2:3], 16, v10
	v_lshlrev_b32_e32 v24, 2, v10
	s_waitcnt lgkmcnt(0)
	s_barrier
	s_and_saveexec_b64 s[8:9], s[2:3]
	s_cbranch_execz .LBB178_107
; %bb.106:
	ds_read_b32 v41, v24
	s_waitcnt lgkmcnt(0)
	s_nop 0
	v_mov_b32_dpp v42, v41 row_shr:1 row_mask:0xf bank_mask:0xf
	v_cndmask_b32_e64 v42, v42, 0, vcc
	v_add_u32_e32 v41, v42, v41
	s_nop 1
	v_mov_b32_dpp v42, v41 row_shr:2 row_mask:0xf bank_mask:0xf
	v_cndmask_b32_e64 v42, 0, v42, s[0:1]
	v_add_u32_e32 v41, v41, v42
	s_nop 1
	v_mov_b32_dpp v42, v41 row_shr:4 row_mask:0xf bank_mask:0xf
	v_cndmask_b32_e64 v42, 0, v42, s[4:5]
	;; [unrolled: 4-line block ×3, first 2 shown]
	v_add_u32_e32 v41, v41, v42
	ds_write_b32 v24, v41
.LBB178_107:
	s_or_b64 exec, exec, s[8:9]
	v_cmp_lt_u32_e32 vcc, 63, v10
	v_mov_b32_e32 v41, 0
	s_waitcnt lgkmcnt(0)
	s_barrier
	s_and_saveexec_b64 s[0:1], vcc
; %bb.108:
	v_lshl_add_u32 v40, v40, 2, -4
	ds_read_b32 v41, v40
; %bb.109:
	s_or_b64 exec, exec, s[0:1]
	v_subrev_co_u32_e32 v40, vcc, 1, v4
	v_and_b32_e32 v42, 64, v4
	v_cmp_lt_i32_e64 s[0:1], v40, v42
	s_waitcnt lgkmcnt(0)
	v_add_u32_e32 v39, v41, v39
	s_movk_i32 s2, 0x100
	v_cndmask_b32_e64 v4, v40, v4, s[0:1]
	v_lshlrev_b32_e32 v4, 2, v4
	ds_bpermute_b32 v4, v4, v39
	s_movk_i32 s0, 0xff
	v_cmp_lt_u32_e64 s[0:1], s0, v10
	s_waitcnt lgkmcnt(0)
	v_cndmask_b32_e32 v4, v4, v41, vcc
	v_cndmask_b32_e64 v4, v4, 0, s[10:11]
	v_add_u32_e32 v2, v4, v2
	v_add_u32_e32 v3, v2, v3
	;; [unrolled: 1-line block ×4, first 2 shown]
	ds_write2_b32 v5, v4, v2 offset0:16 offset1:17
	ds_write2_b32 v5, v3, v0 offset0:18 offset1:19
	ds_write_b32 v5, v1 offset:80
	s_waitcnt lgkmcnt(0)
	s_barrier
	ds_read_b32 v42, v16 offset:64
	ds_read_b32 v39, v17 offset:64
	;; [unrolled: 1-line block ×8, first 2 shown]
	v_cmp_gt_u32_e32 vcc, s2, v10
                                        ; implicit-def: $vgpr16
                                        ; implicit-def: $vgpr17
	s_and_saveexec_b64 s[4:5], vcc
	s_cbranch_execz .LBB178_113
; %bb.110:
	v_mul_u32_u24_e32 v0, 0x44, v10
	ds_read_b32 v16, v0 offset:64
	v_add_u32_e32 v1, 1, v10
	v_cmp_ne_u32_e64 s[2:3], s2, v1
	v_mov_b32_e32 v0, 0x2000
	s_and_saveexec_b64 s[6:7], s[2:3]
; %bb.111:
	v_mul_u32_u24_e32 v0, 0x44, v1
	ds_read_b32 v0, v0 offset:64
; %bb.112:
	s_or_b64 exec, exec, s[6:7]
	s_waitcnt lgkmcnt(0)
	v_sub_u32_e32 v17, v0, v16
.LBB178_113:
	s_or_b64 exec, exec, s[4:5]
	v_mov_b32_e32 v1, 0
	s_waitcnt lgkmcnt(0)
	s_barrier
	s_and_saveexec_b64 s[2:3], vcc
	s_cbranch_execz .LBB178_123
; %bb.114:
	v_lshl_add_u32 v0, s27, 8, v10
	v_lshl_add_u64 v[2:3], v[0:1], 2, s[18:19]
	v_or_b32_e32 v0, 2.0, v17
	s_mov_b64 s[4:5], 0
	s_brev_b32 s10, -4
	s_mov_b32 s11, s27
	v_mov_b32_e32 v36, 0
	global_store_dword v[2:3], v0, off sc1
                                        ; implicit-def: $sgpr6_sgpr7
	s_branch .LBB178_117
.LBB178_115:                            ;   in Loop: Header=BB178_117 Depth=1
	s_or_b64 exec, exec, s[8:9]
.LBB178_116:                            ;   in Loop: Header=BB178_117 Depth=1
	s_or_b64 exec, exec, s[6:7]
	v_and_b32_e32 v4, 0x3fffffff, v0
	v_add_u32_e32 v36, v4, v36
	v_cmp_gt_i32_e64 s[6:7], -2.0, v0
	s_and_b64 s[8:9], exec, s[6:7]
	s_or_b64 s[4:5], s[8:9], s[4:5]
	s_andn2_b64 exec, exec, s[4:5]
	s_cbranch_execz .LBB178_122
.LBB178_117:                            ; =>This Loop Header: Depth=1
                                        ;     Child Loop BB178_120 Depth 2
	s_or_b64 s[6:7], s[6:7], exec
	s_cmp_eq_u32 s11, 0
	s_cbranch_scc1 .LBB178_121
; %bb.118:                              ;   in Loop: Header=BB178_117 Depth=1
	s_add_i32 s11, s11, -1
	v_lshl_or_b32 v0, s11, 8, v10
	v_lshl_add_u64 v[4:5], v[0:1], 2, s[18:19]
	global_load_dword v0, v[4:5], off sc1
	s_waitcnt vmcnt(0)
	v_cmp_gt_u32_e32 vcc, 2.0, v0
	s_and_saveexec_b64 s[6:7], vcc
	s_cbranch_execz .LBB178_116
; %bb.119:                              ;   in Loop: Header=BB178_117 Depth=1
	s_mov_b64 s[8:9], 0
.LBB178_120:                            ;   Parent Loop BB178_117 Depth=1
                                        ; =>  This Inner Loop Header: Depth=2
	global_load_dword v0, v[4:5], off sc1
	s_waitcnt vmcnt(0)
	v_cmp_lt_u32_e32 vcc, s10, v0
	s_or_b64 s[8:9], vcc, s[8:9]
	s_andn2_b64 exec, exec, s[8:9]
	s_cbranch_execnz .LBB178_120
	s_branch .LBB178_115
.LBB178_121:                            ;   in Loop: Header=BB178_117 Depth=1
                                        ; implicit-def: $sgpr11
	s_and_b64 s[8:9], exec, s[6:7]
	s_or_b64 s[4:5], s[8:9], s[4:5]
	s_andn2_b64 exec, exec, s[4:5]
	s_cbranch_execnz .LBB178_117
.LBB178_122:
	s_or_b64 exec, exec, s[4:5]
	v_add_u32_e32 v0, v36, v17
	v_or_b32_e32 v0, 0x80000000, v0
	global_store_dword v[2:3], v0, off sc1
	global_load_dword v0, v24, s[20:21]
	v_sub_u32_e32 v1, v36, v16
	s_waitcnt vmcnt(0)
	v_add_u32_e32 v0, v1, v0
	ds_write_b32 v24, v0
.LBB178_123:
	s_or_b64 exec, exec, s[2:3]
	v_add_u32_e32 v0, v37, v35
	v_add_u32_e32 v1, v34, v32
	;; [unrolled: 1-line block ×8, first 2 shown]
	v_add_lshl_u32 v3, v0, v33, 2
	v_add3_u32 v4, v37, v33, v35
	v_add_lshl_u32 v5, v1, v21, 2
	v_add3_u32 v9, v34, v21, v32
	;; [unrolled: 2-line block ×7, first 2 shown]
	v_lshlrev_b32_e32 v13, 2, v2
	s_mov_b64 s[2:3], -1
	s_mov_b32 s6, 0
	s_movk_i32 s7, 0x1000
	v_mov_b32_e32 v1, 0
	s_movk_i32 s8, 0x400
	s_movk_i32 s9, 0x800
	;; [unrolled: 1-line block ×3, first 2 shown]
	s_mov_b32 s11, 0
	s_branch .LBB178_125
.LBB178_124:                            ;   in Loop: Header=BB178_125 Depth=1
	s_or_b64 exec, exec, s[4:5]
	s_waitcnt lgkmcnt(0)
	s_barrier
	ds_read2st64_b32 v[30:31], v24 offset0:4 offset1:20
	s_xor_b64 s[4:5], s[2:3], -1
	s_addk_i32 s11, 0xc000
	s_addk_i32 s6, 0xf000
	s_mov_b64 s[2:3], 0
	s_waitcnt lgkmcnt(0)
	v_lshrrev_b32_e32 v0, s24, v30
	v_and_b32_e32 v0, s13, v0
	v_lshlrev_b32_e32 v0, 2, v0
	ds_read2st64_b32 v[32:33], v24 offset0:36 offset1:52
	ds_read_b32 v0, v0
	v_lshrrev_b32_e32 v34, s24, v31
	v_and_b32_e32 v34, s13, v34
	v_lshlrev_b32_e32 v34, 2, v34
	s_waitcnt lgkmcnt(1)
	v_lshrrev_b32_e32 v36, s24, v33
	v_lshrrev_b32_e32 v35, s24, v32
	v_and_b32_e32 v36, s13, v36
	v_and_b32_e32 v35, s13, v35
	v_lshlrev_b32_e32 v36, 2, v36
	v_lshlrev_b32_e32 v35, 2, v35
	ds_read_b32 v37, v34
	ds_read_b32 v38, v35
	;; [unrolled: 1-line block ×3, first 2 shown]
	s_waitcnt lgkmcnt(3)
	v_add_u32_e32 v0, v10, v0
	v_xor_b32_e32 v30, 0x80000000, v30
	v_lshl_add_u64 v[34:35], v[0:1], 2, s[30:31]
	s_waitcnt lgkmcnt(2)
	v_add3_u32 v0, v10, v37, s8
	global_store_dword v[34:35], v30, off
	v_xor_b32_e32 v34, 0x80000000, v31
	v_lshl_add_u64 v[30:31], v[0:1], 2, s[30:31]
	s_waitcnt lgkmcnt(1)
	v_add3_u32 v0, v10, v38, s9
	global_store_dword v[30:31], v34, off
	;; [unrolled: 5-line block ×3, first 2 shown]
	v_xor_b32_e32 v32, 0x80000000, v33
	v_lshl_add_u64 v[30:31], v[0:1], 2, s[30:31]
	v_add_u32_e32 v10, 0x1000, v10
	s_and_b64 vcc, exec, s[4:5]
	global_store_dword v[30:31], v32, off
	s_barrier
	s_cbranch_vccnz .LBB178_141
.LBB178_125:                            ; =>This Inner Loop Header: Depth=1
	v_add_u32_e32 v0, s6, v2
	v_cmp_gt_u32_e32 vcc, s7, v0
	s_and_saveexec_b64 s[4:5], vcc
; %bb.126:                              ;   in Loop: Header=BB178_125 Depth=1
	v_add_u32_e32 v0, s11, v13
	ds_write_b32 v0, v6 offset:1024
; %bb.127:                              ;   in Loop: Header=BB178_125 Depth=1
	s_or_b64 exec, exec, s[4:5]
	v_add_u32_e32 v0, s6, v11
	v_cmp_gt_u32_e32 vcc, s7, v0
	s_and_saveexec_b64 s[4:5], vcc
; %bb.128:                              ;   in Loop: Header=BB178_125 Depth=1
	v_add_u32_e32 v0, s11, v18
	ds_write_b32 v0, v7 offset:1024
; %bb.129:                              ;   in Loop: Header=BB178_125 Depth=1
	s_or_b64 exec, exec, s[4:5]
	;; [unrolled: 8-line block ×7, first 2 shown]
	v_add_u32_e32 v0, s6, v4
	v_cmp_gt_u32_e32 vcc, s7, v0
	s_and_saveexec_b64 s[4:5], vcc
	s_cbranch_execz .LBB178_124
; %bb.140:                              ;   in Loop: Header=BB178_125 Depth=1
	v_add_u32_e32 v0, s11, v3
	ds_write_b32 v0, v22 offset:1024
	s_branch .LBB178_124
.LBB178_141:
	s_add_i32 s12, s12, -1
	s_cmp_eq_u32 s27, s12
	s_cselect_b64 s[2:3], -1, 0
	s_xor_b64 s[0:1], s[0:1], -1
	s_and_b64 s[0:1], s[0:1], s[2:3]
	s_and_saveexec_b64 s[2:3], s[0:1]
	s_cbranch_execz .LBB178_143
; %bb.142:
	ds_read_b32 v0, v24
	s_waitcnt lgkmcnt(0)
	v_add3_u32 v0, v16, v17, v0
	global_store_dword v24, v0, s[22:23]
.LBB178_143:
	s_endpgm
	.section	.rodata,"a",@progbits
	.p2align	6, 0x0
	.amdhsa_kernel _ZN7rocprim17ROCPRIM_400000_NS6detail17trampoline_kernelINS0_14default_configENS1_35radix_sort_onesweep_config_selectorIiNS0_10empty_typeEEEZZNS1_29radix_sort_onesweep_iterationIS3_Lb0EN6thrust23THRUST_200600_302600_NS6detail15normal_iteratorINS9_10device_ptrIiEEEESE_PS5_SF_jNS0_19identity_decomposerENS1_16block_id_wrapperIjLb1EEEEE10hipError_tT1_PNSt15iterator_traitsISK_E10value_typeET2_T3_PNSL_ISQ_E10value_typeET4_T5_PSV_SW_PNS1_23onesweep_lookback_stateEbbT6_jjT7_P12ihipStream_tbENKUlT_T0_SK_SP_E_clIPiSE_SF_SF_EEDaS13_S14_SK_SP_EUlS13_E_NS1_11comp_targetILNS1_3genE6ELNS1_11target_archE950ELNS1_3gpuE13ELNS1_3repE0EEENS1_47radix_sort_onesweep_sort_config_static_selectorELNS0_4arch9wavefront6targetE1EEEvSK_
		.amdhsa_group_segment_fixed_size 20552
		.amdhsa_private_segment_fixed_size 0
		.amdhsa_kernarg_size 344
		.amdhsa_user_sgpr_count 2
		.amdhsa_user_sgpr_dispatch_ptr 0
		.amdhsa_user_sgpr_queue_ptr 0
		.amdhsa_user_sgpr_kernarg_segment_ptr 1
		.amdhsa_user_sgpr_dispatch_id 0
		.amdhsa_user_sgpr_kernarg_preload_length 0
		.amdhsa_user_sgpr_kernarg_preload_offset 0
		.amdhsa_user_sgpr_private_segment_size 0
		.amdhsa_uses_dynamic_stack 0
		.amdhsa_enable_private_segment 0
		.amdhsa_system_sgpr_workgroup_id_x 1
		.amdhsa_system_sgpr_workgroup_id_y 0
		.amdhsa_system_sgpr_workgroup_id_z 0
		.amdhsa_system_sgpr_workgroup_info 0
		.amdhsa_system_vgpr_workitem_id 2
		.amdhsa_next_free_vgpr 46
		.amdhsa_next_free_sgpr 35
		.amdhsa_accum_offset 48
		.amdhsa_reserve_vcc 1
		.amdhsa_float_round_mode_32 0
		.amdhsa_float_round_mode_16_64 0
		.amdhsa_float_denorm_mode_32 3
		.amdhsa_float_denorm_mode_16_64 3
		.amdhsa_dx10_clamp 1
		.amdhsa_ieee_mode 1
		.amdhsa_fp16_overflow 0
		.amdhsa_tg_split 0
		.amdhsa_exception_fp_ieee_invalid_op 0
		.amdhsa_exception_fp_denorm_src 0
		.amdhsa_exception_fp_ieee_div_zero 0
		.amdhsa_exception_fp_ieee_overflow 0
		.amdhsa_exception_fp_ieee_underflow 0
		.amdhsa_exception_fp_ieee_inexact 0
		.amdhsa_exception_int_div_zero 0
	.end_amdhsa_kernel
	.section	.text._ZN7rocprim17ROCPRIM_400000_NS6detail17trampoline_kernelINS0_14default_configENS1_35radix_sort_onesweep_config_selectorIiNS0_10empty_typeEEEZZNS1_29radix_sort_onesweep_iterationIS3_Lb0EN6thrust23THRUST_200600_302600_NS6detail15normal_iteratorINS9_10device_ptrIiEEEESE_PS5_SF_jNS0_19identity_decomposerENS1_16block_id_wrapperIjLb1EEEEE10hipError_tT1_PNSt15iterator_traitsISK_E10value_typeET2_T3_PNSL_ISQ_E10value_typeET4_T5_PSV_SW_PNS1_23onesweep_lookback_stateEbbT6_jjT7_P12ihipStream_tbENKUlT_T0_SK_SP_E_clIPiSE_SF_SF_EEDaS13_S14_SK_SP_EUlS13_E_NS1_11comp_targetILNS1_3genE6ELNS1_11target_archE950ELNS1_3gpuE13ELNS1_3repE0EEENS1_47radix_sort_onesweep_sort_config_static_selectorELNS0_4arch9wavefront6targetE1EEEvSK_,"axG",@progbits,_ZN7rocprim17ROCPRIM_400000_NS6detail17trampoline_kernelINS0_14default_configENS1_35radix_sort_onesweep_config_selectorIiNS0_10empty_typeEEEZZNS1_29radix_sort_onesweep_iterationIS3_Lb0EN6thrust23THRUST_200600_302600_NS6detail15normal_iteratorINS9_10device_ptrIiEEEESE_PS5_SF_jNS0_19identity_decomposerENS1_16block_id_wrapperIjLb1EEEEE10hipError_tT1_PNSt15iterator_traitsISK_E10value_typeET2_T3_PNSL_ISQ_E10value_typeET4_T5_PSV_SW_PNS1_23onesweep_lookback_stateEbbT6_jjT7_P12ihipStream_tbENKUlT_T0_SK_SP_E_clIPiSE_SF_SF_EEDaS13_S14_SK_SP_EUlS13_E_NS1_11comp_targetILNS1_3genE6ELNS1_11target_archE950ELNS1_3gpuE13ELNS1_3repE0EEENS1_47radix_sort_onesweep_sort_config_static_selectorELNS0_4arch9wavefront6targetE1EEEvSK_,comdat
.Lfunc_end178:
	.size	_ZN7rocprim17ROCPRIM_400000_NS6detail17trampoline_kernelINS0_14default_configENS1_35radix_sort_onesweep_config_selectorIiNS0_10empty_typeEEEZZNS1_29radix_sort_onesweep_iterationIS3_Lb0EN6thrust23THRUST_200600_302600_NS6detail15normal_iteratorINS9_10device_ptrIiEEEESE_PS5_SF_jNS0_19identity_decomposerENS1_16block_id_wrapperIjLb1EEEEE10hipError_tT1_PNSt15iterator_traitsISK_E10value_typeET2_T3_PNSL_ISQ_E10value_typeET4_T5_PSV_SW_PNS1_23onesweep_lookback_stateEbbT6_jjT7_P12ihipStream_tbENKUlT_T0_SK_SP_E_clIPiSE_SF_SF_EEDaS13_S14_SK_SP_EUlS13_E_NS1_11comp_targetILNS1_3genE6ELNS1_11target_archE950ELNS1_3gpuE13ELNS1_3repE0EEENS1_47radix_sort_onesweep_sort_config_static_selectorELNS0_4arch9wavefront6targetE1EEEvSK_, .Lfunc_end178-_ZN7rocprim17ROCPRIM_400000_NS6detail17trampoline_kernelINS0_14default_configENS1_35radix_sort_onesweep_config_selectorIiNS0_10empty_typeEEEZZNS1_29radix_sort_onesweep_iterationIS3_Lb0EN6thrust23THRUST_200600_302600_NS6detail15normal_iteratorINS9_10device_ptrIiEEEESE_PS5_SF_jNS0_19identity_decomposerENS1_16block_id_wrapperIjLb1EEEEE10hipError_tT1_PNSt15iterator_traitsISK_E10value_typeET2_T3_PNSL_ISQ_E10value_typeET4_T5_PSV_SW_PNS1_23onesweep_lookback_stateEbbT6_jjT7_P12ihipStream_tbENKUlT_T0_SK_SP_E_clIPiSE_SF_SF_EEDaS13_S14_SK_SP_EUlS13_E_NS1_11comp_targetILNS1_3genE6ELNS1_11target_archE950ELNS1_3gpuE13ELNS1_3repE0EEENS1_47radix_sort_onesweep_sort_config_static_selectorELNS0_4arch9wavefront6targetE1EEEvSK_
                                        ; -- End function
	.set _ZN7rocprim17ROCPRIM_400000_NS6detail17trampoline_kernelINS0_14default_configENS1_35radix_sort_onesweep_config_selectorIiNS0_10empty_typeEEEZZNS1_29radix_sort_onesweep_iterationIS3_Lb0EN6thrust23THRUST_200600_302600_NS6detail15normal_iteratorINS9_10device_ptrIiEEEESE_PS5_SF_jNS0_19identity_decomposerENS1_16block_id_wrapperIjLb1EEEEE10hipError_tT1_PNSt15iterator_traitsISK_E10value_typeET2_T3_PNSL_ISQ_E10value_typeET4_T5_PSV_SW_PNS1_23onesweep_lookback_stateEbbT6_jjT7_P12ihipStream_tbENKUlT_T0_SK_SP_E_clIPiSE_SF_SF_EEDaS13_S14_SK_SP_EUlS13_E_NS1_11comp_targetILNS1_3genE6ELNS1_11target_archE950ELNS1_3gpuE13ELNS1_3repE0EEENS1_47radix_sort_onesweep_sort_config_static_selectorELNS0_4arch9wavefront6targetE1EEEvSK_.num_vgpr, 46
	.set _ZN7rocprim17ROCPRIM_400000_NS6detail17trampoline_kernelINS0_14default_configENS1_35radix_sort_onesweep_config_selectorIiNS0_10empty_typeEEEZZNS1_29radix_sort_onesweep_iterationIS3_Lb0EN6thrust23THRUST_200600_302600_NS6detail15normal_iteratorINS9_10device_ptrIiEEEESE_PS5_SF_jNS0_19identity_decomposerENS1_16block_id_wrapperIjLb1EEEEE10hipError_tT1_PNSt15iterator_traitsISK_E10value_typeET2_T3_PNSL_ISQ_E10value_typeET4_T5_PSV_SW_PNS1_23onesweep_lookback_stateEbbT6_jjT7_P12ihipStream_tbENKUlT_T0_SK_SP_E_clIPiSE_SF_SF_EEDaS13_S14_SK_SP_EUlS13_E_NS1_11comp_targetILNS1_3genE6ELNS1_11target_archE950ELNS1_3gpuE13ELNS1_3repE0EEENS1_47radix_sort_onesweep_sort_config_static_selectorELNS0_4arch9wavefront6targetE1EEEvSK_.num_agpr, 0
	.set _ZN7rocprim17ROCPRIM_400000_NS6detail17trampoline_kernelINS0_14default_configENS1_35radix_sort_onesweep_config_selectorIiNS0_10empty_typeEEEZZNS1_29radix_sort_onesweep_iterationIS3_Lb0EN6thrust23THRUST_200600_302600_NS6detail15normal_iteratorINS9_10device_ptrIiEEEESE_PS5_SF_jNS0_19identity_decomposerENS1_16block_id_wrapperIjLb1EEEEE10hipError_tT1_PNSt15iterator_traitsISK_E10value_typeET2_T3_PNSL_ISQ_E10value_typeET4_T5_PSV_SW_PNS1_23onesweep_lookback_stateEbbT6_jjT7_P12ihipStream_tbENKUlT_T0_SK_SP_E_clIPiSE_SF_SF_EEDaS13_S14_SK_SP_EUlS13_E_NS1_11comp_targetILNS1_3genE6ELNS1_11target_archE950ELNS1_3gpuE13ELNS1_3repE0EEENS1_47radix_sort_onesweep_sort_config_static_selectorELNS0_4arch9wavefront6targetE1EEEvSK_.numbered_sgpr, 35
	.set _ZN7rocprim17ROCPRIM_400000_NS6detail17trampoline_kernelINS0_14default_configENS1_35radix_sort_onesweep_config_selectorIiNS0_10empty_typeEEEZZNS1_29radix_sort_onesweep_iterationIS3_Lb0EN6thrust23THRUST_200600_302600_NS6detail15normal_iteratorINS9_10device_ptrIiEEEESE_PS5_SF_jNS0_19identity_decomposerENS1_16block_id_wrapperIjLb1EEEEE10hipError_tT1_PNSt15iterator_traitsISK_E10value_typeET2_T3_PNSL_ISQ_E10value_typeET4_T5_PSV_SW_PNS1_23onesweep_lookback_stateEbbT6_jjT7_P12ihipStream_tbENKUlT_T0_SK_SP_E_clIPiSE_SF_SF_EEDaS13_S14_SK_SP_EUlS13_E_NS1_11comp_targetILNS1_3genE6ELNS1_11target_archE950ELNS1_3gpuE13ELNS1_3repE0EEENS1_47radix_sort_onesweep_sort_config_static_selectorELNS0_4arch9wavefront6targetE1EEEvSK_.num_named_barrier, 0
	.set _ZN7rocprim17ROCPRIM_400000_NS6detail17trampoline_kernelINS0_14default_configENS1_35radix_sort_onesweep_config_selectorIiNS0_10empty_typeEEEZZNS1_29radix_sort_onesweep_iterationIS3_Lb0EN6thrust23THRUST_200600_302600_NS6detail15normal_iteratorINS9_10device_ptrIiEEEESE_PS5_SF_jNS0_19identity_decomposerENS1_16block_id_wrapperIjLb1EEEEE10hipError_tT1_PNSt15iterator_traitsISK_E10value_typeET2_T3_PNSL_ISQ_E10value_typeET4_T5_PSV_SW_PNS1_23onesweep_lookback_stateEbbT6_jjT7_P12ihipStream_tbENKUlT_T0_SK_SP_E_clIPiSE_SF_SF_EEDaS13_S14_SK_SP_EUlS13_E_NS1_11comp_targetILNS1_3genE6ELNS1_11target_archE950ELNS1_3gpuE13ELNS1_3repE0EEENS1_47radix_sort_onesweep_sort_config_static_selectorELNS0_4arch9wavefront6targetE1EEEvSK_.private_seg_size, 0
	.set _ZN7rocprim17ROCPRIM_400000_NS6detail17trampoline_kernelINS0_14default_configENS1_35radix_sort_onesweep_config_selectorIiNS0_10empty_typeEEEZZNS1_29radix_sort_onesweep_iterationIS3_Lb0EN6thrust23THRUST_200600_302600_NS6detail15normal_iteratorINS9_10device_ptrIiEEEESE_PS5_SF_jNS0_19identity_decomposerENS1_16block_id_wrapperIjLb1EEEEE10hipError_tT1_PNSt15iterator_traitsISK_E10value_typeET2_T3_PNSL_ISQ_E10value_typeET4_T5_PSV_SW_PNS1_23onesweep_lookback_stateEbbT6_jjT7_P12ihipStream_tbENKUlT_T0_SK_SP_E_clIPiSE_SF_SF_EEDaS13_S14_SK_SP_EUlS13_E_NS1_11comp_targetILNS1_3genE6ELNS1_11target_archE950ELNS1_3gpuE13ELNS1_3repE0EEENS1_47radix_sort_onesweep_sort_config_static_selectorELNS0_4arch9wavefront6targetE1EEEvSK_.uses_vcc, 1
	.set _ZN7rocprim17ROCPRIM_400000_NS6detail17trampoline_kernelINS0_14default_configENS1_35radix_sort_onesweep_config_selectorIiNS0_10empty_typeEEEZZNS1_29radix_sort_onesweep_iterationIS3_Lb0EN6thrust23THRUST_200600_302600_NS6detail15normal_iteratorINS9_10device_ptrIiEEEESE_PS5_SF_jNS0_19identity_decomposerENS1_16block_id_wrapperIjLb1EEEEE10hipError_tT1_PNSt15iterator_traitsISK_E10value_typeET2_T3_PNSL_ISQ_E10value_typeET4_T5_PSV_SW_PNS1_23onesweep_lookback_stateEbbT6_jjT7_P12ihipStream_tbENKUlT_T0_SK_SP_E_clIPiSE_SF_SF_EEDaS13_S14_SK_SP_EUlS13_E_NS1_11comp_targetILNS1_3genE6ELNS1_11target_archE950ELNS1_3gpuE13ELNS1_3repE0EEENS1_47radix_sort_onesweep_sort_config_static_selectorELNS0_4arch9wavefront6targetE1EEEvSK_.uses_flat_scratch, 0
	.set _ZN7rocprim17ROCPRIM_400000_NS6detail17trampoline_kernelINS0_14default_configENS1_35radix_sort_onesweep_config_selectorIiNS0_10empty_typeEEEZZNS1_29radix_sort_onesweep_iterationIS3_Lb0EN6thrust23THRUST_200600_302600_NS6detail15normal_iteratorINS9_10device_ptrIiEEEESE_PS5_SF_jNS0_19identity_decomposerENS1_16block_id_wrapperIjLb1EEEEE10hipError_tT1_PNSt15iterator_traitsISK_E10value_typeET2_T3_PNSL_ISQ_E10value_typeET4_T5_PSV_SW_PNS1_23onesweep_lookback_stateEbbT6_jjT7_P12ihipStream_tbENKUlT_T0_SK_SP_E_clIPiSE_SF_SF_EEDaS13_S14_SK_SP_EUlS13_E_NS1_11comp_targetILNS1_3genE6ELNS1_11target_archE950ELNS1_3gpuE13ELNS1_3repE0EEENS1_47radix_sort_onesweep_sort_config_static_selectorELNS0_4arch9wavefront6targetE1EEEvSK_.has_dyn_sized_stack, 0
	.set _ZN7rocprim17ROCPRIM_400000_NS6detail17trampoline_kernelINS0_14default_configENS1_35radix_sort_onesweep_config_selectorIiNS0_10empty_typeEEEZZNS1_29radix_sort_onesweep_iterationIS3_Lb0EN6thrust23THRUST_200600_302600_NS6detail15normal_iteratorINS9_10device_ptrIiEEEESE_PS5_SF_jNS0_19identity_decomposerENS1_16block_id_wrapperIjLb1EEEEE10hipError_tT1_PNSt15iterator_traitsISK_E10value_typeET2_T3_PNSL_ISQ_E10value_typeET4_T5_PSV_SW_PNS1_23onesweep_lookback_stateEbbT6_jjT7_P12ihipStream_tbENKUlT_T0_SK_SP_E_clIPiSE_SF_SF_EEDaS13_S14_SK_SP_EUlS13_E_NS1_11comp_targetILNS1_3genE6ELNS1_11target_archE950ELNS1_3gpuE13ELNS1_3repE0EEENS1_47radix_sort_onesweep_sort_config_static_selectorELNS0_4arch9wavefront6targetE1EEEvSK_.has_recursion, 0
	.set _ZN7rocprim17ROCPRIM_400000_NS6detail17trampoline_kernelINS0_14default_configENS1_35radix_sort_onesweep_config_selectorIiNS0_10empty_typeEEEZZNS1_29radix_sort_onesweep_iterationIS3_Lb0EN6thrust23THRUST_200600_302600_NS6detail15normal_iteratorINS9_10device_ptrIiEEEESE_PS5_SF_jNS0_19identity_decomposerENS1_16block_id_wrapperIjLb1EEEEE10hipError_tT1_PNSt15iterator_traitsISK_E10value_typeET2_T3_PNSL_ISQ_E10value_typeET4_T5_PSV_SW_PNS1_23onesweep_lookback_stateEbbT6_jjT7_P12ihipStream_tbENKUlT_T0_SK_SP_E_clIPiSE_SF_SF_EEDaS13_S14_SK_SP_EUlS13_E_NS1_11comp_targetILNS1_3genE6ELNS1_11target_archE950ELNS1_3gpuE13ELNS1_3repE0EEENS1_47radix_sort_onesweep_sort_config_static_selectorELNS0_4arch9wavefront6targetE1EEEvSK_.has_indirect_call, 0
	.section	.AMDGPU.csdata,"",@progbits
; Kernel info:
; codeLenInByte = 11324
; TotalNumSgprs: 41
; NumVgprs: 46
; NumAgprs: 0
; TotalNumVgprs: 46
; ScratchSize: 0
; MemoryBound: 0
; FloatMode: 240
; IeeeMode: 1
; LDSByteSize: 20552 bytes/workgroup (compile time only)
; SGPRBlocks: 5
; VGPRBlocks: 5
; NumSGPRsForWavesPerEU: 41
; NumVGPRsForWavesPerEU: 46
; AccumOffset: 48
; Occupancy: 8
; WaveLimiterHint : 1
; COMPUTE_PGM_RSRC2:SCRATCH_EN: 0
; COMPUTE_PGM_RSRC2:USER_SGPR: 2
; COMPUTE_PGM_RSRC2:TRAP_HANDLER: 0
; COMPUTE_PGM_RSRC2:TGID_X_EN: 1
; COMPUTE_PGM_RSRC2:TGID_Y_EN: 0
; COMPUTE_PGM_RSRC2:TGID_Z_EN: 0
; COMPUTE_PGM_RSRC2:TIDIG_COMP_CNT: 2
; COMPUTE_PGM_RSRC3_GFX90A:ACCUM_OFFSET: 11
; COMPUTE_PGM_RSRC3_GFX90A:TG_SPLIT: 0
	.section	.text._ZN7rocprim17ROCPRIM_400000_NS6detail17trampoline_kernelINS0_14default_configENS1_35radix_sort_onesweep_config_selectorIiNS0_10empty_typeEEEZZNS1_29radix_sort_onesweep_iterationIS3_Lb0EN6thrust23THRUST_200600_302600_NS6detail15normal_iteratorINS9_10device_ptrIiEEEESE_PS5_SF_jNS0_19identity_decomposerENS1_16block_id_wrapperIjLb1EEEEE10hipError_tT1_PNSt15iterator_traitsISK_E10value_typeET2_T3_PNSL_ISQ_E10value_typeET4_T5_PSV_SW_PNS1_23onesweep_lookback_stateEbbT6_jjT7_P12ihipStream_tbENKUlT_T0_SK_SP_E_clIPiSE_SF_SF_EEDaS13_S14_SK_SP_EUlS13_E_NS1_11comp_targetILNS1_3genE5ELNS1_11target_archE942ELNS1_3gpuE9ELNS1_3repE0EEENS1_47radix_sort_onesweep_sort_config_static_selectorELNS0_4arch9wavefront6targetE1EEEvSK_,"axG",@progbits,_ZN7rocprim17ROCPRIM_400000_NS6detail17trampoline_kernelINS0_14default_configENS1_35radix_sort_onesweep_config_selectorIiNS0_10empty_typeEEEZZNS1_29radix_sort_onesweep_iterationIS3_Lb0EN6thrust23THRUST_200600_302600_NS6detail15normal_iteratorINS9_10device_ptrIiEEEESE_PS5_SF_jNS0_19identity_decomposerENS1_16block_id_wrapperIjLb1EEEEE10hipError_tT1_PNSt15iterator_traitsISK_E10value_typeET2_T3_PNSL_ISQ_E10value_typeET4_T5_PSV_SW_PNS1_23onesweep_lookback_stateEbbT6_jjT7_P12ihipStream_tbENKUlT_T0_SK_SP_E_clIPiSE_SF_SF_EEDaS13_S14_SK_SP_EUlS13_E_NS1_11comp_targetILNS1_3genE5ELNS1_11target_archE942ELNS1_3gpuE9ELNS1_3repE0EEENS1_47radix_sort_onesweep_sort_config_static_selectorELNS0_4arch9wavefront6targetE1EEEvSK_,comdat
	.protected	_ZN7rocprim17ROCPRIM_400000_NS6detail17trampoline_kernelINS0_14default_configENS1_35radix_sort_onesweep_config_selectorIiNS0_10empty_typeEEEZZNS1_29radix_sort_onesweep_iterationIS3_Lb0EN6thrust23THRUST_200600_302600_NS6detail15normal_iteratorINS9_10device_ptrIiEEEESE_PS5_SF_jNS0_19identity_decomposerENS1_16block_id_wrapperIjLb1EEEEE10hipError_tT1_PNSt15iterator_traitsISK_E10value_typeET2_T3_PNSL_ISQ_E10value_typeET4_T5_PSV_SW_PNS1_23onesweep_lookback_stateEbbT6_jjT7_P12ihipStream_tbENKUlT_T0_SK_SP_E_clIPiSE_SF_SF_EEDaS13_S14_SK_SP_EUlS13_E_NS1_11comp_targetILNS1_3genE5ELNS1_11target_archE942ELNS1_3gpuE9ELNS1_3repE0EEENS1_47radix_sort_onesweep_sort_config_static_selectorELNS0_4arch9wavefront6targetE1EEEvSK_ ; -- Begin function _ZN7rocprim17ROCPRIM_400000_NS6detail17trampoline_kernelINS0_14default_configENS1_35radix_sort_onesweep_config_selectorIiNS0_10empty_typeEEEZZNS1_29radix_sort_onesweep_iterationIS3_Lb0EN6thrust23THRUST_200600_302600_NS6detail15normal_iteratorINS9_10device_ptrIiEEEESE_PS5_SF_jNS0_19identity_decomposerENS1_16block_id_wrapperIjLb1EEEEE10hipError_tT1_PNSt15iterator_traitsISK_E10value_typeET2_T3_PNSL_ISQ_E10value_typeET4_T5_PSV_SW_PNS1_23onesweep_lookback_stateEbbT6_jjT7_P12ihipStream_tbENKUlT_T0_SK_SP_E_clIPiSE_SF_SF_EEDaS13_S14_SK_SP_EUlS13_E_NS1_11comp_targetILNS1_3genE5ELNS1_11target_archE942ELNS1_3gpuE9ELNS1_3repE0EEENS1_47radix_sort_onesweep_sort_config_static_selectorELNS0_4arch9wavefront6targetE1EEEvSK_
	.globl	_ZN7rocprim17ROCPRIM_400000_NS6detail17trampoline_kernelINS0_14default_configENS1_35radix_sort_onesweep_config_selectorIiNS0_10empty_typeEEEZZNS1_29radix_sort_onesweep_iterationIS3_Lb0EN6thrust23THRUST_200600_302600_NS6detail15normal_iteratorINS9_10device_ptrIiEEEESE_PS5_SF_jNS0_19identity_decomposerENS1_16block_id_wrapperIjLb1EEEEE10hipError_tT1_PNSt15iterator_traitsISK_E10value_typeET2_T3_PNSL_ISQ_E10value_typeET4_T5_PSV_SW_PNS1_23onesweep_lookback_stateEbbT6_jjT7_P12ihipStream_tbENKUlT_T0_SK_SP_E_clIPiSE_SF_SF_EEDaS13_S14_SK_SP_EUlS13_E_NS1_11comp_targetILNS1_3genE5ELNS1_11target_archE942ELNS1_3gpuE9ELNS1_3repE0EEENS1_47radix_sort_onesweep_sort_config_static_selectorELNS0_4arch9wavefront6targetE1EEEvSK_
	.p2align	8
	.type	_ZN7rocprim17ROCPRIM_400000_NS6detail17trampoline_kernelINS0_14default_configENS1_35radix_sort_onesweep_config_selectorIiNS0_10empty_typeEEEZZNS1_29radix_sort_onesweep_iterationIS3_Lb0EN6thrust23THRUST_200600_302600_NS6detail15normal_iteratorINS9_10device_ptrIiEEEESE_PS5_SF_jNS0_19identity_decomposerENS1_16block_id_wrapperIjLb1EEEEE10hipError_tT1_PNSt15iterator_traitsISK_E10value_typeET2_T3_PNSL_ISQ_E10value_typeET4_T5_PSV_SW_PNS1_23onesweep_lookback_stateEbbT6_jjT7_P12ihipStream_tbENKUlT_T0_SK_SP_E_clIPiSE_SF_SF_EEDaS13_S14_SK_SP_EUlS13_E_NS1_11comp_targetILNS1_3genE5ELNS1_11target_archE942ELNS1_3gpuE9ELNS1_3repE0EEENS1_47radix_sort_onesweep_sort_config_static_selectorELNS0_4arch9wavefront6targetE1EEEvSK_,@function
_ZN7rocprim17ROCPRIM_400000_NS6detail17trampoline_kernelINS0_14default_configENS1_35radix_sort_onesweep_config_selectorIiNS0_10empty_typeEEEZZNS1_29radix_sort_onesweep_iterationIS3_Lb0EN6thrust23THRUST_200600_302600_NS6detail15normal_iteratorINS9_10device_ptrIiEEEESE_PS5_SF_jNS0_19identity_decomposerENS1_16block_id_wrapperIjLb1EEEEE10hipError_tT1_PNSt15iterator_traitsISK_E10value_typeET2_T3_PNSL_ISQ_E10value_typeET4_T5_PSV_SW_PNS1_23onesweep_lookback_stateEbbT6_jjT7_P12ihipStream_tbENKUlT_T0_SK_SP_E_clIPiSE_SF_SF_EEDaS13_S14_SK_SP_EUlS13_E_NS1_11comp_targetILNS1_3genE5ELNS1_11target_archE942ELNS1_3gpuE9ELNS1_3repE0EEENS1_47radix_sort_onesweep_sort_config_static_selectorELNS0_4arch9wavefront6targetE1EEEvSK_: ; @_ZN7rocprim17ROCPRIM_400000_NS6detail17trampoline_kernelINS0_14default_configENS1_35radix_sort_onesweep_config_selectorIiNS0_10empty_typeEEEZZNS1_29radix_sort_onesweep_iterationIS3_Lb0EN6thrust23THRUST_200600_302600_NS6detail15normal_iteratorINS9_10device_ptrIiEEEESE_PS5_SF_jNS0_19identity_decomposerENS1_16block_id_wrapperIjLb1EEEEE10hipError_tT1_PNSt15iterator_traitsISK_E10value_typeET2_T3_PNSL_ISQ_E10value_typeET4_T5_PSV_SW_PNS1_23onesweep_lookback_stateEbbT6_jjT7_P12ihipStream_tbENKUlT_T0_SK_SP_E_clIPiSE_SF_SF_EEDaS13_S14_SK_SP_EUlS13_E_NS1_11comp_targetILNS1_3genE5ELNS1_11target_archE942ELNS1_3gpuE9ELNS1_3repE0EEENS1_47radix_sort_onesweep_sort_config_static_selectorELNS0_4arch9wavefront6targetE1EEEvSK_
; %bb.0:
	.section	.rodata,"a",@progbits
	.p2align	6, 0x0
	.amdhsa_kernel _ZN7rocprim17ROCPRIM_400000_NS6detail17trampoline_kernelINS0_14default_configENS1_35radix_sort_onesweep_config_selectorIiNS0_10empty_typeEEEZZNS1_29radix_sort_onesweep_iterationIS3_Lb0EN6thrust23THRUST_200600_302600_NS6detail15normal_iteratorINS9_10device_ptrIiEEEESE_PS5_SF_jNS0_19identity_decomposerENS1_16block_id_wrapperIjLb1EEEEE10hipError_tT1_PNSt15iterator_traitsISK_E10value_typeET2_T3_PNSL_ISQ_E10value_typeET4_T5_PSV_SW_PNS1_23onesweep_lookback_stateEbbT6_jjT7_P12ihipStream_tbENKUlT_T0_SK_SP_E_clIPiSE_SF_SF_EEDaS13_S14_SK_SP_EUlS13_E_NS1_11comp_targetILNS1_3genE5ELNS1_11target_archE942ELNS1_3gpuE9ELNS1_3repE0EEENS1_47radix_sort_onesweep_sort_config_static_selectorELNS0_4arch9wavefront6targetE1EEEvSK_
		.amdhsa_group_segment_fixed_size 0
		.amdhsa_private_segment_fixed_size 0
		.amdhsa_kernarg_size 88
		.amdhsa_user_sgpr_count 2
		.amdhsa_user_sgpr_dispatch_ptr 0
		.amdhsa_user_sgpr_queue_ptr 0
		.amdhsa_user_sgpr_kernarg_segment_ptr 1
		.amdhsa_user_sgpr_dispatch_id 0
		.amdhsa_user_sgpr_kernarg_preload_length 0
		.amdhsa_user_sgpr_kernarg_preload_offset 0
		.amdhsa_user_sgpr_private_segment_size 0
		.amdhsa_uses_dynamic_stack 0
		.amdhsa_enable_private_segment 0
		.amdhsa_system_sgpr_workgroup_id_x 1
		.amdhsa_system_sgpr_workgroup_id_y 0
		.amdhsa_system_sgpr_workgroup_id_z 0
		.amdhsa_system_sgpr_workgroup_info 0
		.amdhsa_system_vgpr_workitem_id 0
		.amdhsa_next_free_vgpr 1
		.amdhsa_next_free_sgpr 0
		.amdhsa_accum_offset 4
		.amdhsa_reserve_vcc 0
		.amdhsa_float_round_mode_32 0
		.amdhsa_float_round_mode_16_64 0
		.amdhsa_float_denorm_mode_32 3
		.amdhsa_float_denorm_mode_16_64 3
		.amdhsa_dx10_clamp 1
		.amdhsa_ieee_mode 1
		.amdhsa_fp16_overflow 0
		.amdhsa_tg_split 0
		.amdhsa_exception_fp_ieee_invalid_op 0
		.amdhsa_exception_fp_denorm_src 0
		.amdhsa_exception_fp_ieee_div_zero 0
		.amdhsa_exception_fp_ieee_overflow 0
		.amdhsa_exception_fp_ieee_underflow 0
		.amdhsa_exception_fp_ieee_inexact 0
		.amdhsa_exception_int_div_zero 0
	.end_amdhsa_kernel
	.section	.text._ZN7rocprim17ROCPRIM_400000_NS6detail17trampoline_kernelINS0_14default_configENS1_35radix_sort_onesweep_config_selectorIiNS0_10empty_typeEEEZZNS1_29radix_sort_onesweep_iterationIS3_Lb0EN6thrust23THRUST_200600_302600_NS6detail15normal_iteratorINS9_10device_ptrIiEEEESE_PS5_SF_jNS0_19identity_decomposerENS1_16block_id_wrapperIjLb1EEEEE10hipError_tT1_PNSt15iterator_traitsISK_E10value_typeET2_T3_PNSL_ISQ_E10value_typeET4_T5_PSV_SW_PNS1_23onesweep_lookback_stateEbbT6_jjT7_P12ihipStream_tbENKUlT_T0_SK_SP_E_clIPiSE_SF_SF_EEDaS13_S14_SK_SP_EUlS13_E_NS1_11comp_targetILNS1_3genE5ELNS1_11target_archE942ELNS1_3gpuE9ELNS1_3repE0EEENS1_47radix_sort_onesweep_sort_config_static_selectorELNS0_4arch9wavefront6targetE1EEEvSK_,"axG",@progbits,_ZN7rocprim17ROCPRIM_400000_NS6detail17trampoline_kernelINS0_14default_configENS1_35radix_sort_onesweep_config_selectorIiNS0_10empty_typeEEEZZNS1_29radix_sort_onesweep_iterationIS3_Lb0EN6thrust23THRUST_200600_302600_NS6detail15normal_iteratorINS9_10device_ptrIiEEEESE_PS5_SF_jNS0_19identity_decomposerENS1_16block_id_wrapperIjLb1EEEEE10hipError_tT1_PNSt15iterator_traitsISK_E10value_typeET2_T3_PNSL_ISQ_E10value_typeET4_T5_PSV_SW_PNS1_23onesweep_lookback_stateEbbT6_jjT7_P12ihipStream_tbENKUlT_T0_SK_SP_E_clIPiSE_SF_SF_EEDaS13_S14_SK_SP_EUlS13_E_NS1_11comp_targetILNS1_3genE5ELNS1_11target_archE942ELNS1_3gpuE9ELNS1_3repE0EEENS1_47radix_sort_onesweep_sort_config_static_selectorELNS0_4arch9wavefront6targetE1EEEvSK_,comdat
.Lfunc_end179:
	.size	_ZN7rocprim17ROCPRIM_400000_NS6detail17trampoline_kernelINS0_14default_configENS1_35radix_sort_onesweep_config_selectorIiNS0_10empty_typeEEEZZNS1_29radix_sort_onesweep_iterationIS3_Lb0EN6thrust23THRUST_200600_302600_NS6detail15normal_iteratorINS9_10device_ptrIiEEEESE_PS5_SF_jNS0_19identity_decomposerENS1_16block_id_wrapperIjLb1EEEEE10hipError_tT1_PNSt15iterator_traitsISK_E10value_typeET2_T3_PNSL_ISQ_E10value_typeET4_T5_PSV_SW_PNS1_23onesweep_lookback_stateEbbT6_jjT7_P12ihipStream_tbENKUlT_T0_SK_SP_E_clIPiSE_SF_SF_EEDaS13_S14_SK_SP_EUlS13_E_NS1_11comp_targetILNS1_3genE5ELNS1_11target_archE942ELNS1_3gpuE9ELNS1_3repE0EEENS1_47radix_sort_onesweep_sort_config_static_selectorELNS0_4arch9wavefront6targetE1EEEvSK_, .Lfunc_end179-_ZN7rocprim17ROCPRIM_400000_NS6detail17trampoline_kernelINS0_14default_configENS1_35radix_sort_onesweep_config_selectorIiNS0_10empty_typeEEEZZNS1_29radix_sort_onesweep_iterationIS3_Lb0EN6thrust23THRUST_200600_302600_NS6detail15normal_iteratorINS9_10device_ptrIiEEEESE_PS5_SF_jNS0_19identity_decomposerENS1_16block_id_wrapperIjLb1EEEEE10hipError_tT1_PNSt15iterator_traitsISK_E10value_typeET2_T3_PNSL_ISQ_E10value_typeET4_T5_PSV_SW_PNS1_23onesweep_lookback_stateEbbT6_jjT7_P12ihipStream_tbENKUlT_T0_SK_SP_E_clIPiSE_SF_SF_EEDaS13_S14_SK_SP_EUlS13_E_NS1_11comp_targetILNS1_3genE5ELNS1_11target_archE942ELNS1_3gpuE9ELNS1_3repE0EEENS1_47radix_sort_onesweep_sort_config_static_selectorELNS0_4arch9wavefront6targetE1EEEvSK_
                                        ; -- End function
	.set _ZN7rocprim17ROCPRIM_400000_NS6detail17trampoline_kernelINS0_14default_configENS1_35radix_sort_onesweep_config_selectorIiNS0_10empty_typeEEEZZNS1_29radix_sort_onesweep_iterationIS3_Lb0EN6thrust23THRUST_200600_302600_NS6detail15normal_iteratorINS9_10device_ptrIiEEEESE_PS5_SF_jNS0_19identity_decomposerENS1_16block_id_wrapperIjLb1EEEEE10hipError_tT1_PNSt15iterator_traitsISK_E10value_typeET2_T3_PNSL_ISQ_E10value_typeET4_T5_PSV_SW_PNS1_23onesweep_lookback_stateEbbT6_jjT7_P12ihipStream_tbENKUlT_T0_SK_SP_E_clIPiSE_SF_SF_EEDaS13_S14_SK_SP_EUlS13_E_NS1_11comp_targetILNS1_3genE5ELNS1_11target_archE942ELNS1_3gpuE9ELNS1_3repE0EEENS1_47radix_sort_onesweep_sort_config_static_selectorELNS0_4arch9wavefront6targetE1EEEvSK_.num_vgpr, 0
	.set _ZN7rocprim17ROCPRIM_400000_NS6detail17trampoline_kernelINS0_14default_configENS1_35radix_sort_onesweep_config_selectorIiNS0_10empty_typeEEEZZNS1_29radix_sort_onesweep_iterationIS3_Lb0EN6thrust23THRUST_200600_302600_NS6detail15normal_iteratorINS9_10device_ptrIiEEEESE_PS5_SF_jNS0_19identity_decomposerENS1_16block_id_wrapperIjLb1EEEEE10hipError_tT1_PNSt15iterator_traitsISK_E10value_typeET2_T3_PNSL_ISQ_E10value_typeET4_T5_PSV_SW_PNS1_23onesweep_lookback_stateEbbT6_jjT7_P12ihipStream_tbENKUlT_T0_SK_SP_E_clIPiSE_SF_SF_EEDaS13_S14_SK_SP_EUlS13_E_NS1_11comp_targetILNS1_3genE5ELNS1_11target_archE942ELNS1_3gpuE9ELNS1_3repE0EEENS1_47radix_sort_onesweep_sort_config_static_selectorELNS0_4arch9wavefront6targetE1EEEvSK_.num_agpr, 0
	.set _ZN7rocprim17ROCPRIM_400000_NS6detail17trampoline_kernelINS0_14default_configENS1_35radix_sort_onesweep_config_selectorIiNS0_10empty_typeEEEZZNS1_29radix_sort_onesweep_iterationIS3_Lb0EN6thrust23THRUST_200600_302600_NS6detail15normal_iteratorINS9_10device_ptrIiEEEESE_PS5_SF_jNS0_19identity_decomposerENS1_16block_id_wrapperIjLb1EEEEE10hipError_tT1_PNSt15iterator_traitsISK_E10value_typeET2_T3_PNSL_ISQ_E10value_typeET4_T5_PSV_SW_PNS1_23onesweep_lookback_stateEbbT6_jjT7_P12ihipStream_tbENKUlT_T0_SK_SP_E_clIPiSE_SF_SF_EEDaS13_S14_SK_SP_EUlS13_E_NS1_11comp_targetILNS1_3genE5ELNS1_11target_archE942ELNS1_3gpuE9ELNS1_3repE0EEENS1_47radix_sort_onesweep_sort_config_static_selectorELNS0_4arch9wavefront6targetE1EEEvSK_.numbered_sgpr, 0
	.set _ZN7rocprim17ROCPRIM_400000_NS6detail17trampoline_kernelINS0_14default_configENS1_35radix_sort_onesweep_config_selectorIiNS0_10empty_typeEEEZZNS1_29radix_sort_onesweep_iterationIS3_Lb0EN6thrust23THRUST_200600_302600_NS6detail15normal_iteratorINS9_10device_ptrIiEEEESE_PS5_SF_jNS0_19identity_decomposerENS1_16block_id_wrapperIjLb1EEEEE10hipError_tT1_PNSt15iterator_traitsISK_E10value_typeET2_T3_PNSL_ISQ_E10value_typeET4_T5_PSV_SW_PNS1_23onesweep_lookback_stateEbbT6_jjT7_P12ihipStream_tbENKUlT_T0_SK_SP_E_clIPiSE_SF_SF_EEDaS13_S14_SK_SP_EUlS13_E_NS1_11comp_targetILNS1_3genE5ELNS1_11target_archE942ELNS1_3gpuE9ELNS1_3repE0EEENS1_47radix_sort_onesweep_sort_config_static_selectorELNS0_4arch9wavefront6targetE1EEEvSK_.num_named_barrier, 0
	.set _ZN7rocprim17ROCPRIM_400000_NS6detail17trampoline_kernelINS0_14default_configENS1_35radix_sort_onesweep_config_selectorIiNS0_10empty_typeEEEZZNS1_29radix_sort_onesweep_iterationIS3_Lb0EN6thrust23THRUST_200600_302600_NS6detail15normal_iteratorINS9_10device_ptrIiEEEESE_PS5_SF_jNS0_19identity_decomposerENS1_16block_id_wrapperIjLb1EEEEE10hipError_tT1_PNSt15iterator_traitsISK_E10value_typeET2_T3_PNSL_ISQ_E10value_typeET4_T5_PSV_SW_PNS1_23onesweep_lookback_stateEbbT6_jjT7_P12ihipStream_tbENKUlT_T0_SK_SP_E_clIPiSE_SF_SF_EEDaS13_S14_SK_SP_EUlS13_E_NS1_11comp_targetILNS1_3genE5ELNS1_11target_archE942ELNS1_3gpuE9ELNS1_3repE0EEENS1_47radix_sort_onesweep_sort_config_static_selectorELNS0_4arch9wavefront6targetE1EEEvSK_.private_seg_size, 0
	.set _ZN7rocprim17ROCPRIM_400000_NS6detail17trampoline_kernelINS0_14default_configENS1_35radix_sort_onesweep_config_selectorIiNS0_10empty_typeEEEZZNS1_29radix_sort_onesweep_iterationIS3_Lb0EN6thrust23THRUST_200600_302600_NS6detail15normal_iteratorINS9_10device_ptrIiEEEESE_PS5_SF_jNS0_19identity_decomposerENS1_16block_id_wrapperIjLb1EEEEE10hipError_tT1_PNSt15iterator_traitsISK_E10value_typeET2_T3_PNSL_ISQ_E10value_typeET4_T5_PSV_SW_PNS1_23onesweep_lookback_stateEbbT6_jjT7_P12ihipStream_tbENKUlT_T0_SK_SP_E_clIPiSE_SF_SF_EEDaS13_S14_SK_SP_EUlS13_E_NS1_11comp_targetILNS1_3genE5ELNS1_11target_archE942ELNS1_3gpuE9ELNS1_3repE0EEENS1_47radix_sort_onesweep_sort_config_static_selectorELNS0_4arch9wavefront6targetE1EEEvSK_.uses_vcc, 0
	.set _ZN7rocprim17ROCPRIM_400000_NS6detail17trampoline_kernelINS0_14default_configENS1_35radix_sort_onesweep_config_selectorIiNS0_10empty_typeEEEZZNS1_29radix_sort_onesweep_iterationIS3_Lb0EN6thrust23THRUST_200600_302600_NS6detail15normal_iteratorINS9_10device_ptrIiEEEESE_PS5_SF_jNS0_19identity_decomposerENS1_16block_id_wrapperIjLb1EEEEE10hipError_tT1_PNSt15iterator_traitsISK_E10value_typeET2_T3_PNSL_ISQ_E10value_typeET4_T5_PSV_SW_PNS1_23onesweep_lookback_stateEbbT6_jjT7_P12ihipStream_tbENKUlT_T0_SK_SP_E_clIPiSE_SF_SF_EEDaS13_S14_SK_SP_EUlS13_E_NS1_11comp_targetILNS1_3genE5ELNS1_11target_archE942ELNS1_3gpuE9ELNS1_3repE0EEENS1_47radix_sort_onesweep_sort_config_static_selectorELNS0_4arch9wavefront6targetE1EEEvSK_.uses_flat_scratch, 0
	.set _ZN7rocprim17ROCPRIM_400000_NS6detail17trampoline_kernelINS0_14default_configENS1_35radix_sort_onesweep_config_selectorIiNS0_10empty_typeEEEZZNS1_29radix_sort_onesweep_iterationIS3_Lb0EN6thrust23THRUST_200600_302600_NS6detail15normal_iteratorINS9_10device_ptrIiEEEESE_PS5_SF_jNS0_19identity_decomposerENS1_16block_id_wrapperIjLb1EEEEE10hipError_tT1_PNSt15iterator_traitsISK_E10value_typeET2_T3_PNSL_ISQ_E10value_typeET4_T5_PSV_SW_PNS1_23onesweep_lookback_stateEbbT6_jjT7_P12ihipStream_tbENKUlT_T0_SK_SP_E_clIPiSE_SF_SF_EEDaS13_S14_SK_SP_EUlS13_E_NS1_11comp_targetILNS1_3genE5ELNS1_11target_archE942ELNS1_3gpuE9ELNS1_3repE0EEENS1_47radix_sort_onesweep_sort_config_static_selectorELNS0_4arch9wavefront6targetE1EEEvSK_.has_dyn_sized_stack, 0
	.set _ZN7rocprim17ROCPRIM_400000_NS6detail17trampoline_kernelINS0_14default_configENS1_35radix_sort_onesweep_config_selectorIiNS0_10empty_typeEEEZZNS1_29radix_sort_onesweep_iterationIS3_Lb0EN6thrust23THRUST_200600_302600_NS6detail15normal_iteratorINS9_10device_ptrIiEEEESE_PS5_SF_jNS0_19identity_decomposerENS1_16block_id_wrapperIjLb1EEEEE10hipError_tT1_PNSt15iterator_traitsISK_E10value_typeET2_T3_PNSL_ISQ_E10value_typeET4_T5_PSV_SW_PNS1_23onesweep_lookback_stateEbbT6_jjT7_P12ihipStream_tbENKUlT_T0_SK_SP_E_clIPiSE_SF_SF_EEDaS13_S14_SK_SP_EUlS13_E_NS1_11comp_targetILNS1_3genE5ELNS1_11target_archE942ELNS1_3gpuE9ELNS1_3repE0EEENS1_47radix_sort_onesweep_sort_config_static_selectorELNS0_4arch9wavefront6targetE1EEEvSK_.has_recursion, 0
	.set _ZN7rocprim17ROCPRIM_400000_NS6detail17trampoline_kernelINS0_14default_configENS1_35radix_sort_onesweep_config_selectorIiNS0_10empty_typeEEEZZNS1_29radix_sort_onesweep_iterationIS3_Lb0EN6thrust23THRUST_200600_302600_NS6detail15normal_iteratorINS9_10device_ptrIiEEEESE_PS5_SF_jNS0_19identity_decomposerENS1_16block_id_wrapperIjLb1EEEEE10hipError_tT1_PNSt15iterator_traitsISK_E10value_typeET2_T3_PNSL_ISQ_E10value_typeET4_T5_PSV_SW_PNS1_23onesweep_lookback_stateEbbT6_jjT7_P12ihipStream_tbENKUlT_T0_SK_SP_E_clIPiSE_SF_SF_EEDaS13_S14_SK_SP_EUlS13_E_NS1_11comp_targetILNS1_3genE5ELNS1_11target_archE942ELNS1_3gpuE9ELNS1_3repE0EEENS1_47radix_sort_onesweep_sort_config_static_selectorELNS0_4arch9wavefront6targetE1EEEvSK_.has_indirect_call, 0
	.section	.AMDGPU.csdata,"",@progbits
; Kernel info:
; codeLenInByte = 0
; TotalNumSgprs: 6
; NumVgprs: 0
; NumAgprs: 0
; TotalNumVgprs: 0
; ScratchSize: 0
; MemoryBound: 0
; FloatMode: 240
; IeeeMode: 1
; LDSByteSize: 0 bytes/workgroup (compile time only)
; SGPRBlocks: 0
; VGPRBlocks: 0
; NumSGPRsForWavesPerEU: 6
; NumVGPRsForWavesPerEU: 1
; AccumOffset: 4
; Occupancy: 8
; WaveLimiterHint : 0
; COMPUTE_PGM_RSRC2:SCRATCH_EN: 0
; COMPUTE_PGM_RSRC2:USER_SGPR: 2
; COMPUTE_PGM_RSRC2:TRAP_HANDLER: 0
; COMPUTE_PGM_RSRC2:TGID_X_EN: 1
; COMPUTE_PGM_RSRC2:TGID_Y_EN: 0
; COMPUTE_PGM_RSRC2:TGID_Z_EN: 0
; COMPUTE_PGM_RSRC2:TIDIG_COMP_CNT: 0
; COMPUTE_PGM_RSRC3_GFX90A:ACCUM_OFFSET: 0
; COMPUTE_PGM_RSRC3_GFX90A:TG_SPLIT: 0
	.section	.text._ZN7rocprim17ROCPRIM_400000_NS6detail17trampoline_kernelINS0_14default_configENS1_35radix_sort_onesweep_config_selectorIiNS0_10empty_typeEEEZZNS1_29radix_sort_onesweep_iterationIS3_Lb0EN6thrust23THRUST_200600_302600_NS6detail15normal_iteratorINS9_10device_ptrIiEEEESE_PS5_SF_jNS0_19identity_decomposerENS1_16block_id_wrapperIjLb1EEEEE10hipError_tT1_PNSt15iterator_traitsISK_E10value_typeET2_T3_PNSL_ISQ_E10value_typeET4_T5_PSV_SW_PNS1_23onesweep_lookback_stateEbbT6_jjT7_P12ihipStream_tbENKUlT_T0_SK_SP_E_clIPiSE_SF_SF_EEDaS13_S14_SK_SP_EUlS13_E_NS1_11comp_targetILNS1_3genE2ELNS1_11target_archE906ELNS1_3gpuE6ELNS1_3repE0EEENS1_47radix_sort_onesweep_sort_config_static_selectorELNS0_4arch9wavefront6targetE1EEEvSK_,"axG",@progbits,_ZN7rocprim17ROCPRIM_400000_NS6detail17trampoline_kernelINS0_14default_configENS1_35radix_sort_onesweep_config_selectorIiNS0_10empty_typeEEEZZNS1_29radix_sort_onesweep_iterationIS3_Lb0EN6thrust23THRUST_200600_302600_NS6detail15normal_iteratorINS9_10device_ptrIiEEEESE_PS5_SF_jNS0_19identity_decomposerENS1_16block_id_wrapperIjLb1EEEEE10hipError_tT1_PNSt15iterator_traitsISK_E10value_typeET2_T3_PNSL_ISQ_E10value_typeET4_T5_PSV_SW_PNS1_23onesweep_lookback_stateEbbT6_jjT7_P12ihipStream_tbENKUlT_T0_SK_SP_E_clIPiSE_SF_SF_EEDaS13_S14_SK_SP_EUlS13_E_NS1_11comp_targetILNS1_3genE2ELNS1_11target_archE906ELNS1_3gpuE6ELNS1_3repE0EEENS1_47radix_sort_onesweep_sort_config_static_selectorELNS0_4arch9wavefront6targetE1EEEvSK_,comdat
	.protected	_ZN7rocprim17ROCPRIM_400000_NS6detail17trampoline_kernelINS0_14default_configENS1_35radix_sort_onesweep_config_selectorIiNS0_10empty_typeEEEZZNS1_29radix_sort_onesweep_iterationIS3_Lb0EN6thrust23THRUST_200600_302600_NS6detail15normal_iteratorINS9_10device_ptrIiEEEESE_PS5_SF_jNS0_19identity_decomposerENS1_16block_id_wrapperIjLb1EEEEE10hipError_tT1_PNSt15iterator_traitsISK_E10value_typeET2_T3_PNSL_ISQ_E10value_typeET4_T5_PSV_SW_PNS1_23onesweep_lookback_stateEbbT6_jjT7_P12ihipStream_tbENKUlT_T0_SK_SP_E_clIPiSE_SF_SF_EEDaS13_S14_SK_SP_EUlS13_E_NS1_11comp_targetILNS1_3genE2ELNS1_11target_archE906ELNS1_3gpuE6ELNS1_3repE0EEENS1_47radix_sort_onesweep_sort_config_static_selectorELNS0_4arch9wavefront6targetE1EEEvSK_ ; -- Begin function _ZN7rocprim17ROCPRIM_400000_NS6detail17trampoline_kernelINS0_14default_configENS1_35radix_sort_onesweep_config_selectorIiNS0_10empty_typeEEEZZNS1_29radix_sort_onesweep_iterationIS3_Lb0EN6thrust23THRUST_200600_302600_NS6detail15normal_iteratorINS9_10device_ptrIiEEEESE_PS5_SF_jNS0_19identity_decomposerENS1_16block_id_wrapperIjLb1EEEEE10hipError_tT1_PNSt15iterator_traitsISK_E10value_typeET2_T3_PNSL_ISQ_E10value_typeET4_T5_PSV_SW_PNS1_23onesweep_lookback_stateEbbT6_jjT7_P12ihipStream_tbENKUlT_T0_SK_SP_E_clIPiSE_SF_SF_EEDaS13_S14_SK_SP_EUlS13_E_NS1_11comp_targetILNS1_3genE2ELNS1_11target_archE906ELNS1_3gpuE6ELNS1_3repE0EEENS1_47radix_sort_onesweep_sort_config_static_selectorELNS0_4arch9wavefront6targetE1EEEvSK_
	.globl	_ZN7rocprim17ROCPRIM_400000_NS6detail17trampoline_kernelINS0_14default_configENS1_35radix_sort_onesweep_config_selectorIiNS0_10empty_typeEEEZZNS1_29radix_sort_onesweep_iterationIS3_Lb0EN6thrust23THRUST_200600_302600_NS6detail15normal_iteratorINS9_10device_ptrIiEEEESE_PS5_SF_jNS0_19identity_decomposerENS1_16block_id_wrapperIjLb1EEEEE10hipError_tT1_PNSt15iterator_traitsISK_E10value_typeET2_T3_PNSL_ISQ_E10value_typeET4_T5_PSV_SW_PNS1_23onesweep_lookback_stateEbbT6_jjT7_P12ihipStream_tbENKUlT_T0_SK_SP_E_clIPiSE_SF_SF_EEDaS13_S14_SK_SP_EUlS13_E_NS1_11comp_targetILNS1_3genE2ELNS1_11target_archE906ELNS1_3gpuE6ELNS1_3repE0EEENS1_47radix_sort_onesweep_sort_config_static_selectorELNS0_4arch9wavefront6targetE1EEEvSK_
	.p2align	8
	.type	_ZN7rocprim17ROCPRIM_400000_NS6detail17trampoline_kernelINS0_14default_configENS1_35radix_sort_onesweep_config_selectorIiNS0_10empty_typeEEEZZNS1_29radix_sort_onesweep_iterationIS3_Lb0EN6thrust23THRUST_200600_302600_NS6detail15normal_iteratorINS9_10device_ptrIiEEEESE_PS5_SF_jNS0_19identity_decomposerENS1_16block_id_wrapperIjLb1EEEEE10hipError_tT1_PNSt15iterator_traitsISK_E10value_typeET2_T3_PNSL_ISQ_E10value_typeET4_T5_PSV_SW_PNS1_23onesweep_lookback_stateEbbT6_jjT7_P12ihipStream_tbENKUlT_T0_SK_SP_E_clIPiSE_SF_SF_EEDaS13_S14_SK_SP_EUlS13_E_NS1_11comp_targetILNS1_3genE2ELNS1_11target_archE906ELNS1_3gpuE6ELNS1_3repE0EEENS1_47radix_sort_onesweep_sort_config_static_selectorELNS0_4arch9wavefront6targetE1EEEvSK_,@function
_ZN7rocprim17ROCPRIM_400000_NS6detail17trampoline_kernelINS0_14default_configENS1_35radix_sort_onesweep_config_selectorIiNS0_10empty_typeEEEZZNS1_29radix_sort_onesweep_iterationIS3_Lb0EN6thrust23THRUST_200600_302600_NS6detail15normal_iteratorINS9_10device_ptrIiEEEESE_PS5_SF_jNS0_19identity_decomposerENS1_16block_id_wrapperIjLb1EEEEE10hipError_tT1_PNSt15iterator_traitsISK_E10value_typeET2_T3_PNSL_ISQ_E10value_typeET4_T5_PSV_SW_PNS1_23onesweep_lookback_stateEbbT6_jjT7_P12ihipStream_tbENKUlT_T0_SK_SP_E_clIPiSE_SF_SF_EEDaS13_S14_SK_SP_EUlS13_E_NS1_11comp_targetILNS1_3genE2ELNS1_11target_archE906ELNS1_3gpuE6ELNS1_3repE0EEENS1_47radix_sort_onesweep_sort_config_static_selectorELNS0_4arch9wavefront6targetE1EEEvSK_: ; @_ZN7rocprim17ROCPRIM_400000_NS6detail17trampoline_kernelINS0_14default_configENS1_35radix_sort_onesweep_config_selectorIiNS0_10empty_typeEEEZZNS1_29radix_sort_onesweep_iterationIS3_Lb0EN6thrust23THRUST_200600_302600_NS6detail15normal_iteratorINS9_10device_ptrIiEEEESE_PS5_SF_jNS0_19identity_decomposerENS1_16block_id_wrapperIjLb1EEEEE10hipError_tT1_PNSt15iterator_traitsISK_E10value_typeET2_T3_PNSL_ISQ_E10value_typeET4_T5_PSV_SW_PNS1_23onesweep_lookback_stateEbbT6_jjT7_P12ihipStream_tbENKUlT_T0_SK_SP_E_clIPiSE_SF_SF_EEDaS13_S14_SK_SP_EUlS13_E_NS1_11comp_targetILNS1_3genE2ELNS1_11target_archE906ELNS1_3gpuE6ELNS1_3repE0EEENS1_47radix_sort_onesweep_sort_config_static_selectorELNS0_4arch9wavefront6targetE1EEEvSK_
; %bb.0:
	.section	.rodata,"a",@progbits
	.p2align	6, 0x0
	.amdhsa_kernel _ZN7rocprim17ROCPRIM_400000_NS6detail17trampoline_kernelINS0_14default_configENS1_35radix_sort_onesweep_config_selectorIiNS0_10empty_typeEEEZZNS1_29radix_sort_onesweep_iterationIS3_Lb0EN6thrust23THRUST_200600_302600_NS6detail15normal_iteratorINS9_10device_ptrIiEEEESE_PS5_SF_jNS0_19identity_decomposerENS1_16block_id_wrapperIjLb1EEEEE10hipError_tT1_PNSt15iterator_traitsISK_E10value_typeET2_T3_PNSL_ISQ_E10value_typeET4_T5_PSV_SW_PNS1_23onesweep_lookback_stateEbbT6_jjT7_P12ihipStream_tbENKUlT_T0_SK_SP_E_clIPiSE_SF_SF_EEDaS13_S14_SK_SP_EUlS13_E_NS1_11comp_targetILNS1_3genE2ELNS1_11target_archE906ELNS1_3gpuE6ELNS1_3repE0EEENS1_47radix_sort_onesweep_sort_config_static_selectorELNS0_4arch9wavefront6targetE1EEEvSK_
		.amdhsa_group_segment_fixed_size 0
		.amdhsa_private_segment_fixed_size 0
		.amdhsa_kernarg_size 88
		.amdhsa_user_sgpr_count 2
		.amdhsa_user_sgpr_dispatch_ptr 0
		.amdhsa_user_sgpr_queue_ptr 0
		.amdhsa_user_sgpr_kernarg_segment_ptr 1
		.amdhsa_user_sgpr_dispatch_id 0
		.amdhsa_user_sgpr_kernarg_preload_length 0
		.amdhsa_user_sgpr_kernarg_preload_offset 0
		.amdhsa_user_sgpr_private_segment_size 0
		.amdhsa_uses_dynamic_stack 0
		.amdhsa_enable_private_segment 0
		.amdhsa_system_sgpr_workgroup_id_x 1
		.amdhsa_system_sgpr_workgroup_id_y 0
		.amdhsa_system_sgpr_workgroup_id_z 0
		.amdhsa_system_sgpr_workgroup_info 0
		.amdhsa_system_vgpr_workitem_id 0
		.amdhsa_next_free_vgpr 1
		.amdhsa_next_free_sgpr 0
		.amdhsa_accum_offset 4
		.amdhsa_reserve_vcc 0
		.amdhsa_float_round_mode_32 0
		.amdhsa_float_round_mode_16_64 0
		.amdhsa_float_denorm_mode_32 3
		.amdhsa_float_denorm_mode_16_64 3
		.amdhsa_dx10_clamp 1
		.amdhsa_ieee_mode 1
		.amdhsa_fp16_overflow 0
		.amdhsa_tg_split 0
		.amdhsa_exception_fp_ieee_invalid_op 0
		.amdhsa_exception_fp_denorm_src 0
		.amdhsa_exception_fp_ieee_div_zero 0
		.amdhsa_exception_fp_ieee_overflow 0
		.amdhsa_exception_fp_ieee_underflow 0
		.amdhsa_exception_fp_ieee_inexact 0
		.amdhsa_exception_int_div_zero 0
	.end_amdhsa_kernel
	.section	.text._ZN7rocprim17ROCPRIM_400000_NS6detail17trampoline_kernelINS0_14default_configENS1_35radix_sort_onesweep_config_selectorIiNS0_10empty_typeEEEZZNS1_29radix_sort_onesweep_iterationIS3_Lb0EN6thrust23THRUST_200600_302600_NS6detail15normal_iteratorINS9_10device_ptrIiEEEESE_PS5_SF_jNS0_19identity_decomposerENS1_16block_id_wrapperIjLb1EEEEE10hipError_tT1_PNSt15iterator_traitsISK_E10value_typeET2_T3_PNSL_ISQ_E10value_typeET4_T5_PSV_SW_PNS1_23onesweep_lookback_stateEbbT6_jjT7_P12ihipStream_tbENKUlT_T0_SK_SP_E_clIPiSE_SF_SF_EEDaS13_S14_SK_SP_EUlS13_E_NS1_11comp_targetILNS1_3genE2ELNS1_11target_archE906ELNS1_3gpuE6ELNS1_3repE0EEENS1_47radix_sort_onesweep_sort_config_static_selectorELNS0_4arch9wavefront6targetE1EEEvSK_,"axG",@progbits,_ZN7rocprim17ROCPRIM_400000_NS6detail17trampoline_kernelINS0_14default_configENS1_35radix_sort_onesweep_config_selectorIiNS0_10empty_typeEEEZZNS1_29radix_sort_onesweep_iterationIS3_Lb0EN6thrust23THRUST_200600_302600_NS6detail15normal_iteratorINS9_10device_ptrIiEEEESE_PS5_SF_jNS0_19identity_decomposerENS1_16block_id_wrapperIjLb1EEEEE10hipError_tT1_PNSt15iterator_traitsISK_E10value_typeET2_T3_PNSL_ISQ_E10value_typeET4_T5_PSV_SW_PNS1_23onesweep_lookback_stateEbbT6_jjT7_P12ihipStream_tbENKUlT_T0_SK_SP_E_clIPiSE_SF_SF_EEDaS13_S14_SK_SP_EUlS13_E_NS1_11comp_targetILNS1_3genE2ELNS1_11target_archE906ELNS1_3gpuE6ELNS1_3repE0EEENS1_47radix_sort_onesweep_sort_config_static_selectorELNS0_4arch9wavefront6targetE1EEEvSK_,comdat
.Lfunc_end180:
	.size	_ZN7rocprim17ROCPRIM_400000_NS6detail17trampoline_kernelINS0_14default_configENS1_35radix_sort_onesweep_config_selectorIiNS0_10empty_typeEEEZZNS1_29radix_sort_onesweep_iterationIS3_Lb0EN6thrust23THRUST_200600_302600_NS6detail15normal_iteratorINS9_10device_ptrIiEEEESE_PS5_SF_jNS0_19identity_decomposerENS1_16block_id_wrapperIjLb1EEEEE10hipError_tT1_PNSt15iterator_traitsISK_E10value_typeET2_T3_PNSL_ISQ_E10value_typeET4_T5_PSV_SW_PNS1_23onesweep_lookback_stateEbbT6_jjT7_P12ihipStream_tbENKUlT_T0_SK_SP_E_clIPiSE_SF_SF_EEDaS13_S14_SK_SP_EUlS13_E_NS1_11comp_targetILNS1_3genE2ELNS1_11target_archE906ELNS1_3gpuE6ELNS1_3repE0EEENS1_47radix_sort_onesweep_sort_config_static_selectorELNS0_4arch9wavefront6targetE1EEEvSK_, .Lfunc_end180-_ZN7rocprim17ROCPRIM_400000_NS6detail17trampoline_kernelINS0_14default_configENS1_35radix_sort_onesweep_config_selectorIiNS0_10empty_typeEEEZZNS1_29radix_sort_onesweep_iterationIS3_Lb0EN6thrust23THRUST_200600_302600_NS6detail15normal_iteratorINS9_10device_ptrIiEEEESE_PS5_SF_jNS0_19identity_decomposerENS1_16block_id_wrapperIjLb1EEEEE10hipError_tT1_PNSt15iterator_traitsISK_E10value_typeET2_T3_PNSL_ISQ_E10value_typeET4_T5_PSV_SW_PNS1_23onesweep_lookback_stateEbbT6_jjT7_P12ihipStream_tbENKUlT_T0_SK_SP_E_clIPiSE_SF_SF_EEDaS13_S14_SK_SP_EUlS13_E_NS1_11comp_targetILNS1_3genE2ELNS1_11target_archE906ELNS1_3gpuE6ELNS1_3repE0EEENS1_47radix_sort_onesweep_sort_config_static_selectorELNS0_4arch9wavefront6targetE1EEEvSK_
                                        ; -- End function
	.set _ZN7rocprim17ROCPRIM_400000_NS6detail17trampoline_kernelINS0_14default_configENS1_35radix_sort_onesweep_config_selectorIiNS0_10empty_typeEEEZZNS1_29radix_sort_onesweep_iterationIS3_Lb0EN6thrust23THRUST_200600_302600_NS6detail15normal_iteratorINS9_10device_ptrIiEEEESE_PS5_SF_jNS0_19identity_decomposerENS1_16block_id_wrapperIjLb1EEEEE10hipError_tT1_PNSt15iterator_traitsISK_E10value_typeET2_T3_PNSL_ISQ_E10value_typeET4_T5_PSV_SW_PNS1_23onesweep_lookback_stateEbbT6_jjT7_P12ihipStream_tbENKUlT_T0_SK_SP_E_clIPiSE_SF_SF_EEDaS13_S14_SK_SP_EUlS13_E_NS1_11comp_targetILNS1_3genE2ELNS1_11target_archE906ELNS1_3gpuE6ELNS1_3repE0EEENS1_47radix_sort_onesweep_sort_config_static_selectorELNS0_4arch9wavefront6targetE1EEEvSK_.num_vgpr, 0
	.set _ZN7rocprim17ROCPRIM_400000_NS6detail17trampoline_kernelINS0_14default_configENS1_35radix_sort_onesweep_config_selectorIiNS0_10empty_typeEEEZZNS1_29radix_sort_onesweep_iterationIS3_Lb0EN6thrust23THRUST_200600_302600_NS6detail15normal_iteratorINS9_10device_ptrIiEEEESE_PS5_SF_jNS0_19identity_decomposerENS1_16block_id_wrapperIjLb1EEEEE10hipError_tT1_PNSt15iterator_traitsISK_E10value_typeET2_T3_PNSL_ISQ_E10value_typeET4_T5_PSV_SW_PNS1_23onesweep_lookback_stateEbbT6_jjT7_P12ihipStream_tbENKUlT_T0_SK_SP_E_clIPiSE_SF_SF_EEDaS13_S14_SK_SP_EUlS13_E_NS1_11comp_targetILNS1_3genE2ELNS1_11target_archE906ELNS1_3gpuE6ELNS1_3repE0EEENS1_47radix_sort_onesweep_sort_config_static_selectorELNS0_4arch9wavefront6targetE1EEEvSK_.num_agpr, 0
	.set _ZN7rocprim17ROCPRIM_400000_NS6detail17trampoline_kernelINS0_14default_configENS1_35radix_sort_onesweep_config_selectorIiNS0_10empty_typeEEEZZNS1_29radix_sort_onesweep_iterationIS3_Lb0EN6thrust23THRUST_200600_302600_NS6detail15normal_iteratorINS9_10device_ptrIiEEEESE_PS5_SF_jNS0_19identity_decomposerENS1_16block_id_wrapperIjLb1EEEEE10hipError_tT1_PNSt15iterator_traitsISK_E10value_typeET2_T3_PNSL_ISQ_E10value_typeET4_T5_PSV_SW_PNS1_23onesweep_lookback_stateEbbT6_jjT7_P12ihipStream_tbENKUlT_T0_SK_SP_E_clIPiSE_SF_SF_EEDaS13_S14_SK_SP_EUlS13_E_NS1_11comp_targetILNS1_3genE2ELNS1_11target_archE906ELNS1_3gpuE6ELNS1_3repE0EEENS1_47radix_sort_onesweep_sort_config_static_selectorELNS0_4arch9wavefront6targetE1EEEvSK_.numbered_sgpr, 0
	.set _ZN7rocprim17ROCPRIM_400000_NS6detail17trampoline_kernelINS0_14default_configENS1_35radix_sort_onesweep_config_selectorIiNS0_10empty_typeEEEZZNS1_29radix_sort_onesweep_iterationIS3_Lb0EN6thrust23THRUST_200600_302600_NS6detail15normal_iteratorINS9_10device_ptrIiEEEESE_PS5_SF_jNS0_19identity_decomposerENS1_16block_id_wrapperIjLb1EEEEE10hipError_tT1_PNSt15iterator_traitsISK_E10value_typeET2_T3_PNSL_ISQ_E10value_typeET4_T5_PSV_SW_PNS1_23onesweep_lookback_stateEbbT6_jjT7_P12ihipStream_tbENKUlT_T0_SK_SP_E_clIPiSE_SF_SF_EEDaS13_S14_SK_SP_EUlS13_E_NS1_11comp_targetILNS1_3genE2ELNS1_11target_archE906ELNS1_3gpuE6ELNS1_3repE0EEENS1_47radix_sort_onesweep_sort_config_static_selectorELNS0_4arch9wavefront6targetE1EEEvSK_.num_named_barrier, 0
	.set _ZN7rocprim17ROCPRIM_400000_NS6detail17trampoline_kernelINS0_14default_configENS1_35radix_sort_onesweep_config_selectorIiNS0_10empty_typeEEEZZNS1_29radix_sort_onesweep_iterationIS3_Lb0EN6thrust23THRUST_200600_302600_NS6detail15normal_iteratorINS9_10device_ptrIiEEEESE_PS5_SF_jNS0_19identity_decomposerENS1_16block_id_wrapperIjLb1EEEEE10hipError_tT1_PNSt15iterator_traitsISK_E10value_typeET2_T3_PNSL_ISQ_E10value_typeET4_T5_PSV_SW_PNS1_23onesweep_lookback_stateEbbT6_jjT7_P12ihipStream_tbENKUlT_T0_SK_SP_E_clIPiSE_SF_SF_EEDaS13_S14_SK_SP_EUlS13_E_NS1_11comp_targetILNS1_3genE2ELNS1_11target_archE906ELNS1_3gpuE6ELNS1_3repE0EEENS1_47radix_sort_onesweep_sort_config_static_selectorELNS0_4arch9wavefront6targetE1EEEvSK_.private_seg_size, 0
	.set _ZN7rocprim17ROCPRIM_400000_NS6detail17trampoline_kernelINS0_14default_configENS1_35radix_sort_onesweep_config_selectorIiNS0_10empty_typeEEEZZNS1_29radix_sort_onesweep_iterationIS3_Lb0EN6thrust23THRUST_200600_302600_NS6detail15normal_iteratorINS9_10device_ptrIiEEEESE_PS5_SF_jNS0_19identity_decomposerENS1_16block_id_wrapperIjLb1EEEEE10hipError_tT1_PNSt15iterator_traitsISK_E10value_typeET2_T3_PNSL_ISQ_E10value_typeET4_T5_PSV_SW_PNS1_23onesweep_lookback_stateEbbT6_jjT7_P12ihipStream_tbENKUlT_T0_SK_SP_E_clIPiSE_SF_SF_EEDaS13_S14_SK_SP_EUlS13_E_NS1_11comp_targetILNS1_3genE2ELNS1_11target_archE906ELNS1_3gpuE6ELNS1_3repE0EEENS1_47radix_sort_onesweep_sort_config_static_selectorELNS0_4arch9wavefront6targetE1EEEvSK_.uses_vcc, 0
	.set _ZN7rocprim17ROCPRIM_400000_NS6detail17trampoline_kernelINS0_14default_configENS1_35radix_sort_onesweep_config_selectorIiNS0_10empty_typeEEEZZNS1_29radix_sort_onesweep_iterationIS3_Lb0EN6thrust23THRUST_200600_302600_NS6detail15normal_iteratorINS9_10device_ptrIiEEEESE_PS5_SF_jNS0_19identity_decomposerENS1_16block_id_wrapperIjLb1EEEEE10hipError_tT1_PNSt15iterator_traitsISK_E10value_typeET2_T3_PNSL_ISQ_E10value_typeET4_T5_PSV_SW_PNS1_23onesweep_lookback_stateEbbT6_jjT7_P12ihipStream_tbENKUlT_T0_SK_SP_E_clIPiSE_SF_SF_EEDaS13_S14_SK_SP_EUlS13_E_NS1_11comp_targetILNS1_3genE2ELNS1_11target_archE906ELNS1_3gpuE6ELNS1_3repE0EEENS1_47radix_sort_onesweep_sort_config_static_selectorELNS0_4arch9wavefront6targetE1EEEvSK_.uses_flat_scratch, 0
	.set _ZN7rocprim17ROCPRIM_400000_NS6detail17trampoline_kernelINS0_14default_configENS1_35radix_sort_onesweep_config_selectorIiNS0_10empty_typeEEEZZNS1_29radix_sort_onesweep_iterationIS3_Lb0EN6thrust23THRUST_200600_302600_NS6detail15normal_iteratorINS9_10device_ptrIiEEEESE_PS5_SF_jNS0_19identity_decomposerENS1_16block_id_wrapperIjLb1EEEEE10hipError_tT1_PNSt15iterator_traitsISK_E10value_typeET2_T3_PNSL_ISQ_E10value_typeET4_T5_PSV_SW_PNS1_23onesweep_lookback_stateEbbT6_jjT7_P12ihipStream_tbENKUlT_T0_SK_SP_E_clIPiSE_SF_SF_EEDaS13_S14_SK_SP_EUlS13_E_NS1_11comp_targetILNS1_3genE2ELNS1_11target_archE906ELNS1_3gpuE6ELNS1_3repE0EEENS1_47radix_sort_onesweep_sort_config_static_selectorELNS0_4arch9wavefront6targetE1EEEvSK_.has_dyn_sized_stack, 0
	.set _ZN7rocprim17ROCPRIM_400000_NS6detail17trampoline_kernelINS0_14default_configENS1_35radix_sort_onesweep_config_selectorIiNS0_10empty_typeEEEZZNS1_29radix_sort_onesweep_iterationIS3_Lb0EN6thrust23THRUST_200600_302600_NS6detail15normal_iteratorINS9_10device_ptrIiEEEESE_PS5_SF_jNS0_19identity_decomposerENS1_16block_id_wrapperIjLb1EEEEE10hipError_tT1_PNSt15iterator_traitsISK_E10value_typeET2_T3_PNSL_ISQ_E10value_typeET4_T5_PSV_SW_PNS1_23onesweep_lookback_stateEbbT6_jjT7_P12ihipStream_tbENKUlT_T0_SK_SP_E_clIPiSE_SF_SF_EEDaS13_S14_SK_SP_EUlS13_E_NS1_11comp_targetILNS1_3genE2ELNS1_11target_archE906ELNS1_3gpuE6ELNS1_3repE0EEENS1_47radix_sort_onesweep_sort_config_static_selectorELNS0_4arch9wavefront6targetE1EEEvSK_.has_recursion, 0
	.set _ZN7rocprim17ROCPRIM_400000_NS6detail17trampoline_kernelINS0_14default_configENS1_35radix_sort_onesweep_config_selectorIiNS0_10empty_typeEEEZZNS1_29radix_sort_onesweep_iterationIS3_Lb0EN6thrust23THRUST_200600_302600_NS6detail15normal_iteratorINS9_10device_ptrIiEEEESE_PS5_SF_jNS0_19identity_decomposerENS1_16block_id_wrapperIjLb1EEEEE10hipError_tT1_PNSt15iterator_traitsISK_E10value_typeET2_T3_PNSL_ISQ_E10value_typeET4_T5_PSV_SW_PNS1_23onesweep_lookback_stateEbbT6_jjT7_P12ihipStream_tbENKUlT_T0_SK_SP_E_clIPiSE_SF_SF_EEDaS13_S14_SK_SP_EUlS13_E_NS1_11comp_targetILNS1_3genE2ELNS1_11target_archE906ELNS1_3gpuE6ELNS1_3repE0EEENS1_47radix_sort_onesweep_sort_config_static_selectorELNS0_4arch9wavefront6targetE1EEEvSK_.has_indirect_call, 0
	.section	.AMDGPU.csdata,"",@progbits
; Kernel info:
; codeLenInByte = 0
; TotalNumSgprs: 6
; NumVgprs: 0
; NumAgprs: 0
; TotalNumVgprs: 0
; ScratchSize: 0
; MemoryBound: 0
; FloatMode: 240
; IeeeMode: 1
; LDSByteSize: 0 bytes/workgroup (compile time only)
; SGPRBlocks: 0
; VGPRBlocks: 0
; NumSGPRsForWavesPerEU: 6
; NumVGPRsForWavesPerEU: 1
; AccumOffset: 4
; Occupancy: 8
; WaveLimiterHint : 0
; COMPUTE_PGM_RSRC2:SCRATCH_EN: 0
; COMPUTE_PGM_RSRC2:USER_SGPR: 2
; COMPUTE_PGM_RSRC2:TRAP_HANDLER: 0
; COMPUTE_PGM_RSRC2:TGID_X_EN: 1
; COMPUTE_PGM_RSRC2:TGID_Y_EN: 0
; COMPUTE_PGM_RSRC2:TGID_Z_EN: 0
; COMPUTE_PGM_RSRC2:TIDIG_COMP_CNT: 0
; COMPUTE_PGM_RSRC3_GFX90A:ACCUM_OFFSET: 0
; COMPUTE_PGM_RSRC3_GFX90A:TG_SPLIT: 0
	.section	.text._ZN7rocprim17ROCPRIM_400000_NS6detail17trampoline_kernelINS0_14default_configENS1_35radix_sort_onesweep_config_selectorIiNS0_10empty_typeEEEZZNS1_29radix_sort_onesweep_iterationIS3_Lb0EN6thrust23THRUST_200600_302600_NS6detail15normal_iteratorINS9_10device_ptrIiEEEESE_PS5_SF_jNS0_19identity_decomposerENS1_16block_id_wrapperIjLb1EEEEE10hipError_tT1_PNSt15iterator_traitsISK_E10value_typeET2_T3_PNSL_ISQ_E10value_typeET4_T5_PSV_SW_PNS1_23onesweep_lookback_stateEbbT6_jjT7_P12ihipStream_tbENKUlT_T0_SK_SP_E_clIPiSE_SF_SF_EEDaS13_S14_SK_SP_EUlS13_E_NS1_11comp_targetILNS1_3genE4ELNS1_11target_archE910ELNS1_3gpuE8ELNS1_3repE0EEENS1_47radix_sort_onesweep_sort_config_static_selectorELNS0_4arch9wavefront6targetE1EEEvSK_,"axG",@progbits,_ZN7rocprim17ROCPRIM_400000_NS6detail17trampoline_kernelINS0_14default_configENS1_35radix_sort_onesweep_config_selectorIiNS0_10empty_typeEEEZZNS1_29radix_sort_onesweep_iterationIS3_Lb0EN6thrust23THRUST_200600_302600_NS6detail15normal_iteratorINS9_10device_ptrIiEEEESE_PS5_SF_jNS0_19identity_decomposerENS1_16block_id_wrapperIjLb1EEEEE10hipError_tT1_PNSt15iterator_traitsISK_E10value_typeET2_T3_PNSL_ISQ_E10value_typeET4_T5_PSV_SW_PNS1_23onesweep_lookback_stateEbbT6_jjT7_P12ihipStream_tbENKUlT_T0_SK_SP_E_clIPiSE_SF_SF_EEDaS13_S14_SK_SP_EUlS13_E_NS1_11comp_targetILNS1_3genE4ELNS1_11target_archE910ELNS1_3gpuE8ELNS1_3repE0EEENS1_47radix_sort_onesweep_sort_config_static_selectorELNS0_4arch9wavefront6targetE1EEEvSK_,comdat
	.protected	_ZN7rocprim17ROCPRIM_400000_NS6detail17trampoline_kernelINS0_14default_configENS1_35radix_sort_onesweep_config_selectorIiNS0_10empty_typeEEEZZNS1_29radix_sort_onesweep_iterationIS3_Lb0EN6thrust23THRUST_200600_302600_NS6detail15normal_iteratorINS9_10device_ptrIiEEEESE_PS5_SF_jNS0_19identity_decomposerENS1_16block_id_wrapperIjLb1EEEEE10hipError_tT1_PNSt15iterator_traitsISK_E10value_typeET2_T3_PNSL_ISQ_E10value_typeET4_T5_PSV_SW_PNS1_23onesweep_lookback_stateEbbT6_jjT7_P12ihipStream_tbENKUlT_T0_SK_SP_E_clIPiSE_SF_SF_EEDaS13_S14_SK_SP_EUlS13_E_NS1_11comp_targetILNS1_3genE4ELNS1_11target_archE910ELNS1_3gpuE8ELNS1_3repE0EEENS1_47radix_sort_onesweep_sort_config_static_selectorELNS0_4arch9wavefront6targetE1EEEvSK_ ; -- Begin function _ZN7rocprim17ROCPRIM_400000_NS6detail17trampoline_kernelINS0_14default_configENS1_35radix_sort_onesweep_config_selectorIiNS0_10empty_typeEEEZZNS1_29radix_sort_onesweep_iterationIS3_Lb0EN6thrust23THRUST_200600_302600_NS6detail15normal_iteratorINS9_10device_ptrIiEEEESE_PS5_SF_jNS0_19identity_decomposerENS1_16block_id_wrapperIjLb1EEEEE10hipError_tT1_PNSt15iterator_traitsISK_E10value_typeET2_T3_PNSL_ISQ_E10value_typeET4_T5_PSV_SW_PNS1_23onesweep_lookback_stateEbbT6_jjT7_P12ihipStream_tbENKUlT_T0_SK_SP_E_clIPiSE_SF_SF_EEDaS13_S14_SK_SP_EUlS13_E_NS1_11comp_targetILNS1_3genE4ELNS1_11target_archE910ELNS1_3gpuE8ELNS1_3repE0EEENS1_47radix_sort_onesweep_sort_config_static_selectorELNS0_4arch9wavefront6targetE1EEEvSK_
	.globl	_ZN7rocprim17ROCPRIM_400000_NS6detail17trampoline_kernelINS0_14default_configENS1_35radix_sort_onesweep_config_selectorIiNS0_10empty_typeEEEZZNS1_29radix_sort_onesweep_iterationIS3_Lb0EN6thrust23THRUST_200600_302600_NS6detail15normal_iteratorINS9_10device_ptrIiEEEESE_PS5_SF_jNS0_19identity_decomposerENS1_16block_id_wrapperIjLb1EEEEE10hipError_tT1_PNSt15iterator_traitsISK_E10value_typeET2_T3_PNSL_ISQ_E10value_typeET4_T5_PSV_SW_PNS1_23onesweep_lookback_stateEbbT6_jjT7_P12ihipStream_tbENKUlT_T0_SK_SP_E_clIPiSE_SF_SF_EEDaS13_S14_SK_SP_EUlS13_E_NS1_11comp_targetILNS1_3genE4ELNS1_11target_archE910ELNS1_3gpuE8ELNS1_3repE0EEENS1_47radix_sort_onesweep_sort_config_static_selectorELNS0_4arch9wavefront6targetE1EEEvSK_
	.p2align	8
	.type	_ZN7rocprim17ROCPRIM_400000_NS6detail17trampoline_kernelINS0_14default_configENS1_35radix_sort_onesweep_config_selectorIiNS0_10empty_typeEEEZZNS1_29radix_sort_onesweep_iterationIS3_Lb0EN6thrust23THRUST_200600_302600_NS6detail15normal_iteratorINS9_10device_ptrIiEEEESE_PS5_SF_jNS0_19identity_decomposerENS1_16block_id_wrapperIjLb1EEEEE10hipError_tT1_PNSt15iterator_traitsISK_E10value_typeET2_T3_PNSL_ISQ_E10value_typeET4_T5_PSV_SW_PNS1_23onesweep_lookback_stateEbbT6_jjT7_P12ihipStream_tbENKUlT_T0_SK_SP_E_clIPiSE_SF_SF_EEDaS13_S14_SK_SP_EUlS13_E_NS1_11comp_targetILNS1_3genE4ELNS1_11target_archE910ELNS1_3gpuE8ELNS1_3repE0EEENS1_47radix_sort_onesweep_sort_config_static_selectorELNS0_4arch9wavefront6targetE1EEEvSK_,@function
_ZN7rocprim17ROCPRIM_400000_NS6detail17trampoline_kernelINS0_14default_configENS1_35radix_sort_onesweep_config_selectorIiNS0_10empty_typeEEEZZNS1_29radix_sort_onesweep_iterationIS3_Lb0EN6thrust23THRUST_200600_302600_NS6detail15normal_iteratorINS9_10device_ptrIiEEEESE_PS5_SF_jNS0_19identity_decomposerENS1_16block_id_wrapperIjLb1EEEEE10hipError_tT1_PNSt15iterator_traitsISK_E10value_typeET2_T3_PNSL_ISQ_E10value_typeET4_T5_PSV_SW_PNS1_23onesweep_lookback_stateEbbT6_jjT7_P12ihipStream_tbENKUlT_T0_SK_SP_E_clIPiSE_SF_SF_EEDaS13_S14_SK_SP_EUlS13_E_NS1_11comp_targetILNS1_3genE4ELNS1_11target_archE910ELNS1_3gpuE8ELNS1_3repE0EEENS1_47radix_sort_onesweep_sort_config_static_selectorELNS0_4arch9wavefront6targetE1EEEvSK_: ; @_ZN7rocprim17ROCPRIM_400000_NS6detail17trampoline_kernelINS0_14default_configENS1_35radix_sort_onesweep_config_selectorIiNS0_10empty_typeEEEZZNS1_29radix_sort_onesweep_iterationIS3_Lb0EN6thrust23THRUST_200600_302600_NS6detail15normal_iteratorINS9_10device_ptrIiEEEESE_PS5_SF_jNS0_19identity_decomposerENS1_16block_id_wrapperIjLb1EEEEE10hipError_tT1_PNSt15iterator_traitsISK_E10value_typeET2_T3_PNSL_ISQ_E10value_typeET4_T5_PSV_SW_PNS1_23onesweep_lookback_stateEbbT6_jjT7_P12ihipStream_tbENKUlT_T0_SK_SP_E_clIPiSE_SF_SF_EEDaS13_S14_SK_SP_EUlS13_E_NS1_11comp_targetILNS1_3genE4ELNS1_11target_archE910ELNS1_3gpuE8ELNS1_3repE0EEENS1_47radix_sort_onesweep_sort_config_static_selectorELNS0_4arch9wavefront6targetE1EEEvSK_
; %bb.0:
	.section	.rodata,"a",@progbits
	.p2align	6, 0x0
	.amdhsa_kernel _ZN7rocprim17ROCPRIM_400000_NS6detail17trampoline_kernelINS0_14default_configENS1_35radix_sort_onesweep_config_selectorIiNS0_10empty_typeEEEZZNS1_29radix_sort_onesweep_iterationIS3_Lb0EN6thrust23THRUST_200600_302600_NS6detail15normal_iteratorINS9_10device_ptrIiEEEESE_PS5_SF_jNS0_19identity_decomposerENS1_16block_id_wrapperIjLb1EEEEE10hipError_tT1_PNSt15iterator_traitsISK_E10value_typeET2_T3_PNSL_ISQ_E10value_typeET4_T5_PSV_SW_PNS1_23onesweep_lookback_stateEbbT6_jjT7_P12ihipStream_tbENKUlT_T0_SK_SP_E_clIPiSE_SF_SF_EEDaS13_S14_SK_SP_EUlS13_E_NS1_11comp_targetILNS1_3genE4ELNS1_11target_archE910ELNS1_3gpuE8ELNS1_3repE0EEENS1_47radix_sort_onesweep_sort_config_static_selectorELNS0_4arch9wavefront6targetE1EEEvSK_
		.amdhsa_group_segment_fixed_size 0
		.amdhsa_private_segment_fixed_size 0
		.amdhsa_kernarg_size 88
		.amdhsa_user_sgpr_count 2
		.amdhsa_user_sgpr_dispatch_ptr 0
		.amdhsa_user_sgpr_queue_ptr 0
		.amdhsa_user_sgpr_kernarg_segment_ptr 1
		.amdhsa_user_sgpr_dispatch_id 0
		.amdhsa_user_sgpr_kernarg_preload_length 0
		.amdhsa_user_sgpr_kernarg_preload_offset 0
		.amdhsa_user_sgpr_private_segment_size 0
		.amdhsa_uses_dynamic_stack 0
		.amdhsa_enable_private_segment 0
		.amdhsa_system_sgpr_workgroup_id_x 1
		.amdhsa_system_sgpr_workgroup_id_y 0
		.amdhsa_system_sgpr_workgroup_id_z 0
		.amdhsa_system_sgpr_workgroup_info 0
		.amdhsa_system_vgpr_workitem_id 0
		.amdhsa_next_free_vgpr 1
		.amdhsa_next_free_sgpr 0
		.amdhsa_accum_offset 4
		.amdhsa_reserve_vcc 0
		.amdhsa_float_round_mode_32 0
		.amdhsa_float_round_mode_16_64 0
		.amdhsa_float_denorm_mode_32 3
		.amdhsa_float_denorm_mode_16_64 3
		.amdhsa_dx10_clamp 1
		.amdhsa_ieee_mode 1
		.amdhsa_fp16_overflow 0
		.amdhsa_tg_split 0
		.amdhsa_exception_fp_ieee_invalid_op 0
		.amdhsa_exception_fp_denorm_src 0
		.amdhsa_exception_fp_ieee_div_zero 0
		.amdhsa_exception_fp_ieee_overflow 0
		.amdhsa_exception_fp_ieee_underflow 0
		.amdhsa_exception_fp_ieee_inexact 0
		.amdhsa_exception_int_div_zero 0
	.end_amdhsa_kernel
	.section	.text._ZN7rocprim17ROCPRIM_400000_NS6detail17trampoline_kernelINS0_14default_configENS1_35radix_sort_onesweep_config_selectorIiNS0_10empty_typeEEEZZNS1_29radix_sort_onesweep_iterationIS3_Lb0EN6thrust23THRUST_200600_302600_NS6detail15normal_iteratorINS9_10device_ptrIiEEEESE_PS5_SF_jNS0_19identity_decomposerENS1_16block_id_wrapperIjLb1EEEEE10hipError_tT1_PNSt15iterator_traitsISK_E10value_typeET2_T3_PNSL_ISQ_E10value_typeET4_T5_PSV_SW_PNS1_23onesweep_lookback_stateEbbT6_jjT7_P12ihipStream_tbENKUlT_T0_SK_SP_E_clIPiSE_SF_SF_EEDaS13_S14_SK_SP_EUlS13_E_NS1_11comp_targetILNS1_3genE4ELNS1_11target_archE910ELNS1_3gpuE8ELNS1_3repE0EEENS1_47radix_sort_onesweep_sort_config_static_selectorELNS0_4arch9wavefront6targetE1EEEvSK_,"axG",@progbits,_ZN7rocprim17ROCPRIM_400000_NS6detail17trampoline_kernelINS0_14default_configENS1_35radix_sort_onesweep_config_selectorIiNS0_10empty_typeEEEZZNS1_29radix_sort_onesweep_iterationIS3_Lb0EN6thrust23THRUST_200600_302600_NS6detail15normal_iteratorINS9_10device_ptrIiEEEESE_PS5_SF_jNS0_19identity_decomposerENS1_16block_id_wrapperIjLb1EEEEE10hipError_tT1_PNSt15iterator_traitsISK_E10value_typeET2_T3_PNSL_ISQ_E10value_typeET4_T5_PSV_SW_PNS1_23onesweep_lookback_stateEbbT6_jjT7_P12ihipStream_tbENKUlT_T0_SK_SP_E_clIPiSE_SF_SF_EEDaS13_S14_SK_SP_EUlS13_E_NS1_11comp_targetILNS1_3genE4ELNS1_11target_archE910ELNS1_3gpuE8ELNS1_3repE0EEENS1_47radix_sort_onesweep_sort_config_static_selectorELNS0_4arch9wavefront6targetE1EEEvSK_,comdat
.Lfunc_end181:
	.size	_ZN7rocprim17ROCPRIM_400000_NS6detail17trampoline_kernelINS0_14default_configENS1_35radix_sort_onesweep_config_selectorIiNS0_10empty_typeEEEZZNS1_29radix_sort_onesweep_iterationIS3_Lb0EN6thrust23THRUST_200600_302600_NS6detail15normal_iteratorINS9_10device_ptrIiEEEESE_PS5_SF_jNS0_19identity_decomposerENS1_16block_id_wrapperIjLb1EEEEE10hipError_tT1_PNSt15iterator_traitsISK_E10value_typeET2_T3_PNSL_ISQ_E10value_typeET4_T5_PSV_SW_PNS1_23onesweep_lookback_stateEbbT6_jjT7_P12ihipStream_tbENKUlT_T0_SK_SP_E_clIPiSE_SF_SF_EEDaS13_S14_SK_SP_EUlS13_E_NS1_11comp_targetILNS1_3genE4ELNS1_11target_archE910ELNS1_3gpuE8ELNS1_3repE0EEENS1_47radix_sort_onesweep_sort_config_static_selectorELNS0_4arch9wavefront6targetE1EEEvSK_, .Lfunc_end181-_ZN7rocprim17ROCPRIM_400000_NS6detail17trampoline_kernelINS0_14default_configENS1_35radix_sort_onesweep_config_selectorIiNS0_10empty_typeEEEZZNS1_29radix_sort_onesweep_iterationIS3_Lb0EN6thrust23THRUST_200600_302600_NS6detail15normal_iteratorINS9_10device_ptrIiEEEESE_PS5_SF_jNS0_19identity_decomposerENS1_16block_id_wrapperIjLb1EEEEE10hipError_tT1_PNSt15iterator_traitsISK_E10value_typeET2_T3_PNSL_ISQ_E10value_typeET4_T5_PSV_SW_PNS1_23onesweep_lookback_stateEbbT6_jjT7_P12ihipStream_tbENKUlT_T0_SK_SP_E_clIPiSE_SF_SF_EEDaS13_S14_SK_SP_EUlS13_E_NS1_11comp_targetILNS1_3genE4ELNS1_11target_archE910ELNS1_3gpuE8ELNS1_3repE0EEENS1_47radix_sort_onesweep_sort_config_static_selectorELNS0_4arch9wavefront6targetE1EEEvSK_
                                        ; -- End function
	.set _ZN7rocprim17ROCPRIM_400000_NS6detail17trampoline_kernelINS0_14default_configENS1_35radix_sort_onesweep_config_selectorIiNS0_10empty_typeEEEZZNS1_29radix_sort_onesweep_iterationIS3_Lb0EN6thrust23THRUST_200600_302600_NS6detail15normal_iteratorINS9_10device_ptrIiEEEESE_PS5_SF_jNS0_19identity_decomposerENS1_16block_id_wrapperIjLb1EEEEE10hipError_tT1_PNSt15iterator_traitsISK_E10value_typeET2_T3_PNSL_ISQ_E10value_typeET4_T5_PSV_SW_PNS1_23onesweep_lookback_stateEbbT6_jjT7_P12ihipStream_tbENKUlT_T0_SK_SP_E_clIPiSE_SF_SF_EEDaS13_S14_SK_SP_EUlS13_E_NS1_11comp_targetILNS1_3genE4ELNS1_11target_archE910ELNS1_3gpuE8ELNS1_3repE0EEENS1_47radix_sort_onesweep_sort_config_static_selectorELNS0_4arch9wavefront6targetE1EEEvSK_.num_vgpr, 0
	.set _ZN7rocprim17ROCPRIM_400000_NS6detail17trampoline_kernelINS0_14default_configENS1_35radix_sort_onesweep_config_selectorIiNS0_10empty_typeEEEZZNS1_29radix_sort_onesweep_iterationIS3_Lb0EN6thrust23THRUST_200600_302600_NS6detail15normal_iteratorINS9_10device_ptrIiEEEESE_PS5_SF_jNS0_19identity_decomposerENS1_16block_id_wrapperIjLb1EEEEE10hipError_tT1_PNSt15iterator_traitsISK_E10value_typeET2_T3_PNSL_ISQ_E10value_typeET4_T5_PSV_SW_PNS1_23onesweep_lookback_stateEbbT6_jjT7_P12ihipStream_tbENKUlT_T0_SK_SP_E_clIPiSE_SF_SF_EEDaS13_S14_SK_SP_EUlS13_E_NS1_11comp_targetILNS1_3genE4ELNS1_11target_archE910ELNS1_3gpuE8ELNS1_3repE0EEENS1_47radix_sort_onesweep_sort_config_static_selectorELNS0_4arch9wavefront6targetE1EEEvSK_.num_agpr, 0
	.set _ZN7rocprim17ROCPRIM_400000_NS6detail17trampoline_kernelINS0_14default_configENS1_35radix_sort_onesweep_config_selectorIiNS0_10empty_typeEEEZZNS1_29radix_sort_onesweep_iterationIS3_Lb0EN6thrust23THRUST_200600_302600_NS6detail15normal_iteratorINS9_10device_ptrIiEEEESE_PS5_SF_jNS0_19identity_decomposerENS1_16block_id_wrapperIjLb1EEEEE10hipError_tT1_PNSt15iterator_traitsISK_E10value_typeET2_T3_PNSL_ISQ_E10value_typeET4_T5_PSV_SW_PNS1_23onesweep_lookback_stateEbbT6_jjT7_P12ihipStream_tbENKUlT_T0_SK_SP_E_clIPiSE_SF_SF_EEDaS13_S14_SK_SP_EUlS13_E_NS1_11comp_targetILNS1_3genE4ELNS1_11target_archE910ELNS1_3gpuE8ELNS1_3repE0EEENS1_47radix_sort_onesweep_sort_config_static_selectorELNS0_4arch9wavefront6targetE1EEEvSK_.numbered_sgpr, 0
	.set _ZN7rocprim17ROCPRIM_400000_NS6detail17trampoline_kernelINS0_14default_configENS1_35radix_sort_onesweep_config_selectorIiNS0_10empty_typeEEEZZNS1_29radix_sort_onesweep_iterationIS3_Lb0EN6thrust23THRUST_200600_302600_NS6detail15normal_iteratorINS9_10device_ptrIiEEEESE_PS5_SF_jNS0_19identity_decomposerENS1_16block_id_wrapperIjLb1EEEEE10hipError_tT1_PNSt15iterator_traitsISK_E10value_typeET2_T3_PNSL_ISQ_E10value_typeET4_T5_PSV_SW_PNS1_23onesweep_lookback_stateEbbT6_jjT7_P12ihipStream_tbENKUlT_T0_SK_SP_E_clIPiSE_SF_SF_EEDaS13_S14_SK_SP_EUlS13_E_NS1_11comp_targetILNS1_3genE4ELNS1_11target_archE910ELNS1_3gpuE8ELNS1_3repE0EEENS1_47radix_sort_onesweep_sort_config_static_selectorELNS0_4arch9wavefront6targetE1EEEvSK_.num_named_barrier, 0
	.set _ZN7rocprim17ROCPRIM_400000_NS6detail17trampoline_kernelINS0_14default_configENS1_35radix_sort_onesweep_config_selectorIiNS0_10empty_typeEEEZZNS1_29radix_sort_onesweep_iterationIS3_Lb0EN6thrust23THRUST_200600_302600_NS6detail15normal_iteratorINS9_10device_ptrIiEEEESE_PS5_SF_jNS0_19identity_decomposerENS1_16block_id_wrapperIjLb1EEEEE10hipError_tT1_PNSt15iterator_traitsISK_E10value_typeET2_T3_PNSL_ISQ_E10value_typeET4_T5_PSV_SW_PNS1_23onesweep_lookback_stateEbbT6_jjT7_P12ihipStream_tbENKUlT_T0_SK_SP_E_clIPiSE_SF_SF_EEDaS13_S14_SK_SP_EUlS13_E_NS1_11comp_targetILNS1_3genE4ELNS1_11target_archE910ELNS1_3gpuE8ELNS1_3repE0EEENS1_47radix_sort_onesweep_sort_config_static_selectorELNS0_4arch9wavefront6targetE1EEEvSK_.private_seg_size, 0
	.set _ZN7rocprim17ROCPRIM_400000_NS6detail17trampoline_kernelINS0_14default_configENS1_35radix_sort_onesweep_config_selectorIiNS0_10empty_typeEEEZZNS1_29radix_sort_onesweep_iterationIS3_Lb0EN6thrust23THRUST_200600_302600_NS6detail15normal_iteratorINS9_10device_ptrIiEEEESE_PS5_SF_jNS0_19identity_decomposerENS1_16block_id_wrapperIjLb1EEEEE10hipError_tT1_PNSt15iterator_traitsISK_E10value_typeET2_T3_PNSL_ISQ_E10value_typeET4_T5_PSV_SW_PNS1_23onesweep_lookback_stateEbbT6_jjT7_P12ihipStream_tbENKUlT_T0_SK_SP_E_clIPiSE_SF_SF_EEDaS13_S14_SK_SP_EUlS13_E_NS1_11comp_targetILNS1_3genE4ELNS1_11target_archE910ELNS1_3gpuE8ELNS1_3repE0EEENS1_47radix_sort_onesweep_sort_config_static_selectorELNS0_4arch9wavefront6targetE1EEEvSK_.uses_vcc, 0
	.set _ZN7rocprim17ROCPRIM_400000_NS6detail17trampoline_kernelINS0_14default_configENS1_35radix_sort_onesweep_config_selectorIiNS0_10empty_typeEEEZZNS1_29radix_sort_onesweep_iterationIS3_Lb0EN6thrust23THRUST_200600_302600_NS6detail15normal_iteratorINS9_10device_ptrIiEEEESE_PS5_SF_jNS0_19identity_decomposerENS1_16block_id_wrapperIjLb1EEEEE10hipError_tT1_PNSt15iterator_traitsISK_E10value_typeET2_T3_PNSL_ISQ_E10value_typeET4_T5_PSV_SW_PNS1_23onesweep_lookback_stateEbbT6_jjT7_P12ihipStream_tbENKUlT_T0_SK_SP_E_clIPiSE_SF_SF_EEDaS13_S14_SK_SP_EUlS13_E_NS1_11comp_targetILNS1_3genE4ELNS1_11target_archE910ELNS1_3gpuE8ELNS1_3repE0EEENS1_47radix_sort_onesweep_sort_config_static_selectorELNS0_4arch9wavefront6targetE1EEEvSK_.uses_flat_scratch, 0
	.set _ZN7rocprim17ROCPRIM_400000_NS6detail17trampoline_kernelINS0_14default_configENS1_35radix_sort_onesweep_config_selectorIiNS0_10empty_typeEEEZZNS1_29radix_sort_onesweep_iterationIS3_Lb0EN6thrust23THRUST_200600_302600_NS6detail15normal_iteratorINS9_10device_ptrIiEEEESE_PS5_SF_jNS0_19identity_decomposerENS1_16block_id_wrapperIjLb1EEEEE10hipError_tT1_PNSt15iterator_traitsISK_E10value_typeET2_T3_PNSL_ISQ_E10value_typeET4_T5_PSV_SW_PNS1_23onesweep_lookback_stateEbbT6_jjT7_P12ihipStream_tbENKUlT_T0_SK_SP_E_clIPiSE_SF_SF_EEDaS13_S14_SK_SP_EUlS13_E_NS1_11comp_targetILNS1_3genE4ELNS1_11target_archE910ELNS1_3gpuE8ELNS1_3repE0EEENS1_47radix_sort_onesweep_sort_config_static_selectorELNS0_4arch9wavefront6targetE1EEEvSK_.has_dyn_sized_stack, 0
	.set _ZN7rocprim17ROCPRIM_400000_NS6detail17trampoline_kernelINS0_14default_configENS1_35radix_sort_onesweep_config_selectorIiNS0_10empty_typeEEEZZNS1_29radix_sort_onesweep_iterationIS3_Lb0EN6thrust23THRUST_200600_302600_NS6detail15normal_iteratorINS9_10device_ptrIiEEEESE_PS5_SF_jNS0_19identity_decomposerENS1_16block_id_wrapperIjLb1EEEEE10hipError_tT1_PNSt15iterator_traitsISK_E10value_typeET2_T3_PNSL_ISQ_E10value_typeET4_T5_PSV_SW_PNS1_23onesweep_lookback_stateEbbT6_jjT7_P12ihipStream_tbENKUlT_T0_SK_SP_E_clIPiSE_SF_SF_EEDaS13_S14_SK_SP_EUlS13_E_NS1_11comp_targetILNS1_3genE4ELNS1_11target_archE910ELNS1_3gpuE8ELNS1_3repE0EEENS1_47radix_sort_onesweep_sort_config_static_selectorELNS0_4arch9wavefront6targetE1EEEvSK_.has_recursion, 0
	.set _ZN7rocprim17ROCPRIM_400000_NS6detail17trampoline_kernelINS0_14default_configENS1_35radix_sort_onesweep_config_selectorIiNS0_10empty_typeEEEZZNS1_29radix_sort_onesweep_iterationIS3_Lb0EN6thrust23THRUST_200600_302600_NS6detail15normal_iteratorINS9_10device_ptrIiEEEESE_PS5_SF_jNS0_19identity_decomposerENS1_16block_id_wrapperIjLb1EEEEE10hipError_tT1_PNSt15iterator_traitsISK_E10value_typeET2_T3_PNSL_ISQ_E10value_typeET4_T5_PSV_SW_PNS1_23onesweep_lookback_stateEbbT6_jjT7_P12ihipStream_tbENKUlT_T0_SK_SP_E_clIPiSE_SF_SF_EEDaS13_S14_SK_SP_EUlS13_E_NS1_11comp_targetILNS1_3genE4ELNS1_11target_archE910ELNS1_3gpuE8ELNS1_3repE0EEENS1_47radix_sort_onesweep_sort_config_static_selectorELNS0_4arch9wavefront6targetE1EEEvSK_.has_indirect_call, 0
	.section	.AMDGPU.csdata,"",@progbits
; Kernel info:
; codeLenInByte = 0
; TotalNumSgprs: 6
; NumVgprs: 0
; NumAgprs: 0
; TotalNumVgprs: 0
; ScratchSize: 0
; MemoryBound: 0
; FloatMode: 240
; IeeeMode: 1
; LDSByteSize: 0 bytes/workgroup (compile time only)
; SGPRBlocks: 0
; VGPRBlocks: 0
; NumSGPRsForWavesPerEU: 6
; NumVGPRsForWavesPerEU: 1
; AccumOffset: 4
; Occupancy: 8
; WaveLimiterHint : 0
; COMPUTE_PGM_RSRC2:SCRATCH_EN: 0
; COMPUTE_PGM_RSRC2:USER_SGPR: 2
; COMPUTE_PGM_RSRC2:TRAP_HANDLER: 0
; COMPUTE_PGM_RSRC2:TGID_X_EN: 1
; COMPUTE_PGM_RSRC2:TGID_Y_EN: 0
; COMPUTE_PGM_RSRC2:TGID_Z_EN: 0
; COMPUTE_PGM_RSRC2:TIDIG_COMP_CNT: 0
; COMPUTE_PGM_RSRC3_GFX90A:ACCUM_OFFSET: 0
; COMPUTE_PGM_RSRC3_GFX90A:TG_SPLIT: 0
	.section	.text._ZN7rocprim17ROCPRIM_400000_NS6detail17trampoline_kernelINS0_14default_configENS1_35radix_sort_onesweep_config_selectorIiNS0_10empty_typeEEEZZNS1_29radix_sort_onesweep_iterationIS3_Lb0EN6thrust23THRUST_200600_302600_NS6detail15normal_iteratorINS9_10device_ptrIiEEEESE_PS5_SF_jNS0_19identity_decomposerENS1_16block_id_wrapperIjLb1EEEEE10hipError_tT1_PNSt15iterator_traitsISK_E10value_typeET2_T3_PNSL_ISQ_E10value_typeET4_T5_PSV_SW_PNS1_23onesweep_lookback_stateEbbT6_jjT7_P12ihipStream_tbENKUlT_T0_SK_SP_E_clIPiSE_SF_SF_EEDaS13_S14_SK_SP_EUlS13_E_NS1_11comp_targetILNS1_3genE3ELNS1_11target_archE908ELNS1_3gpuE7ELNS1_3repE0EEENS1_47radix_sort_onesweep_sort_config_static_selectorELNS0_4arch9wavefront6targetE1EEEvSK_,"axG",@progbits,_ZN7rocprim17ROCPRIM_400000_NS6detail17trampoline_kernelINS0_14default_configENS1_35radix_sort_onesweep_config_selectorIiNS0_10empty_typeEEEZZNS1_29radix_sort_onesweep_iterationIS3_Lb0EN6thrust23THRUST_200600_302600_NS6detail15normal_iteratorINS9_10device_ptrIiEEEESE_PS5_SF_jNS0_19identity_decomposerENS1_16block_id_wrapperIjLb1EEEEE10hipError_tT1_PNSt15iterator_traitsISK_E10value_typeET2_T3_PNSL_ISQ_E10value_typeET4_T5_PSV_SW_PNS1_23onesweep_lookback_stateEbbT6_jjT7_P12ihipStream_tbENKUlT_T0_SK_SP_E_clIPiSE_SF_SF_EEDaS13_S14_SK_SP_EUlS13_E_NS1_11comp_targetILNS1_3genE3ELNS1_11target_archE908ELNS1_3gpuE7ELNS1_3repE0EEENS1_47radix_sort_onesweep_sort_config_static_selectorELNS0_4arch9wavefront6targetE1EEEvSK_,comdat
	.protected	_ZN7rocprim17ROCPRIM_400000_NS6detail17trampoline_kernelINS0_14default_configENS1_35radix_sort_onesweep_config_selectorIiNS0_10empty_typeEEEZZNS1_29radix_sort_onesweep_iterationIS3_Lb0EN6thrust23THRUST_200600_302600_NS6detail15normal_iteratorINS9_10device_ptrIiEEEESE_PS5_SF_jNS0_19identity_decomposerENS1_16block_id_wrapperIjLb1EEEEE10hipError_tT1_PNSt15iterator_traitsISK_E10value_typeET2_T3_PNSL_ISQ_E10value_typeET4_T5_PSV_SW_PNS1_23onesweep_lookback_stateEbbT6_jjT7_P12ihipStream_tbENKUlT_T0_SK_SP_E_clIPiSE_SF_SF_EEDaS13_S14_SK_SP_EUlS13_E_NS1_11comp_targetILNS1_3genE3ELNS1_11target_archE908ELNS1_3gpuE7ELNS1_3repE0EEENS1_47radix_sort_onesweep_sort_config_static_selectorELNS0_4arch9wavefront6targetE1EEEvSK_ ; -- Begin function _ZN7rocprim17ROCPRIM_400000_NS6detail17trampoline_kernelINS0_14default_configENS1_35radix_sort_onesweep_config_selectorIiNS0_10empty_typeEEEZZNS1_29radix_sort_onesweep_iterationIS3_Lb0EN6thrust23THRUST_200600_302600_NS6detail15normal_iteratorINS9_10device_ptrIiEEEESE_PS5_SF_jNS0_19identity_decomposerENS1_16block_id_wrapperIjLb1EEEEE10hipError_tT1_PNSt15iterator_traitsISK_E10value_typeET2_T3_PNSL_ISQ_E10value_typeET4_T5_PSV_SW_PNS1_23onesweep_lookback_stateEbbT6_jjT7_P12ihipStream_tbENKUlT_T0_SK_SP_E_clIPiSE_SF_SF_EEDaS13_S14_SK_SP_EUlS13_E_NS1_11comp_targetILNS1_3genE3ELNS1_11target_archE908ELNS1_3gpuE7ELNS1_3repE0EEENS1_47radix_sort_onesweep_sort_config_static_selectorELNS0_4arch9wavefront6targetE1EEEvSK_
	.globl	_ZN7rocprim17ROCPRIM_400000_NS6detail17trampoline_kernelINS0_14default_configENS1_35radix_sort_onesweep_config_selectorIiNS0_10empty_typeEEEZZNS1_29radix_sort_onesweep_iterationIS3_Lb0EN6thrust23THRUST_200600_302600_NS6detail15normal_iteratorINS9_10device_ptrIiEEEESE_PS5_SF_jNS0_19identity_decomposerENS1_16block_id_wrapperIjLb1EEEEE10hipError_tT1_PNSt15iterator_traitsISK_E10value_typeET2_T3_PNSL_ISQ_E10value_typeET4_T5_PSV_SW_PNS1_23onesweep_lookback_stateEbbT6_jjT7_P12ihipStream_tbENKUlT_T0_SK_SP_E_clIPiSE_SF_SF_EEDaS13_S14_SK_SP_EUlS13_E_NS1_11comp_targetILNS1_3genE3ELNS1_11target_archE908ELNS1_3gpuE7ELNS1_3repE0EEENS1_47radix_sort_onesweep_sort_config_static_selectorELNS0_4arch9wavefront6targetE1EEEvSK_
	.p2align	8
	.type	_ZN7rocprim17ROCPRIM_400000_NS6detail17trampoline_kernelINS0_14default_configENS1_35radix_sort_onesweep_config_selectorIiNS0_10empty_typeEEEZZNS1_29radix_sort_onesweep_iterationIS3_Lb0EN6thrust23THRUST_200600_302600_NS6detail15normal_iteratorINS9_10device_ptrIiEEEESE_PS5_SF_jNS0_19identity_decomposerENS1_16block_id_wrapperIjLb1EEEEE10hipError_tT1_PNSt15iterator_traitsISK_E10value_typeET2_T3_PNSL_ISQ_E10value_typeET4_T5_PSV_SW_PNS1_23onesweep_lookback_stateEbbT6_jjT7_P12ihipStream_tbENKUlT_T0_SK_SP_E_clIPiSE_SF_SF_EEDaS13_S14_SK_SP_EUlS13_E_NS1_11comp_targetILNS1_3genE3ELNS1_11target_archE908ELNS1_3gpuE7ELNS1_3repE0EEENS1_47radix_sort_onesweep_sort_config_static_selectorELNS0_4arch9wavefront6targetE1EEEvSK_,@function
_ZN7rocprim17ROCPRIM_400000_NS6detail17trampoline_kernelINS0_14default_configENS1_35radix_sort_onesweep_config_selectorIiNS0_10empty_typeEEEZZNS1_29radix_sort_onesweep_iterationIS3_Lb0EN6thrust23THRUST_200600_302600_NS6detail15normal_iteratorINS9_10device_ptrIiEEEESE_PS5_SF_jNS0_19identity_decomposerENS1_16block_id_wrapperIjLb1EEEEE10hipError_tT1_PNSt15iterator_traitsISK_E10value_typeET2_T3_PNSL_ISQ_E10value_typeET4_T5_PSV_SW_PNS1_23onesweep_lookback_stateEbbT6_jjT7_P12ihipStream_tbENKUlT_T0_SK_SP_E_clIPiSE_SF_SF_EEDaS13_S14_SK_SP_EUlS13_E_NS1_11comp_targetILNS1_3genE3ELNS1_11target_archE908ELNS1_3gpuE7ELNS1_3repE0EEENS1_47radix_sort_onesweep_sort_config_static_selectorELNS0_4arch9wavefront6targetE1EEEvSK_: ; @_ZN7rocprim17ROCPRIM_400000_NS6detail17trampoline_kernelINS0_14default_configENS1_35radix_sort_onesweep_config_selectorIiNS0_10empty_typeEEEZZNS1_29radix_sort_onesweep_iterationIS3_Lb0EN6thrust23THRUST_200600_302600_NS6detail15normal_iteratorINS9_10device_ptrIiEEEESE_PS5_SF_jNS0_19identity_decomposerENS1_16block_id_wrapperIjLb1EEEEE10hipError_tT1_PNSt15iterator_traitsISK_E10value_typeET2_T3_PNSL_ISQ_E10value_typeET4_T5_PSV_SW_PNS1_23onesweep_lookback_stateEbbT6_jjT7_P12ihipStream_tbENKUlT_T0_SK_SP_E_clIPiSE_SF_SF_EEDaS13_S14_SK_SP_EUlS13_E_NS1_11comp_targetILNS1_3genE3ELNS1_11target_archE908ELNS1_3gpuE7ELNS1_3repE0EEENS1_47radix_sort_onesweep_sort_config_static_selectorELNS0_4arch9wavefront6targetE1EEEvSK_
; %bb.0:
	.section	.rodata,"a",@progbits
	.p2align	6, 0x0
	.amdhsa_kernel _ZN7rocprim17ROCPRIM_400000_NS6detail17trampoline_kernelINS0_14default_configENS1_35radix_sort_onesweep_config_selectorIiNS0_10empty_typeEEEZZNS1_29radix_sort_onesweep_iterationIS3_Lb0EN6thrust23THRUST_200600_302600_NS6detail15normal_iteratorINS9_10device_ptrIiEEEESE_PS5_SF_jNS0_19identity_decomposerENS1_16block_id_wrapperIjLb1EEEEE10hipError_tT1_PNSt15iterator_traitsISK_E10value_typeET2_T3_PNSL_ISQ_E10value_typeET4_T5_PSV_SW_PNS1_23onesweep_lookback_stateEbbT6_jjT7_P12ihipStream_tbENKUlT_T0_SK_SP_E_clIPiSE_SF_SF_EEDaS13_S14_SK_SP_EUlS13_E_NS1_11comp_targetILNS1_3genE3ELNS1_11target_archE908ELNS1_3gpuE7ELNS1_3repE0EEENS1_47radix_sort_onesweep_sort_config_static_selectorELNS0_4arch9wavefront6targetE1EEEvSK_
		.amdhsa_group_segment_fixed_size 0
		.amdhsa_private_segment_fixed_size 0
		.amdhsa_kernarg_size 88
		.amdhsa_user_sgpr_count 2
		.amdhsa_user_sgpr_dispatch_ptr 0
		.amdhsa_user_sgpr_queue_ptr 0
		.amdhsa_user_sgpr_kernarg_segment_ptr 1
		.amdhsa_user_sgpr_dispatch_id 0
		.amdhsa_user_sgpr_kernarg_preload_length 0
		.amdhsa_user_sgpr_kernarg_preload_offset 0
		.amdhsa_user_sgpr_private_segment_size 0
		.amdhsa_uses_dynamic_stack 0
		.amdhsa_enable_private_segment 0
		.amdhsa_system_sgpr_workgroup_id_x 1
		.amdhsa_system_sgpr_workgroup_id_y 0
		.amdhsa_system_sgpr_workgroup_id_z 0
		.amdhsa_system_sgpr_workgroup_info 0
		.amdhsa_system_vgpr_workitem_id 0
		.amdhsa_next_free_vgpr 1
		.amdhsa_next_free_sgpr 0
		.amdhsa_accum_offset 4
		.amdhsa_reserve_vcc 0
		.amdhsa_float_round_mode_32 0
		.amdhsa_float_round_mode_16_64 0
		.amdhsa_float_denorm_mode_32 3
		.amdhsa_float_denorm_mode_16_64 3
		.amdhsa_dx10_clamp 1
		.amdhsa_ieee_mode 1
		.amdhsa_fp16_overflow 0
		.amdhsa_tg_split 0
		.amdhsa_exception_fp_ieee_invalid_op 0
		.amdhsa_exception_fp_denorm_src 0
		.amdhsa_exception_fp_ieee_div_zero 0
		.amdhsa_exception_fp_ieee_overflow 0
		.amdhsa_exception_fp_ieee_underflow 0
		.amdhsa_exception_fp_ieee_inexact 0
		.amdhsa_exception_int_div_zero 0
	.end_amdhsa_kernel
	.section	.text._ZN7rocprim17ROCPRIM_400000_NS6detail17trampoline_kernelINS0_14default_configENS1_35radix_sort_onesweep_config_selectorIiNS0_10empty_typeEEEZZNS1_29radix_sort_onesweep_iterationIS3_Lb0EN6thrust23THRUST_200600_302600_NS6detail15normal_iteratorINS9_10device_ptrIiEEEESE_PS5_SF_jNS0_19identity_decomposerENS1_16block_id_wrapperIjLb1EEEEE10hipError_tT1_PNSt15iterator_traitsISK_E10value_typeET2_T3_PNSL_ISQ_E10value_typeET4_T5_PSV_SW_PNS1_23onesweep_lookback_stateEbbT6_jjT7_P12ihipStream_tbENKUlT_T0_SK_SP_E_clIPiSE_SF_SF_EEDaS13_S14_SK_SP_EUlS13_E_NS1_11comp_targetILNS1_3genE3ELNS1_11target_archE908ELNS1_3gpuE7ELNS1_3repE0EEENS1_47radix_sort_onesweep_sort_config_static_selectorELNS0_4arch9wavefront6targetE1EEEvSK_,"axG",@progbits,_ZN7rocprim17ROCPRIM_400000_NS6detail17trampoline_kernelINS0_14default_configENS1_35radix_sort_onesweep_config_selectorIiNS0_10empty_typeEEEZZNS1_29radix_sort_onesweep_iterationIS3_Lb0EN6thrust23THRUST_200600_302600_NS6detail15normal_iteratorINS9_10device_ptrIiEEEESE_PS5_SF_jNS0_19identity_decomposerENS1_16block_id_wrapperIjLb1EEEEE10hipError_tT1_PNSt15iterator_traitsISK_E10value_typeET2_T3_PNSL_ISQ_E10value_typeET4_T5_PSV_SW_PNS1_23onesweep_lookback_stateEbbT6_jjT7_P12ihipStream_tbENKUlT_T0_SK_SP_E_clIPiSE_SF_SF_EEDaS13_S14_SK_SP_EUlS13_E_NS1_11comp_targetILNS1_3genE3ELNS1_11target_archE908ELNS1_3gpuE7ELNS1_3repE0EEENS1_47radix_sort_onesweep_sort_config_static_selectorELNS0_4arch9wavefront6targetE1EEEvSK_,comdat
.Lfunc_end182:
	.size	_ZN7rocprim17ROCPRIM_400000_NS6detail17trampoline_kernelINS0_14default_configENS1_35radix_sort_onesweep_config_selectorIiNS0_10empty_typeEEEZZNS1_29radix_sort_onesweep_iterationIS3_Lb0EN6thrust23THRUST_200600_302600_NS6detail15normal_iteratorINS9_10device_ptrIiEEEESE_PS5_SF_jNS0_19identity_decomposerENS1_16block_id_wrapperIjLb1EEEEE10hipError_tT1_PNSt15iterator_traitsISK_E10value_typeET2_T3_PNSL_ISQ_E10value_typeET4_T5_PSV_SW_PNS1_23onesweep_lookback_stateEbbT6_jjT7_P12ihipStream_tbENKUlT_T0_SK_SP_E_clIPiSE_SF_SF_EEDaS13_S14_SK_SP_EUlS13_E_NS1_11comp_targetILNS1_3genE3ELNS1_11target_archE908ELNS1_3gpuE7ELNS1_3repE0EEENS1_47radix_sort_onesweep_sort_config_static_selectorELNS0_4arch9wavefront6targetE1EEEvSK_, .Lfunc_end182-_ZN7rocprim17ROCPRIM_400000_NS6detail17trampoline_kernelINS0_14default_configENS1_35radix_sort_onesweep_config_selectorIiNS0_10empty_typeEEEZZNS1_29radix_sort_onesweep_iterationIS3_Lb0EN6thrust23THRUST_200600_302600_NS6detail15normal_iteratorINS9_10device_ptrIiEEEESE_PS5_SF_jNS0_19identity_decomposerENS1_16block_id_wrapperIjLb1EEEEE10hipError_tT1_PNSt15iterator_traitsISK_E10value_typeET2_T3_PNSL_ISQ_E10value_typeET4_T5_PSV_SW_PNS1_23onesweep_lookback_stateEbbT6_jjT7_P12ihipStream_tbENKUlT_T0_SK_SP_E_clIPiSE_SF_SF_EEDaS13_S14_SK_SP_EUlS13_E_NS1_11comp_targetILNS1_3genE3ELNS1_11target_archE908ELNS1_3gpuE7ELNS1_3repE0EEENS1_47radix_sort_onesweep_sort_config_static_selectorELNS0_4arch9wavefront6targetE1EEEvSK_
                                        ; -- End function
	.set _ZN7rocprim17ROCPRIM_400000_NS6detail17trampoline_kernelINS0_14default_configENS1_35radix_sort_onesweep_config_selectorIiNS0_10empty_typeEEEZZNS1_29radix_sort_onesweep_iterationIS3_Lb0EN6thrust23THRUST_200600_302600_NS6detail15normal_iteratorINS9_10device_ptrIiEEEESE_PS5_SF_jNS0_19identity_decomposerENS1_16block_id_wrapperIjLb1EEEEE10hipError_tT1_PNSt15iterator_traitsISK_E10value_typeET2_T3_PNSL_ISQ_E10value_typeET4_T5_PSV_SW_PNS1_23onesweep_lookback_stateEbbT6_jjT7_P12ihipStream_tbENKUlT_T0_SK_SP_E_clIPiSE_SF_SF_EEDaS13_S14_SK_SP_EUlS13_E_NS1_11comp_targetILNS1_3genE3ELNS1_11target_archE908ELNS1_3gpuE7ELNS1_3repE0EEENS1_47radix_sort_onesweep_sort_config_static_selectorELNS0_4arch9wavefront6targetE1EEEvSK_.num_vgpr, 0
	.set _ZN7rocprim17ROCPRIM_400000_NS6detail17trampoline_kernelINS0_14default_configENS1_35radix_sort_onesweep_config_selectorIiNS0_10empty_typeEEEZZNS1_29radix_sort_onesweep_iterationIS3_Lb0EN6thrust23THRUST_200600_302600_NS6detail15normal_iteratorINS9_10device_ptrIiEEEESE_PS5_SF_jNS0_19identity_decomposerENS1_16block_id_wrapperIjLb1EEEEE10hipError_tT1_PNSt15iterator_traitsISK_E10value_typeET2_T3_PNSL_ISQ_E10value_typeET4_T5_PSV_SW_PNS1_23onesweep_lookback_stateEbbT6_jjT7_P12ihipStream_tbENKUlT_T0_SK_SP_E_clIPiSE_SF_SF_EEDaS13_S14_SK_SP_EUlS13_E_NS1_11comp_targetILNS1_3genE3ELNS1_11target_archE908ELNS1_3gpuE7ELNS1_3repE0EEENS1_47radix_sort_onesweep_sort_config_static_selectorELNS0_4arch9wavefront6targetE1EEEvSK_.num_agpr, 0
	.set _ZN7rocprim17ROCPRIM_400000_NS6detail17trampoline_kernelINS0_14default_configENS1_35radix_sort_onesweep_config_selectorIiNS0_10empty_typeEEEZZNS1_29radix_sort_onesweep_iterationIS3_Lb0EN6thrust23THRUST_200600_302600_NS6detail15normal_iteratorINS9_10device_ptrIiEEEESE_PS5_SF_jNS0_19identity_decomposerENS1_16block_id_wrapperIjLb1EEEEE10hipError_tT1_PNSt15iterator_traitsISK_E10value_typeET2_T3_PNSL_ISQ_E10value_typeET4_T5_PSV_SW_PNS1_23onesweep_lookback_stateEbbT6_jjT7_P12ihipStream_tbENKUlT_T0_SK_SP_E_clIPiSE_SF_SF_EEDaS13_S14_SK_SP_EUlS13_E_NS1_11comp_targetILNS1_3genE3ELNS1_11target_archE908ELNS1_3gpuE7ELNS1_3repE0EEENS1_47radix_sort_onesweep_sort_config_static_selectorELNS0_4arch9wavefront6targetE1EEEvSK_.numbered_sgpr, 0
	.set _ZN7rocprim17ROCPRIM_400000_NS6detail17trampoline_kernelINS0_14default_configENS1_35radix_sort_onesweep_config_selectorIiNS0_10empty_typeEEEZZNS1_29radix_sort_onesweep_iterationIS3_Lb0EN6thrust23THRUST_200600_302600_NS6detail15normal_iteratorINS9_10device_ptrIiEEEESE_PS5_SF_jNS0_19identity_decomposerENS1_16block_id_wrapperIjLb1EEEEE10hipError_tT1_PNSt15iterator_traitsISK_E10value_typeET2_T3_PNSL_ISQ_E10value_typeET4_T5_PSV_SW_PNS1_23onesweep_lookback_stateEbbT6_jjT7_P12ihipStream_tbENKUlT_T0_SK_SP_E_clIPiSE_SF_SF_EEDaS13_S14_SK_SP_EUlS13_E_NS1_11comp_targetILNS1_3genE3ELNS1_11target_archE908ELNS1_3gpuE7ELNS1_3repE0EEENS1_47radix_sort_onesweep_sort_config_static_selectorELNS0_4arch9wavefront6targetE1EEEvSK_.num_named_barrier, 0
	.set _ZN7rocprim17ROCPRIM_400000_NS6detail17trampoline_kernelINS0_14default_configENS1_35radix_sort_onesweep_config_selectorIiNS0_10empty_typeEEEZZNS1_29radix_sort_onesweep_iterationIS3_Lb0EN6thrust23THRUST_200600_302600_NS6detail15normal_iteratorINS9_10device_ptrIiEEEESE_PS5_SF_jNS0_19identity_decomposerENS1_16block_id_wrapperIjLb1EEEEE10hipError_tT1_PNSt15iterator_traitsISK_E10value_typeET2_T3_PNSL_ISQ_E10value_typeET4_T5_PSV_SW_PNS1_23onesweep_lookback_stateEbbT6_jjT7_P12ihipStream_tbENKUlT_T0_SK_SP_E_clIPiSE_SF_SF_EEDaS13_S14_SK_SP_EUlS13_E_NS1_11comp_targetILNS1_3genE3ELNS1_11target_archE908ELNS1_3gpuE7ELNS1_3repE0EEENS1_47radix_sort_onesweep_sort_config_static_selectorELNS0_4arch9wavefront6targetE1EEEvSK_.private_seg_size, 0
	.set _ZN7rocprim17ROCPRIM_400000_NS6detail17trampoline_kernelINS0_14default_configENS1_35radix_sort_onesweep_config_selectorIiNS0_10empty_typeEEEZZNS1_29radix_sort_onesweep_iterationIS3_Lb0EN6thrust23THRUST_200600_302600_NS6detail15normal_iteratorINS9_10device_ptrIiEEEESE_PS5_SF_jNS0_19identity_decomposerENS1_16block_id_wrapperIjLb1EEEEE10hipError_tT1_PNSt15iterator_traitsISK_E10value_typeET2_T3_PNSL_ISQ_E10value_typeET4_T5_PSV_SW_PNS1_23onesweep_lookback_stateEbbT6_jjT7_P12ihipStream_tbENKUlT_T0_SK_SP_E_clIPiSE_SF_SF_EEDaS13_S14_SK_SP_EUlS13_E_NS1_11comp_targetILNS1_3genE3ELNS1_11target_archE908ELNS1_3gpuE7ELNS1_3repE0EEENS1_47radix_sort_onesweep_sort_config_static_selectorELNS0_4arch9wavefront6targetE1EEEvSK_.uses_vcc, 0
	.set _ZN7rocprim17ROCPRIM_400000_NS6detail17trampoline_kernelINS0_14default_configENS1_35radix_sort_onesweep_config_selectorIiNS0_10empty_typeEEEZZNS1_29radix_sort_onesweep_iterationIS3_Lb0EN6thrust23THRUST_200600_302600_NS6detail15normal_iteratorINS9_10device_ptrIiEEEESE_PS5_SF_jNS0_19identity_decomposerENS1_16block_id_wrapperIjLb1EEEEE10hipError_tT1_PNSt15iterator_traitsISK_E10value_typeET2_T3_PNSL_ISQ_E10value_typeET4_T5_PSV_SW_PNS1_23onesweep_lookback_stateEbbT6_jjT7_P12ihipStream_tbENKUlT_T0_SK_SP_E_clIPiSE_SF_SF_EEDaS13_S14_SK_SP_EUlS13_E_NS1_11comp_targetILNS1_3genE3ELNS1_11target_archE908ELNS1_3gpuE7ELNS1_3repE0EEENS1_47radix_sort_onesweep_sort_config_static_selectorELNS0_4arch9wavefront6targetE1EEEvSK_.uses_flat_scratch, 0
	.set _ZN7rocprim17ROCPRIM_400000_NS6detail17trampoline_kernelINS0_14default_configENS1_35radix_sort_onesweep_config_selectorIiNS0_10empty_typeEEEZZNS1_29radix_sort_onesweep_iterationIS3_Lb0EN6thrust23THRUST_200600_302600_NS6detail15normal_iteratorINS9_10device_ptrIiEEEESE_PS5_SF_jNS0_19identity_decomposerENS1_16block_id_wrapperIjLb1EEEEE10hipError_tT1_PNSt15iterator_traitsISK_E10value_typeET2_T3_PNSL_ISQ_E10value_typeET4_T5_PSV_SW_PNS1_23onesweep_lookback_stateEbbT6_jjT7_P12ihipStream_tbENKUlT_T0_SK_SP_E_clIPiSE_SF_SF_EEDaS13_S14_SK_SP_EUlS13_E_NS1_11comp_targetILNS1_3genE3ELNS1_11target_archE908ELNS1_3gpuE7ELNS1_3repE0EEENS1_47radix_sort_onesweep_sort_config_static_selectorELNS0_4arch9wavefront6targetE1EEEvSK_.has_dyn_sized_stack, 0
	.set _ZN7rocprim17ROCPRIM_400000_NS6detail17trampoline_kernelINS0_14default_configENS1_35radix_sort_onesweep_config_selectorIiNS0_10empty_typeEEEZZNS1_29radix_sort_onesweep_iterationIS3_Lb0EN6thrust23THRUST_200600_302600_NS6detail15normal_iteratorINS9_10device_ptrIiEEEESE_PS5_SF_jNS0_19identity_decomposerENS1_16block_id_wrapperIjLb1EEEEE10hipError_tT1_PNSt15iterator_traitsISK_E10value_typeET2_T3_PNSL_ISQ_E10value_typeET4_T5_PSV_SW_PNS1_23onesweep_lookback_stateEbbT6_jjT7_P12ihipStream_tbENKUlT_T0_SK_SP_E_clIPiSE_SF_SF_EEDaS13_S14_SK_SP_EUlS13_E_NS1_11comp_targetILNS1_3genE3ELNS1_11target_archE908ELNS1_3gpuE7ELNS1_3repE0EEENS1_47radix_sort_onesweep_sort_config_static_selectorELNS0_4arch9wavefront6targetE1EEEvSK_.has_recursion, 0
	.set _ZN7rocprim17ROCPRIM_400000_NS6detail17trampoline_kernelINS0_14default_configENS1_35radix_sort_onesweep_config_selectorIiNS0_10empty_typeEEEZZNS1_29radix_sort_onesweep_iterationIS3_Lb0EN6thrust23THRUST_200600_302600_NS6detail15normal_iteratorINS9_10device_ptrIiEEEESE_PS5_SF_jNS0_19identity_decomposerENS1_16block_id_wrapperIjLb1EEEEE10hipError_tT1_PNSt15iterator_traitsISK_E10value_typeET2_T3_PNSL_ISQ_E10value_typeET4_T5_PSV_SW_PNS1_23onesweep_lookback_stateEbbT6_jjT7_P12ihipStream_tbENKUlT_T0_SK_SP_E_clIPiSE_SF_SF_EEDaS13_S14_SK_SP_EUlS13_E_NS1_11comp_targetILNS1_3genE3ELNS1_11target_archE908ELNS1_3gpuE7ELNS1_3repE0EEENS1_47radix_sort_onesweep_sort_config_static_selectorELNS0_4arch9wavefront6targetE1EEEvSK_.has_indirect_call, 0
	.section	.AMDGPU.csdata,"",@progbits
; Kernel info:
; codeLenInByte = 0
; TotalNumSgprs: 6
; NumVgprs: 0
; NumAgprs: 0
; TotalNumVgprs: 0
; ScratchSize: 0
; MemoryBound: 0
; FloatMode: 240
; IeeeMode: 1
; LDSByteSize: 0 bytes/workgroup (compile time only)
; SGPRBlocks: 0
; VGPRBlocks: 0
; NumSGPRsForWavesPerEU: 6
; NumVGPRsForWavesPerEU: 1
; AccumOffset: 4
; Occupancy: 8
; WaveLimiterHint : 0
; COMPUTE_PGM_RSRC2:SCRATCH_EN: 0
; COMPUTE_PGM_RSRC2:USER_SGPR: 2
; COMPUTE_PGM_RSRC2:TRAP_HANDLER: 0
; COMPUTE_PGM_RSRC2:TGID_X_EN: 1
; COMPUTE_PGM_RSRC2:TGID_Y_EN: 0
; COMPUTE_PGM_RSRC2:TGID_Z_EN: 0
; COMPUTE_PGM_RSRC2:TIDIG_COMP_CNT: 0
; COMPUTE_PGM_RSRC3_GFX90A:ACCUM_OFFSET: 0
; COMPUTE_PGM_RSRC3_GFX90A:TG_SPLIT: 0
	.section	.text._ZN7rocprim17ROCPRIM_400000_NS6detail17trampoline_kernelINS0_14default_configENS1_35radix_sort_onesweep_config_selectorIiNS0_10empty_typeEEEZZNS1_29radix_sort_onesweep_iterationIS3_Lb0EN6thrust23THRUST_200600_302600_NS6detail15normal_iteratorINS9_10device_ptrIiEEEESE_PS5_SF_jNS0_19identity_decomposerENS1_16block_id_wrapperIjLb1EEEEE10hipError_tT1_PNSt15iterator_traitsISK_E10value_typeET2_T3_PNSL_ISQ_E10value_typeET4_T5_PSV_SW_PNS1_23onesweep_lookback_stateEbbT6_jjT7_P12ihipStream_tbENKUlT_T0_SK_SP_E_clIPiSE_SF_SF_EEDaS13_S14_SK_SP_EUlS13_E_NS1_11comp_targetILNS1_3genE10ELNS1_11target_archE1201ELNS1_3gpuE5ELNS1_3repE0EEENS1_47radix_sort_onesweep_sort_config_static_selectorELNS0_4arch9wavefront6targetE1EEEvSK_,"axG",@progbits,_ZN7rocprim17ROCPRIM_400000_NS6detail17trampoline_kernelINS0_14default_configENS1_35radix_sort_onesweep_config_selectorIiNS0_10empty_typeEEEZZNS1_29radix_sort_onesweep_iterationIS3_Lb0EN6thrust23THRUST_200600_302600_NS6detail15normal_iteratorINS9_10device_ptrIiEEEESE_PS5_SF_jNS0_19identity_decomposerENS1_16block_id_wrapperIjLb1EEEEE10hipError_tT1_PNSt15iterator_traitsISK_E10value_typeET2_T3_PNSL_ISQ_E10value_typeET4_T5_PSV_SW_PNS1_23onesweep_lookback_stateEbbT6_jjT7_P12ihipStream_tbENKUlT_T0_SK_SP_E_clIPiSE_SF_SF_EEDaS13_S14_SK_SP_EUlS13_E_NS1_11comp_targetILNS1_3genE10ELNS1_11target_archE1201ELNS1_3gpuE5ELNS1_3repE0EEENS1_47radix_sort_onesweep_sort_config_static_selectorELNS0_4arch9wavefront6targetE1EEEvSK_,comdat
	.protected	_ZN7rocprim17ROCPRIM_400000_NS6detail17trampoline_kernelINS0_14default_configENS1_35radix_sort_onesweep_config_selectorIiNS0_10empty_typeEEEZZNS1_29radix_sort_onesweep_iterationIS3_Lb0EN6thrust23THRUST_200600_302600_NS6detail15normal_iteratorINS9_10device_ptrIiEEEESE_PS5_SF_jNS0_19identity_decomposerENS1_16block_id_wrapperIjLb1EEEEE10hipError_tT1_PNSt15iterator_traitsISK_E10value_typeET2_T3_PNSL_ISQ_E10value_typeET4_T5_PSV_SW_PNS1_23onesweep_lookback_stateEbbT6_jjT7_P12ihipStream_tbENKUlT_T0_SK_SP_E_clIPiSE_SF_SF_EEDaS13_S14_SK_SP_EUlS13_E_NS1_11comp_targetILNS1_3genE10ELNS1_11target_archE1201ELNS1_3gpuE5ELNS1_3repE0EEENS1_47radix_sort_onesweep_sort_config_static_selectorELNS0_4arch9wavefront6targetE1EEEvSK_ ; -- Begin function _ZN7rocprim17ROCPRIM_400000_NS6detail17trampoline_kernelINS0_14default_configENS1_35radix_sort_onesweep_config_selectorIiNS0_10empty_typeEEEZZNS1_29radix_sort_onesweep_iterationIS3_Lb0EN6thrust23THRUST_200600_302600_NS6detail15normal_iteratorINS9_10device_ptrIiEEEESE_PS5_SF_jNS0_19identity_decomposerENS1_16block_id_wrapperIjLb1EEEEE10hipError_tT1_PNSt15iterator_traitsISK_E10value_typeET2_T3_PNSL_ISQ_E10value_typeET4_T5_PSV_SW_PNS1_23onesweep_lookback_stateEbbT6_jjT7_P12ihipStream_tbENKUlT_T0_SK_SP_E_clIPiSE_SF_SF_EEDaS13_S14_SK_SP_EUlS13_E_NS1_11comp_targetILNS1_3genE10ELNS1_11target_archE1201ELNS1_3gpuE5ELNS1_3repE0EEENS1_47radix_sort_onesweep_sort_config_static_selectorELNS0_4arch9wavefront6targetE1EEEvSK_
	.globl	_ZN7rocprim17ROCPRIM_400000_NS6detail17trampoline_kernelINS0_14default_configENS1_35radix_sort_onesweep_config_selectorIiNS0_10empty_typeEEEZZNS1_29radix_sort_onesweep_iterationIS3_Lb0EN6thrust23THRUST_200600_302600_NS6detail15normal_iteratorINS9_10device_ptrIiEEEESE_PS5_SF_jNS0_19identity_decomposerENS1_16block_id_wrapperIjLb1EEEEE10hipError_tT1_PNSt15iterator_traitsISK_E10value_typeET2_T3_PNSL_ISQ_E10value_typeET4_T5_PSV_SW_PNS1_23onesweep_lookback_stateEbbT6_jjT7_P12ihipStream_tbENKUlT_T0_SK_SP_E_clIPiSE_SF_SF_EEDaS13_S14_SK_SP_EUlS13_E_NS1_11comp_targetILNS1_3genE10ELNS1_11target_archE1201ELNS1_3gpuE5ELNS1_3repE0EEENS1_47radix_sort_onesweep_sort_config_static_selectorELNS0_4arch9wavefront6targetE1EEEvSK_
	.p2align	8
	.type	_ZN7rocprim17ROCPRIM_400000_NS6detail17trampoline_kernelINS0_14default_configENS1_35radix_sort_onesweep_config_selectorIiNS0_10empty_typeEEEZZNS1_29radix_sort_onesweep_iterationIS3_Lb0EN6thrust23THRUST_200600_302600_NS6detail15normal_iteratorINS9_10device_ptrIiEEEESE_PS5_SF_jNS0_19identity_decomposerENS1_16block_id_wrapperIjLb1EEEEE10hipError_tT1_PNSt15iterator_traitsISK_E10value_typeET2_T3_PNSL_ISQ_E10value_typeET4_T5_PSV_SW_PNS1_23onesweep_lookback_stateEbbT6_jjT7_P12ihipStream_tbENKUlT_T0_SK_SP_E_clIPiSE_SF_SF_EEDaS13_S14_SK_SP_EUlS13_E_NS1_11comp_targetILNS1_3genE10ELNS1_11target_archE1201ELNS1_3gpuE5ELNS1_3repE0EEENS1_47radix_sort_onesweep_sort_config_static_selectorELNS0_4arch9wavefront6targetE1EEEvSK_,@function
_ZN7rocprim17ROCPRIM_400000_NS6detail17trampoline_kernelINS0_14default_configENS1_35radix_sort_onesweep_config_selectorIiNS0_10empty_typeEEEZZNS1_29radix_sort_onesweep_iterationIS3_Lb0EN6thrust23THRUST_200600_302600_NS6detail15normal_iteratorINS9_10device_ptrIiEEEESE_PS5_SF_jNS0_19identity_decomposerENS1_16block_id_wrapperIjLb1EEEEE10hipError_tT1_PNSt15iterator_traitsISK_E10value_typeET2_T3_PNSL_ISQ_E10value_typeET4_T5_PSV_SW_PNS1_23onesweep_lookback_stateEbbT6_jjT7_P12ihipStream_tbENKUlT_T0_SK_SP_E_clIPiSE_SF_SF_EEDaS13_S14_SK_SP_EUlS13_E_NS1_11comp_targetILNS1_3genE10ELNS1_11target_archE1201ELNS1_3gpuE5ELNS1_3repE0EEENS1_47radix_sort_onesweep_sort_config_static_selectorELNS0_4arch9wavefront6targetE1EEEvSK_: ; @_ZN7rocprim17ROCPRIM_400000_NS6detail17trampoline_kernelINS0_14default_configENS1_35radix_sort_onesweep_config_selectorIiNS0_10empty_typeEEEZZNS1_29radix_sort_onesweep_iterationIS3_Lb0EN6thrust23THRUST_200600_302600_NS6detail15normal_iteratorINS9_10device_ptrIiEEEESE_PS5_SF_jNS0_19identity_decomposerENS1_16block_id_wrapperIjLb1EEEEE10hipError_tT1_PNSt15iterator_traitsISK_E10value_typeET2_T3_PNSL_ISQ_E10value_typeET4_T5_PSV_SW_PNS1_23onesweep_lookback_stateEbbT6_jjT7_P12ihipStream_tbENKUlT_T0_SK_SP_E_clIPiSE_SF_SF_EEDaS13_S14_SK_SP_EUlS13_E_NS1_11comp_targetILNS1_3genE10ELNS1_11target_archE1201ELNS1_3gpuE5ELNS1_3repE0EEENS1_47radix_sort_onesweep_sort_config_static_selectorELNS0_4arch9wavefront6targetE1EEEvSK_
; %bb.0:
	.section	.rodata,"a",@progbits
	.p2align	6, 0x0
	.amdhsa_kernel _ZN7rocprim17ROCPRIM_400000_NS6detail17trampoline_kernelINS0_14default_configENS1_35radix_sort_onesweep_config_selectorIiNS0_10empty_typeEEEZZNS1_29radix_sort_onesweep_iterationIS3_Lb0EN6thrust23THRUST_200600_302600_NS6detail15normal_iteratorINS9_10device_ptrIiEEEESE_PS5_SF_jNS0_19identity_decomposerENS1_16block_id_wrapperIjLb1EEEEE10hipError_tT1_PNSt15iterator_traitsISK_E10value_typeET2_T3_PNSL_ISQ_E10value_typeET4_T5_PSV_SW_PNS1_23onesweep_lookback_stateEbbT6_jjT7_P12ihipStream_tbENKUlT_T0_SK_SP_E_clIPiSE_SF_SF_EEDaS13_S14_SK_SP_EUlS13_E_NS1_11comp_targetILNS1_3genE10ELNS1_11target_archE1201ELNS1_3gpuE5ELNS1_3repE0EEENS1_47radix_sort_onesweep_sort_config_static_selectorELNS0_4arch9wavefront6targetE1EEEvSK_
		.amdhsa_group_segment_fixed_size 0
		.amdhsa_private_segment_fixed_size 0
		.amdhsa_kernarg_size 88
		.amdhsa_user_sgpr_count 2
		.amdhsa_user_sgpr_dispatch_ptr 0
		.amdhsa_user_sgpr_queue_ptr 0
		.amdhsa_user_sgpr_kernarg_segment_ptr 1
		.amdhsa_user_sgpr_dispatch_id 0
		.amdhsa_user_sgpr_kernarg_preload_length 0
		.amdhsa_user_sgpr_kernarg_preload_offset 0
		.amdhsa_user_sgpr_private_segment_size 0
		.amdhsa_uses_dynamic_stack 0
		.amdhsa_enable_private_segment 0
		.amdhsa_system_sgpr_workgroup_id_x 1
		.amdhsa_system_sgpr_workgroup_id_y 0
		.amdhsa_system_sgpr_workgroup_id_z 0
		.amdhsa_system_sgpr_workgroup_info 0
		.amdhsa_system_vgpr_workitem_id 0
		.amdhsa_next_free_vgpr 1
		.amdhsa_next_free_sgpr 0
		.amdhsa_accum_offset 4
		.amdhsa_reserve_vcc 0
		.amdhsa_float_round_mode_32 0
		.amdhsa_float_round_mode_16_64 0
		.amdhsa_float_denorm_mode_32 3
		.amdhsa_float_denorm_mode_16_64 3
		.amdhsa_dx10_clamp 1
		.amdhsa_ieee_mode 1
		.amdhsa_fp16_overflow 0
		.amdhsa_tg_split 0
		.amdhsa_exception_fp_ieee_invalid_op 0
		.amdhsa_exception_fp_denorm_src 0
		.amdhsa_exception_fp_ieee_div_zero 0
		.amdhsa_exception_fp_ieee_overflow 0
		.amdhsa_exception_fp_ieee_underflow 0
		.amdhsa_exception_fp_ieee_inexact 0
		.amdhsa_exception_int_div_zero 0
	.end_amdhsa_kernel
	.section	.text._ZN7rocprim17ROCPRIM_400000_NS6detail17trampoline_kernelINS0_14default_configENS1_35radix_sort_onesweep_config_selectorIiNS0_10empty_typeEEEZZNS1_29radix_sort_onesweep_iterationIS3_Lb0EN6thrust23THRUST_200600_302600_NS6detail15normal_iteratorINS9_10device_ptrIiEEEESE_PS5_SF_jNS0_19identity_decomposerENS1_16block_id_wrapperIjLb1EEEEE10hipError_tT1_PNSt15iterator_traitsISK_E10value_typeET2_T3_PNSL_ISQ_E10value_typeET4_T5_PSV_SW_PNS1_23onesweep_lookback_stateEbbT6_jjT7_P12ihipStream_tbENKUlT_T0_SK_SP_E_clIPiSE_SF_SF_EEDaS13_S14_SK_SP_EUlS13_E_NS1_11comp_targetILNS1_3genE10ELNS1_11target_archE1201ELNS1_3gpuE5ELNS1_3repE0EEENS1_47radix_sort_onesweep_sort_config_static_selectorELNS0_4arch9wavefront6targetE1EEEvSK_,"axG",@progbits,_ZN7rocprim17ROCPRIM_400000_NS6detail17trampoline_kernelINS0_14default_configENS1_35radix_sort_onesweep_config_selectorIiNS0_10empty_typeEEEZZNS1_29radix_sort_onesweep_iterationIS3_Lb0EN6thrust23THRUST_200600_302600_NS6detail15normal_iteratorINS9_10device_ptrIiEEEESE_PS5_SF_jNS0_19identity_decomposerENS1_16block_id_wrapperIjLb1EEEEE10hipError_tT1_PNSt15iterator_traitsISK_E10value_typeET2_T3_PNSL_ISQ_E10value_typeET4_T5_PSV_SW_PNS1_23onesweep_lookback_stateEbbT6_jjT7_P12ihipStream_tbENKUlT_T0_SK_SP_E_clIPiSE_SF_SF_EEDaS13_S14_SK_SP_EUlS13_E_NS1_11comp_targetILNS1_3genE10ELNS1_11target_archE1201ELNS1_3gpuE5ELNS1_3repE0EEENS1_47radix_sort_onesweep_sort_config_static_selectorELNS0_4arch9wavefront6targetE1EEEvSK_,comdat
.Lfunc_end183:
	.size	_ZN7rocprim17ROCPRIM_400000_NS6detail17trampoline_kernelINS0_14default_configENS1_35radix_sort_onesweep_config_selectorIiNS0_10empty_typeEEEZZNS1_29radix_sort_onesweep_iterationIS3_Lb0EN6thrust23THRUST_200600_302600_NS6detail15normal_iteratorINS9_10device_ptrIiEEEESE_PS5_SF_jNS0_19identity_decomposerENS1_16block_id_wrapperIjLb1EEEEE10hipError_tT1_PNSt15iterator_traitsISK_E10value_typeET2_T3_PNSL_ISQ_E10value_typeET4_T5_PSV_SW_PNS1_23onesweep_lookback_stateEbbT6_jjT7_P12ihipStream_tbENKUlT_T0_SK_SP_E_clIPiSE_SF_SF_EEDaS13_S14_SK_SP_EUlS13_E_NS1_11comp_targetILNS1_3genE10ELNS1_11target_archE1201ELNS1_3gpuE5ELNS1_3repE0EEENS1_47radix_sort_onesweep_sort_config_static_selectorELNS0_4arch9wavefront6targetE1EEEvSK_, .Lfunc_end183-_ZN7rocprim17ROCPRIM_400000_NS6detail17trampoline_kernelINS0_14default_configENS1_35radix_sort_onesweep_config_selectorIiNS0_10empty_typeEEEZZNS1_29radix_sort_onesweep_iterationIS3_Lb0EN6thrust23THRUST_200600_302600_NS6detail15normal_iteratorINS9_10device_ptrIiEEEESE_PS5_SF_jNS0_19identity_decomposerENS1_16block_id_wrapperIjLb1EEEEE10hipError_tT1_PNSt15iterator_traitsISK_E10value_typeET2_T3_PNSL_ISQ_E10value_typeET4_T5_PSV_SW_PNS1_23onesweep_lookback_stateEbbT6_jjT7_P12ihipStream_tbENKUlT_T0_SK_SP_E_clIPiSE_SF_SF_EEDaS13_S14_SK_SP_EUlS13_E_NS1_11comp_targetILNS1_3genE10ELNS1_11target_archE1201ELNS1_3gpuE5ELNS1_3repE0EEENS1_47radix_sort_onesweep_sort_config_static_selectorELNS0_4arch9wavefront6targetE1EEEvSK_
                                        ; -- End function
	.set _ZN7rocprim17ROCPRIM_400000_NS6detail17trampoline_kernelINS0_14default_configENS1_35radix_sort_onesweep_config_selectorIiNS0_10empty_typeEEEZZNS1_29radix_sort_onesweep_iterationIS3_Lb0EN6thrust23THRUST_200600_302600_NS6detail15normal_iteratorINS9_10device_ptrIiEEEESE_PS5_SF_jNS0_19identity_decomposerENS1_16block_id_wrapperIjLb1EEEEE10hipError_tT1_PNSt15iterator_traitsISK_E10value_typeET2_T3_PNSL_ISQ_E10value_typeET4_T5_PSV_SW_PNS1_23onesweep_lookback_stateEbbT6_jjT7_P12ihipStream_tbENKUlT_T0_SK_SP_E_clIPiSE_SF_SF_EEDaS13_S14_SK_SP_EUlS13_E_NS1_11comp_targetILNS1_3genE10ELNS1_11target_archE1201ELNS1_3gpuE5ELNS1_3repE0EEENS1_47radix_sort_onesweep_sort_config_static_selectorELNS0_4arch9wavefront6targetE1EEEvSK_.num_vgpr, 0
	.set _ZN7rocprim17ROCPRIM_400000_NS6detail17trampoline_kernelINS0_14default_configENS1_35radix_sort_onesweep_config_selectorIiNS0_10empty_typeEEEZZNS1_29radix_sort_onesweep_iterationIS3_Lb0EN6thrust23THRUST_200600_302600_NS6detail15normal_iteratorINS9_10device_ptrIiEEEESE_PS5_SF_jNS0_19identity_decomposerENS1_16block_id_wrapperIjLb1EEEEE10hipError_tT1_PNSt15iterator_traitsISK_E10value_typeET2_T3_PNSL_ISQ_E10value_typeET4_T5_PSV_SW_PNS1_23onesweep_lookback_stateEbbT6_jjT7_P12ihipStream_tbENKUlT_T0_SK_SP_E_clIPiSE_SF_SF_EEDaS13_S14_SK_SP_EUlS13_E_NS1_11comp_targetILNS1_3genE10ELNS1_11target_archE1201ELNS1_3gpuE5ELNS1_3repE0EEENS1_47radix_sort_onesweep_sort_config_static_selectorELNS0_4arch9wavefront6targetE1EEEvSK_.num_agpr, 0
	.set _ZN7rocprim17ROCPRIM_400000_NS6detail17trampoline_kernelINS0_14default_configENS1_35radix_sort_onesweep_config_selectorIiNS0_10empty_typeEEEZZNS1_29radix_sort_onesweep_iterationIS3_Lb0EN6thrust23THRUST_200600_302600_NS6detail15normal_iteratorINS9_10device_ptrIiEEEESE_PS5_SF_jNS0_19identity_decomposerENS1_16block_id_wrapperIjLb1EEEEE10hipError_tT1_PNSt15iterator_traitsISK_E10value_typeET2_T3_PNSL_ISQ_E10value_typeET4_T5_PSV_SW_PNS1_23onesweep_lookback_stateEbbT6_jjT7_P12ihipStream_tbENKUlT_T0_SK_SP_E_clIPiSE_SF_SF_EEDaS13_S14_SK_SP_EUlS13_E_NS1_11comp_targetILNS1_3genE10ELNS1_11target_archE1201ELNS1_3gpuE5ELNS1_3repE0EEENS1_47radix_sort_onesweep_sort_config_static_selectorELNS0_4arch9wavefront6targetE1EEEvSK_.numbered_sgpr, 0
	.set _ZN7rocprim17ROCPRIM_400000_NS6detail17trampoline_kernelINS0_14default_configENS1_35radix_sort_onesweep_config_selectorIiNS0_10empty_typeEEEZZNS1_29radix_sort_onesweep_iterationIS3_Lb0EN6thrust23THRUST_200600_302600_NS6detail15normal_iteratorINS9_10device_ptrIiEEEESE_PS5_SF_jNS0_19identity_decomposerENS1_16block_id_wrapperIjLb1EEEEE10hipError_tT1_PNSt15iterator_traitsISK_E10value_typeET2_T3_PNSL_ISQ_E10value_typeET4_T5_PSV_SW_PNS1_23onesweep_lookback_stateEbbT6_jjT7_P12ihipStream_tbENKUlT_T0_SK_SP_E_clIPiSE_SF_SF_EEDaS13_S14_SK_SP_EUlS13_E_NS1_11comp_targetILNS1_3genE10ELNS1_11target_archE1201ELNS1_3gpuE5ELNS1_3repE0EEENS1_47radix_sort_onesweep_sort_config_static_selectorELNS0_4arch9wavefront6targetE1EEEvSK_.num_named_barrier, 0
	.set _ZN7rocprim17ROCPRIM_400000_NS6detail17trampoline_kernelINS0_14default_configENS1_35radix_sort_onesweep_config_selectorIiNS0_10empty_typeEEEZZNS1_29radix_sort_onesweep_iterationIS3_Lb0EN6thrust23THRUST_200600_302600_NS6detail15normal_iteratorINS9_10device_ptrIiEEEESE_PS5_SF_jNS0_19identity_decomposerENS1_16block_id_wrapperIjLb1EEEEE10hipError_tT1_PNSt15iterator_traitsISK_E10value_typeET2_T3_PNSL_ISQ_E10value_typeET4_T5_PSV_SW_PNS1_23onesweep_lookback_stateEbbT6_jjT7_P12ihipStream_tbENKUlT_T0_SK_SP_E_clIPiSE_SF_SF_EEDaS13_S14_SK_SP_EUlS13_E_NS1_11comp_targetILNS1_3genE10ELNS1_11target_archE1201ELNS1_3gpuE5ELNS1_3repE0EEENS1_47radix_sort_onesweep_sort_config_static_selectorELNS0_4arch9wavefront6targetE1EEEvSK_.private_seg_size, 0
	.set _ZN7rocprim17ROCPRIM_400000_NS6detail17trampoline_kernelINS0_14default_configENS1_35radix_sort_onesweep_config_selectorIiNS0_10empty_typeEEEZZNS1_29radix_sort_onesweep_iterationIS3_Lb0EN6thrust23THRUST_200600_302600_NS6detail15normal_iteratorINS9_10device_ptrIiEEEESE_PS5_SF_jNS0_19identity_decomposerENS1_16block_id_wrapperIjLb1EEEEE10hipError_tT1_PNSt15iterator_traitsISK_E10value_typeET2_T3_PNSL_ISQ_E10value_typeET4_T5_PSV_SW_PNS1_23onesweep_lookback_stateEbbT6_jjT7_P12ihipStream_tbENKUlT_T0_SK_SP_E_clIPiSE_SF_SF_EEDaS13_S14_SK_SP_EUlS13_E_NS1_11comp_targetILNS1_3genE10ELNS1_11target_archE1201ELNS1_3gpuE5ELNS1_3repE0EEENS1_47radix_sort_onesweep_sort_config_static_selectorELNS0_4arch9wavefront6targetE1EEEvSK_.uses_vcc, 0
	.set _ZN7rocprim17ROCPRIM_400000_NS6detail17trampoline_kernelINS0_14default_configENS1_35radix_sort_onesweep_config_selectorIiNS0_10empty_typeEEEZZNS1_29radix_sort_onesweep_iterationIS3_Lb0EN6thrust23THRUST_200600_302600_NS6detail15normal_iteratorINS9_10device_ptrIiEEEESE_PS5_SF_jNS0_19identity_decomposerENS1_16block_id_wrapperIjLb1EEEEE10hipError_tT1_PNSt15iterator_traitsISK_E10value_typeET2_T3_PNSL_ISQ_E10value_typeET4_T5_PSV_SW_PNS1_23onesweep_lookback_stateEbbT6_jjT7_P12ihipStream_tbENKUlT_T0_SK_SP_E_clIPiSE_SF_SF_EEDaS13_S14_SK_SP_EUlS13_E_NS1_11comp_targetILNS1_3genE10ELNS1_11target_archE1201ELNS1_3gpuE5ELNS1_3repE0EEENS1_47radix_sort_onesweep_sort_config_static_selectorELNS0_4arch9wavefront6targetE1EEEvSK_.uses_flat_scratch, 0
	.set _ZN7rocprim17ROCPRIM_400000_NS6detail17trampoline_kernelINS0_14default_configENS1_35radix_sort_onesweep_config_selectorIiNS0_10empty_typeEEEZZNS1_29radix_sort_onesweep_iterationIS3_Lb0EN6thrust23THRUST_200600_302600_NS6detail15normal_iteratorINS9_10device_ptrIiEEEESE_PS5_SF_jNS0_19identity_decomposerENS1_16block_id_wrapperIjLb1EEEEE10hipError_tT1_PNSt15iterator_traitsISK_E10value_typeET2_T3_PNSL_ISQ_E10value_typeET4_T5_PSV_SW_PNS1_23onesweep_lookback_stateEbbT6_jjT7_P12ihipStream_tbENKUlT_T0_SK_SP_E_clIPiSE_SF_SF_EEDaS13_S14_SK_SP_EUlS13_E_NS1_11comp_targetILNS1_3genE10ELNS1_11target_archE1201ELNS1_3gpuE5ELNS1_3repE0EEENS1_47radix_sort_onesweep_sort_config_static_selectorELNS0_4arch9wavefront6targetE1EEEvSK_.has_dyn_sized_stack, 0
	.set _ZN7rocprim17ROCPRIM_400000_NS6detail17trampoline_kernelINS0_14default_configENS1_35radix_sort_onesweep_config_selectorIiNS0_10empty_typeEEEZZNS1_29radix_sort_onesweep_iterationIS3_Lb0EN6thrust23THRUST_200600_302600_NS6detail15normal_iteratorINS9_10device_ptrIiEEEESE_PS5_SF_jNS0_19identity_decomposerENS1_16block_id_wrapperIjLb1EEEEE10hipError_tT1_PNSt15iterator_traitsISK_E10value_typeET2_T3_PNSL_ISQ_E10value_typeET4_T5_PSV_SW_PNS1_23onesweep_lookback_stateEbbT6_jjT7_P12ihipStream_tbENKUlT_T0_SK_SP_E_clIPiSE_SF_SF_EEDaS13_S14_SK_SP_EUlS13_E_NS1_11comp_targetILNS1_3genE10ELNS1_11target_archE1201ELNS1_3gpuE5ELNS1_3repE0EEENS1_47radix_sort_onesweep_sort_config_static_selectorELNS0_4arch9wavefront6targetE1EEEvSK_.has_recursion, 0
	.set _ZN7rocprim17ROCPRIM_400000_NS6detail17trampoline_kernelINS0_14default_configENS1_35radix_sort_onesweep_config_selectorIiNS0_10empty_typeEEEZZNS1_29radix_sort_onesweep_iterationIS3_Lb0EN6thrust23THRUST_200600_302600_NS6detail15normal_iteratorINS9_10device_ptrIiEEEESE_PS5_SF_jNS0_19identity_decomposerENS1_16block_id_wrapperIjLb1EEEEE10hipError_tT1_PNSt15iterator_traitsISK_E10value_typeET2_T3_PNSL_ISQ_E10value_typeET4_T5_PSV_SW_PNS1_23onesweep_lookback_stateEbbT6_jjT7_P12ihipStream_tbENKUlT_T0_SK_SP_E_clIPiSE_SF_SF_EEDaS13_S14_SK_SP_EUlS13_E_NS1_11comp_targetILNS1_3genE10ELNS1_11target_archE1201ELNS1_3gpuE5ELNS1_3repE0EEENS1_47radix_sort_onesweep_sort_config_static_selectorELNS0_4arch9wavefront6targetE1EEEvSK_.has_indirect_call, 0
	.section	.AMDGPU.csdata,"",@progbits
; Kernel info:
; codeLenInByte = 0
; TotalNumSgprs: 6
; NumVgprs: 0
; NumAgprs: 0
; TotalNumVgprs: 0
; ScratchSize: 0
; MemoryBound: 0
; FloatMode: 240
; IeeeMode: 1
; LDSByteSize: 0 bytes/workgroup (compile time only)
; SGPRBlocks: 0
; VGPRBlocks: 0
; NumSGPRsForWavesPerEU: 6
; NumVGPRsForWavesPerEU: 1
; AccumOffset: 4
; Occupancy: 8
; WaveLimiterHint : 0
; COMPUTE_PGM_RSRC2:SCRATCH_EN: 0
; COMPUTE_PGM_RSRC2:USER_SGPR: 2
; COMPUTE_PGM_RSRC2:TRAP_HANDLER: 0
; COMPUTE_PGM_RSRC2:TGID_X_EN: 1
; COMPUTE_PGM_RSRC2:TGID_Y_EN: 0
; COMPUTE_PGM_RSRC2:TGID_Z_EN: 0
; COMPUTE_PGM_RSRC2:TIDIG_COMP_CNT: 0
; COMPUTE_PGM_RSRC3_GFX90A:ACCUM_OFFSET: 0
; COMPUTE_PGM_RSRC3_GFX90A:TG_SPLIT: 0
	.section	.text._ZN7rocprim17ROCPRIM_400000_NS6detail17trampoline_kernelINS0_14default_configENS1_35radix_sort_onesweep_config_selectorIiNS0_10empty_typeEEEZZNS1_29radix_sort_onesweep_iterationIS3_Lb0EN6thrust23THRUST_200600_302600_NS6detail15normal_iteratorINS9_10device_ptrIiEEEESE_PS5_SF_jNS0_19identity_decomposerENS1_16block_id_wrapperIjLb1EEEEE10hipError_tT1_PNSt15iterator_traitsISK_E10value_typeET2_T3_PNSL_ISQ_E10value_typeET4_T5_PSV_SW_PNS1_23onesweep_lookback_stateEbbT6_jjT7_P12ihipStream_tbENKUlT_T0_SK_SP_E_clIPiSE_SF_SF_EEDaS13_S14_SK_SP_EUlS13_E_NS1_11comp_targetILNS1_3genE9ELNS1_11target_archE1100ELNS1_3gpuE3ELNS1_3repE0EEENS1_47radix_sort_onesweep_sort_config_static_selectorELNS0_4arch9wavefront6targetE1EEEvSK_,"axG",@progbits,_ZN7rocprim17ROCPRIM_400000_NS6detail17trampoline_kernelINS0_14default_configENS1_35radix_sort_onesweep_config_selectorIiNS0_10empty_typeEEEZZNS1_29radix_sort_onesweep_iterationIS3_Lb0EN6thrust23THRUST_200600_302600_NS6detail15normal_iteratorINS9_10device_ptrIiEEEESE_PS5_SF_jNS0_19identity_decomposerENS1_16block_id_wrapperIjLb1EEEEE10hipError_tT1_PNSt15iterator_traitsISK_E10value_typeET2_T3_PNSL_ISQ_E10value_typeET4_T5_PSV_SW_PNS1_23onesweep_lookback_stateEbbT6_jjT7_P12ihipStream_tbENKUlT_T0_SK_SP_E_clIPiSE_SF_SF_EEDaS13_S14_SK_SP_EUlS13_E_NS1_11comp_targetILNS1_3genE9ELNS1_11target_archE1100ELNS1_3gpuE3ELNS1_3repE0EEENS1_47radix_sort_onesweep_sort_config_static_selectorELNS0_4arch9wavefront6targetE1EEEvSK_,comdat
	.protected	_ZN7rocprim17ROCPRIM_400000_NS6detail17trampoline_kernelINS0_14default_configENS1_35radix_sort_onesweep_config_selectorIiNS0_10empty_typeEEEZZNS1_29radix_sort_onesweep_iterationIS3_Lb0EN6thrust23THRUST_200600_302600_NS6detail15normal_iteratorINS9_10device_ptrIiEEEESE_PS5_SF_jNS0_19identity_decomposerENS1_16block_id_wrapperIjLb1EEEEE10hipError_tT1_PNSt15iterator_traitsISK_E10value_typeET2_T3_PNSL_ISQ_E10value_typeET4_T5_PSV_SW_PNS1_23onesweep_lookback_stateEbbT6_jjT7_P12ihipStream_tbENKUlT_T0_SK_SP_E_clIPiSE_SF_SF_EEDaS13_S14_SK_SP_EUlS13_E_NS1_11comp_targetILNS1_3genE9ELNS1_11target_archE1100ELNS1_3gpuE3ELNS1_3repE0EEENS1_47radix_sort_onesweep_sort_config_static_selectorELNS0_4arch9wavefront6targetE1EEEvSK_ ; -- Begin function _ZN7rocprim17ROCPRIM_400000_NS6detail17trampoline_kernelINS0_14default_configENS1_35radix_sort_onesweep_config_selectorIiNS0_10empty_typeEEEZZNS1_29radix_sort_onesweep_iterationIS3_Lb0EN6thrust23THRUST_200600_302600_NS6detail15normal_iteratorINS9_10device_ptrIiEEEESE_PS5_SF_jNS0_19identity_decomposerENS1_16block_id_wrapperIjLb1EEEEE10hipError_tT1_PNSt15iterator_traitsISK_E10value_typeET2_T3_PNSL_ISQ_E10value_typeET4_T5_PSV_SW_PNS1_23onesweep_lookback_stateEbbT6_jjT7_P12ihipStream_tbENKUlT_T0_SK_SP_E_clIPiSE_SF_SF_EEDaS13_S14_SK_SP_EUlS13_E_NS1_11comp_targetILNS1_3genE9ELNS1_11target_archE1100ELNS1_3gpuE3ELNS1_3repE0EEENS1_47radix_sort_onesweep_sort_config_static_selectorELNS0_4arch9wavefront6targetE1EEEvSK_
	.globl	_ZN7rocprim17ROCPRIM_400000_NS6detail17trampoline_kernelINS0_14default_configENS1_35radix_sort_onesweep_config_selectorIiNS0_10empty_typeEEEZZNS1_29radix_sort_onesweep_iterationIS3_Lb0EN6thrust23THRUST_200600_302600_NS6detail15normal_iteratorINS9_10device_ptrIiEEEESE_PS5_SF_jNS0_19identity_decomposerENS1_16block_id_wrapperIjLb1EEEEE10hipError_tT1_PNSt15iterator_traitsISK_E10value_typeET2_T3_PNSL_ISQ_E10value_typeET4_T5_PSV_SW_PNS1_23onesweep_lookback_stateEbbT6_jjT7_P12ihipStream_tbENKUlT_T0_SK_SP_E_clIPiSE_SF_SF_EEDaS13_S14_SK_SP_EUlS13_E_NS1_11comp_targetILNS1_3genE9ELNS1_11target_archE1100ELNS1_3gpuE3ELNS1_3repE0EEENS1_47radix_sort_onesweep_sort_config_static_selectorELNS0_4arch9wavefront6targetE1EEEvSK_
	.p2align	8
	.type	_ZN7rocprim17ROCPRIM_400000_NS6detail17trampoline_kernelINS0_14default_configENS1_35radix_sort_onesweep_config_selectorIiNS0_10empty_typeEEEZZNS1_29radix_sort_onesweep_iterationIS3_Lb0EN6thrust23THRUST_200600_302600_NS6detail15normal_iteratorINS9_10device_ptrIiEEEESE_PS5_SF_jNS0_19identity_decomposerENS1_16block_id_wrapperIjLb1EEEEE10hipError_tT1_PNSt15iterator_traitsISK_E10value_typeET2_T3_PNSL_ISQ_E10value_typeET4_T5_PSV_SW_PNS1_23onesweep_lookback_stateEbbT6_jjT7_P12ihipStream_tbENKUlT_T0_SK_SP_E_clIPiSE_SF_SF_EEDaS13_S14_SK_SP_EUlS13_E_NS1_11comp_targetILNS1_3genE9ELNS1_11target_archE1100ELNS1_3gpuE3ELNS1_3repE0EEENS1_47radix_sort_onesweep_sort_config_static_selectorELNS0_4arch9wavefront6targetE1EEEvSK_,@function
_ZN7rocprim17ROCPRIM_400000_NS6detail17trampoline_kernelINS0_14default_configENS1_35radix_sort_onesweep_config_selectorIiNS0_10empty_typeEEEZZNS1_29radix_sort_onesweep_iterationIS3_Lb0EN6thrust23THRUST_200600_302600_NS6detail15normal_iteratorINS9_10device_ptrIiEEEESE_PS5_SF_jNS0_19identity_decomposerENS1_16block_id_wrapperIjLb1EEEEE10hipError_tT1_PNSt15iterator_traitsISK_E10value_typeET2_T3_PNSL_ISQ_E10value_typeET4_T5_PSV_SW_PNS1_23onesweep_lookback_stateEbbT6_jjT7_P12ihipStream_tbENKUlT_T0_SK_SP_E_clIPiSE_SF_SF_EEDaS13_S14_SK_SP_EUlS13_E_NS1_11comp_targetILNS1_3genE9ELNS1_11target_archE1100ELNS1_3gpuE3ELNS1_3repE0EEENS1_47radix_sort_onesweep_sort_config_static_selectorELNS0_4arch9wavefront6targetE1EEEvSK_: ; @_ZN7rocprim17ROCPRIM_400000_NS6detail17trampoline_kernelINS0_14default_configENS1_35radix_sort_onesweep_config_selectorIiNS0_10empty_typeEEEZZNS1_29radix_sort_onesweep_iterationIS3_Lb0EN6thrust23THRUST_200600_302600_NS6detail15normal_iteratorINS9_10device_ptrIiEEEESE_PS5_SF_jNS0_19identity_decomposerENS1_16block_id_wrapperIjLb1EEEEE10hipError_tT1_PNSt15iterator_traitsISK_E10value_typeET2_T3_PNSL_ISQ_E10value_typeET4_T5_PSV_SW_PNS1_23onesweep_lookback_stateEbbT6_jjT7_P12ihipStream_tbENKUlT_T0_SK_SP_E_clIPiSE_SF_SF_EEDaS13_S14_SK_SP_EUlS13_E_NS1_11comp_targetILNS1_3genE9ELNS1_11target_archE1100ELNS1_3gpuE3ELNS1_3repE0EEENS1_47radix_sort_onesweep_sort_config_static_selectorELNS0_4arch9wavefront6targetE1EEEvSK_
; %bb.0:
	.section	.rodata,"a",@progbits
	.p2align	6, 0x0
	.amdhsa_kernel _ZN7rocprim17ROCPRIM_400000_NS6detail17trampoline_kernelINS0_14default_configENS1_35radix_sort_onesweep_config_selectorIiNS0_10empty_typeEEEZZNS1_29radix_sort_onesweep_iterationIS3_Lb0EN6thrust23THRUST_200600_302600_NS6detail15normal_iteratorINS9_10device_ptrIiEEEESE_PS5_SF_jNS0_19identity_decomposerENS1_16block_id_wrapperIjLb1EEEEE10hipError_tT1_PNSt15iterator_traitsISK_E10value_typeET2_T3_PNSL_ISQ_E10value_typeET4_T5_PSV_SW_PNS1_23onesweep_lookback_stateEbbT6_jjT7_P12ihipStream_tbENKUlT_T0_SK_SP_E_clIPiSE_SF_SF_EEDaS13_S14_SK_SP_EUlS13_E_NS1_11comp_targetILNS1_3genE9ELNS1_11target_archE1100ELNS1_3gpuE3ELNS1_3repE0EEENS1_47radix_sort_onesweep_sort_config_static_selectorELNS0_4arch9wavefront6targetE1EEEvSK_
		.amdhsa_group_segment_fixed_size 0
		.amdhsa_private_segment_fixed_size 0
		.amdhsa_kernarg_size 88
		.amdhsa_user_sgpr_count 2
		.amdhsa_user_sgpr_dispatch_ptr 0
		.amdhsa_user_sgpr_queue_ptr 0
		.amdhsa_user_sgpr_kernarg_segment_ptr 1
		.amdhsa_user_sgpr_dispatch_id 0
		.amdhsa_user_sgpr_kernarg_preload_length 0
		.amdhsa_user_sgpr_kernarg_preload_offset 0
		.amdhsa_user_sgpr_private_segment_size 0
		.amdhsa_uses_dynamic_stack 0
		.amdhsa_enable_private_segment 0
		.amdhsa_system_sgpr_workgroup_id_x 1
		.amdhsa_system_sgpr_workgroup_id_y 0
		.amdhsa_system_sgpr_workgroup_id_z 0
		.amdhsa_system_sgpr_workgroup_info 0
		.amdhsa_system_vgpr_workitem_id 0
		.amdhsa_next_free_vgpr 1
		.amdhsa_next_free_sgpr 0
		.amdhsa_accum_offset 4
		.amdhsa_reserve_vcc 0
		.amdhsa_float_round_mode_32 0
		.amdhsa_float_round_mode_16_64 0
		.amdhsa_float_denorm_mode_32 3
		.amdhsa_float_denorm_mode_16_64 3
		.amdhsa_dx10_clamp 1
		.amdhsa_ieee_mode 1
		.amdhsa_fp16_overflow 0
		.amdhsa_tg_split 0
		.amdhsa_exception_fp_ieee_invalid_op 0
		.amdhsa_exception_fp_denorm_src 0
		.amdhsa_exception_fp_ieee_div_zero 0
		.amdhsa_exception_fp_ieee_overflow 0
		.amdhsa_exception_fp_ieee_underflow 0
		.amdhsa_exception_fp_ieee_inexact 0
		.amdhsa_exception_int_div_zero 0
	.end_amdhsa_kernel
	.section	.text._ZN7rocprim17ROCPRIM_400000_NS6detail17trampoline_kernelINS0_14default_configENS1_35radix_sort_onesweep_config_selectorIiNS0_10empty_typeEEEZZNS1_29radix_sort_onesweep_iterationIS3_Lb0EN6thrust23THRUST_200600_302600_NS6detail15normal_iteratorINS9_10device_ptrIiEEEESE_PS5_SF_jNS0_19identity_decomposerENS1_16block_id_wrapperIjLb1EEEEE10hipError_tT1_PNSt15iterator_traitsISK_E10value_typeET2_T3_PNSL_ISQ_E10value_typeET4_T5_PSV_SW_PNS1_23onesweep_lookback_stateEbbT6_jjT7_P12ihipStream_tbENKUlT_T0_SK_SP_E_clIPiSE_SF_SF_EEDaS13_S14_SK_SP_EUlS13_E_NS1_11comp_targetILNS1_3genE9ELNS1_11target_archE1100ELNS1_3gpuE3ELNS1_3repE0EEENS1_47radix_sort_onesweep_sort_config_static_selectorELNS0_4arch9wavefront6targetE1EEEvSK_,"axG",@progbits,_ZN7rocprim17ROCPRIM_400000_NS6detail17trampoline_kernelINS0_14default_configENS1_35radix_sort_onesweep_config_selectorIiNS0_10empty_typeEEEZZNS1_29radix_sort_onesweep_iterationIS3_Lb0EN6thrust23THRUST_200600_302600_NS6detail15normal_iteratorINS9_10device_ptrIiEEEESE_PS5_SF_jNS0_19identity_decomposerENS1_16block_id_wrapperIjLb1EEEEE10hipError_tT1_PNSt15iterator_traitsISK_E10value_typeET2_T3_PNSL_ISQ_E10value_typeET4_T5_PSV_SW_PNS1_23onesweep_lookback_stateEbbT6_jjT7_P12ihipStream_tbENKUlT_T0_SK_SP_E_clIPiSE_SF_SF_EEDaS13_S14_SK_SP_EUlS13_E_NS1_11comp_targetILNS1_3genE9ELNS1_11target_archE1100ELNS1_3gpuE3ELNS1_3repE0EEENS1_47radix_sort_onesweep_sort_config_static_selectorELNS0_4arch9wavefront6targetE1EEEvSK_,comdat
.Lfunc_end184:
	.size	_ZN7rocprim17ROCPRIM_400000_NS6detail17trampoline_kernelINS0_14default_configENS1_35radix_sort_onesweep_config_selectorIiNS0_10empty_typeEEEZZNS1_29radix_sort_onesweep_iterationIS3_Lb0EN6thrust23THRUST_200600_302600_NS6detail15normal_iteratorINS9_10device_ptrIiEEEESE_PS5_SF_jNS0_19identity_decomposerENS1_16block_id_wrapperIjLb1EEEEE10hipError_tT1_PNSt15iterator_traitsISK_E10value_typeET2_T3_PNSL_ISQ_E10value_typeET4_T5_PSV_SW_PNS1_23onesweep_lookback_stateEbbT6_jjT7_P12ihipStream_tbENKUlT_T0_SK_SP_E_clIPiSE_SF_SF_EEDaS13_S14_SK_SP_EUlS13_E_NS1_11comp_targetILNS1_3genE9ELNS1_11target_archE1100ELNS1_3gpuE3ELNS1_3repE0EEENS1_47radix_sort_onesweep_sort_config_static_selectorELNS0_4arch9wavefront6targetE1EEEvSK_, .Lfunc_end184-_ZN7rocprim17ROCPRIM_400000_NS6detail17trampoline_kernelINS0_14default_configENS1_35radix_sort_onesweep_config_selectorIiNS0_10empty_typeEEEZZNS1_29radix_sort_onesweep_iterationIS3_Lb0EN6thrust23THRUST_200600_302600_NS6detail15normal_iteratorINS9_10device_ptrIiEEEESE_PS5_SF_jNS0_19identity_decomposerENS1_16block_id_wrapperIjLb1EEEEE10hipError_tT1_PNSt15iterator_traitsISK_E10value_typeET2_T3_PNSL_ISQ_E10value_typeET4_T5_PSV_SW_PNS1_23onesweep_lookback_stateEbbT6_jjT7_P12ihipStream_tbENKUlT_T0_SK_SP_E_clIPiSE_SF_SF_EEDaS13_S14_SK_SP_EUlS13_E_NS1_11comp_targetILNS1_3genE9ELNS1_11target_archE1100ELNS1_3gpuE3ELNS1_3repE0EEENS1_47radix_sort_onesweep_sort_config_static_selectorELNS0_4arch9wavefront6targetE1EEEvSK_
                                        ; -- End function
	.set _ZN7rocprim17ROCPRIM_400000_NS6detail17trampoline_kernelINS0_14default_configENS1_35radix_sort_onesweep_config_selectorIiNS0_10empty_typeEEEZZNS1_29radix_sort_onesweep_iterationIS3_Lb0EN6thrust23THRUST_200600_302600_NS6detail15normal_iteratorINS9_10device_ptrIiEEEESE_PS5_SF_jNS0_19identity_decomposerENS1_16block_id_wrapperIjLb1EEEEE10hipError_tT1_PNSt15iterator_traitsISK_E10value_typeET2_T3_PNSL_ISQ_E10value_typeET4_T5_PSV_SW_PNS1_23onesweep_lookback_stateEbbT6_jjT7_P12ihipStream_tbENKUlT_T0_SK_SP_E_clIPiSE_SF_SF_EEDaS13_S14_SK_SP_EUlS13_E_NS1_11comp_targetILNS1_3genE9ELNS1_11target_archE1100ELNS1_3gpuE3ELNS1_3repE0EEENS1_47radix_sort_onesweep_sort_config_static_selectorELNS0_4arch9wavefront6targetE1EEEvSK_.num_vgpr, 0
	.set _ZN7rocprim17ROCPRIM_400000_NS6detail17trampoline_kernelINS0_14default_configENS1_35radix_sort_onesweep_config_selectorIiNS0_10empty_typeEEEZZNS1_29radix_sort_onesweep_iterationIS3_Lb0EN6thrust23THRUST_200600_302600_NS6detail15normal_iteratorINS9_10device_ptrIiEEEESE_PS5_SF_jNS0_19identity_decomposerENS1_16block_id_wrapperIjLb1EEEEE10hipError_tT1_PNSt15iterator_traitsISK_E10value_typeET2_T3_PNSL_ISQ_E10value_typeET4_T5_PSV_SW_PNS1_23onesweep_lookback_stateEbbT6_jjT7_P12ihipStream_tbENKUlT_T0_SK_SP_E_clIPiSE_SF_SF_EEDaS13_S14_SK_SP_EUlS13_E_NS1_11comp_targetILNS1_3genE9ELNS1_11target_archE1100ELNS1_3gpuE3ELNS1_3repE0EEENS1_47radix_sort_onesweep_sort_config_static_selectorELNS0_4arch9wavefront6targetE1EEEvSK_.num_agpr, 0
	.set _ZN7rocprim17ROCPRIM_400000_NS6detail17trampoline_kernelINS0_14default_configENS1_35radix_sort_onesweep_config_selectorIiNS0_10empty_typeEEEZZNS1_29radix_sort_onesweep_iterationIS3_Lb0EN6thrust23THRUST_200600_302600_NS6detail15normal_iteratorINS9_10device_ptrIiEEEESE_PS5_SF_jNS0_19identity_decomposerENS1_16block_id_wrapperIjLb1EEEEE10hipError_tT1_PNSt15iterator_traitsISK_E10value_typeET2_T3_PNSL_ISQ_E10value_typeET4_T5_PSV_SW_PNS1_23onesweep_lookback_stateEbbT6_jjT7_P12ihipStream_tbENKUlT_T0_SK_SP_E_clIPiSE_SF_SF_EEDaS13_S14_SK_SP_EUlS13_E_NS1_11comp_targetILNS1_3genE9ELNS1_11target_archE1100ELNS1_3gpuE3ELNS1_3repE0EEENS1_47radix_sort_onesweep_sort_config_static_selectorELNS0_4arch9wavefront6targetE1EEEvSK_.numbered_sgpr, 0
	.set _ZN7rocprim17ROCPRIM_400000_NS6detail17trampoline_kernelINS0_14default_configENS1_35radix_sort_onesweep_config_selectorIiNS0_10empty_typeEEEZZNS1_29radix_sort_onesweep_iterationIS3_Lb0EN6thrust23THRUST_200600_302600_NS6detail15normal_iteratorINS9_10device_ptrIiEEEESE_PS5_SF_jNS0_19identity_decomposerENS1_16block_id_wrapperIjLb1EEEEE10hipError_tT1_PNSt15iterator_traitsISK_E10value_typeET2_T3_PNSL_ISQ_E10value_typeET4_T5_PSV_SW_PNS1_23onesweep_lookback_stateEbbT6_jjT7_P12ihipStream_tbENKUlT_T0_SK_SP_E_clIPiSE_SF_SF_EEDaS13_S14_SK_SP_EUlS13_E_NS1_11comp_targetILNS1_3genE9ELNS1_11target_archE1100ELNS1_3gpuE3ELNS1_3repE0EEENS1_47radix_sort_onesweep_sort_config_static_selectorELNS0_4arch9wavefront6targetE1EEEvSK_.num_named_barrier, 0
	.set _ZN7rocprim17ROCPRIM_400000_NS6detail17trampoline_kernelINS0_14default_configENS1_35radix_sort_onesweep_config_selectorIiNS0_10empty_typeEEEZZNS1_29radix_sort_onesweep_iterationIS3_Lb0EN6thrust23THRUST_200600_302600_NS6detail15normal_iteratorINS9_10device_ptrIiEEEESE_PS5_SF_jNS0_19identity_decomposerENS1_16block_id_wrapperIjLb1EEEEE10hipError_tT1_PNSt15iterator_traitsISK_E10value_typeET2_T3_PNSL_ISQ_E10value_typeET4_T5_PSV_SW_PNS1_23onesweep_lookback_stateEbbT6_jjT7_P12ihipStream_tbENKUlT_T0_SK_SP_E_clIPiSE_SF_SF_EEDaS13_S14_SK_SP_EUlS13_E_NS1_11comp_targetILNS1_3genE9ELNS1_11target_archE1100ELNS1_3gpuE3ELNS1_3repE0EEENS1_47radix_sort_onesweep_sort_config_static_selectorELNS0_4arch9wavefront6targetE1EEEvSK_.private_seg_size, 0
	.set _ZN7rocprim17ROCPRIM_400000_NS6detail17trampoline_kernelINS0_14default_configENS1_35radix_sort_onesweep_config_selectorIiNS0_10empty_typeEEEZZNS1_29radix_sort_onesweep_iterationIS3_Lb0EN6thrust23THRUST_200600_302600_NS6detail15normal_iteratorINS9_10device_ptrIiEEEESE_PS5_SF_jNS0_19identity_decomposerENS1_16block_id_wrapperIjLb1EEEEE10hipError_tT1_PNSt15iterator_traitsISK_E10value_typeET2_T3_PNSL_ISQ_E10value_typeET4_T5_PSV_SW_PNS1_23onesweep_lookback_stateEbbT6_jjT7_P12ihipStream_tbENKUlT_T0_SK_SP_E_clIPiSE_SF_SF_EEDaS13_S14_SK_SP_EUlS13_E_NS1_11comp_targetILNS1_3genE9ELNS1_11target_archE1100ELNS1_3gpuE3ELNS1_3repE0EEENS1_47radix_sort_onesweep_sort_config_static_selectorELNS0_4arch9wavefront6targetE1EEEvSK_.uses_vcc, 0
	.set _ZN7rocprim17ROCPRIM_400000_NS6detail17trampoline_kernelINS0_14default_configENS1_35radix_sort_onesweep_config_selectorIiNS0_10empty_typeEEEZZNS1_29radix_sort_onesweep_iterationIS3_Lb0EN6thrust23THRUST_200600_302600_NS6detail15normal_iteratorINS9_10device_ptrIiEEEESE_PS5_SF_jNS0_19identity_decomposerENS1_16block_id_wrapperIjLb1EEEEE10hipError_tT1_PNSt15iterator_traitsISK_E10value_typeET2_T3_PNSL_ISQ_E10value_typeET4_T5_PSV_SW_PNS1_23onesweep_lookback_stateEbbT6_jjT7_P12ihipStream_tbENKUlT_T0_SK_SP_E_clIPiSE_SF_SF_EEDaS13_S14_SK_SP_EUlS13_E_NS1_11comp_targetILNS1_3genE9ELNS1_11target_archE1100ELNS1_3gpuE3ELNS1_3repE0EEENS1_47radix_sort_onesweep_sort_config_static_selectorELNS0_4arch9wavefront6targetE1EEEvSK_.uses_flat_scratch, 0
	.set _ZN7rocprim17ROCPRIM_400000_NS6detail17trampoline_kernelINS0_14default_configENS1_35radix_sort_onesweep_config_selectorIiNS0_10empty_typeEEEZZNS1_29radix_sort_onesweep_iterationIS3_Lb0EN6thrust23THRUST_200600_302600_NS6detail15normal_iteratorINS9_10device_ptrIiEEEESE_PS5_SF_jNS0_19identity_decomposerENS1_16block_id_wrapperIjLb1EEEEE10hipError_tT1_PNSt15iterator_traitsISK_E10value_typeET2_T3_PNSL_ISQ_E10value_typeET4_T5_PSV_SW_PNS1_23onesweep_lookback_stateEbbT6_jjT7_P12ihipStream_tbENKUlT_T0_SK_SP_E_clIPiSE_SF_SF_EEDaS13_S14_SK_SP_EUlS13_E_NS1_11comp_targetILNS1_3genE9ELNS1_11target_archE1100ELNS1_3gpuE3ELNS1_3repE0EEENS1_47radix_sort_onesweep_sort_config_static_selectorELNS0_4arch9wavefront6targetE1EEEvSK_.has_dyn_sized_stack, 0
	.set _ZN7rocprim17ROCPRIM_400000_NS6detail17trampoline_kernelINS0_14default_configENS1_35radix_sort_onesweep_config_selectorIiNS0_10empty_typeEEEZZNS1_29radix_sort_onesweep_iterationIS3_Lb0EN6thrust23THRUST_200600_302600_NS6detail15normal_iteratorINS9_10device_ptrIiEEEESE_PS5_SF_jNS0_19identity_decomposerENS1_16block_id_wrapperIjLb1EEEEE10hipError_tT1_PNSt15iterator_traitsISK_E10value_typeET2_T3_PNSL_ISQ_E10value_typeET4_T5_PSV_SW_PNS1_23onesweep_lookback_stateEbbT6_jjT7_P12ihipStream_tbENKUlT_T0_SK_SP_E_clIPiSE_SF_SF_EEDaS13_S14_SK_SP_EUlS13_E_NS1_11comp_targetILNS1_3genE9ELNS1_11target_archE1100ELNS1_3gpuE3ELNS1_3repE0EEENS1_47radix_sort_onesweep_sort_config_static_selectorELNS0_4arch9wavefront6targetE1EEEvSK_.has_recursion, 0
	.set _ZN7rocprim17ROCPRIM_400000_NS6detail17trampoline_kernelINS0_14default_configENS1_35radix_sort_onesweep_config_selectorIiNS0_10empty_typeEEEZZNS1_29radix_sort_onesweep_iterationIS3_Lb0EN6thrust23THRUST_200600_302600_NS6detail15normal_iteratorINS9_10device_ptrIiEEEESE_PS5_SF_jNS0_19identity_decomposerENS1_16block_id_wrapperIjLb1EEEEE10hipError_tT1_PNSt15iterator_traitsISK_E10value_typeET2_T3_PNSL_ISQ_E10value_typeET4_T5_PSV_SW_PNS1_23onesweep_lookback_stateEbbT6_jjT7_P12ihipStream_tbENKUlT_T0_SK_SP_E_clIPiSE_SF_SF_EEDaS13_S14_SK_SP_EUlS13_E_NS1_11comp_targetILNS1_3genE9ELNS1_11target_archE1100ELNS1_3gpuE3ELNS1_3repE0EEENS1_47radix_sort_onesweep_sort_config_static_selectorELNS0_4arch9wavefront6targetE1EEEvSK_.has_indirect_call, 0
	.section	.AMDGPU.csdata,"",@progbits
; Kernel info:
; codeLenInByte = 0
; TotalNumSgprs: 6
; NumVgprs: 0
; NumAgprs: 0
; TotalNumVgprs: 0
; ScratchSize: 0
; MemoryBound: 0
; FloatMode: 240
; IeeeMode: 1
; LDSByteSize: 0 bytes/workgroup (compile time only)
; SGPRBlocks: 0
; VGPRBlocks: 0
; NumSGPRsForWavesPerEU: 6
; NumVGPRsForWavesPerEU: 1
; AccumOffset: 4
; Occupancy: 8
; WaveLimiterHint : 0
; COMPUTE_PGM_RSRC2:SCRATCH_EN: 0
; COMPUTE_PGM_RSRC2:USER_SGPR: 2
; COMPUTE_PGM_RSRC2:TRAP_HANDLER: 0
; COMPUTE_PGM_RSRC2:TGID_X_EN: 1
; COMPUTE_PGM_RSRC2:TGID_Y_EN: 0
; COMPUTE_PGM_RSRC2:TGID_Z_EN: 0
; COMPUTE_PGM_RSRC2:TIDIG_COMP_CNT: 0
; COMPUTE_PGM_RSRC3_GFX90A:ACCUM_OFFSET: 0
; COMPUTE_PGM_RSRC3_GFX90A:TG_SPLIT: 0
	.section	.text._ZN7rocprim17ROCPRIM_400000_NS6detail17trampoline_kernelINS0_14default_configENS1_35radix_sort_onesweep_config_selectorIiNS0_10empty_typeEEEZZNS1_29radix_sort_onesweep_iterationIS3_Lb0EN6thrust23THRUST_200600_302600_NS6detail15normal_iteratorINS9_10device_ptrIiEEEESE_PS5_SF_jNS0_19identity_decomposerENS1_16block_id_wrapperIjLb1EEEEE10hipError_tT1_PNSt15iterator_traitsISK_E10value_typeET2_T3_PNSL_ISQ_E10value_typeET4_T5_PSV_SW_PNS1_23onesweep_lookback_stateEbbT6_jjT7_P12ihipStream_tbENKUlT_T0_SK_SP_E_clIPiSE_SF_SF_EEDaS13_S14_SK_SP_EUlS13_E_NS1_11comp_targetILNS1_3genE8ELNS1_11target_archE1030ELNS1_3gpuE2ELNS1_3repE0EEENS1_47radix_sort_onesweep_sort_config_static_selectorELNS0_4arch9wavefront6targetE1EEEvSK_,"axG",@progbits,_ZN7rocprim17ROCPRIM_400000_NS6detail17trampoline_kernelINS0_14default_configENS1_35radix_sort_onesweep_config_selectorIiNS0_10empty_typeEEEZZNS1_29radix_sort_onesweep_iterationIS3_Lb0EN6thrust23THRUST_200600_302600_NS6detail15normal_iteratorINS9_10device_ptrIiEEEESE_PS5_SF_jNS0_19identity_decomposerENS1_16block_id_wrapperIjLb1EEEEE10hipError_tT1_PNSt15iterator_traitsISK_E10value_typeET2_T3_PNSL_ISQ_E10value_typeET4_T5_PSV_SW_PNS1_23onesweep_lookback_stateEbbT6_jjT7_P12ihipStream_tbENKUlT_T0_SK_SP_E_clIPiSE_SF_SF_EEDaS13_S14_SK_SP_EUlS13_E_NS1_11comp_targetILNS1_3genE8ELNS1_11target_archE1030ELNS1_3gpuE2ELNS1_3repE0EEENS1_47radix_sort_onesweep_sort_config_static_selectorELNS0_4arch9wavefront6targetE1EEEvSK_,comdat
	.protected	_ZN7rocprim17ROCPRIM_400000_NS6detail17trampoline_kernelINS0_14default_configENS1_35radix_sort_onesweep_config_selectorIiNS0_10empty_typeEEEZZNS1_29radix_sort_onesweep_iterationIS3_Lb0EN6thrust23THRUST_200600_302600_NS6detail15normal_iteratorINS9_10device_ptrIiEEEESE_PS5_SF_jNS0_19identity_decomposerENS1_16block_id_wrapperIjLb1EEEEE10hipError_tT1_PNSt15iterator_traitsISK_E10value_typeET2_T3_PNSL_ISQ_E10value_typeET4_T5_PSV_SW_PNS1_23onesweep_lookback_stateEbbT6_jjT7_P12ihipStream_tbENKUlT_T0_SK_SP_E_clIPiSE_SF_SF_EEDaS13_S14_SK_SP_EUlS13_E_NS1_11comp_targetILNS1_3genE8ELNS1_11target_archE1030ELNS1_3gpuE2ELNS1_3repE0EEENS1_47radix_sort_onesweep_sort_config_static_selectorELNS0_4arch9wavefront6targetE1EEEvSK_ ; -- Begin function _ZN7rocprim17ROCPRIM_400000_NS6detail17trampoline_kernelINS0_14default_configENS1_35radix_sort_onesweep_config_selectorIiNS0_10empty_typeEEEZZNS1_29radix_sort_onesweep_iterationIS3_Lb0EN6thrust23THRUST_200600_302600_NS6detail15normal_iteratorINS9_10device_ptrIiEEEESE_PS5_SF_jNS0_19identity_decomposerENS1_16block_id_wrapperIjLb1EEEEE10hipError_tT1_PNSt15iterator_traitsISK_E10value_typeET2_T3_PNSL_ISQ_E10value_typeET4_T5_PSV_SW_PNS1_23onesweep_lookback_stateEbbT6_jjT7_P12ihipStream_tbENKUlT_T0_SK_SP_E_clIPiSE_SF_SF_EEDaS13_S14_SK_SP_EUlS13_E_NS1_11comp_targetILNS1_3genE8ELNS1_11target_archE1030ELNS1_3gpuE2ELNS1_3repE0EEENS1_47radix_sort_onesweep_sort_config_static_selectorELNS0_4arch9wavefront6targetE1EEEvSK_
	.globl	_ZN7rocprim17ROCPRIM_400000_NS6detail17trampoline_kernelINS0_14default_configENS1_35radix_sort_onesweep_config_selectorIiNS0_10empty_typeEEEZZNS1_29radix_sort_onesweep_iterationIS3_Lb0EN6thrust23THRUST_200600_302600_NS6detail15normal_iteratorINS9_10device_ptrIiEEEESE_PS5_SF_jNS0_19identity_decomposerENS1_16block_id_wrapperIjLb1EEEEE10hipError_tT1_PNSt15iterator_traitsISK_E10value_typeET2_T3_PNSL_ISQ_E10value_typeET4_T5_PSV_SW_PNS1_23onesweep_lookback_stateEbbT6_jjT7_P12ihipStream_tbENKUlT_T0_SK_SP_E_clIPiSE_SF_SF_EEDaS13_S14_SK_SP_EUlS13_E_NS1_11comp_targetILNS1_3genE8ELNS1_11target_archE1030ELNS1_3gpuE2ELNS1_3repE0EEENS1_47radix_sort_onesweep_sort_config_static_selectorELNS0_4arch9wavefront6targetE1EEEvSK_
	.p2align	8
	.type	_ZN7rocprim17ROCPRIM_400000_NS6detail17trampoline_kernelINS0_14default_configENS1_35radix_sort_onesweep_config_selectorIiNS0_10empty_typeEEEZZNS1_29radix_sort_onesweep_iterationIS3_Lb0EN6thrust23THRUST_200600_302600_NS6detail15normal_iteratorINS9_10device_ptrIiEEEESE_PS5_SF_jNS0_19identity_decomposerENS1_16block_id_wrapperIjLb1EEEEE10hipError_tT1_PNSt15iterator_traitsISK_E10value_typeET2_T3_PNSL_ISQ_E10value_typeET4_T5_PSV_SW_PNS1_23onesweep_lookback_stateEbbT6_jjT7_P12ihipStream_tbENKUlT_T0_SK_SP_E_clIPiSE_SF_SF_EEDaS13_S14_SK_SP_EUlS13_E_NS1_11comp_targetILNS1_3genE8ELNS1_11target_archE1030ELNS1_3gpuE2ELNS1_3repE0EEENS1_47radix_sort_onesweep_sort_config_static_selectorELNS0_4arch9wavefront6targetE1EEEvSK_,@function
_ZN7rocprim17ROCPRIM_400000_NS6detail17trampoline_kernelINS0_14default_configENS1_35radix_sort_onesweep_config_selectorIiNS0_10empty_typeEEEZZNS1_29radix_sort_onesweep_iterationIS3_Lb0EN6thrust23THRUST_200600_302600_NS6detail15normal_iteratorINS9_10device_ptrIiEEEESE_PS5_SF_jNS0_19identity_decomposerENS1_16block_id_wrapperIjLb1EEEEE10hipError_tT1_PNSt15iterator_traitsISK_E10value_typeET2_T3_PNSL_ISQ_E10value_typeET4_T5_PSV_SW_PNS1_23onesweep_lookback_stateEbbT6_jjT7_P12ihipStream_tbENKUlT_T0_SK_SP_E_clIPiSE_SF_SF_EEDaS13_S14_SK_SP_EUlS13_E_NS1_11comp_targetILNS1_3genE8ELNS1_11target_archE1030ELNS1_3gpuE2ELNS1_3repE0EEENS1_47radix_sort_onesweep_sort_config_static_selectorELNS0_4arch9wavefront6targetE1EEEvSK_: ; @_ZN7rocprim17ROCPRIM_400000_NS6detail17trampoline_kernelINS0_14default_configENS1_35radix_sort_onesweep_config_selectorIiNS0_10empty_typeEEEZZNS1_29radix_sort_onesweep_iterationIS3_Lb0EN6thrust23THRUST_200600_302600_NS6detail15normal_iteratorINS9_10device_ptrIiEEEESE_PS5_SF_jNS0_19identity_decomposerENS1_16block_id_wrapperIjLb1EEEEE10hipError_tT1_PNSt15iterator_traitsISK_E10value_typeET2_T3_PNSL_ISQ_E10value_typeET4_T5_PSV_SW_PNS1_23onesweep_lookback_stateEbbT6_jjT7_P12ihipStream_tbENKUlT_T0_SK_SP_E_clIPiSE_SF_SF_EEDaS13_S14_SK_SP_EUlS13_E_NS1_11comp_targetILNS1_3genE8ELNS1_11target_archE1030ELNS1_3gpuE2ELNS1_3repE0EEENS1_47radix_sort_onesweep_sort_config_static_selectorELNS0_4arch9wavefront6targetE1EEEvSK_
; %bb.0:
	.section	.rodata,"a",@progbits
	.p2align	6, 0x0
	.amdhsa_kernel _ZN7rocprim17ROCPRIM_400000_NS6detail17trampoline_kernelINS0_14default_configENS1_35radix_sort_onesweep_config_selectorIiNS0_10empty_typeEEEZZNS1_29radix_sort_onesweep_iterationIS3_Lb0EN6thrust23THRUST_200600_302600_NS6detail15normal_iteratorINS9_10device_ptrIiEEEESE_PS5_SF_jNS0_19identity_decomposerENS1_16block_id_wrapperIjLb1EEEEE10hipError_tT1_PNSt15iterator_traitsISK_E10value_typeET2_T3_PNSL_ISQ_E10value_typeET4_T5_PSV_SW_PNS1_23onesweep_lookback_stateEbbT6_jjT7_P12ihipStream_tbENKUlT_T0_SK_SP_E_clIPiSE_SF_SF_EEDaS13_S14_SK_SP_EUlS13_E_NS1_11comp_targetILNS1_3genE8ELNS1_11target_archE1030ELNS1_3gpuE2ELNS1_3repE0EEENS1_47radix_sort_onesweep_sort_config_static_selectorELNS0_4arch9wavefront6targetE1EEEvSK_
		.amdhsa_group_segment_fixed_size 0
		.amdhsa_private_segment_fixed_size 0
		.amdhsa_kernarg_size 88
		.amdhsa_user_sgpr_count 2
		.amdhsa_user_sgpr_dispatch_ptr 0
		.amdhsa_user_sgpr_queue_ptr 0
		.amdhsa_user_sgpr_kernarg_segment_ptr 1
		.amdhsa_user_sgpr_dispatch_id 0
		.amdhsa_user_sgpr_kernarg_preload_length 0
		.amdhsa_user_sgpr_kernarg_preload_offset 0
		.amdhsa_user_sgpr_private_segment_size 0
		.amdhsa_uses_dynamic_stack 0
		.amdhsa_enable_private_segment 0
		.amdhsa_system_sgpr_workgroup_id_x 1
		.amdhsa_system_sgpr_workgroup_id_y 0
		.amdhsa_system_sgpr_workgroup_id_z 0
		.amdhsa_system_sgpr_workgroup_info 0
		.amdhsa_system_vgpr_workitem_id 0
		.amdhsa_next_free_vgpr 1
		.amdhsa_next_free_sgpr 0
		.amdhsa_accum_offset 4
		.amdhsa_reserve_vcc 0
		.amdhsa_float_round_mode_32 0
		.amdhsa_float_round_mode_16_64 0
		.amdhsa_float_denorm_mode_32 3
		.amdhsa_float_denorm_mode_16_64 3
		.amdhsa_dx10_clamp 1
		.amdhsa_ieee_mode 1
		.amdhsa_fp16_overflow 0
		.amdhsa_tg_split 0
		.amdhsa_exception_fp_ieee_invalid_op 0
		.amdhsa_exception_fp_denorm_src 0
		.amdhsa_exception_fp_ieee_div_zero 0
		.amdhsa_exception_fp_ieee_overflow 0
		.amdhsa_exception_fp_ieee_underflow 0
		.amdhsa_exception_fp_ieee_inexact 0
		.amdhsa_exception_int_div_zero 0
	.end_amdhsa_kernel
	.section	.text._ZN7rocprim17ROCPRIM_400000_NS6detail17trampoline_kernelINS0_14default_configENS1_35radix_sort_onesweep_config_selectorIiNS0_10empty_typeEEEZZNS1_29radix_sort_onesweep_iterationIS3_Lb0EN6thrust23THRUST_200600_302600_NS6detail15normal_iteratorINS9_10device_ptrIiEEEESE_PS5_SF_jNS0_19identity_decomposerENS1_16block_id_wrapperIjLb1EEEEE10hipError_tT1_PNSt15iterator_traitsISK_E10value_typeET2_T3_PNSL_ISQ_E10value_typeET4_T5_PSV_SW_PNS1_23onesweep_lookback_stateEbbT6_jjT7_P12ihipStream_tbENKUlT_T0_SK_SP_E_clIPiSE_SF_SF_EEDaS13_S14_SK_SP_EUlS13_E_NS1_11comp_targetILNS1_3genE8ELNS1_11target_archE1030ELNS1_3gpuE2ELNS1_3repE0EEENS1_47radix_sort_onesweep_sort_config_static_selectorELNS0_4arch9wavefront6targetE1EEEvSK_,"axG",@progbits,_ZN7rocprim17ROCPRIM_400000_NS6detail17trampoline_kernelINS0_14default_configENS1_35radix_sort_onesweep_config_selectorIiNS0_10empty_typeEEEZZNS1_29radix_sort_onesweep_iterationIS3_Lb0EN6thrust23THRUST_200600_302600_NS6detail15normal_iteratorINS9_10device_ptrIiEEEESE_PS5_SF_jNS0_19identity_decomposerENS1_16block_id_wrapperIjLb1EEEEE10hipError_tT1_PNSt15iterator_traitsISK_E10value_typeET2_T3_PNSL_ISQ_E10value_typeET4_T5_PSV_SW_PNS1_23onesweep_lookback_stateEbbT6_jjT7_P12ihipStream_tbENKUlT_T0_SK_SP_E_clIPiSE_SF_SF_EEDaS13_S14_SK_SP_EUlS13_E_NS1_11comp_targetILNS1_3genE8ELNS1_11target_archE1030ELNS1_3gpuE2ELNS1_3repE0EEENS1_47radix_sort_onesweep_sort_config_static_selectorELNS0_4arch9wavefront6targetE1EEEvSK_,comdat
.Lfunc_end185:
	.size	_ZN7rocprim17ROCPRIM_400000_NS6detail17trampoline_kernelINS0_14default_configENS1_35radix_sort_onesweep_config_selectorIiNS0_10empty_typeEEEZZNS1_29radix_sort_onesweep_iterationIS3_Lb0EN6thrust23THRUST_200600_302600_NS6detail15normal_iteratorINS9_10device_ptrIiEEEESE_PS5_SF_jNS0_19identity_decomposerENS1_16block_id_wrapperIjLb1EEEEE10hipError_tT1_PNSt15iterator_traitsISK_E10value_typeET2_T3_PNSL_ISQ_E10value_typeET4_T5_PSV_SW_PNS1_23onesweep_lookback_stateEbbT6_jjT7_P12ihipStream_tbENKUlT_T0_SK_SP_E_clIPiSE_SF_SF_EEDaS13_S14_SK_SP_EUlS13_E_NS1_11comp_targetILNS1_3genE8ELNS1_11target_archE1030ELNS1_3gpuE2ELNS1_3repE0EEENS1_47radix_sort_onesweep_sort_config_static_selectorELNS0_4arch9wavefront6targetE1EEEvSK_, .Lfunc_end185-_ZN7rocprim17ROCPRIM_400000_NS6detail17trampoline_kernelINS0_14default_configENS1_35radix_sort_onesweep_config_selectorIiNS0_10empty_typeEEEZZNS1_29radix_sort_onesweep_iterationIS3_Lb0EN6thrust23THRUST_200600_302600_NS6detail15normal_iteratorINS9_10device_ptrIiEEEESE_PS5_SF_jNS0_19identity_decomposerENS1_16block_id_wrapperIjLb1EEEEE10hipError_tT1_PNSt15iterator_traitsISK_E10value_typeET2_T3_PNSL_ISQ_E10value_typeET4_T5_PSV_SW_PNS1_23onesweep_lookback_stateEbbT6_jjT7_P12ihipStream_tbENKUlT_T0_SK_SP_E_clIPiSE_SF_SF_EEDaS13_S14_SK_SP_EUlS13_E_NS1_11comp_targetILNS1_3genE8ELNS1_11target_archE1030ELNS1_3gpuE2ELNS1_3repE0EEENS1_47radix_sort_onesweep_sort_config_static_selectorELNS0_4arch9wavefront6targetE1EEEvSK_
                                        ; -- End function
	.set _ZN7rocprim17ROCPRIM_400000_NS6detail17trampoline_kernelINS0_14default_configENS1_35radix_sort_onesweep_config_selectorIiNS0_10empty_typeEEEZZNS1_29radix_sort_onesweep_iterationIS3_Lb0EN6thrust23THRUST_200600_302600_NS6detail15normal_iteratorINS9_10device_ptrIiEEEESE_PS5_SF_jNS0_19identity_decomposerENS1_16block_id_wrapperIjLb1EEEEE10hipError_tT1_PNSt15iterator_traitsISK_E10value_typeET2_T3_PNSL_ISQ_E10value_typeET4_T5_PSV_SW_PNS1_23onesweep_lookback_stateEbbT6_jjT7_P12ihipStream_tbENKUlT_T0_SK_SP_E_clIPiSE_SF_SF_EEDaS13_S14_SK_SP_EUlS13_E_NS1_11comp_targetILNS1_3genE8ELNS1_11target_archE1030ELNS1_3gpuE2ELNS1_3repE0EEENS1_47radix_sort_onesweep_sort_config_static_selectorELNS0_4arch9wavefront6targetE1EEEvSK_.num_vgpr, 0
	.set _ZN7rocprim17ROCPRIM_400000_NS6detail17trampoline_kernelINS0_14default_configENS1_35radix_sort_onesweep_config_selectorIiNS0_10empty_typeEEEZZNS1_29radix_sort_onesweep_iterationIS3_Lb0EN6thrust23THRUST_200600_302600_NS6detail15normal_iteratorINS9_10device_ptrIiEEEESE_PS5_SF_jNS0_19identity_decomposerENS1_16block_id_wrapperIjLb1EEEEE10hipError_tT1_PNSt15iterator_traitsISK_E10value_typeET2_T3_PNSL_ISQ_E10value_typeET4_T5_PSV_SW_PNS1_23onesweep_lookback_stateEbbT6_jjT7_P12ihipStream_tbENKUlT_T0_SK_SP_E_clIPiSE_SF_SF_EEDaS13_S14_SK_SP_EUlS13_E_NS1_11comp_targetILNS1_3genE8ELNS1_11target_archE1030ELNS1_3gpuE2ELNS1_3repE0EEENS1_47radix_sort_onesweep_sort_config_static_selectorELNS0_4arch9wavefront6targetE1EEEvSK_.num_agpr, 0
	.set _ZN7rocprim17ROCPRIM_400000_NS6detail17trampoline_kernelINS0_14default_configENS1_35radix_sort_onesweep_config_selectorIiNS0_10empty_typeEEEZZNS1_29radix_sort_onesweep_iterationIS3_Lb0EN6thrust23THRUST_200600_302600_NS6detail15normal_iteratorINS9_10device_ptrIiEEEESE_PS5_SF_jNS0_19identity_decomposerENS1_16block_id_wrapperIjLb1EEEEE10hipError_tT1_PNSt15iterator_traitsISK_E10value_typeET2_T3_PNSL_ISQ_E10value_typeET4_T5_PSV_SW_PNS1_23onesweep_lookback_stateEbbT6_jjT7_P12ihipStream_tbENKUlT_T0_SK_SP_E_clIPiSE_SF_SF_EEDaS13_S14_SK_SP_EUlS13_E_NS1_11comp_targetILNS1_3genE8ELNS1_11target_archE1030ELNS1_3gpuE2ELNS1_3repE0EEENS1_47radix_sort_onesweep_sort_config_static_selectorELNS0_4arch9wavefront6targetE1EEEvSK_.numbered_sgpr, 0
	.set _ZN7rocprim17ROCPRIM_400000_NS6detail17trampoline_kernelINS0_14default_configENS1_35radix_sort_onesweep_config_selectorIiNS0_10empty_typeEEEZZNS1_29radix_sort_onesweep_iterationIS3_Lb0EN6thrust23THRUST_200600_302600_NS6detail15normal_iteratorINS9_10device_ptrIiEEEESE_PS5_SF_jNS0_19identity_decomposerENS1_16block_id_wrapperIjLb1EEEEE10hipError_tT1_PNSt15iterator_traitsISK_E10value_typeET2_T3_PNSL_ISQ_E10value_typeET4_T5_PSV_SW_PNS1_23onesweep_lookback_stateEbbT6_jjT7_P12ihipStream_tbENKUlT_T0_SK_SP_E_clIPiSE_SF_SF_EEDaS13_S14_SK_SP_EUlS13_E_NS1_11comp_targetILNS1_3genE8ELNS1_11target_archE1030ELNS1_3gpuE2ELNS1_3repE0EEENS1_47radix_sort_onesweep_sort_config_static_selectorELNS0_4arch9wavefront6targetE1EEEvSK_.num_named_barrier, 0
	.set _ZN7rocprim17ROCPRIM_400000_NS6detail17trampoline_kernelINS0_14default_configENS1_35radix_sort_onesweep_config_selectorIiNS0_10empty_typeEEEZZNS1_29radix_sort_onesweep_iterationIS3_Lb0EN6thrust23THRUST_200600_302600_NS6detail15normal_iteratorINS9_10device_ptrIiEEEESE_PS5_SF_jNS0_19identity_decomposerENS1_16block_id_wrapperIjLb1EEEEE10hipError_tT1_PNSt15iterator_traitsISK_E10value_typeET2_T3_PNSL_ISQ_E10value_typeET4_T5_PSV_SW_PNS1_23onesweep_lookback_stateEbbT6_jjT7_P12ihipStream_tbENKUlT_T0_SK_SP_E_clIPiSE_SF_SF_EEDaS13_S14_SK_SP_EUlS13_E_NS1_11comp_targetILNS1_3genE8ELNS1_11target_archE1030ELNS1_3gpuE2ELNS1_3repE0EEENS1_47radix_sort_onesweep_sort_config_static_selectorELNS0_4arch9wavefront6targetE1EEEvSK_.private_seg_size, 0
	.set _ZN7rocprim17ROCPRIM_400000_NS6detail17trampoline_kernelINS0_14default_configENS1_35radix_sort_onesweep_config_selectorIiNS0_10empty_typeEEEZZNS1_29radix_sort_onesweep_iterationIS3_Lb0EN6thrust23THRUST_200600_302600_NS6detail15normal_iteratorINS9_10device_ptrIiEEEESE_PS5_SF_jNS0_19identity_decomposerENS1_16block_id_wrapperIjLb1EEEEE10hipError_tT1_PNSt15iterator_traitsISK_E10value_typeET2_T3_PNSL_ISQ_E10value_typeET4_T5_PSV_SW_PNS1_23onesweep_lookback_stateEbbT6_jjT7_P12ihipStream_tbENKUlT_T0_SK_SP_E_clIPiSE_SF_SF_EEDaS13_S14_SK_SP_EUlS13_E_NS1_11comp_targetILNS1_3genE8ELNS1_11target_archE1030ELNS1_3gpuE2ELNS1_3repE0EEENS1_47radix_sort_onesweep_sort_config_static_selectorELNS0_4arch9wavefront6targetE1EEEvSK_.uses_vcc, 0
	.set _ZN7rocprim17ROCPRIM_400000_NS6detail17trampoline_kernelINS0_14default_configENS1_35radix_sort_onesweep_config_selectorIiNS0_10empty_typeEEEZZNS1_29radix_sort_onesweep_iterationIS3_Lb0EN6thrust23THRUST_200600_302600_NS6detail15normal_iteratorINS9_10device_ptrIiEEEESE_PS5_SF_jNS0_19identity_decomposerENS1_16block_id_wrapperIjLb1EEEEE10hipError_tT1_PNSt15iterator_traitsISK_E10value_typeET2_T3_PNSL_ISQ_E10value_typeET4_T5_PSV_SW_PNS1_23onesweep_lookback_stateEbbT6_jjT7_P12ihipStream_tbENKUlT_T0_SK_SP_E_clIPiSE_SF_SF_EEDaS13_S14_SK_SP_EUlS13_E_NS1_11comp_targetILNS1_3genE8ELNS1_11target_archE1030ELNS1_3gpuE2ELNS1_3repE0EEENS1_47radix_sort_onesweep_sort_config_static_selectorELNS0_4arch9wavefront6targetE1EEEvSK_.uses_flat_scratch, 0
	.set _ZN7rocprim17ROCPRIM_400000_NS6detail17trampoline_kernelINS0_14default_configENS1_35radix_sort_onesweep_config_selectorIiNS0_10empty_typeEEEZZNS1_29radix_sort_onesweep_iterationIS3_Lb0EN6thrust23THRUST_200600_302600_NS6detail15normal_iteratorINS9_10device_ptrIiEEEESE_PS5_SF_jNS0_19identity_decomposerENS1_16block_id_wrapperIjLb1EEEEE10hipError_tT1_PNSt15iterator_traitsISK_E10value_typeET2_T3_PNSL_ISQ_E10value_typeET4_T5_PSV_SW_PNS1_23onesweep_lookback_stateEbbT6_jjT7_P12ihipStream_tbENKUlT_T0_SK_SP_E_clIPiSE_SF_SF_EEDaS13_S14_SK_SP_EUlS13_E_NS1_11comp_targetILNS1_3genE8ELNS1_11target_archE1030ELNS1_3gpuE2ELNS1_3repE0EEENS1_47radix_sort_onesweep_sort_config_static_selectorELNS0_4arch9wavefront6targetE1EEEvSK_.has_dyn_sized_stack, 0
	.set _ZN7rocprim17ROCPRIM_400000_NS6detail17trampoline_kernelINS0_14default_configENS1_35radix_sort_onesweep_config_selectorIiNS0_10empty_typeEEEZZNS1_29radix_sort_onesweep_iterationIS3_Lb0EN6thrust23THRUST_200600_302600_NS6detail15normal_iteratorINS9_10device_ptrIiEEEESE_PS5_SF_jNS0_19identity_decomposerENS1_16block_id_wrapperIjLb1EEEEE10hipError_tT1_PNSt15iterator_traitsISK_E10value_typeET2_T3_PNSL_ISQ_E10value_typeET4_T5_PSV_SW_PNS1_23onesweep_lookback_stateEbbT6_jjT7_P12ihipStream_tbENKUlT_T0_SK_SP_E_clIPiSE_SF_SF_EEDaS13_S14_SK_SP_EUlS13_E_NS1_11comp_targetILNS1_3genE8ELNS1_11target_archE1030ELNS1_3gpuE2ELNS1_3repE0EEENS1_47radix_sort_onesweep_sort_config_static_selectorELNS0_4arch9wavefront6targetE1EEEvSK_.has_recursion, 0
	.set _ZN7rocprim17ROCPRIM_400000_NS6detail17trampoline_kernelINS0_14default_configENS1_35radix_sort_onesweep_config_selectorIiNS0_10empty_typeEEEZZNS1_29radix_sort_onesweep_iterationIS3_Lb0EN6thrust23THRUST_200600_302600_NS6detail15normal_iteratorINS9_10device_ptrIiEEEESE_PS5_SF_jNS0_19identity_decomposerENS1_16block_id_wrapperIjLb1EEEEE10hipError_tT1_PNSt15iterator_traitsISK_E10value_typeET2_T3_PNSL_ISQ_E10value_typeET4_T5_PSV_SW_PNS1_23onesweep_lookback_stateEbbT6_jjT7_P12ihipStream_tbENKUlT_T0_SK_SP_E_clIPiSE_SF_SF_EEDaS13_S14_SK_SP_EUlS13_E_NS1_11comp_targetILNS1_3genE8ELNS1_11target_archE1030ELNS1_3gpuE2ELNS1_3repE0EEENS1_47radix_sort_onesweep_sort_config_static_selectorELNS0_4arch9wavefront6targetE1EEEvSK_.has_indirect_call, 0
	.section	.AMDGPU.csdata,"",@progbits
; Kernel info:
; codeLenInByte = 0
; TotalNumSgprs: 6
; NumVgprs: 0
; NumAgprs: 0
; TotalNumVgprs: 0
; ScratchSize: 0
; MemoryBound: 0
; FloatMode: 240
; IeeeMode: 1
; LDSByteSize: 0 bytes/workgroup (compile time only)
; SGPRBlocks: 0
; VGPRBlocks: 0
; NumSGPRsForWavesPerEU: 6
; NumVGPRsForWavesPerEU: 1
; AccumOffset: 4
; Occupancy: 8
; WaveLimiterHint : 0
; COMPUTE_PGM_RSRC2:SCRATCH_EN: 0
; COMPUTE_PGM_RSRC2:USER_SGPR: 2
; COMPUTE_PGM_RSRC2:TRAP_HANDLER: 0
; COMPUTE_PGM_RSRC2:TGID_X_EN: 1
; COMPUTE_PGM_RSRC2:TGID_Y_EN: 0
; COMPUTE_PGM_RSRC2:TGID_Z_EN: 0
; COMPUTE_PGM_RSRC2:TIDIG_COMP_CNT: 0
; COMPUTE_PGM_RSRC3_GFX90A:ACCUM_OFFSET: 0
; COMPUTE_PGM_RSRC3_GFX90A:TG_SPLIT: 0
	.section	.text._ZN7rocprim17ROCPRIM_400000_NS6detail17trampoline_kernelINS0_14default_configENS1_35radix_sort_onesweep_config_selectorIiNS0_10empty_typeEEEZZNS1_29radix_sort_onesweep_iterationIS3_Lb0EN6thrust23THRUST_200600_302600_NS6detail15normal_iteratorINS9_10device_ptrIiEEEESE_PS5_SF_jNS0_19identity_decomposerENS1_16block_id_wrapperIjLb0EEEEE10hipError_tT1_PNSt15iterator_traitsISK_E10value_typeET2_T3_PNSL_ISQ_E10value_typeET4_T5_PSV_SW_PNS1_23onesweep_lookback_stateEbbT6_jjT7_P12ihipStream_tbENKUlT_T0_SK_SP_E_clISE_SE_SF_SF_EEDaS13_S14_SK_SP_EUlS13_E_NS1_11comp_targetILNS1_3genE0ELNS1_11target_archE4294967295ELNS1_3gpuE0ELNS1_3repE0EEENS1_47radix_sort_onesweep_sort_config_static_selectorELNS0_4arch9wavefront6targetE1EEEvSK_,"axG",@progbits,_ZN7rocprim17ROCPRIM_400000_NS6detail17trampoline_kernelINS0_14default_configENS1_35radix_sort_onesweep_config_selectorIiNS0_10empty_typeEEEZZNS1_29radix_sort_onesweep_iterationIS3_Lb0EN6thrust23THRUST_200600_302600_NS6detail15normal_iteratorINS9_10device_ptrIiEEEESE_PS5_SF_jNS0_19identity_decomposerENS1_16block_id_wrapperIjLb0EEEEE10hipError_tT1_PNSt15iterator_traitsISK_E10value_typeET2_T3_PNSL_ISQ_E10value_typeET4_T5_PSV_SW_PNS1_23onesweep_lookback_stateEbbT6_jjT7_P12ihipStream_tbENKUlT_T0_SK_SP_E_clISE_SE_SF_SF_EEDaS13_S14_SK_SP_EUlS13_E_NS1_11comp_targetILNS1_3genE0ELNS1_11target_archE4294967295ELNS1_3gpuE0ELNS1_3repE0EEENS1_47radix_sort_onesweep_sort_config_static_selectorELNS0_4arch9wavefront6targetE1EEEvSK_,comdat
	.protected	_ZN7rocprim17ROCPRIM_400000_NS6detail17trampoline_kernelINS0_14default_configENS1_35radix_sort_onesweep_config_selectorIiNS0_10empty_typeEEEZZNS1_29radix_sort_onesweep_iterationIS3_Lb0EN6thrust23THRUST_200600_302600_NS6detail15normal_iteratorINS9_10device_ptrIiEEEESE_PS5_SF_jNS0_19identity_decomposerENS1_16block_id_wrapperIjLb0EEEEE10hipError_tT1_PNSt15iterator_traitsISK_E10value_typeET2_T3_PNSL_ISQ_E10value_typeET4_T5_PSV_SW_PNS1_23onesweep_lookback_stateEbbT6_jjT7_P12ihipStream_tbENKUlT_T0_SK_SP_E_clISE_SE_SF_SF_EEDaS13_S14_SK_SP_EUlS13_E_NS1_11comp_targetILNS1_3genE0ELNS1_11target_archE4294967295ELNS1_3gpuE0ELNS1_3repE0EEENS1_47radix_sort_onesweep_sort_config_static_selectorELNS0_4arch9wavefront6targetE1EEEvSK_ ; -- Begin function _ZN7rocprim17ROCPRIM_400000_NS6detail17trampoline_kernelINS0_14default_configENS1_35radix_sort_onesweep_config_selectorIiNS0_10empty_typeEEEZZNS1_29radix_sort_onesweep_iterationIS3_Lb0EN6thrust23THRUST_200600_302600_NS6detail15normal_iteratorINS9_10device_ptrIiEEEESE_PS5_SF_jNS0_19identity_decomposerENS1_16block_id_wrapperIjLb0EEEEE10hipError_tT1_PNSt15iterator_traitsISK_E10value_typeET2_T3_PNSL_ISQ_E10value_typeET4_T5_PSV_SW_PNS1_23onesweep_lookback_stateEbbT6_jjT7_P12ihipStream_tbENKUlT_T0_SK_SP_E_clISE_SE_SF_SF_EEDaS13_S14_SK_SP_EUlS13_E_NS1_11comp_targetILNS1_3genE0ELNS1_11target_archE4294967295ELNS1_3gpuE0ELNS1_3repE0EEENS1_47radix_sort_onesweep_sort_config_static_selectorELNS0_4arch9wavefront6targetE1EEEvSK_
	.globl	_ZN7rocprim17ROCPRIM_400000_NS6detail17trampoline_kernelINS0_14default_configENS1_35radix_sort_onesweep_config_selectorIiNS0_10empty_typeEEEZZNS1_29radix_sort_onesweep_iterationIS3_Lb0EN6thrust23THRUST_200600_302600_NS6detail15normal_iteratorINS9_10device_ptrIiEEEESE_PS5_SF_jNS0_19identity_decomposerENS1_16block_id_wrapperIjLb0EEEEE10hipError_tT1_PNSt15iterator_traitsISK_E10value_typeET2_T3_PNSL_ISQ_E10value_typeET4_T5_PSV_SW_PNS1_23onesweep_lookback_stateEbbT6_jjT7_P12ihipStream_tbENKUlT_T0_SK_SP_E_clISE_SE_SF_SF_EEDaS13_S14_SK_SP_EUlS13_E_NS1_11comp_targetILNS1_3genE0ELNS1_11target_archE4294967295ELNS1_3gpuE0ELNS1_3repE0EEENS1_47radix_sort_onesweep_sort_config_static_selectorELNS0_4arch9wavefront6targetE1EEEvSK_
	.p2align	8
	.type	_ZN7rocprim17ROCPRIM_400000_NS6detail17trampoline_kernelINS0_14default_configENS1_35radix_sort_onesweep_config_selectorIiNS0_10empty_typeEEEZZNS1_29radix_sort_onesweep_iterationIS3_Lb0EN6thrust23THRUST_200600_302600_NS6detail15normal_iteratorINS9_10device_ptrIiEEEESE_PS5_SF_jNS0_19identity_decomposerENS1_16block_id_wrapperIjLb0EEEEE10hipError_tT1_PNSt15iterator_traitsISK_E10value_typeET2_T3_PNSL_ISQ_E10value_typeET4_T5_PSV_SW_PNS1_23onesweep_lookback_stateEbbT6_jjT7_P12ihipStream_tbENKUlT_T0_SK_SP_E_clISE_SE_SF_SF_EEDaS13_S14_SK_SP_EUlS13_E_NS1_11comp_targetILNS1_3genE0ELNS1_11target_archE4294967295ELNS1_3gpuE0ELNS1_3repE0EEENS1_47radix_sort_onesweep_sort_config_static_selectorELNS0_4arch9wavefront6targetE1EEEvSK_,@function
_ZN7rocprim17ROCPRIM_400000_NS6detail17trampoline_kernelINS0_14default_configENS1_35radix_sort_onesweep_config_selectorIiNS0_10empty_typeEEEZZNS1_29radix_sort_onesweep_iterationIS3_Lb0EN6thrust23THRUST_200600_302600_NS6detail15normal_iteratorINS9_10device_ptrIiEEEESE_PS5_SF_jNS0_19identity_decomposerENS1_16block_id_wrapperIjLb0EEEEE10hipError_tT1_PNSt15iterator_traitsISK_E10value_typeET2_T3_PNSL_ISQ_E10value_typeET4_T5_PSV_SW_PNS1_23onesweep_lookback_stateEbbT6_jjT7_P12ihipStream_tbENKUlT_T0_SK_SP_E_clISE_SE_SF_SF_EEDaS13_S14_SK_SP_EUlS13_E_NS1_11comp_targetILNS1_3genE0ELNS1_11target_archE4294967295ELNS1_3gpuE0ELNS1_3repE0EEENS1_47radix_sort_onesweep_sort_config_static_selectorELNS0_4arch9wavefront6targetE1EEEvSK_: ; @_ZN7rocprim17ROCPRIM_400000_NS6detail17trampoline_kernelINS0_14default_configENS1_35radix_sort_onesweep_config_selectorIiNS0_10empty_typeEEEZZNS1_29radix_sort_onesweep_iterationIS3_Lb0EN6thrust23THRUST_200600_302600_NS6detail15normal_iteratorINS9_10device_ptrIiEEEESE_PS5_SF_jNS0_19identity_decomposerENS1_16block_id_wrapperIjLb0EEEEE10hipError_tT1_PNSt15iterator_traitsISK_E10value_typeET2_T3_PNSL_ISQ_E10value_typeET4_T5_PSV_SW_PNS1_23onesweep_lookback_stateEbbT6_jjT7_P12ihipStream_tbENKUlT_T0_SK_SP_E_clISE_SE_SF_SF_EEDaS13_S14_SK_SP_EUlS13_E_NS1_11comp_targetILNS1_3genE0ELNS1_11target_archE4294967295ELNS1_3gpuE0ELNS1_3repE0EEENS1_47radix_sort_onesweep_sort_config_static_selectorELNS0_4arch9wavefront6targetE1EEEvSK_
; %bb.0:
	.section	.rodata,"a",@progbits
	.p2align	6, 0x0
	.amdhsa_kernel _ZN7rocprim17ROCPRIM_400000_NS6detail17trampoline_kernelINS0_14default_configENS1_35radix_sort_onesweep_config_selectorIiNS0_10empty_typeEEEZZNS1_29radix_sort_onesweep_iterationIS3_Lb0EN6thrust23THRUST_200600_302600_NS6detail15normal_iteratorINS9_10device_ptrIiEEEESE_PS5_SF_jNS0_19identity_decomposerENS1_16block_id_wrapperIjLb0EEEEE10hipError_tT1_PNSt15iterator_traitsISK_E10value_typeET2_T3_PNSL_ISQ_E10value_typeET4_T5_PSV_SW_PNS1_23onesweep_lookback_stateEbbT6_jjT7_P12ihipStream_tbENKUlT_T0_SK_SP_E_clISE_SE_SF_SF_EEDaS13_S14_SK_SP_EUlS13_E_NS1_11comp_targetILNS1_3genE0ELNS1_11target_archE4294967295ELNS1_3gpuE0ELNS1_3repE0EEENS1_47radix_sort_onesweep_sort_config_static_selectorELNS0_4arch9wavefront6targetE1EEEvSK_
		.amdhsa_group_segment_fixed_size 0
		.amdhsa_private_segment_fixed_size 0
		.amdhsa_kernarg_size 88
		.amdhsa_user_sgpr_count 2
		.amdhsa_user_sgpr_dispatch_ptr 0
		.amdhsa_user_sgpr_queue_ptr 0
		.amdhsa_user_sgpr_kernarg_segment_ptr 1
		.amdhsa_user_sgpr_dispatch_id 0
		.amdhsa_user_sgpr_kernarg_preload_length 0
		.amdhsa_user_sgpr_kernarg_preload_offset 0
		.amdhsa_user_sgpr_private_segment_size 0
		.amdhsa_uses_dynamic_stack 0
		.amdhsa_enable_private_segment 0
		.amdhsa_system_sgpr_workgroup_id_x 1
		.amdhsa_system_sgpr_workgroup_id_y 0
		.amdhsa_system_sgpr_workgroup_id_z 0
		.amdhsa_system_sgpr_workgroup_info 0
		.amdhsa_system_vgpr_workitem_id 0
		.amdhsa_next_free_vgpr 1
		.amdhsa_next_free_sgpr 0
		.amdhsa_accum_offset 4
		.amdhsa_reserve_vcc 0
		.amdhsa_float_round_mode_32 0
		.amdhsa_float_round_mode_16_64 0
		.amdhsa_float_denorm_mode_32 3
		.amdhsa_float_denorm_mode_16_64 3
		.amdhsa_dx10_clamp 1
		.amdhsa_ieee_mode 1
		.amdhsa_fp16_overflow 0
		.amdhsa_tg_split 0
		.amdhsa_exception_fp_ieee_invalid_op 0
		.amdhsa_exception_fp_denorm_src 0
		.amdhsa_exception_fp_ieee_div_zero 0
		.amdhsa_exception_fp_ieee_overflow 0
		.amdhsa_exception_fp_ieee_underflow 0
		.amdhsa_exception_fp_ieee_inexact 0
		.amdhsa_exception_int_div_zero 0
	.end_amdhsa_kernel
	.section	.text._ZN7rocprim17ROCPRIM_400000_NS6detail17trampoline_kernelINS0_14default_configENS1_35radix_sort_onesweep_config_selectorIiNS0_10empty_typeEEEZZNS1_29radix_sort_onesweep_iterationIS3_Lb0EN6thrust23THRUST_200600_302600_NS6detail15normal_iteratorINS9_10device_ptrIiEEEESE_PS5_SF_jNS0_19identity_decomposerENS1_16block_id_wrapperIjLb0EEEEE10hipError_tT1_PNSt15iterator_traitsISK_E10value_typeET2_T3_PNSL_ISQ_E10value_typeET4_T5_PSV_SW_PNS1_23onesweep_lookback_stateEbbT6_jjT7_P12ihipStream_tbENKUlT_T0_SK_SP_E_clISE_SE_SF_SF_EEDaS13_S14_SK_SP_EUlS13_E_NS1_11comp_targetILNS1_3genE0ELNS1_11target_archE4294967295ELNS1_3gpuE0ELNS1_3repE0EEENS1_47radix_sort_onesweep_sort_config_static_selectorELNS0_4arch9wavefront6targetE1EEEvSK_,"axG",@progbits,_ZN7rocprim17ROCPRIM_400000_NS6detail17trampoline_kernelINS0_14default_configENS1_35radix_sort_onesweep_config_selectorIiNS0_10empty_typeEEEZZNS1_29radix_sort_onesweep_iterationIS3_Lb0EN6thrust23THRUST_200600_302600_NS6detail15normal_iteratorINS9_10device_ptrIiEEEESE_PS5_SF_jNS0_19identity_decomposerENS1_16block_id_wrapperIjLb0EEEEE10hipError_tT1_PNSt15iterator_traitsISK_E10value_typeET2_T3_PNSL_ISQ_E10value_typeET4_T5_PSV_SW_PNS1_23onesweep_lookback_stateEbbT6_jjT7_P12ihipStream_tbENKUlT_T0_SK_SP_E_clISE_SE_SF_SF_EEDaS13_S14_SK_SP_EUlS13_E_NS1_11comp_targetILNS1_3genE0ELNS1_11target_archE4294967295ELNS1_3gpuE0ELNS1_3repE0EEENS1_47radix_sort_onesweep_sort_config_static_selectorELNS0_4arch9wavefront6targetE1EEEvSK_,comdat
.Lfunc_end186:
	.size	_ZN7rocprim17ROCPRIM_400000_NS6detail17trampoline_kernelINS0_14default_configENS1_35radix_sort_onesweep_config_selectorIiNS0_10empty_typeEEEZZNS1_29radix_sort_onesweep_iterationIS3_Lb0EN6thrust23THRUST_200600_302600_NS6detail15normal_iteratorINS9_10device_ptrIiEEEESE_PS5_SF_jNS0_19identity_decomposerENS1_16block_id_wrapperIjLb0EEEEE10hipError_tT1_PNSt15iterator_traitsISK_E10value_typeET2_T3_PNSL_ISQ_E10value_typeET4_T5_PSV_SW_PNS1_23onesweep_lookback_stateEbbT6_jjT7_P12ihipStream_tbENKUlT_T0_SK_SP_E_clISE_SE_SF_SF_EEDaS13_S14_SK_SP_EUlS13_E_NS1_11comp_targetILNS1_3genE0ELNS1_11target_archE4294967295ELNS1_3gpuE0ELNS1_3repE0EEENS1_47radix_sort_onesweep_sort_config_static_selectorELNS0_4arch9wavefront6targetE1EEEvSK_, .Lfunc_end186-_ZN7rocprim17ROCPRIM_400000_NS6detail17trampoline_kernelINS0_14default_configENS1_35radix_sort_onesweep_config_selectorIiNS0_10empty_typeEEEZZNS1_29radix_sort_onesweep_iterationIS3_Lb0EN6thrust23THRUST_200600_302600_NS6detail15normal_iteratorINS9_10device_ptrIiEEEESE_PS5_SF_jNS0_19identity_decomposerENS1_16block_id_wrapperIjLb0EEEEE10hipError_tT1_PNSt15iterator_traitsISK_E10value_typeET2_T3_PNSL_ISQ_E10value_typeET4_T5_PSV_SW_PNS1_23onesweep_lookback_stateEbbT6_jjT7_P12ihipStream_tbENKUlT_T0_SK_SP_E_clISE_SE_SF_SF_EEDaS13_S14_SK_SP_EUlS13_E_NS1_11comp_targetILNS1_3genE0ELNS1_11target_archE4294967295ELNS1_3gpuE0ELNS1_3repE0EEENS1_47radix_sort_onesweep_sort_config_static_selectorELNS0_4arch9wavefront6targetE1EEEvSK_
                                        ; -- End function
	.set _ZN7rocprim17ROCPRIM_400000_NS6detail17trampoline_kernelINS0_14default_configENS1_35radix_sort_onesweep_config_selectorIiNS0_10empty_typeEEEZZNS1_29radix_sort_onesweep_iterationIS3_Lb0EN6thrust23THRUST_200600_302600_NS6detail15normal_iteratorINS9_10device_ptrIiEEEESE_PS5_SF_jNS0_19identity_decomposerENS1_16block_id_wrapperIjLb0EEEEE10hipError_tT1_PNSt15iterator_traitsISK_E10value_typeET2_T3_PNSL_ISQ_E10value_typeET4_T5_PSV_SW_PNS1_23onesweep_lookback_stateEbbT6_jjT7_P12ihipStream_tbENKUlT_T0_SK_SP_E_clISE_SE_SF_SF_EEDaS13_S14_SK_SP_EUlS13_E_NS1_11comp_targetILNS1_3genE0ELNS1_11target_archE4294967295ELNS1_3gpuE0ELNS1_3repE0EEENS1_47radix_sort_onesweep_sort_config_static_selectorELNS0_4arch9wavefront6targetE1EEEvSK_.num_vgpr, 0
	.set _ZN7rocprim17ROCPRIM_400000_NS6detail17trampoline_kernelINS0_14default_configENS1_35radix_sort_onesweep_config_selectorIiNS0_10empty_typeEEEZZNS1_29radix_sort_onesweep_iterationIS3_Lb0EN6thrust23THRUST_200600_302600_NS6detail15normal_iteratorINS9_10device_ptrIiEEEESE_PS5_SF_jNS0_19identity_decomposerENS1_16block_id_wrapperIjLb0EEEEE10hipError_tT1_PNSt15iterator_traitsISK_E10value_typeET2_T3_PNSL_ISQ_E10value_typeET4_T5_PSV_SW_PNS1_23onesweep_lookback_stateEbbT6_jjT7_P12ihipStream_tbENKUlT_T0_SK_SP_E_clISE_SE_SF_SF_EEDaS13_S14_SK_SP_EUlS13_E_NS1_11comp_targetILNS1_3genE0ELNS1_11target_archE4294967295ELNS1_3gpuE0ELNS1_3repE0EEENS1_47radix_sort_onesweep_sort_config_static_selectorELNS0_4arch9wavefront6targetE1EEEvSK_.num_agpr, 0
	.set _ZN7rocprim17ROCPRIM_400000_NS6detail17trampoline_kernelINS0_14default_configENS1_35radix_sort_onesweep_config_selectorIiNS0_10empty_typeEEEZZNS1_29radix_sort_onesweep_iterationIS3_Lb0EN6thrust23THRUST_200600_302600_NS6detail15normal_iteratorINS9_10device_ptrIiEEEESE_PS5_SF_jNS0_19identity_decomposerENS1_16block_id_wrapperIjLb0EEEEE10hipError_tT1_PNSt15iterator_traitsISK_E10value_typeET2_T3_PNSL_ISQ_E10value_typeET4_T5_PSV_SW_PNS1_23onesweep_lookback_stateEbbT6_jjT7_P12ihipStream_tbENKUlT_T0_SK_SP_E_clISE_SE_SF_SF_EEDaS13_S14_SK_SP_EUlS13_E_NS1_11comp_targetILNS1_3genE0ELNS1_11target_archE4294967295ELNS1_3gpuE0ELNS1_3repE0EEENS1_47radix_sort_onesweep_sort_config_static_selectorELNS0_4arch9wavefront6targetE1EEEvSK_.numbered_sgpr, 0
	.set _ZN7rocprim17ROCPRIM_400000_NS6detail17trampoline_kernelINS0_14default_configENS1_35radix_sort_onesweep_config_selectorIiNS0_10empty_typeEEEZZNS1_29radix_sort_onesweep_iterationIS3_Lb0EN6thrust23THRUST_200600_302600_NS6detail15normal_iteratorINS9_10device_ptrIiEEEESE_PS5_SF_jNS0_19identity_decomposerENS1_16block_id_wrapperIjLb0EEEEE10hipError_tT1_PNSt15iterator_traitsISK_E10value_typeET2_T3_PNSL_ISQ_E10value_typeET4_T5_PSV_SW_PNS1_23onesweep_lookback_stateEbbT6_jjT7_P12ihipStream_tbENKUlT_T0_SK_SP_E_clISE_SE_SF_SF_EEDaS13_S14_SK_SP_EUlS13_E_NS1_11comp_targetILNS1_3genE0ELNS1_11target_archE4294967295ELNS1_3gpuE0ELNS1_3repE0EEENS1_47radix_sort_onesweep_sort_config_static_selectorELNS0_4arch9wavefront6targetE1EEEvSK_.num_named_barrier, 0
	.set _ZN7rocprim17ROCPRIM_400000_NS6detail17trampoline_kernelINS0_14default_configENS1_35radix_sort_onesweep_config_selectorIiNS0_10empty_typeEEEZZNS1_29radix_sort_onesweep_iterationIS3_Lb0EN6thrust23THRUST_200600_302600_NS6detail15normal_iteratorINS9_10device_ptrIiEEEESE_PS5_SF_jNS0_19identity_decomposerENS1_16block_id_wrapperIjLb0EEEEE10hipError_tT1_PNSt15iterator_traitsISK_E10value_typeET2_T3_PNSL_ISQ_E10value_typeET4_T5_PSV_SW_PNS1_23onesweep_lookback_stateEbbT6_jjT7_P12ihipStream_tbENKUlT_T0_SK_SP_E_clISE_SE_SF_SF_EEDaS13_S14_SK_SP_EUlS13_E_NS1_11comp_targetILNS1_3genE0ELNS1_11target_archE4294967295ELNS1_3gpuE0ELNS1_3repE0EEENS1_47radix_sort_onesweep_sort_config_static_selectorELNS0_4arch9wavefront6targetE1EEEvSK_.private_seg_size, 0
	.set _ZN7rocprim17ROCPRIM_400000_NS6detail17trampoline_kernelINS0_14default_configENS1_35radix_sort_onesweep_config_selectorIiNS0_10empty_typeEEEZZNS1_29radix_sort_onesweep_iterationIS3_Lb0EN6thrust23THRUST_200600_302600_NS6detail15normal_iteratorINS9_10device_ptrIiEEEESE_PS5_SF_jNS0_19identity_decomposerENS1_16block_id_wrapperIjLb0EEEEE10hipError_tT1_PNSt15iterator_traitsISK_E10value_typeET2_T3_PNSL_ISQ_E10value_typeET4_T5_PSV_SW_PNS1_23onesweep_lookback_stateEbbT6_jjT7_P12ihipStream_tbENKUlT_T0_SK_SP_E_clISE_SE_SF_SF_EEDaS13_S14_SK_SP_EUlS13_E_NS1_11comp_targetILNS1_3genE0ELNS1_11target_archE4294967295ELNS1_3gpuE0ELNS1_3repE0EEENS1_47radix_sort_onesweep_sort_config_static_selectorELNS0_4arch9wavefront6targetE1EEEvSK_.uses_vcc, 0
	.set _ZN7rocprim17ROCPRIM_400000_NS6detail17trampoline_kernelINS0_14default_configENS1_35radix_sort_onesweep_config_selectorIiNS0_10empty_typeEEEZZNS1_29radix_sort_onesweep_iterationIS3_Lb0EN6thrust23THRUST_200600_302600_NS6detail15normal_iteratorINS9_10device_ptrIiEEEESE_PS5_SF_jNS0_19identity_decomposerENS1_16block_id_wrapperIjLb0EEEEE10hipError_tT1_PNSt15iterator_traitsISK_E10value_typeET2_T3_PNSL_ISQ_E10value_typeET4_T5_PSV_SW_PNS1_23onesweep_lookback_stateEbbT6_jjT7_P12ihipStream_tbENKUlT_T0_SK_SP_E_clISE_SE_SF_SF_EEDaS13_S14_SK_SP_EUlS13_E_NS1_11comp_targetILNS1_3genE0ELNS1_11target_archE4294967295ELNS1_3gpuE0ELNS1_3repE0EEENS1_47radix_sort_onesweep_sort_config_static_selectorELNS0_4arch9wavefront6targetE1EEEvSK_.uses_flat_scratch, 0
	.set _ZN7rocprim17ROCPRIM_400000_NS6detail17trampoline_kernelINS0_14default_configENS1_35radix_sort_onesweep_config_selectorIiNS0_10empty_typeEEEZZNS1_29radix_sort_onesweep_iterationIS3_Lb0EN6thrust23THRUST_200600_302600_NS6detail15normal_iteratorINS9_10device_ptrIiEEEESE_PS5_SF_jNS0_19identity_decomposerENS1_16block_id_wrapperIjLb0EEEEE10hipError_tT1_PNSt15iterator_traitsISK_E10value_typeET2_T3_PNSL_ISQ_E10value_typeET4_T5_PSV_SW_PNS1_23onesweep_lookback_stateEbbT6_jjT7_P12ihipStream_tbENKUlT_T0_SK_SP_E_clISE_SE_SF_SF_EEDaS13_S14_SK_SP_EUlS13_E_NS1_11comp_targetILNS1_3genE0ELNS1_11target_archE4294967295ELNS1_3gpuE0ELNS1_3repE0EEENS1_47radix_sort_onesweep_sort_config_static_selectorELNS0_4arch9wavefront6targetE1EEEvSK_.has_dyn_sized_stack, 0
	.set _ZN7rocprim17ROCPRIM_400000_NS6detail17trampoline_kernelINS0_14default_configENS1_35radix_sort_onesweep_config_selectorIiNS0_10empty_typeEEEZZNS1_29radix_sort_onesweep_iterationIS3_Lb0EN6thrust23THRUST_200600_302600_NS6detail15normal_iteratorINS9_10device_ptrIiEEEESE_PS5_SF_jNS0_19identity_decomposerENS1_16block_id_wrapperIjLb0EEEEE10hipError_tT1_PNSt15iterator_traitsISK_E10value_typeET2_T3_PNSL_ISQ_E10value_typeET4_T5_PSV_SW_PNS1_23onesweep_lookback_stateEbbT6_jjT7_P12ihipStream_tbENKUlT_T0_SK_SP_E_clISE_SE_SF_SF_EEDaS13_S14_SK_SP_EUlS13_E_NS1_11comp_targetILNS1_3genE0ELNS1_11target_archE4294967295ELNS1_3gpuE0ELNS1_3repE0EEENS1_47radix_sort_onesweep_sort_config_static_selectorELNS0_4arch9wavefront6targetE1EEEvSK_.has_recursion, 0
	.set _ZN7rocprim17ROCPRIM_400000_NS6detail17trampoline_kernelINS0_14default_configENS1_35radix_sort_onesweep_config_selectorIiNS0_10empty_typeEEEZZNS1_29radix_sort_onesweep_iterationIS3_Lb0EN6thrust23THRUST_200600_302600_NS6detail15normal_iteratorINS9_10device_ptrIiEEEESE_PS5_SF_jNS0_19identity_decomposerENS1_16block_id_wrapperIjLb0EEEEE10hipError_tT1_PNSt15iterator_traitsISK_E10value_typeET2_T3_PNSL_ISQ_E10value_typeET4_T5_PSV_SW_PNS1_23onesweep_lookback_stateEbbT6_jjT7_P12ihipStream_tbENKUlT_T0_SK_SP_E_clISE_SE_SF_SF_EEDaS13_S14_SK_SP_EUlS13_E_NS1_11comp_targetILNS1_3genE0ELNS1_11target_archE4294967295ELNS1_3gpuE0ELNS1_3repE0EEENS1_47radix_sort_onesweep_sort_config_static_selectorELNS0_4arch9wavefront6targetE1EEEvSK_.has_indirect_call, 0
	.section	.AMDGPU.csdata,"",@progbits
; Kernel info:
; codeLenInByte = 0
; TotalNumSgprs: 6
; NumVgprs: 0
; NumAgprs: 0
; TotalNumVgprs: 0
; ScratchSize: 0
; MemoryBound: 0
; FloatMode: 240
; IeeeMode: 1
; LDSByteSize: 0 bytes/workgroup (compile time only)
; SGPRBlocks: 0
; VGPRBlocks: 0
; NumSGPRsForWavesPerEU: 6
; NumVGPRsForWavesPerEU: 1
; AccumOffset: 4
; Occupancy: 8
; WaveLimiterHint : 0
; COMPUTE_PGM_RSRC2:SCRATCH_EN: 0
; COMPUTE_PGM_RSRC2:USER_SGPR: 2
; COMPUTE_PGM_RSRC2:TRAP_HANDLER: 0
; COMPUTE_PGM_RSRC2:TGID_X_EN: 1
; COMPUTE_PGM_RSRC2:TGID_Y_EN: 0
; COMPUTE_PGM_RSRC2:TGID_Z_EN: 0
; COMPUTE_PGM_RSRC2:TIDIG_COMP_CNT: 0
; COMPUTE_PGM_RSRC3_GFX90A:ACCUM_OFFSET: 0
; COMPUTE_PGM_RSRC3_GFX90A:TG_SPLIT: 0
	.section	.text._ZN7rocprim17ROCPRIM_400000_NS6detail17trampoline_kernelINS0_14default_configENS1_35radix_sort_onesweep_config_selectorIiNS0_10empty_typeEEEZZNS1_29radix_sort_onesweep_iterationIS3_Lb0EN6thrust23THRUST_200600_302600_NS6detail15normal_iteratorINS9_10device_ptrIiEEEESE_PS5_SF_jNS0_19identity_decomposerENS1_16block_id_wrapperIjLb0EEEEE10hipError_tT1_PNSt15iterator_traitsISK_E10value_typeET2_T3_PNSL_ISQ_E10value_typeET4_T5_PSV_SW_PNS1_23onesweep_lookback_stateEbbT6_jjT7_P12ihipStream_tbENKUlT_T0_SK_SP_E_clISE_SE_SF_SF_EEDaS13_S14_SK_SP_EUlS13_E_NS1_11comp_targetILNS1_3genE6ELNS1_11target_archE950ELNS1_3gpuE13ELNS1_3repE0EEENS1_47radix_sort_onesweep_sort_config_static_selectorELNS0_4arch9wavefront6targetE1EEEvSK_,"axG",@progbits,_ZN7rocprim17ROCPRIM_400000_NS6detail17trampoline_kernelINS0_14default_configENS1_35radix_sort_onesweep_config_selectorIiNS0_10empty_typeEEEZZNS1_29radix_sort_onesweep_iterationIS3_Lb0EN6thrust23THRUST_200600_302600_NS6detail15normal_iteratorINS9_10device_ptrIiEEEESE_PS5_SF_jNS0_19identity_decomposerENS1_16block_id_wrapperIjLb0EEEEE10hipError_tT1_PNSt15iterator_traitsISK_E10value_typeET2_T3_PNSL_ISQ_E10value_typeET4_T5_PSV_SW_PNS1_23onesweep_lookback_stateEbbT6_jjT7_P12ihipStream_tbENKUlT_T0_SK_SP_E_clISE_SE_SF_SF_EEDaS13_S14_SK_SP_EUlS13_E_NS1_11comp_targetILNS1_3genE6ELNS1_11target_archE950ELNS1_3gpuE13ELNS1_3repE0EEENS1_47radix_sort_onesweep_sort_config_static_selectorELNS0_4arch9wavefront6targetE1EEEvSK_,comdat
	.protected	_ZN7rocprim17ROCPRIM_400000_NS6detail17trampoline_kernelINS0_14default_configENS1_35radix_sort_onesweep_config_selectorIiNS0_10empty_typeEEEZZNS1_29radix_sort_onesweep_iterationIS3_Lb0EN6thrust23THRUST_200600_302600_NS6detail15normal_iteratorINS9_10device_ptrIiEEEESE_PS5_SF_jNS0_19identity_decomposerENS1_16block_id_wrapperIjLb0EEEEE10hipError_tT1_PNSt15iterator_traitsISK_E10value_typeET2_T3_PNSL_ISQ_E10value_typeET4_T5_PSV_SW_PNS1_23onesweep_lookback_stateEbbT6_jjT7_P12ihipStream_tbENKUlT_T0_SK_SP_E_clISE_SE_SF_SF_EEDaS13_S14_SK_SP_EUlS13_E_NS1_11comp_targetILNS1_3genE6ELNS1_11target_archE950ELNS1_3gpuE13ELNS1_3repE0EEENS1_47radix_sort_onesweep_sort_config_static_selectorELNS0_4arch9wavefront6targetE1EEEvSK_ ; -- Begin function _ZN7rocprim17ROCPRIM_400000_NS6detail17trampoline_kernelINS0_14default_configENS1_35radix_sort_onesweep_config_selectorIiNS0_10empty_typeEEEZZNS1_29radix_sort_onesweep_iterationIS3_Lb0EN6thrust23THRUST_200600_302600_NS6detail15normal_iteratorINS9_10device_ptrIiEEEESE_PS5_SF_jNS0_19identity_decomposerENS1_16block_id_wrapperIjLb0EEEEE10hipError_tT1_PNSt15iterator_traitsISK_E10value_typeET2_T3_PNSL_ISQ_E10value_typeET4_T5_PSV_SW_PNS1_23onesweep_lookback_stateEbbT6_jjT7_P12ihipStream_tbENKUlT_T0_SK_SP_E_clISE_SE_SF_SF_EEDaS13_S14_SK_SP_EUlS13_E_NS1_11comp_targetILNS1_3genE6ELNS1_11target_archE950ELNS1_3gpuE13ELNS1_3repE0EEENS1_47radix_sort_onesweep_sort_config_static_selectorELNS0_4arch9wavefront6targetE1EEEvSK_
	.globl	_ZN7rocprim17ROCPRIM_400000_NS6detail17trampoline_kernelINS0_14default_configENS1_35radix_sort_onesweep_config_selectorIiNS0_10empty_typeEEEZZNS1_29radix_sort_onesweep_iterationIS3_Lb0EN6thrust23THRUST_200600_302600_NS6detail15normal_iteratorINS9_10device_ptrIiEEEESE_PS5_SF_jNS0_19identity_decomposerENS1_16block_id_wrapperIjLb0EEEEE10hipError_tT1_PNSt15iterator_traitsISK_E10value_typeET2_T3_PNSL_ISQ_E10value_typeET4_T5_PSV_SW_PNS1_23onesweep_lookback_stateEbbT6_jjT7_P12ihipStream_tbENKUlT_T0_SK_SP_E_clISE_SE_SF_SF_EEDaS13_S14_SK_SP_EUlS13_E_NS1_11comp_targetILNS1_3genE6ELNS1_11target_archE950ELNS1_3gpuE13ELNS1_3repE0EEENS1_47radix_sort_onesweep_sort_config_static_selectorELNS0_4arch9wavefront6targetE1EEEvSK_
	.p2align	8
	.type	_ZN7rocprim17ROCPRIM_400000_NS6detail17trampoline_kernelINS0_14default_configENS1_35radix_sort_onesweep_config_selectorIiNS0_10empty_typeEEEZZNS1_29radix_sort_onesweep_iterationIS3_Lb0EN6thrust23THRUST_200600_302600_NS6detail15normal_iteratorINS9_10device_ptrIiEEEESE_PS5_SF_jNS0_19identity_decomposerENS1_16block_id_wrapperIjLb0EEEEE10hipError_tT1_PNSt15iterator_traitsISK_E10value_typeET2_T3_PNSL_ISQ_E10value_typeET4_T5_PSV_SW_PNS1_23onesweep_lookback_stateEbbT6_jjT7_P12ihipStream_tbENKUlT_T0_SK_SP_E_clISE_SE_SF_SF_EEDaS13_S14_SK_SP_EUlS13_E_NS1_11comp_targetILNS1_3genE6ELNS1_11target_archE950ELNS1_3gpuE13ELNS1_3repE0EEENS1_47radix_sort_onesweep_sort_config_static_selectorELNS0_4arch9wavefront6targetE1EEEvSK_,@function
_ZN7rocprim17ROCPRIM_400000_NS6detail17trampoline_kernelINS0_14default_configENS1_35radix_sort_onesweep_config_selectorIiNS0_10empty_typeEEEZZNS1_29radix_sort_onesweep_iterationIS3_Lb0EN6thrust23THRUST_200600_302600_NS6detail15normal_iteratorINS9_10device_ptrIiEEEESE_PS5_SF_jNS0_19identity_decomposerENS1_16block_id_wrapperIjLb0EEEEE10hipError_tT1_PNSt15iterator_traitsISK_E10value_typeET2_T3_PNSL_ISQ_E10value_typeET4_T5_PSV_SW_PNS1_23onesweep_lookback_stateEbbT6_jjT7_P12ihipStream_tbENKUlT_T0_SK_SP_E_clISE_SE_SF_SF_EEDaS13_S14_SK_SP_EUlS13_E_NS1_11comp_targetILNS1_3genE6ELNS1_11target_archE950ELNS1_3gpuE13ELNS1_3repE0EEENS1_47radix_sort_onesweep_sort_config_static_selectorELNS0_4arch9wavefront6targetE1EEEvSK_: ; @_ZN7rocprim17ROCPRIM_400000_NS6detail17trampoline_kernelINS0_14default_configENS1_35radix_sort_onesweep_config_selectorIiNS0_10empty_typeEEEZZNS1_29radix_sort_onesweep_iterationIS3_Lb0EN6thrust23THRUST_200600_302600_NS6detail15normal_iteratorINS9_10device_ptrIiEEEESE_PS5_SF_jNS0_19identity_decomposerENS1_16block_id_wrapperIjLb0EEEEE10hipError_tT1_PNSt15iterator_traitsISK_E10value_typeET2_T3_PNSL_ISQ_E10value_typeET4_T5_PSV_SW_PNS1_23onesweep_lookback_stateEbbT6_jjT7_P12ihipStream_tbENKUlT_T0_SK_SP_E_clISE_SE_SF_SF_EEDaS13_S14_SK_SP_EUlS13_E_NS1_11comp_targetILNS1_3genE6ELNS1_11target_archE950ELNS1_3gpuE13ELNS1_3repE0EEENS1_47radix_sort_onesweep_sort_config_static_selectorELNS0_4arch9wavefront6targetE1EEEvSK_
; %bb.0:
	s_load_dwordx2 s[28:29], s[0:1], 0x38
	s_load_dwordx4 s[20:23], s[0:1], 0x44
	s_load_dwordx4 s[24:27], s[0:1], 0x0
	;; [unrolled: 1-line block ×3, first 2 shown]
	s_mov_b64 s[4:5], -1
	v_mbcnt_lo_u32_b32 v1, -1, 0
	s_waitcnt lgkmcnt(0)
	s_cmp_ge_u32 s2, s22
	s_cbranch_scc0 .LBB187_82
; %bb.1:
	s_load_dword s3, s[0:1], 0x20
	s_lshl_b32 s6, s22, 13
	s_lshl_b32 s4, s2, 13
	s_mov_b32 s5, 0
	v_and_b32_e32 v10, 0x3ff, v0
	s_waitcnt lgkmcnt(0)
	s_sub_i32 s3, s3, s6
	s_lshl_b64 s[4:5], s[4:5], 2
	v_mbcnt_hi_u32_b32 v16, -1, v1
	s_add_u32 s4, s24, s4
	v_and_b32_e32 v6, 63, v16
	v_lshlrev_b32_e32 v2, 3, v10
	s_addc_u32 s5, s25, s5
	v_and_b32_e32 v7, 0x1e00, v2
	v_lshlrev_b32_e32 v2, 2, v6
	v_mov_b32_e32 v3, 0
	v_lshl_add_u64 v[4:5], s[4:5], 0, v[2:3]
	v_lshlrev_b32_e32 v2, 2, v7
	v_lshl_add_u64 v[12:13], v[4:5], 0, v[2:3]
	v_or_b32_e32 v11, v6, v7
	v_bfrev_b32_e32 v2, -2
	v_cmp_gt_u32_e32 vcc, s3, v11
	v_mov_b32_e32 v3, v2
	v_mov_b32_e32 v4, v2
	;; [unrolled: 1-line block ×7, first 2 shown]
	s_and_saveexec_b64 s[4:5], vcc
	s_cbranch_execz .LBB187_3
; %bb.2:
	global_load_dword v18, v[12:13], off
	v_mov_b32_e32 v19, v2
	v_mov_b32_e32 v20, v2
	;; [unrolled: 1-line block ×7, first 2 shown]
	s_waitcnt vmcnt(0)
	v_mov_b64_e32 v[2:3], v[18:19]
	v_mov_b64_e32 v[4:5], v[20:21]
	;; [unrolled: 1-line block ×4, first 2 shown]
.LBB187_3:
	s_or_b64 exec, exec, s[4:5]
	v_or_b32_e32 v14, 64, v11
	v_cmp_gt_u32_e32 vcc, s3, v14
	s_and_saveexec_b64 s[4:5], vcc
	s_cbranch_execz .LBB187_5
; %bb.4:
	global_load_dword v3, v[12:13], off offset:256
.LBB187_5:
	s_or_b64 exec, exec, s[4:5]
	v_or_b32_e32 v14, 0x80, v11
	v_cmp_gt_u32_e32 vcc, s3, v14
	s_and_saveexec_b64 s[4:5], vcc
	s_cbranch_execz .LBB187_7
; %bb.6:
	global_load_dword v4, v[12:13], off offset:512
.LBB187_7:
	;; [unrolled: 8-line block ×7, first 2 shown]
	s_or_b64 exec, exec, s[4:5]
	s_load_dword s4, s[0:1], 0x64
	s_load_dword s22, s[0:1], 0x58
	s_add_u32 s5, s0, 0x58
	s_addc_u32 s6, s1, 0
	v_mov_b32_e32 v13, 0
	s_waitcnt lgkmcnt(0)
	s_lshr_b32 s7, s4, 16
	s_cmp_lt_u32 s2, s22
	s_cselect_b32 s4, 12, 18
	s_add_u32 s4, s5, s4
	s_addc_u32 s5, s6, 0
	global_load_ushort v30, v13, s[4:5]
	v_xor_b32_e32 v11, 0x80000000, v2
	v_lshrrev_b32_e32 v15, s20, v11
	s_lshl_b32 s4, -1, s21
	v_bfe_u32 v2, v0, 10, 10
	v_bfe_u32 v12, v0, 20, 10
	v_bitop3_b32 v31, v15, s4, v15 bitop3:0x30
	v_mad_u32_u24 v2, v12, s7, v2
	v_and_b32_e32 v12, 1, v31
	v_lshlrev_b32_e32 v15, 30, v31
	v_mov_b32_e32 v14, v13
	v_mov_b32_e32 v20, v13
	v_lshlrev_b32_e32 v19, 29, v31
	v_lshlrev_b32_e32 v21, 28, v31
	v_lshl_add_u64 v[28:29], v[12:13], 0, -1
	v_cmp_ne_u32_e32 vcc, 0, v12
	v_not_b32_e32 v12, v15
	v_mov_b32_e32 v18, v13
	v_mov_b32_e32 v22, v13
	s_not_b32 s23, s4
	v_lshlrev_b32_e32 v23, 27, v31
	v_cmp_gt_i64_e64 s[4:5], 0, v[14:15]
	v_not_b32_e32 v14, v19
	v_cmp_gt_i64_e64 s[8:9], 0, v[20:21]
	v_not_b32_e32 v15, v21
	v_xor_b32_e32 v21, vcc_hi, v29
	v_ashrrev_i32_e32 v12, 31, v12
	v_mov_b32_e32 v24, v13
	v_lshlrev_b32_e32 v25, 26, v31
	v_cmp_gt_i64_e64 s[6:7], 0, v[18:19]
	v_cmp_gt_i64_e64 s[10:11], 0, v[22:23]
	v_not_b32_e32 v18, v23
	v_xor_b32_e32 v22, vcc_lo, v28
	v_ashrrev_i32_e32 v14, 31, v14
	v_and_b32_e32 v21, exec_hi, v21
	v_xor_b32_e32 v23, s5, v12
	v_cmp_gt_i64_e64 s[12:13], 0, v[24:25]
	v_ashrrev_i32_e32 v15, 31, v15
	v_and_b32_e32 v22, exec_lo, v22
	v_xor_b32_e32 v12, s4, v12
	v_xor_b32_e32 v24, s7, v14
	v_and_b32_e32 v21, v21, v23
	v_mov_b32_e32 v26, v13
	v_lshlrev_b32_e32 v27, 25, v31
	v_not_b32_e32 v19, v25
	v_ashrrev_i32_e32 v18, 31, v18
	v_xor_b32_e32 v14, s6, v14
	v_xor_b32_e32 v25, s9, v15
	v_and_b32_e32 v12, v22, v12
	v_and_b32_e32 v21, v21, v24
	v_cmp_gt_i64_e64 s[14:15], 0, v[26:27]
	v_not_b32_e32 v20, v27
	v_ashrrev_i32_e32 v19, 31, v19
	v_xor_b32_e32 v26, s11, v18
	v_and_b32_e32 v12, v12, v14
	v_and_b32_e32 v14, v21, v25
	v_ashrrev_i32_e32 v20, 31, v20
	v_xor_b32_e32 v15, s8, v15
	v_xor_b32_e32 v27, s13, v19
	v_and_b32_e32 v14, v14, v26
	v_xor_b32_e32 v18, s10, v18
	v_xor_b32_e32 v28, s15, v20
	v_and_b32_e32 v12, v12, v15
	v_and_b32_e32 v14, v14, v27
	;; [unrolled: 1-line block ×4, first 2 shown]
	v_xor_b32_e32 v19, s12, v19
	v_xor_b32_e32 v20, s14, v20
	v_and_b32_e32 v12, v12, v19
	v_and_b32_e32 v12, v12, v20
	s_movk_i32 s30, 0x44
	v_mul_lo_u32 v32, v31, s30
	v_mul_u32_u24_e32 v17, 20, v10
	ds_write2_b32 v17, v13, v13 offset0:16 offset1:17
	ds_write2_b32 v17, v13, v13 offset0:18 offset1:19
	ds_write_b32 v17, v13 offset:80
	s_waitcnt lgkmcnt(0)
	s_barrier
	s_waitcnt vmcnt(0)
	; wave barrier
	v_mad_u64_u32 v[14:15], s[4:5], v2, v30, v[10:11]
	v_lshrrev_b32_e32 v2, 4, v14
	v_lshlrev_b32_e32 v15, 24, v31
	v_and_b32_e32 v30, 0xffffffc, v2
	v_mov_b32_e32 v14, v13
	v_not_b32_e32 v2, v15
	v_cmp_gt_i64_e32 vcc, 0, v[14:15]
	v_ashrrev_i32_e32 v2, 31, v2
	v_add_u32_e32 v22, v30, v32
	v_xor_b32_e32 v14, vcc_hi, v2
	v_xor_b32_e32 v2, vcc_lo, v2
	v_and_b32_e32 v15, v18, v14
	v_and_b32_e32 v14, v12, v2
	v_mbcnt_lo_u32_b32 v2, v14, 0
	v_mbcnt_hi_u32_b32 v18, v15, v2
	v_cmp_eq_u32_e32 vcc, 0, v18
	v_cmp_ne_u64_e64 s[4:5], 0, v[14:15]
	s_and_b64 s[6:7], s[4:5], vcc
	s_and_saveexec_b64 s[4:5], s[6:7]
; %bb.18:
	v_bcnt_u32_b32 v2, v14, 0
	v_bcnt_u32_b32 v2, v15, v2
	ds_write_b32 v22, v2 offset:64
; %bb.19:
	s_or_b64 exec, exec, s[4:5]
	v_xor_b32_e32 v14, 0x80000000, v3
	v_lshrrev_b32_e32 v2, s20, v14
	v_and_b32_e32 v15, s23, v2
	v_mul_lo_u32 v2, v15, s30
	v_and_b32_e32 v12, 1, v15
	v_add_u32_e32 v23, v30, v2
	v_lshl_add_u64 v[2:3], v[12:13], 0, -1
	v_cmp_ne_u32_e32 vcc, 0, v12
	; wave barrier
	s_nop 1
	v_xor_b32_e32 v3, vcc_hi, v3
	v_xor_b32_e32 v2, vcc_lo, v2
	v_and_b32_e32 v12, exec_hi, v3
	v_and_b32_e32 v20, exec_lo, v2
	v_lshlrev_b32_e32 v3, 30, v15
	v_mov_b32_e32 v2, v13
	v_cmp_gt_i64_e32 vcc, 0, v[2:3]
	v_not_b32_e32 v2, v3
	v_ashrrev_i32_e32 v2, 31, v2
	v_xor_b32_e32 v3, vcc_hi, v2
	v_xor_b32_e32 v2, vcc_lo, v2
	v_and_b32_e32 v12, v12, v3
	v_and_b32_e32 v20, v20, v2
	v_lshlrev_b32_e32 v3, 29, v15
	v_mov_b32_e32 v2, v13
	v_cmp_gt_i64_e32 vcc, 0, v[2:3]
	v_not_b32_e32 v2, v3
	v_ashrrev_i32_e32 v2, 31, v2
	v_xor_b32_e32 v3, vcc_hi, v2
	v_xor_b32_e32 v2, vcc_lo, v2
	v_and_b32_e32 v12, v12, v3
	v_and_b32_e32 v20, v20, v2
	;; [unrolled: 9-line block ×6, first 2 shown]
	v_lshlrev_b32_e32 v3, 24, v15
	v_mov_b32_e32 v2, v13
	v_cmp_gt_i64_e32 vcc, 0, v[2:3]
	v_not_b32_e32 v2, v3
	v_ashrrev_i32_e32 v2, 31, v2
	v_xor_b32_e32 v3, vcc_hi, v2
	v_xor_b32_e32 v2, vcc_lo, v2
	ds_read_b32 v19, v23 offset:64
	v_and_b32_e32 v2, v20, v2
	v_and_b32_e32 v3, v12, v3
	v_mbcnt_lo_u32_b32 v12, v2, 0
	v_mbcnt_hi_u32_b32 v20, v3, v12
	v_cmp_eq_u32_e32 vcc, 0, v20
	v_cmp_ne_u64_e64 s[4:5], 0, v[2:3]
	s_and_b64 s[6:7], s[4:5], vcc
	; wave barrier
	s_and_saveexec_b64 s[4:5], s[6:7]
	s_cbranch_execz .LBB187_21
; %bb.20:
	v_bcnt_u32_b32 v2, v2, 0
	v_bcnt_u32_b32 v2, v3, v2
	s_waitcnt lgkmcnt(0)
	v_add_u32_e32 v2, v19, v2
	ds_write_b32 v23, v2 offset:64
.LBB187_21:
	s_or_b64 exec, exec, s[4:5]
	v_xor_b32_e32 v15, 0x80000000, v4
	v_lshrrev_b32_e32 v2, s20, v15
	v_and_b32_e32 v4, s23, v2
	s_movk_i32 s6, 0x44
	v_mul_lo_u32 v2, v4, s6
	v_add_u32_e32 v27, v30, v2
	v_and_b32_e32 v2, 1, v4
	v_mov_b32_e32 v3, 0
	v_lshl_add_u64 v[12:13], v[2:3], 0, -1
	v_cmp_ne_u32_e32 vcc, 0, v2
	; wave barrier
	s_nop 1
	v_xor_b32_e32 v12, vcc_lo, v12
	v_xor_b32_e32 v2, vcc_hi, v13
	v_and_b32_e32 v24, exec_lo, v12
	v_lshlrev_b32_e32 v13, 30, v4
	v_mov_b32_e32 v12, v3
	v_cmp_gt_i64_e32 vcc, 0, v[12:13]
	v_not_b32_e32 v12, v13
	v_ashrrev_i32_e32 v12, 31, v12
	v_and_b32_e32 v2, exec_hi, v2
	v_xor_b32_e32 v13, vcc_hi, v12
	v_xor_b32_e32 v12, vcc_lo, v12
	v_and_b32_e32 v2, v2, v13
	v_and_b32_e32 v24, v24, v12
	v_lshlrev_b32_e32 v13, 29, v4
	v_mov_b32_e32 v12, v3
	v_cmp_gt_i64_e32 vcc, 0, v[12:13]
	v_not_b32_e32 v12, v13
	v_ashrrev_i32_e32 v12, 31, v12
	v_xor_b32_e32 v13, vcc_hi, v12
	v_xor_b32_e32 v12, vcc_lo, v12
	v_and_b32_e32 v2, v2, v13
	v_and_b32_e32 v24, v24, v12
	v_lshlrev_b32_e32 v13, 28, v4
	v_mov_b32_e32 v12, v3
	v_cmp_gt_i64_e32 vcc, 0, v[12:13]
	v_not_b32_e32 v12, v13
	v_ashrrev_i32_e32 v12, 31, v12
	;; [unrolled: 9-line block ×5, first 2 shown]
	v_xor_b32_e32 v13, vcc_hi, v12
	v_xor_b32_e32 v12, vcc_lo, v12
	v_and_b32_e32 v2, v2, v13
	v_lshlrev_b32_e32 v13, 24, v4
	v_and_b32_e32 v24, v24, v12
	v_mov_b32_e32 v12, v3
	v_not_b32_e32 v4, v13
	v_cmp_gt_i64_e32 vcc, 0, v[12:13]
	v_ashrrev_i32_e32 v4, 31, v4
	ds_read_b32 v21, v27 offset:64
	v_xor_b32_e32 v12, vcc_hi, v4
	v_xor_b32_e32 v4, vcc_lo, v4
	v_and_b32_e32 v13, v2, v12
	v_and_b32_e32 v12, v24, v4
	v_mbcnt_lo_u32_b32 v2, v12, 0
	v_mbcnt_hi_u32_b32 v25, v13, v2
	v_cmp_eq_u32_e32 vcc, 0, v25
	v_cmp_ne_u64_e64 s[4:5], 0, v[12:13]
	s_and_b64 s[8:9], s[4:5], vcc
	; wave barrier
	s_and_saveexec_b64 s[4:5], s[8:9]
	s_cbranch_execz .LBB187_23
; %bb.22:
	v_bcnt_u32_b32 v2, v12, 0
	v_bcnt_u32_b32 v2, v13, v2
	s_waitcnt lgkmcnt(0)
	v_add_u32_e32 v2, v21, v2
	ds_write_b32 v27, v2 offset:64
.LBB187_23:
	s_or_b64 exec, exec, s[4:5]
	v_xor_b32_e32 v12, 0x80000000, v5
	v_lshrrev_b32_e32 v2, s20, v12
	v_and_b32_e32 v13, s23, v2
	v_mul_lo_u32 v2, v13, s6
	v_add_u32_e32 v31, v30, v2
	v_and_b32_e32 v2, 1, v13
	v_lshl_add_u64 v[4:5], v[2:3], 0, -1
	v_cmp_ne_u32_e32 vcc, 0, v2
	; wave barrier
	s_nop 1
	v_xor_b32_e32 v4, vcc_lo, v4
	v_xor_b32_e32 v2, vcc_hi, v5
	v_and_b32_e32 v24, exec_lo, v4
	v_lshlrev_b32_e32 v5, 30, v13
	v_mov_b32_e32 v4, v3
	v_cmp_gt_i64_e32 vcc, 0, v[4:5]
	v_not_b32_e32 v4, v5
	v_ashrrev_i32_e32 v4, 31, v4
	v_and_b32_e32 v2, exec_hi, v2
	v_xor_b32_e32 v5, vcc_hi, v4
	v_xor_b32_e32 v4, vcc_lo, v4
	v_and_b32_e32 v2, v2, v5
	v_and_b32_e32 v24, v24, v4
	v_lshlrev_b32_e32 v5, 29, v13
	v_mov_b32_e32 v4, v3
	v_cmp_gt_i64_e32 vcc, 0, v[4:5]
	v_not_b32_e32 v4, v5
	v_ashrrev_i32_e32 v4, 31, v4
	v_xor_b32_e32 v5, vcc_hi, v4
	v_xor_b32_e32 v4, vcc_lo, v4
	v_and_b32_e32 v2, v2, v5
	v_and_b32_e32 v24, v24, v4
	v_lshlrev_b32_e32 v5, 28, v13
	v_mov_b32_e32 v4, v3
	v_cmp_gt_i64_e32 vcc, 0, v[4:5]
	v_not_b32_e32 v4, v5
	v_ashrrev_i32_e32 v4, 31, v4
	;; [unrolled: 9-line block ×5, first 2 shown]
	v_xor_b32_e32 v5, vcc_hi, v4
	v_xor_b32_e32 v4, vcc_lo, v4
	v_and_b32_e32 v2, v2, v5
	v_lshlrev_b32_e32 v5, 24, v13
	v_and_b32_e32 v24, v24, v4
	v_mov_b32_e32 v4, v3
	v_not_b32_e32 v3, v5
	v_cmp_gt_i64_e32 vcc, 0, v[4:5]
	v_ashrrev_i32_e32 v3, 31, v3
	ds_read_b32 v26, v31 offset:64
	v_xor_b32_e32 v4, vcc_hi, v3
	v_xor_b32_e32 v5, vcc_lo, v3
	v_and_b32_e32 v3, v2, v4
	v_and_b32_e32 v2, v24, v5
	v_mbcnt_lo_u32_b32 v4, v2, 0
	v_mbcnt_hi_u32_b32 v28, v3, v4
	v_cmp_eq_u32_e32 vcc, 0, v28
	v_cmp_ne_u64_e64 s[4:5], 0, v[2:3]
	s_and_b64 s[6:7], s[4:5], vcc
	; wave barrier
	s_and_saveexec_b64 s[4:5], s[6:7]
	s_cbranch_execz .LBB187_25
; %bb.24:
	v_bcnt_u32_b32 v2, v2, 0
	v_bcnt_u32_b32 v2, v3, v2
	s_waitcnt lgkmcnt(0)
	v_add_u32_e32 v2, v26, v2
	ds_write_b32 v31, v2 offset:64
.LBB187_25:
	s_or_b64 exec, exec, s[4:5]
	v_xor_b32_e32 v13, 0x80000000, v6
	v_lshrrev_b32_e32 v2, s20, v13
	v_and_b32_e32 v24, s23, v2
	s_movk_i32 s6, 0x44
	v_mul_lo_u32 v2, v24, s6
	v_add_u32_e32 v6, v30, v2
	v_and_b32_e32 v2, 1, v24
	v_mov_b32_e32 v3, 0
	v_lshl_add_u64 v[4:5], v[2:3], 0, -1
	v_cmp_ne_u32_e32 vcc, 0, v2
	; wave barrier
	s_nop 1
	v_xor_b32_e32 v4, vcc_lo, v4
	v_xor_b32_e32 v2, vcc_hi, v5
	v_and_b32_e32 v32, exec_lo, v4
	v_lshlrev_b32_e32 v5, 30, v24
	v_mov_b32_e32 v4, v3
	v_cmp_gt_i64_e32 vcc, 0, v[4:5]
	v_not_b32_e32 v4, v5
	v_ashrrev_i32_e32 v4, 31, v4
	v_and_b32_e32 v2, exec_hi, v2
	v_xor_b32_e32 v5, vcc_hi, v4
	v_xor_b32_e32 v4, vcc_lo, v4
	v_and_b32_e32 v2, v2, v5
	v_and_b32_e32 v32, v32, v4
	v_lshlrev_b32_e32 v5, 29, v24
	v_mov_b32_e32 v4, v3
	v_cmp_gt_i64_e32 vcc, 0, v[4:5]
	v_not_b32_e32 v4, v5
	v_ashrrev_i32_e32 v4, 31, v4
	v_xor_b32_e32 v5, vcc_hi, v4
	v_xor_b32_e32 v4, vcc_lo, v4
	v_and_b32_e32 v2, v2, v5
	v_and_b32_e32 v32, v32, v4
	v_lshlrev_b32_e32 v5, 28, v24
	v_mov_b32_e32 v4, v3
	v_cmp_gt_i64_e32 vcc, 0, v[4:5]
	v_not_b32_e32 v4, v5
	v_ashrrev_i32_e32 v4, 31, v4
	;; [unrolled: 9-line block ×6, first 2 shown]
	v_xor_b32_e32 v5, vcc_hi, v4
	v_xor_b32_e32 v4, vcc_lo, v4
	ds_read_b32 v29, v6 offset:64
	v_and_b32_e32 v4, v32, v4
	v_and_b32_e32 v5, v2, v5
	v_mbcnt_lo_u32_b32 v2, v4, 0
	v_mbcnt_hi_u32_b32 v32, v5, v2
	v_cmp_eq_u32_e32 vcc, 0, v32
	v_cmp_ne_u64_e64 s[4:5], 0, v[4:5]
	s_and_b64 s[8:9], s[4:5], vcc
	; wave barrier
	s_and_saveexec_b64 s[4:5], s[8:9]
	s_cbranch_execz .LBB187_27
; %bb.26:
	v_bcnt_u32_b32 v2, v4, 0
	v_bcnt_u32_b32 v2, v5, v2
	s_waitcnt lgkmcnt(0)
	v_add_u32_e32 v2, v29, v2
	ds_write_b32 v6, v2 offset:64
.LBB187_27:
	s_or_b64 exec, exec, s[4:5]
	v_xor_b32_e32 v24, 0x80000000, v7
	v_lshrrev_b32_e32 v2, s20, v24
	v_and_b32_e32 v34, s23, v2
	v_mul_lo_u32 v2, v34, s6
	v_add_u32_e32 v7, v30, v2
	v_and_b32_e32 v2, 1, v34
	v_lshl_add_u64 v[4:5], v[2:3], 0, -1
	v_cmp_ne_u32_e32 vcc, 0, v2
	; wave barrier
	s_nop 1
	v_xor_b32_e32 v4, vcc_lo, v4
	v_xor_b32_e32 v2, vcc_hi, v5
	v_and_b32_e32 v35, exec_lo, v4
	v_lshlrev_b32_e32 v5, 30, v34
	v_mov_b32_e32 v4, v3
	v_cmp_gt_i64_e32 vcc, 0, v[4:5]
	v_not_b32_e32 v4, v5
	v_ashrrev_i32_e32 v4, 31, v4
	v_and_b32_e32 v2, exec_hi, v2
	v_xor_b32_e32 v5, vcc_hi, v4
	v_xor_b32_e32 v4, vcc_lo, v4
	v_and_b32_e32 v2, v2, v5
	v_and_b32_e32 v35, v35, v4
	v_lshlrev_b32_e32 v5, 29, v34
	v_mov_b32_e32 v4, v3
	v_cmp_gt_i64_e32 vcc, 0, v[4:5]
	v_not_b32_e32 v4, v5
	v_ashrrev_i32_e32 v4, 31, v4
	v_xor_b32_e32 v5, vcc_hi, v4
	v_xor_b32_e32 v4, vcc_lo, v4
	v_and_b32_e32 v2, v2, v5
	v_and_b32_e32 v35, v35, v4
	v_lshlrev_b32_e32 v5, 28, v34
	v_mov_b32_e32 v4, v3
	v_cmp_gt_i64_e32 vcc, 0, v[4:5]
	v_not_b32_e32 v4, v5
	v_ashrrev_i32_e32 v4, 31, v4
	;; [unrolled: 9-line block ×5, first 2 shown]
	v_xor_b32_e32 v5, vcc_hi, v4
	v_xor_b32_e32 v4, vcc_lo, v4
	v_and_b32_e32 v2, v2, v5
	v_lshlrev_b32_e32 v5, 24, v34
	v_and_b32_e32 v35, v35, v4
	v_mov_b32_e32 v4, v3
	v_not_b32_e32 v3, v5
	v_cmp_gt_i64_e32 vcc, 0, v[4:5]
	v_ashrrev_i32_e32 v3, 31, v3
	ds_read_b32 v33, v7 offset:64
	v_xor_b32_e32 v4, vcc_hi, v3
	v_xor_b32_e32 v5, vcc_lo, v3
	v_and_b32_e32 v3, v2, v4
	v_and_b32_e32 v2, v35, v5
	v_mbcnt_lo_u32_b32 v4, v2, 0
	v_mbcnt_hi_u32_b32 v34, v3, v4
	v_cmp_eq_u32_e32 vcc, 0, v34
	v_cmp_ne_u64_e64 s[4:5], 0, v[2:3]
	s_and_b64 s[6:7], s[4:5], vcc
	; wave barrier
	s_and_saveexec_b64 s[4:5], s[6:7]
	s_cbranch_execz .LBB187_29
; %bb.28:
	v_bcnt_u32_b32 v2, v2, 0
	v_bcnt_u32_b32 v2, v3, v2
	s_waitcnt lgkmcnt(0)
	v_add_u32_e32 v2, v33, v2
	ds_write_b32 v7, v2 offset:64
.LBB187_29:
	s_or_b64 exec, exec, s[4:5]
	v_xor_b32_e32 v8, 0x80000000, v8
	v_lshrrev_b32_e32 v2, s20, v8
	v_and_b32_e32 v36, s23, v2
	s_movk_i32 s6, 0x44
	v_mul_lo_u32 v2, v36, s6
	v_add_u32_e32 v38, v30, v2
	v_and_b32_e32 v2, 1, v36
	v_mov_b32_e32 v3, 0
	v_lshl_add_u64 v[4:5], v[2:3], 0, -1
	v_cmp_ne_u32_e32 vcc, 0, v2
	; wave barrier
	s_nop 1
	v_xor_b32_e32 v4, vcc_lo, v4
	v_xor_b32_e32 v2, vcc_hi, v5
	v_and_b32_e32 v37, exec_lo, v4
	v_lshlrev_b32_e32 v5, 30, v36
	v_mov_b32_e32 v4, v3
	v_cmp_gt_i64_e32 vcc, 0, v[4:5]
	v_not_b32_e32 v4, v5
	v_ashrrev_i32_e32 v4, 31, v4
	v_and_b32_e32 v2, exec_hi, v2
	v_xor_b32_e32 v5, vcc_hi, v4
	v_xor_b32_e32 v4, vcc_lo, v4
	v_and_b32_e32 v2, v2, v5
	v_and_b32_e32 v37, v37, v4
	v_lshlrev_b32_e32 v5, 29, v36
	v_mov_b32_e32 v4, v3
	v_cmp_gt_i64_e32 vcc, 0, v[4:5]
	v_not_b32_e32 v4, v5
	v_ashrrev_i32_e32 v4, 31, v4
	v_xor_b32_e32 v5, vcc_hi, v4
	v_xor_b32_e32 v4, vcc_lo, v4
	v_and_b32_e32 v2, v2, v5
	v_and_b32_e32 v37, v37, v4
	v_lshlrev_b32_e32 v5, 28, v36
	v_mov_b32_e32 v4, v3
	v_cmp_gt_i64_e32 vcc, 0, v[4:5]
	v_not_b32_e32 v4, v5
	v_ashrrev_i32_e32 v4, 31, v4
	;; [unrolled: 9-line block ×6, first 2 shown]
	v_xor_b32_e32 v5, vcc_hi, v4
	v_xor_b32_e32 v4, vcc_lo, v4
	ds_read_b32 v35, v38 offset:64
	v_and_b32_e32 v4, v37, v4
	v_and_b32_e32 v5, v2, v5
	v_mbcnt_lo_u32_b32 v2, v4, 0
	v_mbcnt_hi_u32_b32 v36, v5, v2
	v_cmp_eq_u32_e32 vcc, 0, v36
	v_cmp_ne_u64_e64 s[4:5], 0, v[4:5]
	s_and_b64 s[8:9], s[4:5], vcc
	; wave barrier
	s_and_saveexec_b64 s[4:5], s[8:9]
	s_cbranch_execz .LBB187_31
; %bb.30:
	v_bcnt_u32_b32 v2, v4, 0
	v_bcnt_u32_b32 v2, v5, v2
	s_waitcnt lgkmcnt(0)
	v_add_u32_e32 v2, v35, v2
	ds_write_b32 v38, v2 offset:64
.LBB187_31:
	s_or_b64 exec, exec, s[4:5]
	v_xor_b32_e32 v9, 0x80000000, v9
	v_lshrrev_b32_e32 v2, s20, v9
	v_and_b32_e32 v39, s23, v2
	v_mul_lo_u32 v2, v39, s6
	v_add_u32_e32 v40, v30, v2
	v_and_b32_e32 v2, 1, v39
	v_lshl_add_u64 v[4:5], v[2:3], 0, -1
	v_cmp_ne_u32_e32 vcc, 0, v2
	; wave barrier
	s_nop 1
	v_xor_b32_e32 v4, vcc_lo, v4
	v_xor_b32_e32 v2, vcc_hi, v5
	v_and_b32_e32 v30, exec_lo, v4
	v_lshlrev_b32_e32 v5, 30, v39
	v_mov_b32_e32 v4, v3
	v_cmp_gt_i64_e32 vcc, 0, v[4:5]
	v_not_b32_e32 v4, v5
	v_ashrrev_i32_e32 v4, 31, v4
	v_and_b32_e32 v2, exec_hi, v2
	v_xor_b32_e32 v5, vcc_hi, v4
	v_xor_b32_e32 v4, vcc_lo, v4
	v_and_b32_e32 v2, v2, v5
	v_and_b32_e32 v30, v30, v4
	v_lshlrev_b32_e32 v5, 29, v39
	v_mov_b32_e32 v4, v3
	v_cmp_gt_i64_e32 vcc, 0, v[4:5]
	v_not_b32_e32 v4, v5
	v_ashrrev_i32_e32 v4, 31, v4
	v_xor_b32_e32 v5, vcc_hi, v4
	v_xor_b32_e32 v4, vcc_lo, v4
	v_and_b32_e32 v2, v2, v5
	v_and_b32_e32 v30, v30, v4
	v_lshlrev_b32_e32 v5, 28, v39
	v_mov_b32_e32 v4, v3
	v_cmp_gt_i64_e32 vcc, 0, v[4:5]
	v_not_b32_e32 v4, v5
	v_ashrrev_i32_e32 v4, 31, v4
	;; [unrolled: 9-line block ×5, first 2 shown]
	v_xor_b32_e32 v5, vcc_hi, v4
	v_xor_b32_e32 v4, vcc_lo, v4
	v_and_b32_e32 v2, v2, v5
	v_lshlrev_b32_e32 v5, 24, v39
	v_and_b32_e32 v30, v30, v4
	v_mov_b32_e32 v4, v3
	v_not_b32_e32 v3, v5
	v_cmp_gt_i64_e32 vcc, 0, v[4:5]
	v_ashrrev_i32_e32 v3, 31, v3
	ds_read_b32 v37, v40 offset:64
	v_xor_b32_e32 v4, vcc_hi, v3
	v_xor_b32_e32 v5, vcc_lo, v3
	v_and_b32_e32 v3, v2, v4
	v_and_b32_e32 v2, v30, v5
	v_mbcnt_lo_u32_b32 v4, v2, 0
	v_mbcnt_hi_u32_b32 v39, v3, v4
	v_cmp_eq_u32_e32 vcc, 0, v39
	v_cmp_ne_u64_e64 s[4:5], 0, v[2:3]
	s_and_b64 s[6:7], s[4:5], vcc
	; wave barrier
	s_and_saveexec_b64 s[4:5], s[6:7]
	s_cbranch_execz .LBB187_33
; %bb.32:
	v_bcnt_u32_b32 v2, v2, 0
	v_bcnt_u32_b32 v2, v3, v2
	s_waitcnt lgkmcnt(0)
	v_add_u32_e32 v2, v37, v2
	ds_write_b32 v40, v2 offset:64
.LBB187_33:
	s_or_b64 exec, exec, s[4:5]
	; wave barrier
	s_waitcnt lgkmcnt(0)
	s_barrier
	ds_read2_b32 v[4:5], v17 offset0:16 offset1:17
	ds_read2_b32 v[2:3], v17 offset0:18 offset1:19
	ds_read_b32 v30, v17 offset:80
	v_cmp_lt_u32_e64 s[10:11], 31, v16
	s_waitcnt lgkmcnt(1)
	v_add3_u32 v41, v5, v4, v2
	s_waitcnt lgkmcnt(0)
	v_add3_u32 v30, v41, v3, v30
	v_and_b32_e32 v41, 15, v16
	v_cmp_eq_u32_e32 vcc, 0, v41
	v_mov_b32_dpp v42, v30 row_shr:1 row_mask:0xf bank_mask:0xf
	v_cmp_lt_u32_e64 s[8:9], 1, v41
	v_cndmask_b32_e64 v42, v42, 0, vcc
	v_add_u32_e32 v30, v42, v30
	v_cmp_lt_u32_e64 s[4:5], 3, v41
	v_cmp_lt_u32_e64 s[6:7], 7, v41
	v_mov_b32_dpp v42, v30 row_shr:2 row_mask:0xf bank_mask:0xf
	v_cndmask_b32_e64 v42, 0, v42, s[8:9]
	v_add_u32_e32 v30, v30, v42
	s_nop 1
	v_mov_b32_dpp v42, v30 row_shr:4 row_mask:0xf bank_mask:0xf
	v_cndmask_b32_e64 v42, 0, v42, s[4:5]
	v_add_u32_e32 v30, v30, v42
	s_nop 1
	v_mov_b32_dpp v42, v30 row_shr:8 row_mask:0xf bank_mask:0xf
	v_cndmask_b32_e64 v41, 0, v42, s[6:7]
	v_add_u32_e32 v30, v30, v41
	v_bfe_i32 v42, v16, 4, 1
	s_nop 0
	v_mov_b32_dpp v41, v30 row_bcast:15 row_mask:0xf bank_mask:0xf
	v_and_b32_e32 v41, v42, v41
	v_add_u32_e32 v30, v30, v41
	v_lshrrev_b32_e32 v42, 6, v10
	s_nop 0
	v_mov_b32_dpp v41, v30 row_bcast:31 row_mask:0xf bank_mask:0xf
	v_cndmask_b32_e64 v41, 0, v41, s[10:11]
	v_add_u32_e32 v41, v30, v41
	v_and_b32_e32 v30, 63, v10
	v_cmp_eq_u32_e64 s[10:11], 63, v30
	s_and_saveexec_b64 s[12:13], s[10:11]
; %bb.34:
	v_lshlrev_b32_e32 v30, 2, v42
	ds_write_b32 v30, v41
; %bb.35:
	s_or_b64 exec, exec, s[12:13]
	v_cmp_gt_u32_e64 s[10:11], 16, v10
	v_lshlrev_b32_e32 v30, 2, v10
	s_waitcnt lgkmcnt(0)
	s_barrier
	s_and_saveexec_b64 s[12:13], s[10:11]
	s_cbranch_execz .LBB187_37
; %bb.36:
	ds_read_b32 v43, v30
	s_waitcnt lgkmcnt(0)
	s_nop 0
	v_mov_b32_dpp v44, v43 row_shr:1 row_mask:0xf bank_mask:0xf
	v_cndmask_b32_e64 v44, v44, 0, vcc
	v_add_u32_e32 v43, v44, v43
	s_nop 1
	v_mov_b32_dpp v44, v43 row_shr:2 row_mask:0xf bank_mask:0xf
	v_cndmask_b32_e64 v44, 0, v44, s[8:9]
	v_add_u32_e32 v43, v43, v44
	s_nop 1
	v_mov_b32_dpp v44, v43 row_shr:4 row_mask:0xf bank_mask:0xf
	v_cndmask_b32_e64 v44, 0, v44, s[4:5]
	;; [unrolled: 4-line block ×3, first 2 shown]
	v_add_u32_e32 v43, v43, v44
	ds_write_b32 v30, v43
.LBB187_37:
	s_or_b64 exec, exec, s[12:13]
	v_cmp_lt_u32_e32 vcc, 63, v10
	v_mov_b32_e32 v43, 0
	s_waitcnt lgkmcnt(0)
	s_barrier
	s_and_saveexec_b64 s[4:5], vcc
; %bb.38:
	v_lshl_add_u32 v42, v42, 2, -4
	ds_read_b32 v43, v42
; %bb.39:
	s_or_b64 exec, exec, s[4:5]
	v_subrev_co_u32_e32 v42, vcc, 1, v16
	v_and_b32_e32 v44, 64, v16
	v_cmp_lt_i32_e64 s[4:5], v42, v44
	s_waitcnt lgkmcnt(0)
	v_add_u32_e32 v41, v43, v41
	s_movk_i32 s6, 0x100
	v_cndmask_b32_e64 v16, v42, v16, s[4:5]
	v_lshlrev_b32_e32 v16, 2, v16
	ds_bpermute_b32 v16, v16, v41
	s_movk_i32 s4, 0xff
	v_cmp_lt_u32_e64 s[4:5], s4, v10
	s_waitcnt lgkmcnt(0)
	v_cndmask_b32_e32 v16, v16, v43, vcc
	v_cmp_ne_u32_e32 vcc, 0, v10
	s_nop 1
	v_cndmask_b32_e32 v16, 0, v16, vcc
	v_add_u32_e32 v4, v16, v4
	v_add_u32_e32 v5, v4, v5
	;; [unrolled: 1-line block ×4, first 2 shown]
	ds_write2_b32 v17, v16, v4 offset0:16 offset1:17
	ds_write2_b32 v17, v5, v2 offset0:18 offset1:19
	ds_write_b32 v17, v3 offset:80
	s_waitcnt lgkmcnt(0)
	s_barrier
	ds_read_b32 v22, v22 offset:64
	ds_read_b32 v23, v23 offset:64
	;; [unrolled: 1-line block ×8, first 2 shown]
	v_cmp_gt_u32_e32 vcc, s6, v10
                                        ; implicit-def: $vgpr16
                                        ; implicit-def: $vgpr17
	s_and_saveexec_b64 s[8:9], vcc
	s_cbranch_execz .LBB187_43
; %bb.40:
	v_mul_u32_u24_e32 v2, 0x44, v10
	ds_read_b32 v16, v2 offset:64
	v_add_u32_e32 v3, 1, v10
	v_cmp_ne_u32_e64 s[6:7], s6, v3
	v_mov_b32_e32 v2, 0x2000
	s_and_saveexec_b64 s[10:11], s[6:7]
; %bb.41:
	v_mul_u32_u24_e32 v2, 0x44, v3
	ds_read_b32 v2, v2 offset:64
; %bb.42:
	s_or_b64 exec, exec, s[10:11]
	s_waitcnt lgkmcnt(0)
	v_sub_u32_e32 v17, v2, v16
.LBB187_43:
	s_or_b64 exec, exec, s[8:9]
	v_mov_b32_e32 v3, 0
	s_waitcnt lgkmcnt(0)
	s_barrier
	s_and_saveexec_b64 s[6:7], vcc
	s_cbranch_execz .LBB187_53
; %bb.44:
	v_lshl_add_u32 v2, s2, 8, v10
	v_lshl_add_u64 v[4:5], v[2:3], 2, s[28:29]
	v_or_b32_e32 v2, 2.0, v17
	s_mov_b64 s[8:9], 0
	s_brev_b32 s14, -4
	s_mov_b32 s15, s2
	v_mov_b32_e32 v43, 0
	global_store_dword v[4:5], v2, off sc1
                                        ; implicit-def: $sgpr10_sgpr11
	s_branch .LBB187_47
.LBB187_45:                             ;   in Loop: Header=BB187_47 Depth=1
	s_or_b64 exec, exec, s[12:13]
.LBB187_46:                             ;   in Loop: Header=BB187_47 Depth=1
	s_or_b64 exec, exec, s[10:11]
	v_and_b32_e32 v6, 0x3fffffff, v2
	v_add_u32_e32 v43, v6, v43
	v_cmp_gt_i32_e64 s[10:11], -2.0, v2
	s_and_b64 s[12:13], exec, s[10:11]
	s_or_b64 s[8:9], s[12:13], s[8:9]
	s_andn2_b64 exec, exec, s[8:9]
	s_cbranch_execz .LBB187_52
.LBB187_47:                             ; =>This Loop Header: Depth=1
                                        ;     Child Loop BB187_50 Depth 2
	s_or_b64 s[10:11], s[10:11], exec
	s_cmp_eq_u32 s15, 0
	s_cbranch_scc1 .LBB187_51
; %bb.48:                               ;   in Loop: Header=BB187_47 Depth=1
	s_add_i32 s15, s15, -1
	v_lshl_or_b32 v2, s15, 8, v10
	v_lshl_add_u64 v[6:7], v[2:3], 2, s[28:29]
	global_load_dword v2, v[6:7], off sc1
	s_waitcnt vmcnt(0)
	v_cmp_gt_u32_e32 vcc, 2.0, v2
	s_and_saveexec_b64 s[10:11], vcc
	s_cbranch_execz .LBB187_46
; %bb.49:                               ;   in Loop: Header=BB187_47 Depth=1
	s_mov_b64 s[12:13], 0
.LBB187_50:                             ;   Parent Loop BB187_47 Depth=1
                                        ; =>  This Inner Loop Header: Depth=2
	global_load_dword v2, v[6:7], off sc1
	s_waitcnt vmcnt(0)
	v_cmp_lt_u32_e32 vcc, s14, v2
	s_or_b64 s[12:13], vcc, s[12:13]
	s_andn2_b64 exec, exec, s[12:13]
	s_cbranch_execnz .LBB187_50
	s_branch .LBB187_45
.LBB187_51:                             ;   in Loop: Header=BB187_47 Depth=1
                                        ; implicit-def: $sgpr15
	s_and_b64 s[12:13], exec, s[10:11]
	s_or_b64 s[8:9], s[12:13], s[8:9]
	s_andn2_b64 exec, exec, s[8:9]
	s_cbranch_execnz .LBB187_47
.LBB187_52:
	s_or_b64 exec, exec, s[8:9]
	v_add_u32_e32 v2, v43, v17
	v_or_b32_e32 v2, 0x80000000, v2
	global_store_dword v[4:5], v2, off sc1
	global_load_dword v2, v30, s[16:17]
	v_sub_u32_e32 v3, v43, v16
	s_waitcnt vmcnt(0)
	v_add_u32_e32 v2, v3, v2
	ds_write_b32 v30, v2
.LBB187_53:
	s_or_b64 exec, exec, s[6:7]
	v_add_u32_e32 v4, v22, v18
	v_add3_u32 v5, v20, v19, v23
	v_add3_u32 v6, v25, v21, v27
	;; [unrolled: 1-line block ×7, first 2 shown]
	v_lshlrev_b32_e32 v22, 2, v21
	v_lshlrev_b32_e32 v23, 2, v20
	;; [unrolled: 1-line block ×8, first 2 shown]
	s_mov_b64 s[6:7], -1
	s_mov_b32 s10, 0
	v_mov_b32_e32 v3, 0
	s_movk_i32 s11, 0x400
	s_movk_i32 s12, 0x800
	;; [unrolled: 1-line block ×3, first 2 shown]
	s_branch .LBB187_55
.LBB187_54:                             ;   in Loop: Header=BB187_55 Depth=1
	s_or_b64 exec, exec, s[8:9]
	s_xor_b64 s[8:9], s[6:7], -1
	s_addk_i32 s10, 0xc000
	v_add_u32_e32 v10, 0x1000, v10
	s_mov_b64 s[6:7], 0
	s_and_b64 vcc, exec, s[8:9]
	s_barrier
	s_cbranch_vccnz .LBB187_79
.LBB187_55:                             ; =>This Inner Loop Header: Depth=1
	v_subrev_co_u32_e32 v4, vcc, 0x1000, v4
	s_and_saveexec_b64 s[8:9], vcc
	s_cbranch_execz .LBB187_63
; %bb.56:                               ;   in Loop: Header=BB187_55 Depth=1
	v_add_u32_e32 v2, s10, v31
	ds_write_b32 v2, v11 offset:1024
	s_or_b64 exec, exec, s[8:9]
	v_subrev_co_u32_e32 v5, vcc, 0x1000, v5
	s_and_saveexec_b64 s[8:9], vcc
	s_cbranch_execnz .LBB187_64
.LBB187_57:                             ;   in Loop: Header=BB187_55 Depth=1
	s_or_b64 exec, exec, s[8:9]
	v_subrev_co_u32_e32 v6, vcc, 0x1000, v6
	s_and_saveexec_b64 s[8:9], vcc
	s_cbranch_execz .LBB187_65
.LBB187_58:                             ;   in Loop: Header=BB187_55 Depth=1
	v_add_u32_e32 v2, s10, v28
	ds_write_b32 v2, v15 offset:1024
	s_or_b64 exec, exec, s[8:9]
	v_subrev_co_u32_e32 v7, vcc, 0x1000, v7
	s_and_saveexec_b64 s[8:9], vcc
	s_cbranch_execnz .LBB187_66
.LBB187_59:                             ;   in Loop: Header=BB187_55 Depth=1
	s_or_b64 exec, exec, s[8:9]
	v_subrev_co_u32_e32 v18, vcc, 0x1000, v18
	s_and_saveexec_b64 s[8:9], vcc
	s_cbranch_execz .LBB187_67
.LBB187_60:                             ;   in Loop: Header=BB187_55 Depth=1
	v_add_u32_e32 v2, s10, v26
	ds_write_b32 v2, v13 offset:1024
	s_or_b64 exec, exec, s[8:9]
	v_subrev_co_u32_e32 v19, vcc, 0x1000, v19
	s_and_saveexec_b64 s[8:9], vcc
	s_cbranch_execnz .LBB187_68
.LBB187_61:                             ;   in Loop: Header=BB187_55 Depth=1
	s_or_b64 exec, exec, s[8:9]
	v_subrev_co_u32_e32 v20, vcc, 0x1000, v20
	s_and_saveexec_b64 s[8:9], vcc
	s_cbranch_execz .LBB187_69
.LBB187_62:                             ;   in Loop: Header=BB187_55 Depth=1
	v_add_u32_e32 v2, s10, v23
	ds_write_b32 v2, v8 offset:1024
	s_or_b64 exec, exec, s[8:9]
	v_subrev_co_u32_e32 v21, vcc, 0x1000, v21
	s_and_saveexec_b64 s[8:9], vcc
	s_cbranch_execnz .LBB187_70
	s_branch .LBB187_71
.LBB187_63:                             ;   in Loop: Header=BB187_55 Depth=1
	s_or_b64 exec, exec, s[8:9]
	v_subrev_co_u32_e32 v5, vcc, 0x1000, v5
	s_and_saveexec_b64 s[8:9], vcc
	s_cbranch_execz .LBB187_57
.LBB187_64:                             ;   in Loop: Header=BB187_55 Depth=1
	v_add_u32_e32 v2, s10, v29
	ds_write_b32 v2, v14 offset:1024
	s_or_b64 exec, exec, s[8:9]
	v_subrev_co_u32_e32 v6, vcc, 0x1000, v6
	s_and_saveexec_b64 s[8:9], vcc
	s_cbranch_execnz .LBB187_58
.LBB187_65:                             ;   in Loop: Header=BB187_55 Depth=1
	s_or_b64 exec, exec, s[8:9]
	v_subrev_co_u32_e32 v7, vcc, 0x1000, v7
	s_and_saveexec_b64 s[8:9], vcc
	s_cbranch_execz .LBB187_59
.LBB187_66:                             ;   in Loop: Header=BB187_55 Depth=1
	v_add_u32_e32 v2, s10, v27
	ds_write_b32 v2, v12 offset:1024
	s_or_b64 exec, exec, s[8:9]
	v_subrev_co_u32_e32 v18, vcc, 0x1000, v18
	s_and_saveexec_b64 s[8:9], vcc
	s_cbranch_execnz .LBB187_60
.LBB187_67:                             ;   in Loop: Header=BB187_55 Depth=1
	s_or_b64 exec, exec, s[8:9]
	v_subrev_co_u32_e32 v19, vcc, 0x1000, v19
	s_and_saveexec_b64 s[8:9], vcc
	s_cbranch_execz .LBB187_61
.LBB187_68:                             ;   in Loop: Header=BB187_55 Depth=1
	v_add_u32_e32 v2, s10, v25
	ds_write_b32 v2, v24 offset:1024
	s_or_b64 exec, exec, s[8:9]
	v_subrev_co_u32_e32 v20, vcc, 0x1000, v20
	s_and_saveexec_b64 s[8:9], vcc
	s_cbranch_execnz .LBB187_62
.LBB187_69:                             ;   in Loop: Header=BB187_55 Depth=1
	s_or_b64 exec, exec, s[8:9]
	v_subrev_co_u32_e32 v21, vcc, 0x1000, v21
	s_and_saveexec_b64 s[8:9], vcc
.LBB187_70:                             ;   in Loop: Header=BB187_55 Depth=1
	v_add_u32_e32 v2, s10, v22
	ds_write_b32 v2, v9 offset:1024
.LBB187_71:                             ;   in Loop: Header=BB187_55 Depth=1
	s_or_b64 exec, exec, s[8:9]
	v_cmp_gt_u32_e32 vcc, s3, v10
	s_waitcnt lgkmcnt(0)
	s_barrier
	s_and_saveexec_b64 s[8:9], vcc
	s_cbranch_execz .LBB187_73
; %bb.72:                               ;   in Loop: Header=BB187_55 Depth=1
	ds_read_b32 v2, v30 offset:1024
	s_waitcnt lgkmcnt(0)
	v_lshrrev_b32_e32 v32, s20, v2
	v_and_b32_e32 v32, s23, v32
	v_lshlrev_b32_e32 v32, 2, v32
	ds_read_b32 v32, v32
	v_xor_b32_e32 v34, 0x80000000, v2
	s_waitcnt lgkmcnt(0)
	v_add_u32_e32 v2, v10, v32
	v_lshl_add_u64 v[32:33], v[2:3], 2, s[26:27]
	global_store_dword v[32:33], v34, off
.LBB187_73:                             ;   in Loop: Header=BB187_55 Depth=1
	s_or_b64 exec, exec, s[8:9]
	v_add_u32_e32 v2, 0x400, v10
	v_cmp_gt_u32_e32 vcc, s3, v2
	s_and_saveexec_b64 s[8:9], vcc
	s_cbranch_execz .LBB187_75
; %bb.74:                               ;   in Loop: Header=BB187_55 Depth=1
	ds_read_b32 v2, v30 offset:5120
	s_waitcnt lgkmcnt(0)
	v_lshrrev_b32_e32 v32, s20, v2
	v_and_b32_e32 v32, s23, v32
	v_lshlrev_b32_e32 v32, 2, v32
	ds_read_b32 v32, v32
	v_xor_b32_e32 v34, 0x80000000, v2
	s_waitcnt lgkmcnt(0)
	v_add3_u32 v2, v10, v32, s11
	v_lshl_add_u64 v[32:33], v[2:3], 2, s[26:27]
	global_store_dword v[32:33], v34, off
.LBB187_75:                             ;   in Loop: Header=BB187_55 Depth=1
	s_or_b64 exec, exec, s[8:9]
	v_add_u32_e32 v2, 0x800, v10
	v_cmp_gt_u32_e32 vcc, s3, v2
	s_and_saveexec_b64 s[8:9], vcc
	s_cbranch_execz .LBB187_77
; %bb.76:                               ;   in Loop: Header=BB187_55 Depth=1
	ds_read_b32 v2, v30 offset:9216
	s_waitcnt lgkmcnt(0)
	v_lshrrev_b32_e32 v32, s20, v2
	v_and_b32_e32 v32, s23, v32
	v_lshlrev_b32_e32 v32, 2, v32
	ds_read_b32 v32, v32
	v_xor_b32_e32 v34, 0x80000000, v2
	s_waitcnt lgkmcnt(0)
	v_add3_u32 v2, v10, v32, s12
	v_lshl_add_u64 v[32:33], v[2:3], 2, s[26:27]
	global_store_dword v[32:33], v34, off
.LBB187_77:                             ;   in Loop: Header=BB187_55 Depth=1
	s_or_b64 exec, exec, s[8:9]
	v_add_u32_e32 v2, 0xc00, v10
	v_cmp_gt_u32_e32 vcc, s3, v2
	s_and_saveexec_b64 s[8:9], vcc
	s_cbranch_execz .LBB187_54
; %bb.78:                               ;   in Loop: Header=BB187_55 Depth=1
	ds_read_b32 v2, v30 offset:13312
	s_waitcnt lgkmcnt(0)
	v_lshrrev_b32_e32 v32, s20, v2
	v_and_b32_e32 v32, s23, v32
	v_lshlrev_b32_e32 v32, 2, v32
	ds_read_b32 v32, v32
	v_xor_b32_e32 v34, 0x80000000, v2
	s_waitcnt lgkmcnt(0)
	v_add3_u32 v2, v10, v32, s13
	v_lshl_add_u64 v[32:33], v[2:3], 2, s[26:27]
	global_store_dword v[32:33], v34, off
	s_branch .LBB187_54
.LBB187_79:
	s_add_i32 s22, s22, -1
	s_cmp_eq_u32 s2, s22
	s_cselect_b64 s[6:7], -1, 0
	s_xor_b64 s[4:5], s[4:5], -1
	s_and_b64 s[6:7], s[4:5], s[6:7]
	s_and_saveexec_b64 s[4:5], s[6:7]
	s_cbranch_execz .LBB187_81
; %bb.80:
	ds_read_b32 v2, v30
	s_waitcnt lgkmcnt(0)
	v_add3_u32 v2, v16, v17, v2
	global_store_dword v30, v2, s[18:19]
.LBB187_81:
	s_or_b64 exec, exec, s[4:5]
	s_mov_b64 s[4:5], 0
.LBB187_82:
	s_and_b64 vcc, exec, s[4:5]
	s_cbranch_vccz .LBB187_139
; %bb.83:
	s_lshl_b32 s4, s2, 13
	s_mov_b32 s5, 0
	s_lshl_b64 s[4:5], s[4:5], 2
	v_mbcnt_hi_u32_b32 v6, -1, v1
	v_and_b32_e32 v2, 0x3ff, v0
	s_add_u32 s4, s24, s4
	v_and_b32_e32 v1, 63, v6
	s_addc_u32 s5, s25, s5
	v_lshlrev_b32_e32 v4, 2, v1
	v_mov_b32_e32 v5, 0
	v_lshlrev_b32_e32 v1, 5, v2
	v_lshl_add_u64 v[8:9], s[4:5], 0, v[4:5]
	v_and_b32_e32 v4, 0x7800, v1
	v_lshl_add_u64 v[10:11], v[8:9], 0, v[4:5]
	global_load_dword v1, v[10:11], off
	s_load_dword s4, s[0:1], 0x64
	s_load_dword s3, s[0:1], 0x58
	s_add_u32 s0, s0, 0x58
	s_addc_u32 s1, s1, 0
	v_mul_u32_u24_e32 v7, 20, v2
	s_waitcnt lgkmcnt(0)
	s_lshr_b32 s4, s4, 16
	s_cmp_lt_u32 s2, s3
	s_cselect_b32 s5, 12, 18
	s_add_u32 s0, s0, s5
	s_addc_u32 s1, s1, 0
	global_load_ushort v13, v5, s[0:1]
	ds_write2_b32 v7, v5, v5 offset0:16 offset1:17
	ds_write2_b32 v7, v5, v5 offset0:18 offset1:19
	ds_write_b32 v7, v5 offset:80
	global_load_dword v8, v[10:11], off offset:256
	global_load_dword v9, v[10:11], off offset:512
	;; [unrolled: 1-line block ×7, first 2 shown]
	v_bfe_u32 v3, v0, 10, 10
	v_bfe_u32 v4, v0, 20, 10
	v_mad_u32_u24 v10, v4, s4, v3
	s_lshl_b32 s0, -1, s21
	v_mov_b32_e32 v0, v5
	s_not_b32 s12, s0
	v_mov_b32_e32 v16, v5
	v_mov_b32_e32 v18, v5
	;; [unrolled: 1-line block ×3, first 2 shown]
	s_movk_i32 s10, 0x44
	s_waitcnt lgkmcnt(0)
	s_barrier
	s_waitcnt vmcnt(8)
	; wave barrier
	v_xor_b32_e32 v3, 0x80000000, v1
	v_lshrrev_b32_e32 v1, s20, v3
	v_bitop3_b32 v14, v1, s0, v1 bitop3:0x30
	v_and_b32_e32 v4, 1, v14
	v_lshlrev_b32_e32 v1, 30, v14
	v_lshlrev_b32_e32 v17, 29, v14
	v_lshl_add_u64 v[28:29], v[4:5], 0, -1
	v_cmp_ne_u32_e32 vcc, 0, v4
	v_lshlrev_b32_e32 v19, 28, v14
	v_cmp_gt_i64_e64 s[4:5], 0, v[16:17]
	s_waitcnt vmcnt(7)
	v_mad_u64_u32 v[24:25], s[0:1], v10, v13, v[2:3]
	v_cmp_gt_i64_e64 s[0:1], 0, v[0:1]
	v_not_b32_e32 v0, v1
	v_not_b32_e32 v1, v17
	v_lshrrev_b32_e32 v13, 4, v24
	v_xor_b32_e32 v16, vcc_hi, v29
	v_xor_b32_e32 v17, vcc_lo, v28
	v_ashrrev_i32_e32 v0, 31, v0
	v_lshlrev_b32_e32 v23, 27, v14
	v_not_b32_e32 v4, v19
	v_ashrrev_i32_e32 v1, 31, v1
	v_and_b32_e32 v24, 0xffffffc, v13
	v_and_b32_e32 v13, exec_hi, v16
	v_and_b32_e32 v16, exec_lo, v17
	v_xor_b32_e32 v17, s1, v0
	v_xor_b32_e32 v0, s0, v0
	v_cmp_gt_i64_e64 s[6:7], 0, v[18:19]
	v_not_b32_e32 v10, v23
	v_ashrrev_i32_e32 v4, 31, v4
	v_xor_b32_e32 v18, s5, v1
	v_xor_b32_e32 v1, s4, v1
	v_and_b32_e32 v0, v16, v0
	v_cmp_gt_i64_e64 s[8:9], 0, v[22:23]
	v_ashrrev_i32_e32 v10, 31, v10
	v_xor_b32_e32 v19, s7, v4
	v_xor_b32_e32 v4, s6, v4
	v_and_b32_e32 v0, v0, v1
	v_lshlrev_b32_e32 v11, 26, v14
	v_xor_b32_e32 v22, s9, v10
	v_xor_b32_e32 v10, s8, v10
	v_and_b32_e32 v13, v13, v17
	v_and_b32_e32 v0, v0, v4
	;; [unrolled: 1-line block ×4, first 2 shown]
	v_mov_b32_e32 v10, v5
	v_not_b32_e32 v4, v11
	v_and_b32_e32 v1, v13, v19
	v_cmp_gt_i64_e32 vcc, 0, v[10:11]
	v_ashrrev_i32_e32 v4, 31, v4
	v_and_b32_e32 v1, v1, v22
	v_xor_b32_e32 v10, vcc_hi, v4
	v_xor_b32_e32 v4, vcc_lo, v4
	v_and_b32_e32 v10, v1, v10
	v_and_b32_e32 v4, v0, v4
	v_lshlrev_b32_e32 v1, 25, v14
	v_mov_b32_e32 v0, v5
	v_cmp_gt_i64_e32 vcc, 0, v[0:1]
	v_not_b32_e32 v0, v1
	v_ashrrev_i32_e32 v0, 31, v0
	v_xor_b32_e32 v1, vcc_hi, v0
	v_xor_b32_e32 v0, vcc_lo, v0
	v_and_b32_e32 v10, v10, v1
	v_and_b32_e32 v4, v4, v0
	v_lshlrev_b32_e32 v1, 24, v14
	v_mov_b32_e32 v0, v5
	v_cmp_gt_i64_e32 vcc, 0, v[0:1]
	v_not_b32_e32 v0, v1
	v_ashrrev_i32_e32 v0, 31, v0
	v_xor_b32_e32 v1, vcc_hi, v0
	v_xor_b32_e32 v0, vcc_lo, v0
	v_and_b32_e32 v0, v4, v0
	v_and_b32_e32 v1, v10, v1
	v_mbcnt_lo_u32_b32 v4, v0, 0
	v_mbcnt_hi_u32_b32 v10, v1, v4
	v_mul_lo_u32 v27, v14, s10
	v_cmp_eq_u32_e32 vcc, 0, v10
	v_cmp_ne_u64_e64 s[0:1], 0, v[0:1]
	s_and_b64 s[4:5], s[0:1], vcc
	v_add_u32_e32 v16, v24, v27
	s_and_saveexec_b64 s[0:1], s[4:5]
; %bb.84:
	v_bcnt_u32_b32 v0, v0, 0
	v_bcnt_u32_b32 v0, v1, v0
	ds_write_b32 v16, v0 offset:64
; %bb.85:
	s_or_b64 exec, exec, s[0:1]
	s_waitcnt vmcnt(6)
	v_xor_b32_e32 v8, 0x80000000, v8
	v_lshrrev_b32_e32 v0, s20, v8
	v_and_b32_e32 v13, s12, v0
	v_mul_lo_u32 v0, v13, s10
	v_and_b32_e32 v4, 1, v13
	v_add_u32_e32 v17, v24, v0
	v_lshl_add_u64 v[0:1], v[4:5], 0, -1
	v_cmp_ne_u32_e32 vcc, 0, v4
	; wave barrier
	s_nop 1
	v_xor_b32_e32 v1, vcc_hi, v1
	v_xor_b32_e32 v0, vcc_lo, v0
	v_and_b32_e32 v4, exec_hi, v1
	v_and_b32_e32 v14, exec_lo, v0
	v_lshlrev_b32_e32 v1, 30, v13
	v_mov_b32_e32 v0, v5
	v_cmp_gt_i64_e32 vcc, 0, v[0:1]
	v_not_b32_e32 v0, v1
	v_ashrrev_i32_e32 v0, 31, v0
	v_xor_b32_e32 v1, vcc_hi, v0
	v_xor_b32_e32 v0, vcc_lo, v0
	v_and_b32_e32 v4, v4, v1
	v_and_b32_e32 v14, v14, v0
	v_lshlrev_b32_e32 v1, 29, v13
	v_mov_b32_e32 v0, v5
	v_cmp_gt_i64_e32 vcc, 0, v[0:1]
	v_not_b32_e32 v0, v1
	v_ashrrev_i32_e32 v0, 31, v0
	v_xor_b32_e32 v1, vcc_hi, v0
	v_xor_b32_e32 v0, vcc_lo, v0
	v_and_b32_e32 v4, v4, v1
	v_and_b32_e32 v14, v14, v0
	;; [unrolled: 9-line block ×6, first 2 shown]
	v_lshlrev_b32_e32 v1, 24, v13
	v_mov_b32_e32 v0, v5
	v_cmp_gt_i64_e32 vcc, 0, v[0:1]
	v_not_b32_e32 v0, v1
	v_ashrrev_i32_e32 v0, 31, v0
	v_xor_b32_e32 v1, vcc_hi, v0
	v_xor_b32_e32 v0, vcc_lo, v0
	ds_read_b32 v11, v17 offset:64
	v_and_b32_e32 v0, v14, v0
	v_and_b32_e32 v1, v4, v1
	v_mbcnt_lo_u32_b32 v4, v0, 0
	v_mbcnt_hi_u32_b32 v13, v1, v4
	v_cmp_eq_u32_e32 vcc, 0, v13
	v_cmp_ne_u64_e64 s[0:1], 0, v[0:1]
	s_and_b64 s[4:5], s[0:1], vcc
	; wave barrier
	s_and_saveexec_b64 s[0:1], s[4:5]
	s_cbranch_execz .LBB187_87
; %bb.86:
	v_bcnt_u32_b32 v0, v0, 0
	v_bcnt_u32_b32 v0, v1, v0
	s_waitcnt lgkmcnt(0)
	v_add_u32_e32 v0, v11, v0
	ds_write_b32 v17, v0 offset:64
.LBB187_87:
	s_or_b64 exec, exec, s[0:1]
	s_waitcnt vmcnt(5)
	v_xor_b32_e32 v9, 0x80000000, v9
	v_lshrrev_b32_e32 v0, s20, v9
	v_and_b32_e32 v18, s12, v0
	s_movk_i32 s4, 0x44
	v_mul_lo_u32 v0, v18, s4
	v_add_u32_e32 v22, v24, v0
	v_and_b32_e32 v0, 1, v18
	v_mov_b32_e32 v1, 0
	v_lshl_add_u64 v[4:5], v[0:1], 0, -1
	v_cmp_ne_u32_e32 vcc, 0, v0
	; wave barrier
	s_nop 1
	v_xor_b32_e32 v4, vcc_lo, v4
	v_xor_b32_e32 v0, vcc_hi, v5
	v_and_b32_e32 v19, exec_lo, v4
	v_lshlrev_b32_e32 v5, 30, v18
	v_mov_b32_e32 v4, v1
	v_cmp_gt_i64_e32 vcc, 0, v[4:5]
	v_not_b32_e32 v4, v5
	v_ashrrev_i32_e32 v4, 31, v4
	v_and_b32_e32 v0, exec_hi, v0
	v_xor_b32_e32 v5, vcc_hi, v4
	v_xor_b32_e32 v4, vcc_lo, v4
	v_and_b32_e32 v0, v0, v5
	v_and_b32_e32 v19, v19, v4
	v_lshlrev_b32_e32 v5, 29, v18
	v_mov_b32_e32 v4, v1
	v_cmp_gt_i64_e32 vcc, 0, v[4:5]
	v_not_b32_e32 v4, v5
	v_ashrrev_i32_e32 v4, 31, v4
	v_xor_b32_e32 v5, vcc_hi, v4
	v_xor_b32_e32 v4, vcc_lo, v4
	v_and_b32_e32 v0, v0, v5
	v_and_b32_e32 v19, v19, v4
	v_lshlrev_b32_e32 v5, 28, v18
	v_mov_b32_e32 v4, v1
	v_cmp_gt_i64_e32 vcc, 0, v[4:5]
	v_not_b32_e32 v4, v5
	v_ashrrev_i32_e32 v4, 31, v4
	;; [unrolled: 9-line block ×6, first 2 shown]
	v_xor_b32_e32 v5, vcc_hi, v4
	v_xor_b32_e32 v4, vcc_lo, v4
	ds_read_b32 v14, v22 offset:64
	v_and_b32_e32 v4, v19, v4
	v_and_b32_e32 v5, v0, v5
	v_mbcnt_lo_u32_b32 v0, v4, 0
	v_mbcnt_hi_u32_b32 v18, v5, v0
	v_cmp_eq_u32_e32 vcc, 0, v18
	v_cmp_ne_u64_e64 s[0:1], 0, v[4:5]
	s_and_b64 s[6:7], s[0:1], vcc
	; wave barrier
	s_and_saveexec_b64 s[0:1], s[6:7]
	s_cbranch_execz .LBB187_89
; %bb.88:
	v_bcnt_u32_b32 v0, v4, 0
	v_bcnt_u32_b32 v0, v5, v0
	s_waitcnt lgkmcnt(0)
	v_add_u32_e32 v0, v14, v0
	ds_write_b32 v22, v0 offset:64
.LBB187_89:
	s_or_b64 exec, exec, s[0:1]
	s_waitcnt vmcnt(4)
	v_xor_b32_e32 v12, 0x80000000, v12
	v_lshrrev_b32_e32 v0, s20, v12
	v_and_b32_e32 v23, s12, v0
	v_mul_lo_u32 v0, v23, s4
	v_add_u32_e32 v27, v24, v0
	v_and_b32_e32 v0, 1, v23
	v_lshl_add_u64 v[4:5], v[0:1], 0, -1
	v_cmp_ne_u32_e32 vcc, 0, v0
	; wave barrier
	s_nop 1
	v_xor_b32_e32 v4, vcc_lo, v4
	v_xor_b32_e32 v0, vcc_hi, v5
	v_and_b32_e32 v25, exec_lo, v4
	v_lshlrev_b32_e32 v5, 30, v23
	v_mov_b32_e32 v4, v1
	v_cmp_gt_i64_e32 vcc, 0, v[4:5]
	v_not_b32_e32 v4, v5
	v_ashrrev_i32_e32 v4, 31, v4
	v_and_b32_e32 v0, exec_hi, v0
	v_xor_b32_e32 v5, vcc_hi, v4
	v_xor_b32_e32 v4, vcc_lo, v4
	v_and_b32_e32 v0, v0, v5
	v_and_b32_e32 v25, v25, v4
	v_lshlrev_b32_e32 v5, 29, v23
	v_mov_b32_e32 v4, v1
	v_cmp_gt_i64_e32 vcc, 0, v[4:5]
	v_not_b32_e32 v4, v5
	v_ashrrev_i32_e32 v4, 31, v4
	v_xor_b32_e32 v5, vcc_hi, v4
	v_xor_b32_e32 v4, vcc_lo, v4
	v_and_b32_e32 v0, v0, v5
	v_and_b32_e32 v25, v25, v4
	v_lshlrev_b32_e32 v5, 28, v23
	v_mov_b32_e32 v4, v1
	v_cmp_gt_i64_e32 vcc, 0, v[4:5]
	v_not_b32_e32 v4, v5
	v_ashrrev_i32_e32 v4, 31, v4
	;; [unrolled: 9-line block ×5, first 2 shown]
	v_xor_b32_e32 v5, vcc_hi, v4
	v_xor_b32_e32 v4, vcc_lo, v4
	v_and_b32_e32 v0, v0, v5
	v_lshlrev_b32_e32 v5, 24, v23
	v_and_b32_e32 v25, v25, v4
	v_mov_b32_e32 v4, v1
	v_not_b32_e32 v1, v5
	v_cmp_gt_i64_e32 vcc, 0, v[4:5]
	v_ashrrev_i32_e32 v1, 31, v1
	ds_read_b32 v19, v27 offset:64
	v_xor_b32_e32 v4, vcc_hi, v1
	v_xor_b32_e32 v5, vcc_lo, v1
	v_and_b32_e32 v1, v0, v4
	v_and_b32_e32 v0, v25, v5
	v_mbcnt_lo_u32_b32 v4, v0, 0
	v_mbcnt_hi_u32_b32 v23, v1, v4
	v_cmp_eq_u32_e32 vcc, 0, v23
	v_cmp_ne_u64_e64 s[0:1], 0, v[0:1]
	s_and_b64 s[4:5], s[0:1], vcc
	; wave barrier
	s_and_saveexec_b64 s[0:1], s[4:5]
	s_cbranch_execz .LBB187_91
; %bb.90:
	v_bcnt_u32_b32 v0, v0, 0
	v_bcnt_u32_b32 v0, v1, v0
	s_waitcnt lgkmcnt(0)
	v_add_u32_e32 v0, v19, v0
	ds_write_b32 v27, v0 offset:64
.LBB187_91:
	s_or_b64 exec, exec, s[0:1]
	s_waitcnt vmcnt(3)
	v_xor_b32_e32 v15, 0x80000000, v15
	v_lshrrev_b32_e32 v0, s20, v15
	v_and_b32_e32 v28, s12, v0
	s_movk_i32 s4, 0x44
	v_mul_lo_u32 v0, v28, s4
	v_add_u32_e32 v30, v24, v0
	v_and_b32_e32 v0, 1, v28
	v_mov_b32_e32 v1, 0
	v_lshl_add_u64 v[4:5], v[0:1], 0, -1
	v_cmp_ne_u32_e32 vcc, 0, v0
	; wave barrier
	s_nop 1
	v_xor_b32_e32 v4, vcc_lo, v4
	v_xor_b32_e32 v0, vcc_hi, v5
	v_and_b32_e32 v29, exec_lo, v4
	v_lshlrev_b32_e32 v5, 30, v28
	v_mov_b32_e32 v4, v1
	v_cmp_gt_i64_e32 vcc, 0, v[4:5]
	v_not_b32_e32 v4, v5
	v_ashrrev_i32_e32 v4, 31, v4
	v_and_b32_e32 v0, exec_hi, v0
	v_xor_b32_e32 v5, vcc_hi, v4
	v_xor_b32_e32 v4, vcc_lo, v4
	v_and_b32_e32 v0, v0, v5
	v_and_b32_e32 v29, v29, v4
	v_lshlrev_b32_e32 v5, 29, v28
	v_mov_b32_e32 v4, v1
	v_cmp_gt_i64_e32 vcc, 0, v[4:5]
	v_not_b32_e32 v4, v5
	v_ashrrev_i32_e32 v4, 31, v4
	v_xor_b32_e32 v5, vcc_hi, v4
	v_xor_b32_e32 v4, vcc_lo, v4
	v_and_b32_e32 v0, v0, v5
	v_and_b32_e32 v29, v29, v4
	v_lshlrev_b32_e32 v5, 28, v28
	v_mov_b32_e32 v4, v1
	v_cmp_gt_i64_e32 vcc, 0, v[4:5]
	v_not_b32_e32 v4, v5
	v_ashrrev_i32_e32 v4, 31, v4
	;; [unrolled: 9-line block ×6, first 2 shown]
	v_xor_b32_e32 v5, vcc_hi, v4
	v_xor_b32_e32 v4, vcc_lo, v4
	ds_read_b32 v25, v30 offset:64
	v_and_b32_e32 v4, v29, v4
	v_and_b32_e32 v5, v0, v5
	v_mbcnt_lo_u32_b32 v0, v4, 0
	v_mbcnt_hi_u32_b32 v28, v5, v0
	v_cmp_eq_u32_e32 vcc, 0, v28
	v_cmp_ne_u64_e64 s[0:1], 0, v[4:5]
	s_and_b64 s[6:7], s[0:1], vcc
	; wave barrier
	s_and_saveexec_b64 s[0:1], s[6:7]
	s_cbranch_execz .LBB187_93
; %bb.92:
	v_bcnt_u32_b32 v0, v4, 0
	v_bcnt_u32_b32 v0, v5, v0
	s_waitcnt lgkmcnt(0)
	v_add_u32_e32 v0, v25, v0
	ds_write_b32 v30, v0 offset:64
.LBB187_93:
	s_or_b64 exec, exec, s[0:1]
	s_waitcnt vmcnt(2)
	v_xor_b32_e32 v20, 0x80000000, v20
	v_lshrrev_b32_e32 v0, s20, v20
	v_and_b32_e32 v31, s12, v0
	v_mul_lo_u32 v0, v31, s4
	v_add_u32_e32 v33, v24, v0
	v_and_b32_e32 v0, 1, v31
	v_lshl_add_u64 v[4:5], v[0:1], 0, -1
	v_cmp_ne_u32_e32 vcc, 0, v0
	; wave barrier
	s_nop 1
	v_xor_b32_e32 v4, vcc_lo, v4
	v_xor_b32_e32 v0, vcc_hi, v5
	v_and_b32_e32 v32, exec_lo, v4
	v_lshlrev_b32_e32 v5, 30, v31
	v_mov_b32_e32 v4, v1
	v_cmp_gt_i64_e32 vcc, 0, v[4:5]
	v_not_b32_e32 v4, v5
	v_ashrrev_i32_e32 v4, 31, v4
	v_and_b32_e32 v0, exec_hi, v0
	v_xor_b32_e32 v5, vcc_hi, v4
	v_xor_b32_e32 v4, vcc_lo, v4
	v_and_b32_e32 v0, v0, v5
	v_and_b32_e32 v32, v32, v4
	v_lshlrev_b32_e32 v5, 29, v31
	v_mov_b32_e32 v4, v1
	v_cmp_gt_i64_e32 vcc, 0, v[4:5]
	v_not_b32_e32 v4, v5
	v_ashrrev_i32_e32 v4, 31, v4
	v_xor_b32_e32 v5, vcc_hi, v4
	v_xor_b32_e32 v4, vcc_lo, v4
	v_and_b32_e32 v0, v0, v5
	v_and_b32_e32 v32, v32, v4
	v_lshlrev_b32_e32 v5, 28, v31
	v_mov_b32_e32 v4, v1
	v_cmp_gt_i64_e32 vcc, 0, v[4:5]
	v_not_b32_e32 v4, v5
	v_ashrrev_i32_e32 v4, 31, v4
	;; [unrolled: 9-line block ×5, first 2 shown]
	v_xor_b32_e32 v5, vcc_hi, v4
	v_xor_b32_e32 v4, vcc_lo, v4
	v_and_b32_e32 v0, v0, v5
	v_lshlrev_b32_e32 v5, 24, v31
	v_and_b32_e32 v32, v32, v4
	v_mov_b32_e32 v4, v1
	v_not_b32_e32 v1, v5
	v_cmp_gt_i64_e32 vcc, 0, v[4:5]
	v_ashrrev_i32_e32 v1, 31, v1
	ds_read_b32 v29, v33 offset:64
	v_xor_b32_e32 v4, vcc_hi, v1
	v_xor_b32_e32 v5, vcc_lo, v1
	v_and_b32_e32 v1, v0, v4
	v_and_b32_e32 v0, v32, v5
	v_mbcnt_lo_u32_b32 v4, v0, 0
	v_mbcnt_hi_u32_b32 v31, v1, v4
	v_cmp_eq_u32_e32 vcc, 0, v31
	v_cmp_ne_u64_e64 s[0:1], 0, v[0:1]
	s_and_b64 s[4:5], s[0:1], vcc
	; wave barrier
	s_and_saveexec_b64 s[0:1], s[4:5]
	s_cbranch_execz .LBB187_95
; %bb.94:
	v_bcnt_u32_b32 v0, v0, 0
	v_bcnt_u32_b32 v0, v1, v0
	s_waitcnt lgkmcnt(0)
	v_add_u32_e32 v0, v29, v0
	ds_write_b32 v33, v0 offset:64
.LBB187_95:
	s_or_b64 exec, exec, s[0:1]
	s_waitcnt vmcnt(1)
	v_xor_b32_e32 v26, 0x80000000, v26
	v_lshrrev_b32_e32 v0, s20, v26
	v_and_b32_e32 v34, s12, v0
	s_movk_i32 s4, 0x44
	v_mul_lo_u32 v0, v34, s4
	v_add_u32_e32 v36, v24, v0
	v_and_b32_e32 v0, 1, v34
	v_mov_b32_e32 v1, 0
	v_lshl_add_u64 v[4:5], v[0:1], 0, -1
	v_cmp_ne_u32_e32 vcc, 0, v0
	; wave barrier
	s_nop 1
	v_xor_b32_e32 v4, vcc_lo, v4
	v_xor_b32_e32 v0, vcc_hi, v5
	v_and_b32_e32 v35, exec_lo, v4
	v_lshlrev_b32_e32 v5, 30, v34
	v_mov_b32_e32 v4, v1
	v_cmp_gt_i64_e32 vcc, 0, v[4:5]
	v_not_b32_e32 v4, v5
	v_ashrrev_i32_e32 v4, 31, v4
	v_and_b32_e32 v0, exec_hi, v0
	v_xor_b32_e32 v5, vcc_hi, v4
	v_xor_b32_e32 v4, vcc_lo, v4
	v_and_b32_e32 v0, v0, v5
	v_and_b32_e32 v35, v35, v4
	v_lshlrev_b32_e32 v5, 29, v34
	v_mov_b32_e32 v4, v1
	v_cmp_gt_i64_e32 vcc, 0, v[4:5]
	v_not_b32_e32 v4, v5
	v_ashrrev_i32_e32 v4, 31, v4
	v_xor_b32_e32 v5, vcc_hi, v4
	v_xor_b32_e32 v4, vcc_lo, v4
	v_and_b32_e32 v0, v0, v5
	v_and_b32_e32 v35, v35, v4
	v_lshlrev_b32_e32 v5, 28, v34
	v_mov_b32_e32 v4, v1
	v_cmp_gt_i64_e32 vcc, 0, v[4:5]
	v_not_b32_e32 v4, v5
	v_ashrrev_i32_e32 v4, 31, v4
	;; [unrolled: 9-line block ×6, first 2 shown]
	v_xor_b32_e32 v5, vcc_hi, v4
	v_xor_b32_e32 v4, vcc_lo, v4
	ds_read_b32 v32, v36 offset:64
	v_and_b32_e32 v4, v35, v4
	v_and_b32_e32 v5, v0, v5
	v_mbcnt_lo_u32_b32 v0, v4, 0
	v_mbcnt_hi_u32_b32 v34, v5, v0
	v_cmp_eq_u32_e32 vcc, 0, v34
	v_cmp_ne_u64_e64 s[0:1], 0, v[4:5]
	s_and_b64 s[6:7], s[0:1], vcc
	; wave barrier
	s_and_saveexec_b64 s[0:1], s[6:7]
	s_cbranch_execz .LBB187_97
; %bb.96:
	v_bcnt_u32_b32 v0, v4, 0
	v_bcnt_u32_b32 v0, v5, v0
	s_waitcnt lgkmcnt(0)
	v_add_u32_e32 v0, v32, v0
	ds_write_b32 v36, v0 offset:64
.LBB187_97:
	s_or_b64 exec, exec, s[0:1]
	s_waitcnt vmcnt(0)
	v_xor_b32_e32 v21, 0x80000000, v21
	v_lshrrev_b32_e32 v0, s20, v21
	v_and_b32_e32 v37, s12, v0
	v_mul_lo_u32 v0, v37, s4
	v_add_u32_e32 v38, v24, v0
	v_and_b32_e32 v0, 1, v37
	v_lshl_add_u64 v[4:5], v[0:1], 0, -1
	v_cmp_ne_u32_e32 vcc, 0, v0
	; wave barrier
	s_nop 1
	v_xor_b32_e32 v4, vcc_lo, v4
	v_xor_b32_e32 v0, vcc_hi, v5
	v_and_b32_e32 v24, exec_lo, v4
	v_lshlrev_b32_e32 v5, 30, v37
	v_mov_b32_e32 v4, v1
	v_cmp_gt_i64_e32 vcc, 0, v[4:5]
	v_not_b32_e32 v4, v5
	v_ashrrev_i32_e32 v4, 31, v4
	v_and_b32_e32 v0, exec_hi, v0
	v_xor_b32_e32 v5, vcc_hi, v4
	v_xor_b32_e32 v4, vcc_lo, v4
	v_and_b32_e32 v0, v0, v5
	v_and_b32_e32 v24, v24, v4
	v_lshlrev_b32_e32 v5, 29, v37
	v_mov_b32_e32 v4, v1
	v_cmp_gt_i64_e32 vcc, 0, v[4:5]
	v_not_b32_e32 v4, v5
	v_ashrrev_i32_e32 v4, 31, v4
	v_xor_b32_e32 v5, vcc_hi, v4
	v_xor_b32_e32 v4, vcc_lo, v4
	v_and_b32_e32 v0, v0, v5
	v_and_b32_e32 v24, v24, v4
	v_lshlrev_b32_e32 v5, 28, v37
	v_mov_b32_e32 v4, v1
	v_cmp_gt_i64_e32 vcc, 0, v[4:5]
	v_not_b32_e32 v4, v5
	v_ashrrev_i32_e32 v4, 31, v4
	;; [unrolled: 9-line block ×5, first 2 shown]
	v_xor_b32_e32 v5, vcc_hi, v4
	v_xor_b32_e32 v4, vcc_lo, v4
	v_and_b32_e32 v0, v0, v5
	v_lshlrev_b32_e32 v5, 24, v37
	v_and_b32_e32 v24, v24, v4
	v_mov_b32_e32 v4, v1
	v_not_b32_e32 v1, v5
	v_cmp_gt_i64_e32 vcc, 0, v[4:5]
	v_ashrrev_i32_e32 v1, 31, v1
	ds_read_b32 v35, v38 offset:64
	v_xor_b32_e32 v4, vcc_hi, v1
	v_xor_b32_e32 v5, vcc_lo, v1
	v_and_b32_e32 v1, v0, v4
	v_and_b32_e32 v0, v24, v5
	v_mbcnt_lo_u32_b32 v4, v0, 0
	v_mbcnt_hi_u32_b32 v37, v1, v4
	v_cmp_eq_u32_e32 vcc, 0, v37
	v_cmp_ne_u64_e64 s[0:1], 0, v[0:1]
	s_and_b64 s[4:5], s[0:1], vcc
	; wave barrier
	s_and_saveexec_b64 s[0:1], s[4:5]
	s_cbranch_execz .LBB187_99
; %bb.98:
	v_bcnt_u32_b32 v0, v0, 0
	v_bcnt_u32_b32 v0, v1, v0
	s_waitcnt lgkmcnt(0)
	v_add_u32_e32 v0, v35, v0
	ds_write_b32 v38, v0 offset:64
.LBB187_99:
	s_or_b64 exec, exec, s[0:1]
	; wave barrier
	s_waitcnt lgkmcnt(0)
	s_barrier
	ds_read2_b32 v[4:5], v7 offset0:16 offset1:17
	ds_read2_b32 v[0:1], v7 offset0:18 offset1:19
	ds_read_b32 v24, v7 offset:80
	v_cmp_lt_u32_e64 s[8:9], 31, v6
	s_waitcnt lgkmcnt(1)
	v_add3_u32 v39, v5, v4, v0
	s_waitcnt lgkmcnt(0)
	v_add3_u32 v24, v39, v1, v24
	v_and_b32_e32 v39, 15, v6
	v_cmp_eq_u32_e32 vcc, 0, v39
	v_mov_b32_dpp v40, v24 row_shr:1 row_mask:0xf bank_mask:0xf
	v_cmp_lt_u32_e64 s[0:1], 1, v39
	v_cndmask_b32_e64 v40, v40, 0, vcc
	v_add_u32_e32 v24, v40, v24
	v_cmp_lt_u32_e64 s[6:7], 3, v39
	v_cmp_lt_u32_e64 s[4:5], 7, v39
	v_mov_b32_dpp v40, v24 row_shr:2 row_mask:0xf bank_mask:0xf
	v_cndmask_b32_e64 v40, 0, v40, s[0:1]
	v_add_u32_e32 v24, v24, v40
	s_nop 1
	v_mov_b32_dpp v40, v24 row_shr:4 row_mask:0xf bank_mask:0xf
	v_cndmask_b32_e64 v40, 0, v40, s[6:7]
	v_add_u32_e32 v24, v24, v40
	s_nop 1
	v_mov_b32_dpp v40, v24 row_shr:8 row_mask:0xf bank_mask:0xf
	v_cndmask_b32_e64 v39, 0, v40, s[4:5]
	v_add_u32_e32 v24, v24, v39
	v_bfe_i32 v40, v6, 4, 1
	s_nop 0
	v_mov_b32_dpp v39, v24 row_bcast:15 row_mask:0xf bank_mask:0xf
	v_and_b32_e32 v39, v40, v39
	v_add_u32_e32 v24, v24, v39
	v_lshrrev_b32_e32 v40, 6, v2
	s_nop 0
	v_mov_b32_dpp v39, v24 row_bcast:31 row_mask:0xf bank_mask:0xf
	v_cndmask_b32_e64 v39, 0, v39, s[8:9]
	v_add_u32_e32 v39, v24, v39
	v_and_b32_e32 v24, 63, v2
	v_cmp_eq_u32_e64 s[8:9], 63, v24
	s_and_saveexec_b64 s[10:11], s[8:9]
; %bb.100:
	v_lshlrev_b32_e32 v24, 2, v40
	ds_write_b32 v24, v39
; %bb.101:
	s_or_b64 exec, exec, s[10:11]
	v_cmp_gt_u32_e64 s[8:9], 16, v2
	v_lshlrev_b32_e32 v24, 2, v2
	s_waitcnt lgkmcnt(0)
	s_barrier
	s_and_saveexec_b64 s[10:11], s[8:9]
	s_cbranch_execz .LBB187_103
; %bb.102:
	ds_read_b32 v41, v24
	s_waitcnt lgkmcnt(0)
	s_nop 0
	v_mov_b32_dpp v42, v41 row_shr:1 row_mask:0xf bank_mask:0xf
	v_cndmask_b32_e64 v42, v42, 0, vcc
	v_add_u32_e32 v41, v42, v41
	s_nop 1
	v_mov_b32_dpp v42, v41 row_shr:2 row_mask:0xf bank_mask:0xf
	v_cndmask_b32_e64 v42, 0, v42, s[0:1]
	v_add_u32_e32 v41, v41, v42
	s_nop 1
	v_mov_b32_dpp v42, v41 row_shr:4 row_mask:0xf bank_mask:0xf
	v_cndmask_b32_e64 v42, 0, v42, s[6:7]
	;; [unrolled: 4-line block ×3, first 2 shown]
	v_add_u32_e32 v41, v41, v42
	ds_write_b32 v24, v41
.LBB187_103:
	s_or_b64 exec, exec, s[10:11]
	v_cmp_lt_u32_e32 vcc, 63, v2
	v_mov_b32_e32 v41, 0
	s_waitcnt lgkmcnt(0)
	s_barrier
	s_and_saveexec_b64 s[0:1], vcc
; %bb.104:
	v_lshl_add_u32 v40, v40, 2, -4
	ds_read_b32 v41, v40
; %bb.105:
	s_or_b64 exec, exec, s[0:1]
	v_subrev_co_u32_e32 v40, vcc, 1, v6
	v_and_b32_e32 v42, 64, v6
	v_cmp_lt_i32_e64 s[0:1], v40, v42
	s_waitcnt lgkmcnt(0)
	v_add_u32_e32 v39, v41, v39
	s_movk_i32 s4, 0x100
	v_cndmask_b32_e64 v6, v40, v6, s[0:1]
	v_lshlrev_b32_e32 v6, 2, v6
	ds_bpermute_b32 v6, v6, v39
	s_movk_i32 s0, 0xff
	v_cmp_lt_u32_e64 s[0:1], s0, v2
	s_waitcnt lgkmcnt(0)
	v_cndmask_b32_e32 v6, v6, v41, vcc
	v_cmp_ne_u32_e32 vcc, 0, v2
	s_nop 1
	v_cndmask_b32_e32 v6, 0, v6, vcc
	v_add_u32_e32 v4, v6, v4
	v_add_u32_e32 v5, v4, v5
	;; [unrolled: 1-line block ×4, first 2 shown]
	ds_write2_b32 v7, v6, v4 offset0:16 offset1:17
	ds_write2_b32 v7, v5, v0 offset0:18 offset1:19
	ds_write_b32 v7, v1 offset:80
	s_waitcnt lgkmcnt(0)
	s_barrier
	ds_read_b32 v42, v16 offset:64
	ds_read_b32 v39, v17 offset:64
	;; [unrolled: 1-line block ×8, first 2 shown]
	v_cmp_gt_u32_e32 vcc, s4, v2
                                        ; implicit-def: $vgpr16
                                        ; implicit-def: $vgpr17
	s_and_saveexec_b64 s[6:7], vcc
	s_cbranch_execz .LBB187_109
; %bb.106:
	v_mul_u32_u24_e32 v0, 0x44, v2
	ds_read_b32 v16, v0 offset:64
	v_add_u32_e32 v1, 1, v2
	v_cmp_ne_u32_e64 s[4:5], s4, v1
	v_mov_b32_e32 v0, 0x2000
	s_and_saveexec_b64 s[8:9], s[4:5]
; %bb.107:
	v_mul_u32_u24_e32 v0, 0x44, v1
	ds_read_b32 v0, v0 offset:64
; %bb.108:
	s_or_b64 exec, exec, s[8:9]
	s_waitcnt lgkmcnt(0)
	v_sub_u32_e32 v17, v0, v16
.LBB187_109:
	s_or_b64 exec, exec, s[6:7]
	v_mov_b32_e32 v1, 0
	s_waitcnt lgkmcnt(0)
	s_barrier
	s_and_saveexec_b64 s[4:5], vcc
	s_cbranch_execz .LBB187_119
; %bb.110:
	v_lshl_add_u32 v0, s2, 8, v2
	v_lshl_add_u64 v[4:5], v[0:1], 2, s[28:29]
	v_or_b32_e32 v0, 2.0, v17
	s_mov_b64 s[6:7], 0
	s_brev_b32 s13, -4
	s_mov_b32 s14, s2
	v_mov_b32_e32 v36, 0
	global_store_dword v[4:5], v0, off sc1
                                        ; implicit-def: $sgpr8_sgpr9
	s_branch .LBB187_113
.LBB187_111:                            ;   in Loop: Header=BB187_113 Depth=1
	s_or_b64 exec, exec, s[10:11]
.LBB187_112:                            ;   in Loop: Header=BB187_113 Depth=1
	s_or_b64 exec, exec, s[8:9]
	v_and_b32_e32 v6, 0x3fffffff, v0
	v_add_u32_e32 v36, v6, v36
	v_cmp_gt_i32_e64 s[8:9], -2.0, v0
	s_and_b64 s[10:11], exec, s[8:9]
	s_or_b64 s[6:7], s[10:11], s[6:7]
	s_andn2_b64 exec, exec, s[6:7]
	s_cbranch_execz .LBB187_118
.LBB187_113:                            ; =>This Loop Header: Depth=1
                                        ;     Child Loop BB187_116 Depth 2
	s_or_b64 s[8:9], s[8:9], exec
	s_cmp_eq_u32 s14, 0
	s_cbranch_scc1 .LBB187_117
; %bb.114:                              ;   in Loop: Header=BB187_113 Depth=1
	s_add_i32 s14, s14, -1
	v_lshl_or_b32 v0, s14, 8, v2
	v_lshl_add_u64 v[6:7], v[0:1], 2, s[28:29]
	global_load_dword v0, v[6:7], off sc1
	s_waitcnt vmcnt(0)
	v_cmp_gt_u32_e32 vcc, 2.0, v0
	s_and_saveexec_b64 s[8:9], vcc
	s_cbranch_execz .LBB187_112
; %bb.115:                              ;   in Loop: Header=BB187_113 Depth=1
	s_mov_b64 s[10:11], 0
.LBB187_116:                            ;   Parent Loop BB187_113 Depth=1
                                        ; =>  This Inner Loop Header: Depth=2
	global_load_dword v0, v[6:7], off sc1
	s_waitcnt vmcnt(0)
	v_cmp_lt_u32_e32 vcc, s13, v0
	s_or_b64 s[10:11], vcc, s[10:11]
	s_andn2_b64 exec, exec, s[10:11]
	s_cbranch_execnz .LBB187_116
	s_branch .LBB187_111
.LBB187_117:                            ;   in Loop: Header=BB187_113 Depth=1
                                        ; implicit-def: $sgpr14
	s_and_b64 s[10:11], exec, s[8:9]
	s_or_b64 s[6:7], s[10:11], s[6:7]
	s_andn2_b64 exec, exec, s[6:7]
	s_cbranch_execnz .LBB187_113
.LBB187_118:
	s_or_b64 exec, exec, s[6:7]
	v_add_u32_e32 v0, v36, v17
	v_or_b32_e32 v0, 0x80000000, v0
	global_store_dword v[4:5], v0, off sc1
	global_load_dword v0, v24, s[16:17]
	v_sub_u32_e32 v1, v36, v16
	s_waitcnt vmcnt(0)
	v_add_u32_e32 v0, v1, v0
	ds_write_b32 v24, v0
.LBB187_119:
	s_or_b64 exec, exec, s[4:5]
	v_add_u32_e32 v0, v37, v35
	v_add_u32_e32 v1, v34, v32
	v_add_u32_e32 v36, v31, v29
	v_add_u32_e32 v38, v28, v25
	v_add_u32_e32 v43, v23, v19
	v_add_u32_e32 v44, v18, v14
	v_add_u32_e32 v45, v13, v11
	v_add_u32_e32 v4, v42, v10
	v_add_lshl_u32 v5, v0, v33, 2
	v_add3_u32 v6, v37, v33, v35
	v_add_lshl_u32 v7, v1, v22, 2
	v_add3_u32 v10, v34, v22, v32
	;; [unrolled: 2-line block ×7, first 2 shown]
	v_lshlrev_b32_e32 v13, 2, v4
	s_mov_b64 s[4:5], -1
	s_mov_b32 s8, 0
	s_movk_i32 s9, 0x1000
	v_mov_b32_e32 v1, 0
	s_movk_i32 s10, 0x400
	s_movk_i32 s11, 0x800
	;; [unrolled: 1-line block ×3, first 2 shown]
	s_mov_b32 s14, 0
	s_branch .LBB187_121
.LBB187_120:                            ;   in Loop: Header=BB187_121 Depth=1
	s_or_b64 exec, exec, s[6:7]
	s_waitcnt lgkmcnt(0)
	s_barrier
	ds_read2st64_b32 v[30:31], v24 offset0:4 offset1:20
	s_xor_b64 s[6:7], s[4:5], -1
	s_addk_i32 s14, 0xc000
	s_addk_i32 s8, 0xf000
	s_mov_b64 s[4:5], 0
	s_waitcnt lgkmcnt(0)
	v_lshrrev_b32_e32 v0, s20, v30
	v_and_b32_e32 v0, s12, v0
	v_lshlrev_b32_e32 v0, 2, v0
	ds_read2st64_b32 v[32:33], v24 offset0:36 offset1:52
	ds_read_b32 v0, v0
	v_lshrrev_b32_e32 v34, s20, v31
	v_and_b32_e32 v34, s12, v34
	v_lshlrev_b32_e32 v34, 2, v34
	s_waitcnt lgkmcnt(1)
	v_lshrrev_b32_e32 v36, s20, v33
	v_lshrrev_b32_e32 v35, s20, v32
	v_and_b32_e32 v36, s12, v36
	v_and_b32_e32 v35, s12, v35
	v_lshlrev_b32_e32 v36, 2, v36
	v_lshlrev_b32_e32 v35, 2, v35
	ds_read_b32 v37, v34
	ds_read_b32 v38, v35
	;; [unrolled: 1-line block ×3, first 2 shown]
	s_waitcnt lgkmcnt(3)
	v_add_u32_e32 v0, v2, v0
	v_xor_b32_e32 v30, 0x80000000, v30
	v_lshl_add_u64 v[34:35], v[0:1], 2, s[26:27]
	s_waitcnt lgkmcnt(2)
	v_add3_u32 v0, v2, v37, s10
	global_store_dword v[34:35], v30, off
	v_xor_b32_e32 v34, 0x80000000, v31
	v_lshl_add_u64 v[30:31], v[0:1], 2, s[26:27]
	s_waitcnt lgkmcnt(1)
	v_add3_u32 v0, v2, v38, s11
	global_store_dword v[30:31], v34, off
	;; [unrolled: 5-line block ×3, first 2 shown]
	v_xor_b32_e32 v32, 0x80000000, v33
	v_lshl_add_u64 v[30:31], v[0:1], 2, s[26:27]
	v_add_u32_e32 v2, 0x1000, v2
	s_and_b64 vcc, exec, s[6:7]
	global_store_dword v[30:31], v32, off
	s_barrier
	s_cbranch_vccnz .LBB187_137
.LBB187_121:                            ; =>This Inner Loop Header: Depth=1
	v_add_u32_e32 v0, s8, v4
	v_cmp_gt_u32_e32 vcc, s9, v0
	s_and_saveexec_b64 s[6:7], vcc
; %bb.122:                              ;   in Loop: Header=BB187_121 Depth=1
	v_add_u32_e32 v0, s14, v13
	ds_write_b32 v0, v3 offset:1024
; %bb.123:                              ;   in Loop: Header=BB187_121 Depth=1
	s_or_b64 exec, exec, s[6:7]
	v_add_u32_e32 v0, s8, v11
	v_cmp_gt_u32_e32 vcc, s9, v0
	s_and_saveexec_b64 s[6:7], vcc
; %bb.124:                              ;   in Loop: Header=BB187_121 Depth=1
	v_add_u32_e32 v0, s14, v18
	ds_write_b32 v0, v8 offset:1024
; %bb.125:                              ;   in Loop: Header=BB187_121 Depth=1
	s_or_b64 exec, exec, s[6:7]
	v_add_u32_e32 v0, s8, v14
	v_cmp_gt_u32_e32 vcc, s9, v0
	s_and_saveexec_b64 s[6:7], vcc
; %bb.126:                              ;   in Loop: Header=BB187_121 Depth=1
	v_add_u32_e32 v0, s14, v23
	ds_write_b32 v0, v9 offset:1024
; %bb.127:                              ;   in Loop: Header=BB187_121 Depth=1
	s_or_b64 exec, exec, s[6:7]
	v_add_u32_e32 v0, s8, v19
	v_cmp_gt_u32_e32 vcc, s9, v0
	s_and_saveexec_b64 s[6:7], vcc
; %bb.128:                              ;   in Loop: Header=BB187_121 Depth=1
	v_add_u32_e32 v0, s14, v28
	ds_write_b32 v0, v12 offset:1024
; %bb.129:                              ;   in Loop: Header=BB187_121 Depth=1
	s_or_b64 exec, exec, s[6:7]
	v_add_u32_e32 v0, s8, v25
	v_cmp_gt_u32_e32 vcc, s9, v0
	s_and_saveexec_b64 s[6:7], vcc
; %bb.130:                              ;   in Loop: Header=BB187_121 Depth=1
	v_add_u32_e32 v0, s14, v29
	ds_write_b32 v0, v15 offset:1024
; %bb.131:                              ;   in Loop: Header=BB187_121 Depth=1
	s_or_b64 exec, exec, s[6:7]
	v_add_u32_e32 v0, s8, v27
	v_cmp_gt_u32_e32 vcc, s9, v0
	s_and_saveexec_b64 s[6:7], vcc
; %bb.132:                              ;   in Loop: Header=BB187_121 Depth=1
	v_add_u32_e32 v0, s14, v22
	ds_write_b32 v0, v20 offset:1024
; %bb.133:                              ;   in Loop: Header=BB187_121 Depth=1
	s_or_b64 exec, exec, s[6:7]
	v_add_u32_e32 v0, s8, v10
	v_cmp_gt_u32_e32 vcc, s9, v0
	s_and_saveexec_b64 s[6:7], vcc
; %bb.134:                              ;   in Loop: Header=BB187_121 Depth=1
	v_add_u32_e32 v0, s14, v7
	ds_write_b32 v0, v26 offset:1024
; %bb.135:                              ;   in Loop: Header=BB187_121 Depth=1
	s_or_b64 exec, exec, s[6:7]
	v_add_u32_e32 v0, s8, v6
	v_cmp_gt_u32_e32 vcc, s9, v0
	s_and_saveexec_b64 s[6:7], vcc
	s_cbranch_execz .LBB187_120
; %bb.136:                              ;   in Loop: Header=BB187_121 Depth=1
	v_add_u32_e32 v0, s14, v5
	ds_write_b32 v0, v21 offset:1024
	s_branch .LBB187_120
.LBB187_137:
	s_add_i32 s3, s3, -1
	s_cmp_eq_u32 s2, s3
	s_cselect_b64 s[2:3], -1, 0
	s_xor_b64 s[0:1], s[0:1], -1
	s_and_b64 s[0:1], s[0:1], s[2:3]
	s_and_saveexec_b64 s[2:3], s[0:1]
	s_cbranch_execz .LBB187_139
; %bb.138:
	ds_read_b32 v0, v24
	s_waitcnt lgkmcnt(0)
	v_add3_u32 v0, v16, v17, v0
	global_store_dword v24, v0, s[18:19]
.LBB187_139:
	s_endpgm
	.section	.rodata,"a",@progbits
	.p2align	6, 0x0
	.amdhsa_kernel _ZN7rocprim17ROCPRIM_400000_NS6detail17trampoline_kernelINS0_14default_configENS1_35radix_sort_onesweep_config_selectorIiNS0_10empty_typeEEEZZNS1_29radix_sort_onesweep_iterationIS3_Lb0EN6thrust23THRUST_200600_302600_NS6detail15normal_iteratorINS9_10device_ptrIiEEEESE_PS5_SF_jNS0_19identity_decomposerENS1_16block_id_wrapperIjLb0EEEEE10hipError_tT1_PNSt15iterator_traitsISK_E10value_typeET2_T3_PNSL_ISQ_E10value_typeET4_T5_PSV_SW_PNS1_23onesweep_lookback_stateEbbT6_jjT7_P12ihipStream_tbENKUlT_T0_SK_SP_E_clISE_SE_SF_SF_EEDaS13_S14_SK_SP_EUlS13_E_NS1_11comp_targetILNS1_3genE6ELNS1_11target_archE950ELNS1_3gpuE13ELNS1_3repE0EEENS1_47radix_sort_onesweep_sort_config_static_selectorELNS0_4arch9wavefront6targetE1EEEvSK_
		.amdhsa_group_segment_fixed_size 20552
		.amdhsa_private_segment_fixed_size 0
		.amdhsa_kernarg_size 344
		.amdhsa_user_sgpr_count 2
		.amdhsa_user_sgpr_dispatch_ptr 0
		.amdhsa_user_sgpr_queue_ptr 0
		.amdhsa_user_sgpr_kernarg_segment_ptr 1
		.amdhsa_user_sgpr_dispatch_id 0
		.amdhsa_user_sgpr_kernarg_preload_length 0
		.amdhsa_user_sgpr_kernarg_preload_offset 0
		.amdhsa_user_sgpr_private_segment_size 0
		.amdhsa_uses_dynamic_stack 0
		.amdhsa_enable_private_segment 0
		.amdhsa_system_sgpr_workgroup_id_x 1
		.amdhsa_system_sgpr_workgroup_id_y 0
		.amdhsa_system_sgpr_workgroup_id_z 0
		.amdhsa_system_sgpr_workgroup_info 0
		.amdhsa_system_vgpr_workitem_id 2
		.amdhsa_next_free_vgpr 46
		.amdhsa_next_free_sgpr 31
		.amdhsa_accum_offset 48
		.amdhsa_reserve_vcc 1
		.amdhsa_float_round_mode_32 0
		.amdhsa_float_round_mode_16_64 0
		.amdhsa_float_denorm_mode_32 3
		.amdhsa_float_denorm_mode_16_64 3
		.amdhsa_dx10_clamp 1
		.amdhsa_ieee_mode 1
		.amdhsa_fp16_overflow 0
		.amdhsa_tg_split 0
		.amdhsa_exception_fp_ieee_invalid_op 0
		.amdhsa_exception_fp_denorm_src 0
		.amdhsa_exception_fp_ieee_div_zero 0
		.amdhsa_exception_fp_ieee_overflow 0
		.amdhsa_exception_fp_ieee_underflow 0
		.amdhsa_exception_fp_ieee_inexact 0
		.amdhsa_exception_int_div_zero 0
	.end_amdhsa_kernel
	.section	.text._ZN7rocprim17ROCPRIM_400000_NS6detail17trampoline_kernelINS0_14default_configENS1_35radix_sort_onesweep_config_selectorIiNS0_10empty_typeEEEZZNS1_29radix_sort_onesweep_iterationIS3_Lb0EN6thrust23THRUST_200600_302600_NS6detail15normal_iteratorINS9_10device_ptrIiEEEESE_PS5_SF_jNS0_19identity_decomposerENS1_16block_id_wrapperIjLb0EEEEE10hipError_tT1_PNSt15iterator_traitsISK_E10value_typeET2_T3_PNSL_ISQ_E10value_typeET4_T5_PSV_SW_PNS1_23onesweep_lookback_stateEbbT6_jjT7_P12ihipStream_tbENKUlT_T0_SK_SP_E_clISE_SE_SF_SF_EEDaS13_S14_SK_SP_EUlS13_E_NS1_11comp_targetILNS1_3genE6ELNS1_11target_archE950ELNS1_3gpuE13ELNS1_3repE0EEENS1_47radix_sort_onesweep_sort_config_static_selectorELNS0_4arch9wavefront6targetE1EEEvSK_,"axG",@progbits,_ZN7rocprim17ROCPRIM_400000_NS6detail17trampoline_kernelINS0_14default_configENS1_35radix_sort_onesweep_config_selectorIiNS0_10empty_typeEEEZZNS1_29radix_sort_onesweep_iterationIS3_Lb0EN6thrust23THRUST_200600_302600_NS6detail15normal_iteratorINS9_10device_ptrIiEEEESE_PS5_SF_jNS0_19identity_decomposerENS1_16block_id_wrapperIjLb0EEEEE10hipError_tT1_PNSt15iterator_traitsISK_E10value_typeET2_T3_PNSL_ISQ_E10value_typeET4_T5_PSV_SW_PNS1_23onesweep_lookback_stateEbbT6_jjT7_P12ihipStream_tbENKUlT_T0_SK_SP_E_clISE_SE_SF_SF_EEDaS13_S14_SK_SP_EUlS13_E_NS1_11comp_targetILNS1_3genE6ELNS1_11target_archE950ELNS1_3gpuE13ELNS1_3repE0EEENS1_47radix_sort_onesweep_sort_config_static_selectorELNS0_4arch9wavefront6targetE1EEEvSK_,comdat
.Lfunc_end187:
	.size	_ZN7rocprim17ROCPRIM_400000_NS6detail17trampoline_kernelINS0_14default_configENS1_35radix_sort_onesweep_config_selectorIiNS0_10empty_typeEEEZZNS1_29radix_sort_onesweep_iterationIS3_Lb0EN6thrust23THRUST_200600_302600_NS6detail15normal_iteratorINS9_10device_ptrIiEEEESE_PS5_SF_jNS0_19identity_decomposerENS1_16block_id_wrapperIjLb0EEEEE10hipError_tT1_PNSt15iterator_traitsISK_E10value_typeET2_T3_PNSL_ISQ_E10value_typeET4_T5_PSV_SW_PNS1_23onesweep_lookback_stateEbbT6_jjT7_P12ihipStream_tbENKUlT_T0_SK_SP_E_clISE_SE_SF_SF_EEDaS13_S14_SK_SP_EUlS13_E_NS1_11comp_targetILNS1_3genE6ELNS1_11target_archE950ELNS1_3gpuE13ELNS1_3repE0EEENS1_47radix_sort_onesweep_sort_config_static_selectorELNS0_4arch9wavefront6targetE1EEEvSK_, .Lfunc_end187-_ZN7rocprim17ROCPRIM_400000_NS6detail17trampoline_kernelINS0_14default_configENS1_35radix_sort_onesweep_config_selectorIiNS0_10empty_typeEEEZZNS1_29radix_sort_onesweep_iterationIS3_Lb0EN6thrust23THRUST_200600_302600_NS6detail15normal_iteratorINS9_10device_ptrIiEEEESE_PS5_SF_jNS0_19identity_decomposerENS1_16block_id_wrapperIjLb0EEEEE10hipError_tT1_PNSt15iterator_traitsISK_E10value_typeET2_T3_PNSL_ISQ_E10value_typeET4_T5_PSV_SW_PNS1_23onesweep_lookback_stateEbbT6_jjT7_P12ihipStream_tbENKUlT_T0_SK_SP_E_clISE_SE_SF_SF_EEDaS13_S14_SK_SP_EUlS13_E_NS1_11comp_targetILNS1_3genE6ELNS1_11target_archE950ELNS1_3gpuE13ELNS1_3repE0EEENS1_47radix_sort_onesweep_sort_config_static_selectorELNS0_4arch9wavefront6targetE1EEEvSK_
                                        ; -- End function
	.set _ZN7rocprim17ROCPRIM_400000_NS6detail17trampoline_kernelINS0_14default_configENS1_35radix_sort_onesweep_config_selectorIiNS0_10empty_typeEEEZZNS1_29radix_sort_onesweep_iterationIS3_Lb0EN6thrust23THRUST_200600_302600_NS6detail15normal_iteratorINS9_10device_ptrIiEEEESE_PS5_SF_jNS0_19identity_decomposerENS1_16block_id_wrapperIjLb0EEEEE10hipError_tT1_PNSt15iterator_traitsISK_E10value_typeET2_T3_PNSL_ISQ_E10value_typeET4_T5_PSV_SW_PNS1_23onesweep_lookback_stateEbbT6_jjT7_P12ihipStream_tbENKUlT_T0_SK_SP_E_clISE_SE_SF_SF_EEDaS13_S14_SK_SP_EUlS13_E_NS1_11comp_targetILNS1_3genE6ELNS1_11target_archE950ELNS1_3gpuE13ELNS1_3repE0EEENS1_47radix_sort_onesweep_sort_config_static_selectorELNS0_4arch9wavefront6targetE1EEEvSK_.num_vgpr, 46
	.set _ZN7rocprim17ROCPRIM_400000_NS6detail17trampoline_kernelINS0_14default_configENS1_35radix_sort_onesweep_config_selectorIiNS0_10empty_typeEEEZZNS1_29radix_sort_onesweep_iterationIS3_Lb0EN6thrust23THRUST_200600_302600_NS6detail15normal_iteratorINS9_10device_ptrIiEEEESE_PS5_SF_jNS0_19identity_decomposerENS1_16block_id_wrapperIjLb0EEEEE10hipError_tT1_PNSt15iterator_traitsISK_E10value_typeET2_T3_PNSL_ISQ_E10value_typeET4_T5_PSV_SW_PNS1_23onesweep_lookback_stateEbbT6_jjT7_P12ihipStream_tbENKUlT_T0_SK_SP_E_clISE_SE_SF_SF_EEDaS13_S14_SK_SP_EUlS13_E_NS1_11comp_targetILNS1_3genE6ELNS1_11target_archE950ELNS1_3gpuE13ELNS1_3repE0EEENS1_47radix_sort_onesweep_sort_config_static_selectorELNS0_4arch9wavefront6targetE1EEEvSK_.num_agpr, 0
	.set _ZN7rocprim17ROCPRIM_400000_NS6detail17trampoline_kernelINS0_14default_configENS1_35radix_sort_onesweep_config_selectorIiNS0_10empty_typeEEEZZNS1_29radix_sort_onesweep_iterationIS3_Lb0EN6thrust23THRUST_200600_302600_NS6detail15normal_iteratorINS9_10device_ptrIiEEEESE_PS5_SF_jNS0_19identity_decomposerENS1_16block_id_wrapperIjLb0EEEEE10hipError_tT1_PNSt15iterator_traitsISK_E10value_typeET2_T3_PNSL_ISQ_E10value_typeET4_T5_PSV_SW_PNS1_23onesweep_lookback_stateEbbT6_jjT7_P12ihipStream_tbENKUlT_T0_SK_SP_E_clISE_SE_SF_SF_EEDaS13_S14_SK_SP_EUlS13_E_NS1_11comp_targetILNS1_3genE6ELNS1_11target_archE950ELNS1_3gpuE13ELNS1_3repE0EEENS1_47radix_sort_onesweep_sort_config_static_selectorELNS0_4arch9wavefront6targetE1EEEvSK_.numbered_sgpr, 31
	.set _ZN7rocprim17ROCPRIM_400000_NS6detail17trampoline_kernelINS0_14default_configENS1_35radix_sort_onesweep_config_selectorIiNS0_10empty_typeEEEZZNS1_29radix_sort_onesweep_iterationIS3_Lb0EN6thrust23THRUST_200600_302600_NS6detail15normal_iteratorINS9_10device_ptrIiEEEESE_PS5_SF_jNS0_19identity_decomposerENS1_16block_id_wrapperIjLb0EEEEE10hipError_tT1_PNSt15iterator_traitsISK_E10value_typeET2_T3_PNSL_ISQ_E10value_typeET4_T5_PSV_SW_PNS1_23onesweep_lookback_stateEbbT6_jjT7_P12ihipStream_tbENKUlT_T0_SK_SP_E_clISE_SE_SF_SF_EEDaS13_S14_SK_SP_EUlS13_E_NS1_11comp_targetILNS1_3genE6ELNS1_11target_archE950ELNS1_3gpuE13ELNS1_3repE0EEENS1_47radix_sort_onesweep_sort_config_static_selectorELNS0_4arch9wavefront6targetE1EEEvSK_.num_named_barrier, 0
	.set _ZN7rocprim17ROCPRIM_400000_NS6detail17trampoline_kernelINS0_14default_configENS1_35radix_sort_onesweep_config_selectorIiNS0_10empty_typeEEEZZNS1_29radix_sort_onesweep_iterationIS3_Lb0EN6thrust23THRUST_200600_302600_NS6detail15normal_iteratorINS9_10device_ptrIiEEEESE_PS5_SF_jNS0_19identity_decomposerENS1_16block_id_wrapperIjLb0EEEEE10hipError_tT1_PNSt15iterator_traitsISK_E10value_typeET2_T3_PNSL_ISQ_E10value_typeET4_T5_PSV_SW_PNS1_23onesweep_lookback_stateEbbT6_jjT7_P12ihipStream_tbENKUlT_T0_SK_SP_E_clISE_SE_SF_SF_EEDaS13_S14_SK_SP_EUlS13_E_NS1_11comp_targetILNS1_3genE6ELNS1_11target_archE950ELNS1_3gpuE13ELNS1_3repE0EEENS1_47radix_sort_onesweep_sort_config_static_selectorELNS0_4arch9wavefront6targetE1EEEvSK_.private_seg_size, 0
	.set _ZN7rocprim17ROCPRIM_400000_NS6detail17trampoline_kernelINS0_14default_configENS1_35radix_sort_onesweep_config_selectorIiNS0_10empty_typeEEEZZNS1_29radix_sort_onesweep_iterationIS3_Lb0EN6thrust23THRUST_200600_302600_NS6detail15normal_iteratorINS9_10device_ptrIiEEEESE_PS5_SF_jNS0_19identity_decomposerENS1_16block_id_wrapperIjLb0EEEEE10hipError_tT1_PNSt15iterator_traitsISK_E10value_typeET2_T3_PNSL_ISQ_E10value_typeET4_T5_PSV_SW_PNS1_23onesweep_lookback_stateEbbT6_jjT7_P12ihipStream_tbENKUlT_T0_SK_SP_E_clISE_SE_SF_SF_EEDaS13_S14_SK_SP_EUlS13_E_NS1_11comp_targetILNS1_3genE6ELNS1_11target_archE950ELNS1_3gpuE13ELNS1_3repE0EEENS1_47radix_sort_onesweep_sort_config_static_selectorELNS0_4arch9wavefront6targetE1EEEvSK_.uses_vcc, 1
	.set _ZN7rocprim17ROCPRIM_400000_NS6detail17trampoline_kernelINS0_14default_configENS1_35radix_sort_onesweep_config_selectorIiNS0_10empty_typeEEEZZNS1_29radix_sort_onesweep_iterationIS3_Lb0EN6thrust23THRUST_200600_302600_NS6detail15normal_iteratorINS9_10device_ptrIiEEEESE_PS5_SF_jNS0_19identity_decomposerENS1_16block_id_wrapperIjLb0EEEEE10hipError_tT1_PNSt15iterator_traitsISK_E10value_typeET2_T3_PNSL_ISQ_E10value_typeET4_T5_PSV_SW_PNS1_23onesweep_lookback_stateEbbT6_jjT7_P12ihipStream_tbENKUlT_T0_SK_SP_E_clISE_SE_SF_SF_EEDaS13_S14_SK_SP_EUlS13_E_NS1_11comp_targetILNS1_3genE6ELNS1_11target_archE950ELNS1_3gpuE13ELNS1_3repE0EEENS1_47radix_sort_onesweep_sort_config_static_selectorELNS0_4arch9wavefront6targetE1EEEvSK_.uses_flat_scratch, 0
	.set _ZN7rocprim17ROCPRIM_400000_NS6detail17trampoline_kernelINS0_14default_configENS1_35radix_sort_onesweep_config_selectorIiNS0_10empty_typeEEEZZNS1_29radix_sort_onesweep_iterationIS3_Lb0EN6thrust23THRUST_200600_302600_NS6detail15normal_iteratorINS9_10device_ptrIiEEEESE_PS5_SF_jNS0_19identity_decomposerENS1_16block_id_wrapperIjLb0EEEEE10hipError_tT1_PNSt15iterator_traitsISK_E10value_typeET2_T3_PNSL_ISQ_E10value_typeET4_T5_PSV_SW_PNS1_23onesweep_lookback_stateEbbT6_jjT7_P12ihipStream_tbENKUlT_T0_SK_SP_E_clISE_SE_SF_SF_EEDaS13_S14_SK_SP_EUlS13_E_NS1_11comp_targetILNS1_3genE6ELNS1_11target_archE950ELNS1_3gpuE13ELNS1_3repE0EEENS1_47radix_sort_onesweep_sort_config_static_selectorELNS0_4arch9wavefront6targetE1EEEvSK_.has_dyn_sized_stack, 0
	.set _ZN7rocprim17ROCPRIM_400000_NS6detail17trampoline_kernelINS0_14default_configENS1_35radix_sort_onesweep_config_selectorIiNS0_10empty_typeEEEZZNS1_29radix_sort_onesweep_iterationIS3_Lb0EN6thrust23THRUST_200600_302600_NS6detail15normal_iteratorINS9_10device_ptrIiEEEESE_PS5_SF_jNS0_19identity_decomposerENS1_16block_id_wrapperIjLb0EEEEE10hipError_tT1_PNSt15iterator_traitsISK_E10value_typeET2_T3_PNSL_ISQ_E10value_typeET4_T5_PSV_SW_PNS1_23onesweep_lookback_stateEbbT6_jjT7_P12ihipStream_tbENKUlT_T0_SK_SP_E_clISE_SE_SF_SF_EEDaS13_S14_SK_SP_EUlS13_E_NS1_11comp_targetILNS1_3genE6ELNS1_11target_archE950ELNS1_3gpuE13ELNS1_3repE0EEENS1_47radix_sort_onesweep_sort_config_static_selectorELNS0_4arch9wavefront6targetE1EEEvSK_.has_recursion, 0
	.set _ZN7rocprim17ROCPRIM_400000_NS6detail17trampoline_kernelINS0_14default_configENS1_35radix_sort_onesweep_config_selectorIiNS0_10empty_typeEEEZZNS1_29radix_sort_onesweep_iterationIS3_Lb0EN6thrust23THRUST_200600_302600_NS6detail15normal_iteratorINS9_10device_ptrIiEEEESE_PS5_SF_jNS0_19identity_decomposerENS1_16block_id_wrapperIjLb0EEEEE10hipError_tT1_PNSt15iterator_traitsISK_E10value_typeET2_T3_PNSL_ISQ_E10value_typeET4_T5_PSV_SW_PNS1_23onesweep_lookback_stateEbbT6_jjT7_P12ihipStream_tbENKUlT_T0_SK_SP_E_clISE_SE_SF_SF_EEDaS13_S14_SK_SP_EUlS13_E_NS1_11comp_targetILNS1_3genE6ELNS1_11target_archE950ELNS1_3gpuE13ELNS1_3repE0EEENS1_47radix_sort_onesweep_sort_config_static_selectorELNS0_4arch9wavefront6targetE1EEEvSK_.has_indirect_call, 0
	.section	.AMDGPU.csdata,"",@progbits
; Kernel info:
; codeLenInByte = 11196
; TotalNumSgprs: 37
; NumVgprs: 46
; NumAgprs: 0
; TotalNumVgprs: 46
; ScratchSize: 0
; MemoryBound: 0
; FloatMode: 240
; IeeeMode: 1
; LDSByteSize: 20552 bytes/workgroup (compile time only)
; SGPRBlocks: 4
; VGPRBlocks: 5
; NumSGPRsForWavesPerEU: 37
; NumVGPRsForWavesPerEU: 46
; AccumOffset: 48
; Occupancy: 8
; WaveLimiterHint : 1
; COMPUTE_PGM_RSRC2:SCRATCH_EN: 0
; COMPUTE_PGM_RSRC2:USER_SGPR: 2
; COMPUTE_PGM_RSRC2:TRAP_HANDLER: 0
; COMPUTE_PGM_RSRC2:TGID_X_EN: 1
; COMPUTE_PGM_RSRC2:TGID_Y_EN: 0
; COMPUTE_PGM_RSRC2:TGID_Z_EN: 0
; COMPUTE_PGM_RSRC2:TIDIG_COMP_CNT: 2
; COMPUTE_PGM_RSRC3_GFX90A:ACCUM_OFFSET: 11
; COMPUTE_PGM_RSRC3_GFX90A:TG_SPLIT: 0
	.section	.text._ZN7rocprim17ROCPRIM_400000_NS6detail17trampoline_kernelINS0_14default_configENS1_35radix_sort_onesweep_config_selectorIiNS0_10empty_typeEEEZZNS1_29radix_sort_onesweep_iterationIS3_Lb0EN6thrust23THRUST_200600_302600_NS6detail15normal_iteratorINS9_10device_ptrIiEEEESE_PS5_SF_jNS0_19identity_decomposerENS1_16block_id_wrapperIjLb0EEEEE10hipError_tT1_PNSt15iterator_traitsISK_E10value_typeET2_T3_PNSL_ISQ_E10value_typeET4_T5_PSV_SW_PNS1_23onesweep_lookback_stateEbbT6_jjT7_P12ihipStream_tbENKUlT_T0_SK_SP_E_clISE_SE_SF_SF_EEDaS13_S14_SK_SP_EUlS13_E_NS1_11comp_targetILNS1_3genE5ELNS1_11target_archE942ELNS1_3gpuE9ELNS1_3repE0EEENS1_47radix_sort_onesweep_sort_config_static_selectorELNS0_4arch9wavefront6targetE1EEEvSK_,"axG",@progbits,_ZN7rocprim17ROCPRIM_400000_NS6detail17trampoline_kernelINS0_14default_configENS1_35radix_sort_onesweep_config_selectorIiNS0_10empty_typeEEEZZNS1_29radix_sort_onesweep_iterationIS3_Lb0EN6thrust23THRUST_200600_302600_NS6detail15normal_iteratorINS9_10device_ptrIiEEEESE_PS5_SF_jNS0_19identity_decomposerENS1_16block_id_wrapperIjLb0EEEEE10hipError_tT1_PNSt15iterator_traitsISK_E10value_typeET2_T3_PNSL_ISQ_E10value_typeET4_T5_PSV_SW_PNS1_23onesweep_lookback_stateEbbT6_jjT7_P12ihipStream_tbENKUlT_T0_SK_SP_E_clISE_SE_SF_SF_EEDaS13_S14_SK_SP_EUlS13_E_NS1_11comp_targetILNS1_3genE5ELNS1_11target_archE942ELNS1_3gpuE9ELNS1_3repE0EEENS1_47radix_sort_onesweep_sort_config_static_selectorELNS0_4arch9wavefront6targetE1EEEvSK_,comdat
	.protected	_ZN7rocprim17ROCPRIM_400000_NS6detail17trampoline_kernelINS0_14default_configENS1_35radix_sort_onesweep_config_selectorIiNS0_10empty_typeEEEZZNS1_29radix_sort_onesweep_iterationIS3_Lb0EN6thrust23THRUST_200600_302600_NS6detail15normal_iteratorINS9_10device_ptrIiEEEESE_PS5_SF_jNS0_19identity_decomposerENS1_16block_id_wrapperIjLb0EEEEE10hipError_tT1_PNSt15iterator_traitsISK_E10value_typeET2_T3_PNSL_ISQ_E10value_typeET4_T5_PSV_SW_PNS1_23onesweep_lookback_stateEbbT6_jjT7_P12ihipStream_tbENKUlT_T0_SK_SP_E_clISE_SE_SF_SF_EEDaS13_S14_SK_SP_EUlS13_E_NS1_11comp_targetILNS1_3genE5ELNS1_11target_archE942ELNS1_3gpuE9ELNS1_3repE0EEENS1_47radix_sort_onesweep_sort_config_static_selectorELNS0_4arch9wavefront6targetE1EEEvSK_ ; -- Begin function _ZN7rocprim17ROCPRIM_400000_NS6detail17trampoline_kernelINS0_14default_configENS1_35radix_sort_onesweep_config_selectorIiNS0_10empty_typeEEEZZNS1_29radix_sort_onesweep_iterationIS3_Lb0EN6thrust23THRUST_200600_302600_NS6detail15normal_iteratorINS9_10device_ptrIiEEEESE_PS5_SF_jNS0_19identity_decomposerENS1_16block_id_wrapperIjLb0EEEEE10hipError_tT1_PNSt15iterator_traitsISK_E10value_typeET2_T3_PNSL_ISQ_E10value_typeET4_T5_PSV_SW_PNS1_23onesweep_lookback_stateEbbT6_jjT7_P12ihipStream_tbENKUlT_T0_SK_SP_E_clISE_SE_SF_SF_EEDaS13_S14_SK_SP_EUlS13_E_NS1_11comp_targetILNS1_3genE5ELNS1_11target_archE942ELNS1_3gpuE9ELNS1_3repE0EEENS1_47radix_sort_onesweep_sort_config_static_selectorELNS0_4arch9wavefront6targetE1EEEvSK_
	.globl	_ZN7rocprim17ROCPRIM_400000_NS6detail17trampoline_kernelINS0_14default_configENS1_35radix_sort_onesweep_config_selectorIiNS0_10empty_typeEEEZZNS1_29radix_sort_onesweep_iterationIS3_Lb0EN6thrust23THRUST_200600_302600_NS6detail15normal_iteratorINS9_10device_ptrIiEEEESE_PS5_SF_jNS0_19identity_decomposerENS1_16block_id_wrapperIjLb0EEEEE10hipError_tT1_PNSt15iterator_traitsISK_E10value_typeET2_T3_PNSL_ISQ_E10value_typeET4_T5_PSV_SW_PNS1_23onesweep_lookback_stateEbbT6_jjT7_P12ihipStream_tbENKUlT_T0_SK_SP_E_clISE_SE_SF_SF_EEDaS13_S14_SK_SP_EUlS13_E_NS1_11comp_targetILNS1_3genE5ELNS1_11target_archE942ELNS1_3gpuE9ELNS1_3repE0EEENS1_47radix_sort_onesweep_sort_config_static_selectorELNS0_4arch9wavefront6targetE1EEEvSK_
	.p2align	8
	.type	_ZN7rocprim17ROCPRIM_400000_NS6detail17trampoline_kernelINS0_14default_configENS1_35radix_sort_onesweep_config_selectorIiNS0_10empty_typeEEEZZNS1_29radix_sort_onesweep_iterationIS3_Lb0EN6thrust23THRUST_200600_302600_NS6detail15normal_iteratorINS9_10device_ptrIiEEEESE_PS5_SF_jNS0_19identity_decomposerENS1_16block_id_wrapperIjLb0EEEEE10hipError_tT1_PNSt15iterator_traitsISK_E10value_typeET2_T3_PNSL_ISQ_E10value_typeET4_T5_PSV_SW_PNS1_23onesweep_lookback_stateEbbT6_jjT7_P12ihipStream_tbENKUlT_T0_SK_SP_E_clISE_SE_SF_SF_EEDaS13_S14_SK_SP_EUlS13_E_NS1_11comp_targetILNS1_3genE5ELNS1_11target_archE942ELNS1_3gpuE9ELNS1_3repE0EEENS1_47radix_sort_onesweep_sort_config_static_selectorELNS0_4arch9wavefront6targetE1EEEvSK_,@function
_ZN7rocprim17ROCPRIM_400000_NS6detail17trampoline_kernelINS0_14default_configENS1_35radix_sort_onesweep_config_selectorIiNS0_10empty_typeEEEZZNS1_29radix_sort_onesweep_iterationIS3_Lb0EN6thrust23THRUST_200600_302600_NS6detail15normal_iteratorINS9_10device_ptrIiEEEESE_PS5_SF_jNS0_19identity_decomposerENS1_16block_id_wrapperIjLb0EEEEE10hipError_tT1_PNSt15iterator_traitsISK_E10value_typeET2_T3_PNSL_ISQ_E10value_typeET4_T5_PSV_SW_PNS1_23onesweep_lookback_stateEbbT6_jjT7_P12ihipStream_tbENKUlT_T0_SK_SP_E_clISE_SE_SF_SF_EEDaS13_S14_SK_SP_EUlS13_E_NS1_11comp_targetILNS1_3genE5ELNS1_11target_archE942ELNS1_3gpuE9ELNS1_3repE0EEENS1_47radix_sort_onesweep_sort_config_static_selectorELNS0_4arch9wavefront6targetE1EEEvSK_: ; @_ZN7rocprim17ROCPRIM_400000_NS6detail17trampoline_kernelINS0_14default_configENS1_35radix_sort_onesweep_config_selectorIiNS0_10empty_typeEEEZZNS1_29radix_sort_onesweep_iterationIS3_Lb0EN6thrust23THRUST_200600_302600_NS6detail15normal_iteratorINS9_10device_ptrIiEEEESE_PS5_SF_jNS0_19identity_decomposerENS1_16block_id_wrapperIjLb0EEEEE10hipError_tT1_PNSt15iterator_traitsISK_E10value_typeET2_T3_PNSL_ISQ_E10value_typeET4_T5_PSV_SW_PNS1_23onesweep_lookback_stateEbbT6_jjT7_P12ihipStream_tbENKUlT_T0_SK_SP_E_clISE_SE_SF_SF_EEDaS13_S14_SK_SP_EUlS13_E_NS1_11comp_targetILNS1_3genE5ELNS1_11target_archE942ELNS1_3gpuE9ELNS1_3repE0EEENS1_47radix_sort_onesweep_sort_config_static_selectorELNS0_4arch9wavefront6targetE1EEEvSK_
; %bb.0:
	.section	.rodata,"a",@progbits
	.p2align	6, 0x0
	.amdhsa_kernel _ZN7rocprim17ROCPRIM_400000_NS6detail17trampoline_kernelINS0_14default_configENS1_35radix_sort_onesweep_config_selectorIiNS0_10empty_typeEEEZZNS1_29radix_sort_onesweep_iterationIS3_Lb0EN6thrust23THRUST_200600_302600_NS6detail15normal_iteratorINS9_10device_ptrIiEEEESE_PS5_SF_jNS0_19identity_decomposerENS1_16block_id_wrapperIjLb0EEEEE10hipError_tT1_PNSt15iterator_traitsISK_E10value_typeET2_T3_PNSL_ISQ_E10value_typeET4_T5_PSV_SW_PNS1_23onesweep_lookback_stateEbbT6_jjT7_P12ihipStream_tbENKUlT_T0_SK_SP_E_clISE_SE_SF_SF_EEDaS13_S14_SK_SP_EUlS13_E_NS1_11comp_targetILNS1_3genE5ELNS1_11target_archE942ELNS1_3gpuE9ELNS1_3repE0EEENS1_47radix_sort_onesweep_sort_config_static_selectorELNS0_4arch9wavefront6targetE1EEEvSK_
		.amdhsa_group_segment_fixed_size 0
		.amdhsa_private_segment_fixed_size 0
		.amdhsa_kernarg_size 88
		.amdhsa_user_sgpr_count 2
		.amdhsa_user_sgpr_dispatch_ptr 0
		.amdhsa_user_sgpr_queue_ptr 0
		.amdhsa_user_sgpr_kernarg_segment_ptr 1
		.amdhsa_user_sgpr_dispatch_id 0
		.amdhsa_user_sgpr_kernarg_preload_length 0
		.amdhsa_user_sgpr_kernarg_preload_offset 0
		.amdhsa_user_sgpr_private_segment_size 0
		.amdhsa_uses_dynamic_stack 0
		.amdhsa_enable_private_segment 0
		.amdhsa_system_sgpr_workgroup_id_x 1
		.amdhsa_system_sgpr_workgroup_id_y 0
		.amdhsa_system_sgpr_workgroup_id_z 0
		.amdhsa_system_sgpr_workgroup_info 0
		.amdhsa_system_vgpr_workitem_id 0
		.amdhsa_next_free_vgpr 1
		.amdhsa_next_free_sgpr 0
		.amdhsa_accum_offset 4
		.amdhsa_reserve_vcc 0
		.amdhsa_float_round_mode_32 0
		.amdhsa_float_round_mode_16_64 0
		.amdhsa_float_denorm_mode_32 3
		.amdhsa_float_denorm_mode_16_64 3
		.amdhsa_dx10_clamp 1
		.amdhsa_ieee_mode 1
		.amdhsa_fp16_overflow 0
		.amdhsa_tg_split 0
		.amdhsa_exception_fp_ieee_invalid_op 0
		.amdhsa_exception_fp_denorm_src 0
		.amdhsa_exception_fp_ieee_div_zero 0
		.amdhsa_exception_fp_ieee_overflow 0
		.amdhsa_exception_fp_ieee_underflow 0
		.amdhsa_exception_fp_ieee_inexact 0
		.amdhsa_exception_int_div_zero 0
	.end_amdhsa_kernel
	.section	.text._ZN7rocprim17ROCPRIM_400000_NS6detail17trampoline_kernelINS0_14default_configENS1_35radix_sort_onesweep_config_selectorIiNS0_10empty_typeEEEZZNS1_29radix_sort_onesweep_iterationIS3_Lb0EN6thrust23THRUST_200600_302600_NS6detail15normal_iteratorINS9_10device_ptrIiEEEESE_PS5_SF_jNS0_19identity_decomposerENS1_16block_id_wrapperIjLb0EEEEE10hipError_tT1_PNSt15iterator_traitsISK_E10value_typeET2_T3_PNSL_ISQ_E10value_typeET4_T5_PSV_SW_PNS1_23onesweep_lookback_stateEbbT6_jjT7_P12ihipStream_tbENKUlT_T0_SK_SP_E_clISE_SE_SF_SF_EEDaS13_S14_SK_SP_EUlS13_E_NS1_11comp_targetILNS1_3genE5ELNS1_11target_archE942ELNS1_3gpuE9ELNS1_3repE0EEENS1_47radix_sort_onesweep_sort_config_static_selectorELNS0_4arch9wavefront6targetE1EEEvSK_,"axG",@progbits,_ZN7rocprim17ROCPRIM_400000_NS6detail17trampoline_kernelINS0_14default_configENS1_35radix_sort_onesweep_config_selectorIiNS0_10empty_typeEEEZZNS1_29radix_sort_onesweep_iterationIS3_Lb0EN6thrust23THRUST_200600_302600_NS6detail15normal_iteratorINS9_10device_ptrIiEEEESE_PS5_SF_jNS0_19identity_decomposerENS1_16block_id_wrapperIjLb0EEEEE10hipError_tT1_PNSt15iterator_traitsISK_E10value_typeET2_T3_PNSL_ISQ_E10value_typeET4_T5_PSV_SW_PNS1_23onesweep_lookback_stateEbbT6_jjT7_P12ihipStream_tbENKUlT_T0_SK_SP_E_clISE_SE_SF_SF_EEDaS13_S14_SK_SP_EUlS13_E_NS1_11comp_targetILNS1_3genE5ELNS1_11target_archE942ELNS1_3gpuE9ELNS1_3repE0EEENS1_47radix_sort_onesweep_sort_config_static_selectorELNS0_4arch9wavefront6targetE1EEEvSK_,comdat
.Lfunc_end188:
	.size	_ZN7rocprim17ROCPRIM_400000_NS6detail17trampoline_kernelINS0_14default_configENS1_35radix_sort_onesweep_config_selectorIiNS0_10empty_typeEEEZZNS1_29radix_sort_onesweep_iterationIS3_Lb0EN6thrust23THRUST_200600_302600_NS6detail15normal_iteratorINS9_10device_ptrIiEEEESE_PS5_SF_jNS0_19identity_decomposerENS1_16block_id_wrapperIjLb0EEEEE10hipError_tT1_PNSt15iterator_traitsISK_E10value_typeET2_T3_PNSL_ISQ_E10value_typeET4_T5_PSV_SW_PNS1_23onesweep_lookback_stateEbbT6_jjT7_P12ihipStream_tbENKUlT_T0_SK_SP_E_clISE_SE_SF_SF_EEDaS13_S14_SK_SP_EUlS13_E_NS1_11comp_targetILNS1_3genE5ELNS1_11target_archE942ELNS1_3gpuE9ELNS1_3repE0EEENS1_47radix_sort_onesweep_sort_config_static_selectorELNS0_4arch9wavefront6targetE1EEEvSK_, .Lfunc_end188-_ZN7rocprim17ROCPRIM_400000_NS6detail17trampoline_kernelINS0_14default_configENS1_35radix_sort_onesweep_config_selectorIiNS0_10empty_typeEEEZZNS1_29radix_sort_onesweep_iterationIS3_Lb0EN6thrust23THRUST_200600_302600_NS6detail15normal_iteratorINS9_10device_ptrIiEEEESE_PS5_SF_jNS0_19identity_decomposerENS1_16block_id_wrapperIjLb0EEEEE10hipError_tT1_PNSt15iterator_traitsISK_E10value_typeET2_T3_PNSL_ISQ_E10value_typeET4_T5_PSV_SW_PNS1_23onesweep_lookback_stateEbbT6_jjT7_P12ihipStream_tbENKUlT_T0_SK_SP_E_clISE_SE_SF_SF_EEDaS13_S14_SK_SP_EUlS13_E_NS1_11comp_targetILNS1_3genE5ELNS1_11target_archE942ELNS1_3gpuE9ELNS1_3repE0EEENS1_47radix_sort_onesweep_sort_config_static_selectorELNS0_4arch9wavefront6targetE1EEEvSK_
                                        ; -- End function
	.set _ZN7rocprim17ROCPRIM_400000_NS6detail17trampoline_kernelINS0_14default_configENS1_35radix_sort_onesweep_config_selectorIiNS0_10empty_typeEEEZZNS1_29radix_sort_onesweep_iterationIS3_Lb0EN6thrust23THRUST_200600_302600_NS6detail15normal_iteratorINS9_10device_ptrIiEEEESE_PS5_SF_jNS0_19identity_decomposerENS1_16block_id_wrapperIjLb0EEEEE10hipError_tT1_PNSt15iterator_traitsISK_E10value_typeET2_T3_PNSL_ISQ_E10value_typeET4_T5_PSV_SW_PNS1_23onesweep_lookback_stateEbbT6_jjT7_P12ihipStream_tbENKUlT_T0_SK_SP_E_clISE_SE_SF_SF_EEDaS13_S14_SK_SP_EUlS13_E_NS1_11comp_targetILNS1_3genE5ELNS1_11target_archE942ELNS1_3gpuE9ELNS1_3repE0EEENS1_47radix_sort_onesweep_sort_config_static_selectorELNS0_4arch9wavefront6targetE1EEEvSK_.num_vgpr, 0
	.set _ZN7rocprim17ROCPRIM_400000_NS6detail17trampoline_kernelINS0_14default_configENS1_35radix_sort_onesweep_config_selectorIiNS0_10empty_typeEEEZZNS1_29radix_sort_onesweep_iterationIS3_Lb0EN6thrust23THRUST_200600_302600_NS6detail15normal_iteratorINS9_10device_ptrIiEEEESE_PS5_SF_jNS0_19identity_decomposerENS1_16block_id_wrapperIjLb0EEEEE10hipError_tT1_PNSt15iterator_traitsISK_E10value_typeET2_T3_PNSL_ISQ_E10value_typeET4_T5_PSV_SW_PNS1_23onesweep_lookback_stateEbbT6_jjT7_P12ihipStream_tbENKUlT_T0_SK_SP_E_clISE_SE_SF_SF_EEDaS13_S14_SK_SP_EUlS13_E_NS1_11comp_targetILNS1_3genE5ELNS1_11target_archE942ELNS1_3gpuE9ELNS1_3repE0EEENS1_47radix_sort_onesweep_sort_config_static_selectorELNS0_4arch9wavefront6targetE1EEEvSK_.num_agpr, 0
	.set _ZN7rocprim17ROCPRIM_400000_NS6detail17trampoline_kernelINS0_14default_configENS1_35radix_sort_onesweep_config_selectorIiNS0_10empty_typeEEEZZNS1_29radix_sort_onesweep_iterationIS3_Lb0EN6thrust23THRUST_200600_302600_NS6detail15normal_iteratorINS9_10device_ptrIiEEEESE_PS5_SF_jNS0_19identity_decomposerENS1_16block_id_wrapperIjLb0EEEEE10hipError_tT1_PNSt15iterator_traitsISK_E10value_typeET2_T3_PNSL_ISQ_E10value_typeET4_T5_PSV_SW_PNS1_23onesweep_lookback_stateEbbT6_jjT7_P12ihipStream_tbENKUlT_T0_SK_SP_E_clISE_SE_SF_SF_EEDaS13_S14_SK_SP_EUlS13_E_NS1_11comp_targetILNS1_3genE5ELNS1_11target_archE942ELNS1_3gpuE9ELNS1_3repE0EEENS1_47radix_sort_onesweep_sort_config_static_selectorELNS0_4arch9wavefront6targetE1EEEvSK_.numbered_sgpr, 0
	.set _ZN7rocprim17ROCPRIM_400000_NS6detail17trampoline_kernelINS0_14default_configENS1_35radix_sort_onesweep_config_selectorIiNS0_10empty_typeEEEZZNS1_29radix_sort_onesweep_iterationIS3_Lb0EN6thrust23THRUST_200600_302600_NS6detail15normal_iteratorINS9_10device_ptrIiEEEESE_PS5_SF_jNS0_19identity_decomposerENS1_16block_id_wrapperIjLb0EEEEE10hipError_tT1_PNSt15iterator_traitsISK_E10value_typeET2_T3_PNSL_ISQ_E10value_typeET4_T5_PSV_SW_PNS1_23onesweep_lookback_stateEbbT6_jjT7_P12ihipStream_tbENKUlT_T0_SK_SP_E_clISE_SE_SF_SF_EEDaS13_S14_SK_SP_EUlS13_E_NS1_11comp_targetILNS1_3genE5ELNS1_11target_archE942ELNS1_3gpuE9ELNS1_3repE0EEENS1_47radix_sort_onesweep_sort_config_static_selectorELNS0_4arch9wavefront6targetE1EEEvSK_.num_named_barrier, 0
	.set _ZN7rocprim17ROCPRIM_400000_NS6detail17trampoline_kernelINS0_14default_configENS1_35radix_sort_onesweep_config_selectorIiNS0_10empty_typeEEEZZNS1_29radix_sort_onesweep_iterationIS3_Lb0EN6thrust23THRUST_200600_302600_NS6detail15normal_iteratorINS9_10device_ptrIiEEEESE_PS5_SF_jNS0_19identity_decomposerENS1_16block_id_wrapperIjLb0EEEEE10hipError_tT1_PNSt15iterator_traitsISK_E10value_typeET2_T3_PNSL_ISQ_E10value_typeET4_T5_PSV_SW_PNS1_23onesweep_lookback_stateEbbT6_jjT7_P12ihipStream_tbENKUlT_T0_SK_SP_E_clISE_SE_SF_SF_EEDaS13_S14_SK_SP_EUlS13_E_NS1_11comp_targetILNS1_3genE5ELNS1_11target_archE942ELNS1_3gpuE9ELNS1_3repE0EEENS1_47radix_sort_onesweep_sort_config_static_selectorELNS0_4arch9wavefront6targetE1EEEvSK_.private_seg_size, 0
	.set _ZN7rocprim17ROCPRIM_400000_NS6detail17trampoline_kernelINS0_14default_configENS1_35radix_sort_onesweep_config_selectorIiNS0_10empty_typeEEEZZNS1_29radix_sort_onesweep_iterationIS3_Lb0EN6thrust23THRUST_200600_302600_NS6detail15normal_iteratorINS9_10device_ptrIiEEEESE_PS5_SF_jNS0_19identity_decomposerENS1_16block_id_wrapperIjLb0EEEEE10hipError_tT1_PNSt15iterator_traitsISK_E10value_typeET2_T3_PNSL_ISQ_E10value_typeET4_T5_PSV_SW_PNS1_23onesweep_lookback_stateEbbT6_jjT7_P12ihipStream_tbENKUlT_T0_SK_SP_E_clISE_SE_SF_SF_EEDaS13_S14_SK_SP_EUlS13_E_NS1_11comp_targetILNS1_3genE5ELNS1_11target_archE942ELNS1_3gpuE9ELNS1_3repE0EEENS1_47radix_sort_onesweep_sort_config_static_selectorELNS0_4arch9wavefront6targetE1EEEvSK_.uses_vcc, 0
	.set _ZN7rocprim17ROCPRIM_400000_NS6detail17trampoline_kernelINS0_14default_configENS1_35radix_sort_onesweep_config_selectorIiNS0_10empty_typeEEEZZNS1_29radix_sort_onesweep_iterationIS3_Lb0EN6thrust23THRUST_200600_302600_NS6detail15normal_iteratorINS9_10device_ptrIiEEEESE_PS5_SF_jNS0_19identity_decomposerENS1_16block_id_wrapperIjLb0EEEEE10hipError_tT1_PNSt15iterator_traitsISK_E10value_typeET2_T3_PNSL_ISQ_E10value_typeET4_T5_PSV_SW_PNS1_23onesweep_lookback_stateEbbT6_jjT7_P12ihipStream_tbENKUlT_T0_SK_SP_E_clISE_SE_SF_SF_EEDaS13_S14_SK_SP_EUlS13_E_NS1_11comp_targetILNS1_3genE5ELNS1_11target_archE942ELNS1_3gpuE9ELNS1_3repE0EEENS1_47radix_sort_onesweep_sort_config_static_selectorELNS0_4arch9wavefront6targetE1EEEvSK_.uses_flat_scratch, 0
	.set _ZN7rocprim17ROCPRIM_400000_NS6detail17trampoline_kernelINS0_14default_configENS1_35radix_sort_onesweep_config_selectorIiNS0_10empty_typeEEEZZNS1_29radix_sort_onesweep_iterationIS3_Lb0EN6thrust23THRUST_200600_302600_NS6detail15normal_iteratorINS9_10device_ptrIiEEEESE_PS5_SF_jNS0_19identity_decomposerENS1_16block_id_wrapperIjLb0EEEEE10hipError_tT1_PNSt15iterator_traitsISK_E10value_typeET2_T3_PNSL_ISQ_E10value_typeET4_T5_PSV_SW_PNS1_23onesweep_lookback_stateEbbT6_jjT7_P12ihipStream_tbENKUlT_T0_SK_SP_E_clISE_SE_SF_SF_EEDaS13_S14_SK_SP_EUlS13_E_NS1_11comp_targetILNS1_3genE5ELNS1_11target_archE942ELNS1_3gpuE9ELNS1_3repE0EEENS1_47radix_sort_onesweep_sort_config_static_selectorELNS0_4arch9wavefront6targetE1EEEvSK_.has_dyn_sized_stack, 0
	.set _ZN7rocprim17ROCPRIM_400000_NS6detail17trampoline_kernelINS0_14default_configENS1_35radix_sort_onesweep_config_selectorIiNS0_10empty_typeEEEZZNS1_29radix_sort_onesweep_iterationIS3_Lb0EN6thrust23THRUST_200600_302600_NS6detail15normal_iteratorINS9_10device_ptrIiEEEESE_PS5_SF_jNS0_19identity_decomposerENS1_16block_id_wrapperIjLb0EEEEE10hipError_tT1_PNSt15iterator_traitsISK_E10value_typeET2_T3_PNSL_ISQ_E10value_typeET4_T5_PSV_SW_PNS1_23onesweep_lookback_stateEbbT6_jjT7_P12ihipStream_tbENKUlT_T0_SK_SP_E_clISE_SE_SF_SF_EEDaS13_S14_SK_SP_EUlS13_E_NS1_11comp_targetILNS1_3genE5ELNS1_11target_archE942ELNS1_3gpuE9ELNS1_3repE0EEENS1_47radix_sort_onesweep_sort_config_static_selectorELNS0_4arch9wavefront6targetE1EEEvSK_.has_recursion, 0
	.set _ZN7rocprim17ROCPRIM_400000_NS6detail17trampoline_kernelINS0_14default_configENS1_35radix_sort_onesweep_config_selectorIiNS0_10empty_typeEEEZZNS1_29radix_sort_onesweep_iterationIS3_Lb0EN6thrust23THRUST_200600_302600_NS6detail15normal_iteratorINS9_10device_ptrIiEEEESE_PS5_SF_jNS0_19identity_decomposerENS1_16block_id_wrapperIjLb0EEEEE10hipError_tT1_PNSt15iterator_traitsISK_E10value_typeET2_T3_PNSL_ISQ_E10value_typeET4_T5_PSV_SW_PNS1_23onesweep_lookback_stateEbbT6_jjT7_P12ihipStream_tbENKUlT_T0_SK_SP_E_clISE_SE_SF_SF_EEDaS13_S14_SK_SP_EUlS13_E_NS1_11comp_targetILNS1_3genE5ELNS1_11target_archE942ELNS1_3gpuE9ELNS1_3repE0EEENS1_47radix_sort_onesweep_sort_config_static_selectorELNS0_4arch9wavefront6targetE1EEEvSK_.has_indirect_call, 0
	.section	.AMDGPU.csdata,"",@progbits
; Kernel info:
; codeLenInByte = 0
; TotalNumSgprs: 6
; NumVgprs: 0
; NumAgprs: 0
; TotalNumVgprs: 0
; ScratchSize: 0
; MemoryBound: 0
; FloatMode: 240
; IeeeMode: 1
; LDSByteSize: 0 bytes/workgroup (compile time only)
; SGPRBlocks: 0
; VGPRBlocks: 0
; NumSGPRsForWavesPerEU: 6
; NumVGPRsForWavesPerEU: 1
; AccumOffset: 4
; Occupancy: 8
; WaveLimiterHint : 0
; COMPUTE_PGM_RSRC2:SCRATCH_EN: 0
; COMPUTE_PGM_RSRC2:USER_SGPR: 2
; COMPUTE_PGM_RSRC2:TRAP_HANDLER: 0
; COMPUTE_PGM_RSRC2:TGID_X_EN: 1
; COMPUTE_PGM_RSRC2:TGID_Y_EN: 0
; COMPUTE_PGM_RSRC2:TGID_Z_EN: 0
; COMPUTE_PGM_RSRC2:TIDIG_COMP_CNT: 0
; COMPUTE_PGM_RSRC3_GFX90A:ACCUM_OFFSET: 0
; COMPUTE_PGM_RSRC3_GFX90A:TG_SPLIT: 0
	.section	.text._ZN7rocprim17ROCPRIM_400000_NS6detail17trampoline_kernelINS0_14default_configENS1_35radix_sort_onesweep_config_selectorIiNS0_10empty_typeEEEZZNS1_29radix_sort_onesweep_iterationIS3_Lb0EN6thrust23THRUST_200600_302600_NS6detail15normal_iteratorINS9_10device_ptrIiEEEESE_PS5_SF_jNS0_19identity_decomposerENS1_16block_id_wrapperIjLb0EEEEE10hipError_tT1_PNSt15iterator_traitsISK_E10value_typeET2_T3_PNSL_ISQ_E10value_typeET4_T5_PSV_SW_PNS1_23onesweep_lookback_stateEbbT6_jjT7_P12ihipStream_tbENKUlT_T0_SK_SP_E_clISE_SE_SF_SF_EEDaS13_S14_SK_SP_EUlS13_E_NS1_11comp_targetILNS1_3genE2ELNS1_11target_archE906ELNS1_3gpuE6ELNS1_3repE0EEENS1_47radix_sort_onesweep_sort_config_static_selectorELNS0_4arch9wavefront6targetE1EEEvSK_,"axG",@progbits,_ZN7rocprim17ROCPRIM_400000_NS6detail17trampoline_kernelINS0_14default_configENS1_35radix_sort_onesweep_config_selectorIiNS0_10empty_typeEEEZZNS1_29radix_sort_onesweep_iterationIS3_Lb0EN6thrust23THRUST_200600_302600_NS6detail15normal_iteratorINS9_10device_ptrIiEEEESE_PS5_SF_jNS0_19identity_decomposerENS1_16block_id_wrapperIjLb0EEEEE10hipError_tT1_PNSt15iterator_traitsISK_E10value_typeET2_T3_PNSL_ISQ_E10value_typeET4_T5_PSV_SW_PNS1_23onesweep_lookback_stateEbbT6_jjT7_P12ihipStream_tbENKUlT_T0_SK_SP_E_clISE_SE_SF_SF_EEDaS13_S14_SK_SP_EUlS13_E_NS1_11comp_targetILNS1_3genE2ELNS1_11target_archE906ELNS1_3gpuE6ELNS1_3repE0EEENS1_47radix_sort_onesweep_sort_config_static_selectorELNS0_4arch9wavefront6targetE1EEEvSK_,comdat
	.protected	_ZN7rocprim17ROCPRIM_400000_NS6detail17trampoline_kernelINS0_14default_configENS1_35radix_sort_onesweep_config_selectorIiNS0_10empty_typeEEEZZNS1_29radix_sort_onesweep_iterationIS3_Lb0EN6thrust23THRUST_200600_302600_NS6detail15normal_iteratorINS9_10device_ptrIiEEEESE_PS5_SF_jNS0_19identity_decomposerENS1_16block_id_wrapperIjLb0EEEEE10hipError_tT1_PNSt15iterator_traitsISK_E10value_typeET2_T3_PNSL_ISQ_E10value_typeET4_T5_PSV_SW_PNS1_23onesweep_lookback_stateEbbT6_jjT7_P12ihipStream_tbENKUlT_T0_SK_SP_E_clISE_SE_SF_SF_EEDaS13_S14_SK_SP_EUlS13_E_NS1_11comp_targetILNS1_3genE2ELNS1_11target_archE906ELNS1_3gpuE6ELNS1_3repE0EEENS1_47radix_sort_onesweep_sort_config_static_selectorELNS0_4arch9wavefront6targetE1EEEvSK_ ; -- Begin function _ZN7rocprim17ROCPRIM_400000_NS6detail17trampoline_kernelINS0_14default_configENS1_35radix_sort_onesweep_config_selectorIiNS0_10empty_typeEEEZZNS1_29radix_sort_onesweep_iterationIS3_Lb0EN6thrust23THRUST_200600_302600_NS6detail15normal_iteratorINS9_10device_ptrIiEEEESE_PS5_SF_jNS0_19identity_decomposerENS1_16block_id_wrapperIjLb0EEEEE10hipError_tT1_PNSt15iterator_traitsISK_E10value_typeET2_T3_PNSL_ISQ_E10value_typeET4_T5_PSV_SW_PNS1_23onesweep_lookback_stateEbbT6_jjT7_P12ihipStream_tbENKUlT_T0_SK_SP_E_clISE_SE_SF_SF_EEDaS13_S14_SK_SP_EUlS13_E_NS1_11comp_targetILNS1_3genE2ELNS1_11target_archE906ELNS1_3gpuE6ELNS1_3repE0EEENS1_47radix_sort_onesweep_sort_config_static_selectorELNS0_4arch9wavefront6targetE1EEEvSK_
	.globl	_ZN7rocprim17ROCPRIM_400000_NS6detail17trampoline_kernelINS0_14default_configENS1_35radix_sort_onesweep_config_selectorIiNS0_10empty_typeEEEZZNS1_29radix_sort_onesweep_iterationIS3_Lb0EN6thrust23THRUST_200600_302600_NS6detail15normal_iteratorINS9_10device_ptrIiEEEESE_PS5_SF_jNS0_19identity_decomposerENS1_16block_id_wrapperIjLb0EEEEE10hipError_tT1_PNSt15iterator_traitsISK_E10value_typeET2_T3_PNSL_ISQ_E10value_typeET4_T5_PSV_SW_PNS1_23onesweep_lookback_stateEbbT6_jjT7_P12ihipStream_tbENKUlT_T0_SK_SP_E_clISE_SE_SF_SF_EEDaS13_S14_SK_SP_EUlS13_E_NS1_11comp_targetILNS1_3genE2ELNS1_11target_archE906ELNS1_3gpuE6ELNS1_3repE0EEENS1_47radix_sort_onesweep_sort_config_static_selectorELNS0_4arch9wavefront6targetE1EEEvSK_
	.p2align	8
	.type	_ZN7rocprim17ROCPRIM_400000_NS6detail17trampoline_kernelINS0_14default_configENS1_35radix_sort_onesweep_config_selectorIiNS0_10empty_typeEEEZZNS1_29radix_sort_onesweep_iterationIS3_Lb0EN6thrust23THRUST_200600_302600_NS6detail15normal_iteratorINS9_10device_ptrIiEEEESE_PS5_SF_jNS0_19identity_decomposerENS1_16block_id_wrapperIjLb0EEEEE10hipError_tT1_PNSt15iterator_traitsISK_E10value_typeET2_T3_PNSL_ISQ_E10value_typeET4_T5_PSV_SW_PNS1_23onesweep_lookback_stateEbbT6_jjT7_P12ihipStream_tbENKUlT_T0_SK_SP_E_clISE_SE_SF_SF_EEDaS13_S14_SK_SP_EUlS13_E_NS1_11comp_targetILNS1_3genE2ELNS1_11target_archE906ELNS1_3gpuE6ELNS1_3repE0EEENS1_47radix_sort_onesweep_sort_config_static_selectorELNS0_4arch9wavefront6targetE1EEEvSK_,@function
_ZN7rocprim17ROCPRIM_400000_NS6detail17trampoline_kernelINS0_14default_configENS1_35radix_sort_onesweep_config_selectorIiNS0_10empty_typeEEEZZNS1_29radix_sort_onesweep_iterationIS3_Lb0EN6thrust23THRUST_200600_302600_NS6detail15normal_iteratorINS9_10device_ptrIiEEEESE_PS5_SF_jNS0_19identity_decomposerENS1_16block_id_wrapperIjLb0EEEEE10hipError_tT1_PNSt15iterator_traitsISK_E10value_typeET2_T3_PNSL_ISQ_E10value_typeET4_T5_PSV_SW_PNS1_23onesweep_lookback_stateEbbT6_jjT7_P12ihipStream_tbENKUlT_T0_SK_SP_E_clISE_SE_SF_SF_EEDaS13_S14_SK_SP_EUlS13_E_NS1_11comp_targetILNS1_3genE2ELNS1_11target_archE906ELNS1_3gpuE6ELNS1_3repE0EEENS1_47radix_sort_onesweep_sort_config_static_selectorELNS0_4arch9wavefront6targetE1EEEvSK_: ; @_ZN7rocprim17ROCPRIM_400000_NS6detail17trampoline_kernelINS0_14default_configENS1_35radix_sort_onesweep_config_selectorIiNS0_10empty_typeEEEZZNS1_29radix_sort_onesweep_iterationIS3_Lb0EN6thrust23THRUST_200600_302600_NS6detail15normal_iteratorINS9_10device_ptrIiEEEESE_PS5_SF_jNS0_19identity_decomposerENS1_16block_id_wrapperIjLb0EEEEE10hipError_tT1_PNSt15iterator_traitsISK_E10value_typeET2_T3_PNSL_ISQ_E10value_typeET4_T5_PSV_SW_PNS1_23onesweep_lookback_stateEbbT6_jjT7_P12ihipStream_tbENKUlT_T0_SK_SP_E_clISE_SE_SF_SF_EEDaS13_S14_SK_SP_EUlS13_E_NS1_11comp_targetILNS1_3genE2ELNS1_11target_archE906ELNS1_3gpuE6ELNS1_3repE0EEENS1_47radix_sort_onesweep_sort_config_static_selectorELNS0_4arch9wavefront6targetE1EEEvSK_
; %bb.0:
	.section	.rodata,"a",@progbits
	.p2align	6, 0x0
	.amdhsa_kernel _ZN7rocprim17ROCPRIM_400000_NS6detail17trampoline_kernelINS0_14default_configENS1_35radix_sort_onesweep_config_selectorIiNS0_10empty_typeEEEZZNS1_29radix_sort_onesweep_iterationIS3_Lb0EN6thrust23THRUST_200600_302600_NS6detail15normal_iteratorINS9_10device_ptrIiEEEESE_PS5_SF_jNS0_19identity_decomposerENS1_16block_id_wrapperIjLb0EEEEE10hipError_tT1_PNSt15iterator_traitsISK_E10value_typeET2_T3_PNSL_ISQ_E10value_typeET4_T5_PSV_SW_PNS1_23onesweep_lookback_stateEbbT6_jjT7_P12ihipStream_tbENKUlT_T0_SK_SP_E_clISE_SE_SF_SF_EEDaS13_S14_SK_SP_EUlS13_E_NS1_11comp_targetILNS1_3genE2ELNS1_11target_archE906ELNS1_3gpuE6ELNS1_3repE0EEENS1_47radix_sort_onesweep_sort_config_static_selectorELNS0_4arch9wavefront6targetE1EEEvSK_
		.amdhsa_group_segment_fixed_size 0
		.amdhsa_private_segment_fixed_size 0
		.amdhsa_kernarg_size 88
		.amdhsa_user_sgpr_count 2
		.amdhsa_user_sgpr_dispatch_ptr 0
		.amdhsa_user_sgpr_queue_ptr 0
		.amdhsa_user_sgpr_kernarg_segment_ptr 1
		.amdhsa_user_sgpr_dispatch_id 0
		.amdhsa_user_sgpr_kernarg_preload_length 0
		.amdhsa_user_sgpr_kernarg_preload_offset 0
		.amdhsa_user_sgpr_private_segment_size 0
		.amdhsa_uses_dynamic_stack 0
		.amdhsa_enable_private_segment 0
		.amdhsa_system_sgpr_workgroup_id_x 1
		.amdhsa_system_sgpr_workgroup_id_y 0
		.amdhsa_system_sgpr_workgroup_id_z 0
		.amdhsa_system_sgpr_workgroup_info 0
		.amdhsa_system_vgpr_workitem_id 0
		.amdhsa_next_free_vgpr 1
		.amdhsa_next_free_sgpr 0
		.amdhsa_accum_offset 4
		.amdhsa_reserve_vcc 0
		.amdhsa_float_round_mode_32 0
		.amdhsa_float_round_mode_16_64 0
		.amdhsa_float_denorm_mode_32 3
		.amdhsa_float_denorm_mode_16_64 3
		.amdhsa_dx10_clamp 1
		.amdhsa_ieee_mode 1
		.amdhsa_fp16_overflow 0
		.amdhsa_tg_split 0
		.amdhsa_exception_fp_ieee_invalid_op 0
		.amdhsa_exception_fp_denorm_src 0
		.amdhsa_exception_fp_ieee_div_zero 0
		.amdhsa_exception_fp_ieee_overflow 0
		.amdhsa_exception_fp_ieee_underflow 0
		.amdhsa_exception_fp_ieee_inexact 0
		.amdhsa_exception_int_div_zero 0
	.end_amdhsa_kernel
	.section	.text._ZN7rocprim17ROCPRIM_400000_NS6detail17trampoline_kernelINS0_14default_configENS1_35radix_sort_onesweep_config_selectorIiNS0_10empty_typeEEEZZNS1_29radix_sort_onesweep_iterationIS3_Lb0EN6thrust23THRUST_200600_302600_NS6detail15normal_iteratorINS9_10device_ptrIiEEEESE_PS5_SF_jNS0_19identity_decomposerENS1_16block_id_wrapperIjLb0EEEEE10hipError_tT1_PNSt15iterator_traitsISK_E10value_typeET2_T3_PNSL_ISQ_E10value_typeET4_T5_PSV_SW_PNS1_23onesweep_lookback_stateEbbT6_jjT7_P12ihipStream_tbENKUlT_T0_SK_SP_E_clISE_SE_SF_SF_EEDaS13_S14_SK_SP_EUlS13_E_NS1_11comp_targetILNS1_3genE2ELNS1_11target_archE906ELNS1_3gpuE6ELNS1_3repE0EEENS1_47radix_sort_onesweep_sort_config_static_selectorELNS0_4arch9wavefront6targetE1EEEvSK_,"axG",@progbits,_ZN7rocprim17ROCPRIM_400000_NS6detail17trampoline_kernelINS0_14default_configENS1_35radix_sort_onesweep_config_selectorIiNS0_10empty_typeEEEZZNS1_29radix_sort_onesweep_iterationIS3_Lb0EN6thrust23THRUST_200600_302600_NS6detail15normal_iteratorINS9_10device_ptrIiEEEESE_PS5_SF_jNS0_19identity_decomposerENS1_16block_id_wrapperIjLb0EEEEE10hipError_tT1_PNSt15iterator_traitsISK_E10value_typeET2_T3_PNSL_ISQ_E10value_typeET4_T5_PSV_SW_PNS1_23onesweep_lookback_stateEbbT6_jjT7_P12ihipStream_tbENKUlT_T0_SK_SP_E_clISE_SE_SF_SF_EEDaS13_S14_SK_SP_EUlS13_E_NS1_11comp_targetILNS1_3genE2ELNS1_11target_archE906ELNS1_3gpuE6ELNS1_3repE0EEENS1_47radix_sort_onesweep_sort_config_static_selectorELNS0_4arch9wavefront6targetE1EEEvSK_,comdat
.Lfunc_end189:
	.size	_ZN7rocprim17ROCPRIM_400000_NS6detail17trampoline_kernelINS0_14default_configENS1_35radix_sort_onesweep_config_selectorIiNS0_10empty_typeEEEZZNS1_29radix_sort_onesweep_iterationIS3_Lb0EN6thrust23THRUST_200600_302600_NS6detail15normal_iteratorINS9_10device_ptrIiEEEESE_PS5_SF_jNS0_19identity_decomposerENS1_16block_id_wrapperIjLb0EEEEE10hipError_tT1_PNSt15iterator_traitsISK_E10value_typeET2_T3_PNSL_ISQ_E10value_typeET4_T5_PSV_SW_PNS1_23onesweep_lookback_stateEbbT6_jjT7_P12ihipStream_tbENKUlT_T0_SK_SP_E_clISE_SE_SF_SF_EEDaS13_S14_SK_SP_EUlS13_E_NS1_11comp_targetILNS1_3genE2ELNS1_11target_archE906ELNS1_3gpuE6ELNS1_3repE0EEENS1_47radix_sort_onesweep_sort_config_static_selectorELNS0_4arch9wavefront6targetE1EEEvSK_, .Lfunc_end189-_ZN7rocprim17ROCPRIM_400000_NS6detail17trampoline_kernelINS0_14default_configENS1_35radix_sort_onesweep_config_selectorIiNS0_10empty_typeEEEZZNS1_29radix_sort_onesweep_iterationIS3_Lb0EN6thrust23THRUST_200600_302600_NS6detail15normal_iteratorINS9_10device_ptrIiEEEESE_PS5_SF_jNS0_19identity_decomposerENS1_16block_id_wrapperIjLb0EEEEE10hipError_tT1_PNSt15iterator_traitsISK_E10value_typeET2_T3_PNSL_ISQ_E10value_typeET4_T5_PSV_SW_PNS1_23onesweep_lookback_stateEbbT6_jjT7_P12ihipStream_tbENKUlT_T0_SK_SP_E_clISE_SE_SF_SF_EEDaS13_S14_SK_SP_EUlS13_E_NS1_11comp_targetILNS1_3genE2ELNS1_11target_archE906ELNS1_3gpuE6ELNS1_3repE0EEENS1_47radix_sort_onesweep_sort_config_static_selectorELNS0_4arch9wavefront6targetE1EEEvSK_
                                        ; -- End function
	.set _ZN7rocprim17ROCPRIM_400000_NS6detail17trampoline_kernelINS0_14default_configENS1_35radix_sort_onesweep_config_selectorIiNS0_10empty_typeEEEZZNS1_29radix_sort_onesweep_iterationIS3_Lb0EN6thrust23THRUST_200600_302600_NS6detail15normal_iteratorINS9_10device_ptrIiEEEESE_PS5_SF_jNS0_19identity_decomposerENS1_16block_id_wrapperIjLb0EEEEE10hipError_tT1_PNSt15iterator_traitsISK_E10value_typeET2_T3_PNSL_ISQ_E10value_typeET4_T5_PSV_SW_PNS1_23onesweep_lookback_stateEbbT6_jjT7_P12ihipStream_tbENKUlT_T0_SK_SP_E_clISE_SE_SF_SF_EEDaS13_S14_SK_SP_EUlS13_E_NS1_11comp_targetILNS1_3genE2ELNS1_11target_archE906ELNS1_3gpuE6ELNS1_3repE0EEENS1_47radix_sort_onesweep_sort_config_static_selectorELNS0_4arch9wavefront6targetE1EEEvSK_.num_vgpr, 0
	.set _ZN7rocprim17ROCPRIM_400000_NS6detail17trampoline_kernelINS0_14default_configENS1_35radix_sort_onesweep_config_selectorIiNS0_10empty_typeEEEZZNS1_29radix_sort_onesweep_iterationIS3_Lb0EN6thrust23THRUST_200600_302600_NS6detail15normal_iteratorINS9_10device_ptrIiEEEESE_PS5_SF_jNS0_19identity_decomposerENS1_16block_id_wrapperIjLb0EEEEE10hipError_tT1_PNSt15iterator_traitsISK_E10value_typeET2_T3_PNSL_ISQ_E10value_typeET4_T5_PSV_SW_PNS1_23onesweep_lookback_stateEbbT6_jjT7_P12ihipStream_tbENKUlT_T0_SK_SP_E_clISE_SE_SF_SF_EEDaS13_S14_SK_SP_EUlS13_E_NS1_11comp_targetILNS1_3genE2ELNS1_11target_archE906ELNS1_3gpuE6ELNS1_3repE0EEENS1_47radix_sort_onesweep_sort_config_static_selectorELNS0_4arch9wavefront6targetE1EEEvSK_.num_agpr, 0
	.set _ZN7rocprim17ROCPRIM_400000_NS6detail17trampoline_kernelINS0_14default_configENS1_35radix_sort_onesweep_config_selectorIiNS0_10empty_typeEEEZZNS1_29radix_sort_onesweep_iterationIS3_Lb0EN6thrust23THRUST_200600_302600_NS6detail15normal_iteratorINS9_10device_ptrIiEEEESE_PS5_SF_jNS0_19identity_decomposerENS1_16block_id_wrapperIjLb0EEEEE10hipError_tT1_PNSt15iterator_traitsISK_E10value_typeET2_T3_PNSL_ISQ_E10value_typeET4_T5_PSV_SW_PNS1_23onesweep_lookback_stateEbbT6_jjT7_P12ihipStream_tbENKUlT_T0_SK_SP_E_clISE_SE_SF_SF_EEDaS13_S14_SK_SP_EUlS13_E_NS1_11comp_targetILNS1_3genE2ELNS1_11target_archE906ELNS1_3gpuE6ELNS1_3repE0EEENS1_47radix_sort_onesweep_sort_config_static_selectorELNS0_4arch9wavefront6targetE1EEEvSK_.numbered_sgpr, 0
	.set _ZN7rocprim17ROCPRIM_400000_NS6detail17trampoline_kernelINS0_14default_configENS1_35radix_sort_onesweep_config_selectorIiNS0_10empty_typeEEEZZNS1_29radix_sort_onesweep_iterationIS3_Lb0EN6thrust23THRUST_200600_302600_NS6detail15normal_iteratorINS9_10device_ptrIiEEEESE_PS5_SF_jNS0_19identity_decomposerENS1_16block_id_wrapperIjLb0EEEEE10hipError_tT1_PNSt15iterator_traitsISK_E10value_typeET2_T3_PNSL_ISQ_E10value_typeET4_T5_PSV_SW_PNS1_23onesweep_lookback_stateEbbT6_jjT7_P12ihipStream_tbENKUlT_T0_SK_SP_E_clISE_SE_SF_SF_EEDaS13_S14_SK_SP_EUlS13_E_NS1_11comp_targetILNS1_3genE2ELNS1_11target_archE906ELNS1_3gpuE6ELNS1_3repE0EEENS1_47radix_sort_onesweep_sort_config_static_selectorELNS0_4arch9wavefront6targetE1EEEvSK_.num_named_barrier, 0
	.set _ZN7rocprim17ROCPRIM_400000_NS6detail17trampoline_kernelINS0_14default_configENS1_35radix_sort_onesweep_config_selectorIiNS0_10empty_typeEEEZZNS1_29radix_sort_onesweep_iterationIS3_Lb0EN6thrust23THRUST_200600_302600_NS6detail15normal_iteratorINS9_10device_ptrIiEEEESE_PS5_SF_jNS0_19identity_decomposerENS1_16block_id_wrapperIjLb0EEEEE10hipError_tT1_PNSt15iterator_traitsISK_E10value_typeET2_T3_PNSL_ISQ_E10value_typeET4_T5_PSV_SW_PNS1_23onesweep_lookback_stateEbbT6_jjT7_P12ihipStream_tbENKUlT_T0_SK_SP_E_clISE_SE_SF_SF_EEDaS13_S14_SK_SP_EUlS13_E_NS1_11comp_targetILNS1_3genE2ELNS1_11target_archE906ELNS1_3gpuE6ELNS1_3repE0EEENS1_47radix_sort_onesweep_sort_config_static_selectorELNS0_4arch9wavefront6targetE1EEEvSK_.private_seg_size, 0
	.set _ZN7rocprim17ROCPRIM_400000_NS6detail17trampoline_kernelINS0_14default_configENS1_35radix_sort_onesweep_config_selectorIiNS0_10empty_typeEEEZZNS1_29radix_sort_onesweep_iterationIS3_Lb0EN6thrust23THRUST_200600_302600_NS6detail15normal_iteratorINS9_10device_ptrIiEEEESE_PS5_SF_jNS0_19identity_decomposerENS1_16block_id_wrapperIjLb0EEEEE10hipError_tT1_PNSt15iterator_traitsISK_E10value_typeET2_T3_PNSL_ISQ_E10value_typeET4_T5_PSV_SW_PNS1_23onesweep_lookback_stateEbbT6_jjT7_P12ihipStream_tbENKUlT_T0_SK_SP_E_clISE_SE_SF_SF_EEDaS13_S14_SK_SP_EUlS13_E_NS1_11comp_targetILNS1_3genE2ELNS1_11target_archE906ELNS1_3gpuE6ELNS1_3repE0EEENS1_47radix_sort_onesweep_sort_config_static_selectorELNS0_4arch9wavefront6targetE1EEEvSK_.uses_vcc, 0
	.set _ZN7rocprim17ROCPRIM_400000_NS6detail17trampoline_kernelINS0_14default_configENS1_35radix_sort_onesweep_config_selectorIiNS0_10empty_typeEEEZZNS1_29radix_sort_onesweep_iterationIS3_Lb0EN6thrust23THRUST_200600_302600_NS6detail15normal_iteratorINS9_10device_ptrIiEEEESE_PS5_SF_jNS0_19identity_decomposerENS1_16block_id_wrapperIjLb0EEEEE10hipError_tT1_PNSt15iterator_traitsISK_E10value_typeET2_T3_PNSL_ISQ_E10value_typeET4_T5_PSV_SW_PNS1_23onesweep_lookback_stateEbbT6_jjT7_P12ihipStream_tbENKUlT_T0_SK_SP_E_clISE_SE_SF_SF_EEDaS13_S14_SK_SP_EUlS13_E_NS1_11comp_targetILNS1_3genE2ELNS1_11target_archE906ELNS1_3gpuE6ELNS1_3repE0EEENS1_47radix_sort_onesweep_sort_config_static_selectorELNS0_4arch9wavefront6targetE1EEEvSK_.uses_flat_scratch, 0
	.set _ZN7rocprim17ROCPRIM_400000_NS6detail17trampoline_kernelINS0_14default_configENS1_35radix_sort_onesweep_config_selectorIiNS0_10empty_typeEEEZZNS1_29radix_sort_onesweep_iterationIS3_Lb0EN6thrust23THRUST_200600_302600_NS6detail15normal_iteratorINS9_10device_ptrIiEEEESE_PS5_SF_jNS0_19identity_decomposerENS1_16block_id_wrapperIjLb0EEEEE10hipError_tT1_PNSt15iterator_traitsISK_E10value_typeET2_T3_PNSL_ISQ_E10value_typeET4_T5_PSV_SW_PNS1_23onesweep_lookback_stateEbbT6_jjT7_P12ihipStream_tbENKUlT_T0_SK_SP_E_clISE_SE_SF_SF_EEDaS13_S14_SK_SP_EUlS13_E_NS1_11comp_targetILNS1_3genE2ELNS1_11target_archE906ELNS1_3gpuE6ELNS1_3repE0EEENS1_47radix_sort_onesweep_sort_config_static_selectorELNS0_4arch9wavefront6targetE1EEEvSK_.has_dyn_sized_stack, 0
	.set _ZN7rocprim17ROCPRIM_400000_NS6detail17trampoline_kernelINS0_14default_configENS1_35radix_sort_onesweep_config_selectorIiNS0_10empty_typeEEEZZNS1_29radix_sort_onesweep_iterationIS3_Lb0EN6thrust23THRUST_200600_302600_NS6detail15normal_iteratorINS9_10device_ptrIiEEEESE_PS5_SF_jNS0_19identity_decomposerENS1_16block_id_wrapperIjLb0EEEEE10hipError_tT1_PNSt15iterator_traitsISK_E10value_typeET2_T3_PNSL_ISQ_E10value_typeET4_T5_PSV_SW_PNS1_23onesweep_lookback_stateEbbT6_jjT7_P12ihipStream_tbENKUlT_T0_SK_SP_E_clISE_SE_SF_SF_EEDaS13_S14_SK_SP_EUlS13_E_NS1_11comp_targetILNS1_3genE2ELNS1_11target_archE906ELNS1_3gpuE6ELNS1_3repE0EEENS1_47radix_sort_onesweep_sort_config_static_selectorELNS0_4arch9wavefront6targetE1EEEvSK_.has_recursion, 0
	.set _ZN7rocprim17ROCPRIM_400000_NS6detail17trampoline_kernelINS0_14default_configENS1_35radix_sort_onesweep_config_selectorIiNS0_10empty_typeEEEZZNS1_29radix_sort_onesweep_iterationIS3_Lb0EN6thrust23THRUST_200600_302600_NS6detail15normal_iteratorINS9_10device_ptrIiEEEESE_PS5_SF_jNS0_19identity_decomposerENS1_16block_id_wrapperIjLb0EEEEE10hipError_tT1_PNSt15iterator_traitsISK_E10value_typeET2_T3_PNSL_ISQ_E10value_typeET4_T5_PSV_SW_PNS1_23onesweep_lookback_stateEbbT6_jjT7_P12ihipStream_tbENKUlT_T0_SK_SP_E_clISE_SE_SF_SF_EEDaS13_S14_SK_SP_EUlS13_E_NS1_11comp_targetILNS1_3genE2ELNS1_11target_archE906ELNS1_3gpuE6ELNS1_3repE0EEENS1_47radix_sort_onesweep_sort_config_static_selectorELNS0_4arch9wavefront6targetE1EEEvSK_.has_indirect_call, 0
	.section	.AMDGPU.csdata,"",@progbits
; Kernel info:
; codeLenInByte = 0
; TotalNumSgprs: 6
; NumVgprs: 0
; NumAgprs: 0
; TotalNumVgprs: 0
; ScratchSize: 0
; MemoryBound: 0
; FloatMode: 240
; IeeeMode: 1
; LDSByteSize: 0 bytes/workgroup (compile time only)
; SGPRBlocks: 0
; VGPRBlocks: 0
; NumSGPRsForWavesPerEU: 6
; NumVGPRsForWavesPerEU: 1
; AccumOffset: 4
; Occupancy: 8
; WaveLimiterHint : 0
; COMPUTE_PGM_RSRC2:SCRATCH_EN: 0
; COMPUTE_PGM_RSRC2:USER_SGPR: 2
; COMPUTE_PGM_RSRC2:TRAP_HANDLER: 0
; COMPUTE_PGM_RSRC2:TGID_X_EN: 1
; COMPUTE_PGM_RSRC2:TGID_Y_EN: 0
; COMPUTE_PGM_RSRC2:TGID_Z_EN: 0
; COMPUTE_PGM_RSRC2:TIDIG_COMP_CNT: 0
; COMPUTE_PGM_RSRC3_GFX90A:ACCUM_OFFSET: 0
; COMPUTE_PGM_RSRC3_GFX90A:TG_SPLIT: 0
	.section	.text._ZN7rocprim17ROCPRIM_400000_NS6detail17trampoline_kernelINS0_14default_configENS1_35radix_sort_onesweep_config_selectorIiNS0_10empty_typeEEEZZNS1_29radix_sort_onesweep_iterationIS3_Lb0EN6thrust23THRUST_200600_302600_NS6detail15normal_iteratorINS9_10device_ptrIiEEEESE_PS5_SF_jNS0_19identity_decomposerENS1_16block_id_wrapperIjLb0EEEEE10hipError_tT1_PNSt15iterator_traitsISK_E10value_typeET2_T3_PNSL_ISQ_E10value_typeET4_T5_PSV_SW_PNS1_23onesweep_lookback_stateEbbT6_jjT7_P12ihipStream_tbENKUlT_T0_SK_SP_E_clISE_SE_SF_SF_EEDaS13_S14_SK_SP_EUlS13_E_NS1_11comp_targetILNS1_3genE4ELNS1_11target_archE910ELNS1_3gpuE8ELNS1_3repE0EEENS1_47radix_sort_onesweep_sort_config_static_selectorELNS0_4arch9wavefront6targetE1EEEvSK_,"axG",@progbits,_ZN7rocprim17ROCPRIM_400000_NS6detail17trampoline_kernelINS0_14default_configENS1_35radix_sort_onesweep_config_selectorIiNS0_10empty_typeEEEZZNS1_29radix_sort_onesweep_iterationIS3_Lb0EN6thrust23THRUST_200600_302600_NS6detail15normal_iteratorINS9_10device_ptrIiEEEESE_PS5_SF_jNS0_19identity_decomposerENS1_16block_id_wrapperIjLb0EEEEE10hipError_tT1_PNSt15iterator_traitsISK_E10value_typeET2_T3_PNSL_ISQ_E10value_typeET4_T5_PSV_SW_PNS1_23onesweep_lookback_stateEbbT6_jjT7_P12ihipStream_tbENKUlT_T0_SK_SP_E_clISE_SE_SF_SF_EEDaS13_S14_SK_SP_EUlS13_E_NS1_11comp_targetILNS1_3genE4ELNS1_11target_archE910ELNS1_3gpuE8ELNS1_3repE0EEENS1_47radix_sort_onesweep_sort_config_static_selectorELNS0_4arch9wavefront6targetE1EEEvSK_,comdat
	.protected	_ZN7rocprim17ROCPRIM_400000_NS6detail17trampoline_kernelINS0_14default_configENS1_35radix_sort_onesweep_config_selectorIiNS0_10empty_typeEEEZZNS1_29radix_sort_onesweep_iterationIS3_Lb0EN6thrust23THRUST_200600_302600_NS6detail15normal_iteratorINS9_10device_ptrIiEEEESE_PS5_SF_jNS0_19identity_decomposerENS1_16block_id_wrapperIjLb0EEEEE10hipError_tT1_PNSt15iterator_traitsISK_E10value_typeET2_T3_PNSL_ISQ_E10value_typeET4_T5_PSV_SW_PNS1_23onesweep_lookback_stateEbbT6_jjT7_P12ihipStream_tbENKUlT_T0_SK_SP_E_clISE_SE_SF_SF_EEDaS13_S14_SK_SP_EUlS13_E_NS1_11comp_targetILNS1_3genE4ELNS1_11target_archE910ELNS1_3gpuE8ELNS1_3repE0EEENS1_47radix_sort_onesweep_sort_config_static_selectorELNS0_4arch9wavefront6targetE1EEEvSK_ ; -- Begin function _ZN7rocprim17ROCPRIM_400000_NS6detail17trampoline_kernelINS0_14default_configENS1_35radix_sort_onesweep_config_selectorIiNS0_10empty_typeEEEZZNS1_29radix_sort_onesweep_iterationIS3_Lb0EN6thrust23THRUST_200600_302600_NS6detail15normal_iteratorINS9_10device_ptrIiEEEESE_PS5_SF_jNS0_19identity_decomposerENS1_16block_id_wrapperIjLb0EEEEE10hipError_tT1_PNSt15iterator_traitsISK_E10value_typeET2_T3_PNSL_ISQ_E10value_typeET4_T5_PSV_SW_PNS1_23onesweep_lookback_stateEbbT6_jjT7_P12ihipStream_tbENKUlT_T0_SK_SP_E_clISE_SE_SF_SF_EEDaS13_S14_SK_SP_EUlS13_E_NS1_11comp_targetILNS1_3genE4ELNS1_11target_archE910ELNS1_3gpuE8ELNS1_3repE0EEENS1_47radix_sort_onesweep_sort_config_static_selectorELNS0_4arch9wavefront6targetE1EEEvSK_
	.globl	_ZN7rocprim17ROCPRIM_400000_NS6detail17trampoline_kernelINS0_14default_configENS1_35radix_sort_onesweep_config_selectorIiNS0_10empty_typeEEEZZNS1_29radix_sort_onesweep_iterationIS3_Lb0EN6thrust23THRUST_200600_302600_NS6detail15normal_iteratorINS9_10device_ptrIiEEEESE_PS5_SF_jNS0_19identity_decomposerENS1_16block_id_wrapperIjLb0EEEEE10hipError_tT1_PNSt15iterator_traitsISK_E10value_typeET2_T3_PNSL_ISQ_E10value_typeET4_T5_PSV_SW_PNS1_23onesweep_lookback_stateEbbT6_jjT7_P12ihipStream_tbENKUlT_T0_SK_SP_E_clISE_SE_SF_SF_EEDaS13_S14_SK_SP_EUlS13_E_NS1_11comp_targetILNS1_3genE4ELNS1_11target_archE910ELNS1_3gpuE8ELNS1_3repE0EEENS1_47radix_sort_onesweep_sort_config_static_selectorELNS0_4arch9wavefront6targetE1EEEvSK_
	.p2align	8
	.type	_ZN7rocprim17ROCPRIM_400000_NS6detail17trampoline_kernelINS0_14default_configENS1_35radix_sort_onesweep_config_selectorIiNS0_10empty_typeEEEZZNS1_29radix_sort_onesweep_iterationIS3_Lb0EN6thrust23THRUST_200600_302600_NS6detail15normal_iteratorINS9_10device_ptrIiEEEESE_PS5_SF_jNS0_19identity_decomposerENS1_16block_id_wrapperIjLb0EEEEE10hipError_tT1_PNSt15iterator_traitsISK_E10value_typeET2_T3_PNSL_ISQ_E10value_typeET4_T5_PSV_SW_PNS1_23onesweep_lookback_stateEbbT6_jjT7_P12ihipStream_tbENKUlT_T0_SK_SP_E_clISE_SE_SF_SF_EEDaS13_S14_SK_SP_EUlS13_E_NS1_11comp_targetILNS1_3genE4ELNS1_11target_archE910ELNS1_3gpuE8ELNS1_3repE0EEENS1_47radix_sort_onesweep_sort_config_static_selectorELNS0_4arch9wavefront6targetE1EEEvSK_,@function
_ZN7rocprim17ROCPRIM_400000_NS6detail17trampoline_kernelINS0_14default_configENS1_35radix_sort_onesweep_config_selectorIiNS0_10empty_typeEEEZZNS1_29radix_sort_onesweep_iterationIS3_Lb0EN6thrust23THRUST_200600_302600_NS6detail15normal_iteratorINS9_10device_ptrIiEEEESE_PS5_SF_jNS0_19identity_decomposerENS1_16block_id_wrapperIjLb0EEEEE10hipError_tT1_PNSt15iterator_traitsISK_E10value_typeET2_T3_PNSL_ISQ_E10value_typeET4_T5_PSV_SW_PNS1_23onesweep_lookback_stateEbbT6_jjT7_P12ihipStream_tbENKUlT_T0_SK_SP_E_clISE_SE_SF_SF_EEDaS13_S14_SK_SP_EUlS13_E_NS1_11comp_targetILNS1_3genE4ELNS1_11target_archE910ELNS1_3gpuE8ELNS1_3repE0EEENS1_47radix_sort_onesweep_sort_config_static_selectorELNS0_4arch9wavefront6targetE1EEEvSK_: ; @_ZN7rocprim17ROCPRIM_400000_NS6detail17trampoline_kernelINS0_14default_configENS1_35radix_sort_onesweep_config_selectorIiNS0_10empty_typeEEEZZNS1_29radix_sort_onesweep_iterationIS3_Lb0EN6thrust23THRUST_200600_302600_NS6detail15normal_iteratorINS9_10device_ptrIiEEEESE_PS5_SF_jNS0_19identity_decomposerENS1_16block_id_wrapperIjLb0EEEEE10hipError_tT1_PNSt15iterator_traitsISK_E10value_typeET2_T3_PNSL_ISQ_E10value_typeET4_T5_PSV_SW_PNS1_23onesweep_lookback_stateEbbT6_jjT7_P12ihipStream_tbENKUlT_T0_SK_SP_E_clISE_SE_SF_SF_EEDaS13_S14_SK_SP_EUlS13_E_NS1_11comp_targetILNS1_3genE4ELNS1_11target_archE910ELNS1_3gpuE8ELNS1_3repE0EEENS1_47radix_sort_onesweep_sort_config_static_selectorELNS0_4arch9wavefront6targetE1EEEvSK_
; %bb.0:
	.section	.rodata,"a",@progbits
	.p2align	6, 0x0
	.amdhsa_kernel _ZN7rocprim17ROCPRIM_400000_NS6detail17trampoline_kernelINS0_14default_configENS1_35radix_sort_onesweep_config_selectorIiNS0_10empty_typeEEEZZNS1_29radix_sort_onesweep_iterationIS3_Lb0EN6thrust23THRUST_200600_302600_NS6detail15normal_iteratorINS9_10device_ptrIiEEEESE_PS5_SF_jNS0_19identity_decomposerENS1_16block_id_wrapperIjLb0EEEEE10hipError_tT1_PNSt15iterator_traitsISK_E10value_typeET2_T3_PNSL_ISQ_E10value_typeET4_T5_PSV_SW_PNS1_23onesweep_lookback_stateEbbT6_jjT7_P12ihipStream_tbENKUlT_T0_SK_SP_E_clISE_SE_SF_SF_EEDaS13_S14_SK_SP_EUlS13_E_NS1_11comp_targetILNS1_3genE4ELNS1_11target_archE910ELNS1_3gpuE8ELNS1_3repE0EEENS1_47radix_sort_onesweep_sort_config_static_selectorELNS0_4arch9wavefront6targetE1EEEvSK_
		.amdhsa_group_segment_fixed_size 0
		.amdhsa_private_segment_fixed_size 0
		.amdhsa_kernarg_size 88
		.amdhsa_user_sgpr_count 2
		.amdhsa_user_sgpr_dispatch_ptr 0
		.amdhsa_user_sgpr_queue_ptr 0
		.amdhsa_user_sgpr_kernarg_segment_ptr 1
		.amdhsa_user_sgpr_dispatch_id 0
		.amdhsa_user_sgpr_kernarg_preload_length 0
		.amdhsa_user_sgpr_kernarg_preload_offset 0
		.amdhsa_user_sgpr_private_segment_size 0
		.amdhsa_uses_dynamic_stack 0
		.amdhsa_enable_private_segment 0
		.amdhsa_system_sgpr_workgroup_id_x 1
		.amdhsa_system_sgpr_workgroup_id_y 0
		.amdhsa_system_sgpr_workgroup_id_z 0
		.amdhsa_system_sgpr_workgroup_info 0
		.amdhsa_system_vgpr_workitem_id 0
		.amdhsa_next_free_vgpr 1
		.amdhsa_next_free_sgpr 0
		.amdhsa_accum_offset 4
		.amdhsa_reserve_vcc 0
		.amdhsa_float_round_mode_32 0
		.amdhsa_float_round_mode_16_64 0
		.amdhsa_float_denorm_mode_32 3
		.amdhsa_float_denorm_mode_16_64 3
		.amdhsa_dx10_clamp 1
		.amdhsa_ieee_mode 1
		.amdhsa_fp16_overflow 0
		.amdhsa_tg_split 0
		.amdhsa_exception_fp_ieee_invalid_op 0
		.amdhsa_exception_fp_denorm_src 0
		.amdhsa_exception_fp_ieee_div_zero 0
		.amdhsa_exception_fp_ieee_overflow 0
		.amdhsa_exception_fp_ieee_underflow 0
		.amdhsa_exception_fp_ieee_inexact 0
		.amdhsa_exception_int_div_zero 0
	.end_amdhsa_kernel
	.section	.text._ZN7rocprim17ROCPRIM_400000_NS6detail17trampoline_kernelINS0_14default_configENS1_35radix_sort_onesweep_config_selectorIiNS0_10empty_typeEEEZZNS1_29radix_sort_onesweep_iterationIS3_Lb0EN6thrust23THRUST_200600_302600_NS6detail15normal_iteratorINS9_10device_ptrIiEEEESE_PS5_SF_jNS0_19identity_decomposerENS1_16block_id_wrapperIjLb0EEEEE10hipError_tT1_PNSt15iterator_traitsISK_E10value_typeET2_T3_PNSL_ISQ_E10value_typeET4_T5_PSV_SW_PNS1_23onesweep_lookback_stateEbbT6_jjT7_P12ihipStream_tbENKUlT_T0_SK_SP_E_clISE_SE_SF_SF_EEDaS13_S14_SK_SP_EUlS13_E_NS1_11comp_targetILNS1_3genE4ELNS1_11target_archE910ELNS1_3gpuE8ELNS1_3repE0EEENS1_47radix_sort_onesweep_sort_config_static_selectorELNS0_4arch9wavefront6targetE1EEEvSK_,"axG",@progbits,_ZN7rocprim17ROCPRIM_400000_NS6detail17trampoline_kernelINS0_14default_configENS1_35radix_sort_onesweep_config_selectorIiNS0_10empty_typeEEEZZNS1_29radix_sort_onesweep_iterationIS3_Lb0EN6thrust23THRUST_200600_302600_NS6detail15normal_iteratorINS9_10device_ptrIiEEEESE_PS5_SF_jNS0_19identity_decomposerENS1_16block_id_wrapperIjLb0EEEEE10hipError_tT1_PNSt15iterator_traitsISK_E10value_typeET2_T3_PNSL_ISQ_E10value_typeET4_T5_PSV_SW_PNS1_23onesweep_lookback_stateEbbT6_jjT7_P12ihipStream_tbENKUlT_T0_SK_SP_E_clISE_SE_SF_SF_EEDaS13_S14_SK_SP_EUlS13_E_NS1_11comp_targetILNS1_3genE4ELNS1_11target_archE910ELNS1_3gpuE8ELNS1_3repE0EEENS1_47radix_sort_onesweep_sort_config_static_selectorELNS0_4arch9wavefront6targetE1EEEvSK_,comdat
.Lfunc_end190:
	.size	_ZN7rocprim17ROCPRIM_400000_NS6detail17trampoline_kernelINS0_14default_configENS1_35radix_sort_onesweep_config_selectorIiNS0_10empty_typeEEEZZNS1_29radix_sort_onesweep_iterationIS3_Lb0EN6thrust23THRUST_200600_302600_NS6detail15normal_iteratorINS9_10device_ptrIiEEEESE_PS5_SF_jNS0_19identity_decomposerENS1_16block_id_wrapperIjLb0EEEEE10hipError_tT1_PNSt15iterator_traitsISK_E10value_typeET2_T3_PNSL_ISQ_E10value_typeET4_T5_PSV_SW_PNS1_23onesweep_lookback_stateEbbT6_jjT7_P12ihipStream_tbENKUlT_T0_SK_SP_E_clISE_SE_SF_SF_EEDaS13_S14_SK_SP_EUlS13_E_NS1_11comp_targetILNS1_3genE4ELNS1_11target_archE910ELNS1_3gpuE8ELNS1_3repE0EEENS1_47radix_sort_onesweep_sort_config_static_selectorELNS0_4arch9wavefront6targetE1EEEvSK_, .Lfunc_end190-_ZN7rocprim17ROCPRIM_400000_NS6detail17trampoline_kernelINS0_14default_configENS1_35radix_sort_onesweep_config_selectorIiNS0_10empty_typeEEEZZNS1_29radix_sort_onesweep_iterationIS3_Lb0EN6thrust23THRUST_200600_302600_NS6detail15normal_iteratorINS9_10device_ptrIiEEEESE_PS5_SF_jNS0_19identity_decomposerENS1_16block_id_wrapperIjLb0EEEEE10hipError_tT1_PNSt15iterator_traitsISK_E10value_typeET2_T3_PNSL_ISQ_E10value_typeET4_T5_PSV_SW_PNS1_23onesweep_lookback_stateEbbT6_jjT7_P12ihipStream_tbENKUlT_T0_SK_SP_E_clISE_SE_SF_SF_EEDaS13_S14_SK_SP_EUlS13_E_NS1_11comp_targetILNS1_3genE4ELNS1_11target_archE910ELNS1_3gpuE8ELNS1_3repE0EEENS1_47radix_sort_onesweep_sort_config_static_selectorELNS0_4arch9wavefront6targetE1EEEvSK_
                                        ; -- End function
	.set _ZN7rocprim17ROCPRIM_400000_NS6detail17trampoline_kernelINS0_14default_configENS1_35radix_sort_onesweep_config_selectorIiNS0_10empty_typeEEEZZNS1_29radix_sort_onesweep_iterationIS3_Lb0EN6thrust23THRUST_200600_302600_NS6detail15normal_iteratorINS9_10device_ptrIiEEEESE_PS5_SF_jNS0_19identity_decomposerENS1_16block_id_wrapperIjLb0EEEEE10hipError_tT1_PNSt15iterator_traitsISK_E10value_typeET2_T3_PNSL_ISQ_E10value_typeET4_T5_PSV_SW_PNS1_23onesweep_lookback_stateEbbT6_jjT7_P12ihipStream_tbENKUlT_T0_SK_SP_E_clISE_SE_SF_SF_EEDaS13_S14_SK_SP_EUlS13_E_NS1_11comp_targetILNS1_3genE4ELNS1_11target_archE910ELNS1_3gpuE8ELNS1_3repE0EEENS1_47radix_sort_onesweep_sort_config_static_selectorELNS0_4arch9wavefront6targetE1EEEvSK_.num_vgpr, 0
	.set _ZN7rocprim17ROCPRIM_400000_NS6detail17trampoline_kernelINS0_14default_configENS1_35radix_sort_onesweep_config_selectorIiNS0_10empty_typeEEEZZNS1_29radix_sort_onesweep_iterationIS3_Lb0EN6thrust23THRUST_200600_302600_NS6detail15normal_iteratorINS9_10device_ptrIiEEEESE_PS5_SF_jNS0_19identity_decomposerENS1_16block_id_wrapperIjLb0EEEEE10hipError_tT1_PNSt15iterator_traitsISK_E10value_typeET2_T3_PNSL_ISQ_E10value_typeET4_T5_PSV_SW_PNS1_23onesweep_lookback_stateEbbT6_jjT7_P12ihipStream_tbENKUlT_T0_SK_SP_E_clISE_SE_SF_SF_EEDaS13_S14_SK_SP_EUlS13_E_NS1_11comp_targetILNS1_3genE4ELNS1_11target_archE910ELNS1_3gpuE8ELNS1_3repE0EEENS1_47radix_sort_onesweep_sort_config_static_selectorELNS0_4arch9wavefront6targetE1EEEvSK_.num_agpr, 0
	.set _ZN7rocprim17ROCPRIM_400000_NS6detail17trampoline_kernelINS0_14default_configENS1_35radix_sort_onesweep_config_selectorIiNS0_10empty_typeEEEZZNS1_29radix_sort_onesweep_iterationIS3_Lb0EN6thrust23THRUST_200600_302600_NS6detail15normal_iteratorINS9_10device_ptrIiEEEESE_PS5_SF_jNS0_19identity_decomposerENS1_16block_id_wrapperIjLb0EEEEE10hipError_tT1_PNSt15iterator_traitsISK_E10value_typeET2_T3_PNSL_ISQ_E10value_typeET4_T5_PSV_SW_PNS1_23onesweep_lookback_stateEbbT6_jjT7_P12ihipStream_tbENKUlT_T0_SK_SP_E_clISE_SE_SF_SF_EEDaS13_S14_SK_SP_EUlS13_E_NS1_11comp_targetILNS1_3genE4ELNS1_11target_archE910ELNS1_3gpuE8ELNS1_3repE0EEENS1_47radix_sort_onesweep_sort_config_static_selectorELNS0_4arch9wavefront6targetE1EEEvSK_.numbered_sgpr, 0
	.set _ZN7rocprim17ROCPRIM_400000_NS6detail17trampoline_kernelINS0_14default_configENS1_35radix_sort_onesweep_config_selectorIiNS0_10empty_typeEEEZZNS1_29radix_sort_onesweep_iterationIS3_Lb0EN6thrust23THRUST_200600_302600_NS6detail15normal_iteratorINS9_10device_ptrIiEEEESE_PS5_SF_jNS0_19identity_decomposerENS1_16block_id_wrapperIjLb0EEEEE10hipError_tT1_PNSt15iterator_traitsISK_E10value_typeET2_T3_PNSL_ISQ_E10value_typeET4_T5_PSV_SW_PNS1_23onesweep_lookback_stateEbbT6_jjT7_P12ihipStream_tbENKUlT_T0_SK_SP_E_clISE_SE_SF_SF_EEDaS13_S14_SK_SP_EUlS13_E_NS1_11comp_targetILNS1_3genE4ELNS1_11target_archE910ELNS1_3gpuE8ELNS1_3repE0EEENS1_47radix_sort_onesweep_sort_config_static_selectorELNS0_4arch9wavefront6targetE1EEEvSK_.num_named_barrier, 0
	.set _ZN7rocprim17ROCPRIM_400000_NS6detail17trampoline_kernelINS0_14default_configENS1_35radix_sort_onesweep_config_selectorIiNS0_10empty_typeEEEZZNS1_29radix_sort_onesweep_iterationIS3_Lb0EN6thrust23THRUST_200600_302600_NS6detail15normal_iteratorINS9_10device_ptrIiEEEESE_PS5_SF_jNS0_19identity_decomposerENS1_16block_id_wrapperIjLb0EEEEE10hipError_tT1_PNSt15iterator_traitsISK_E10value_typeET2_T3_PNSL_ISQ_E10value_typeET4_T5_PSV_SW_PNS1_23onesweep_lookback_stateEbbT6_jjT7_P12ihipStream_tbENKUlT_T0_SK_SP_E_clISE_SE_SF_SF_EEDaS13_S14_SK_SP_EUlS13_E_NS1_11comp_targetILNS1_3genE4ELNS1_11target_archE910ELNS1_3gpuE8ELNS1_3repE0EEENS1_47radix_sort_onesweep_sort_config_static_selectorELNS0_4arch9wavefront6targetE1EEEvSK_.private_seg_size, 0
	.set _ZN7rocprim17ROCPRIM_400000_NS6detail17trampoline_kernelINS0_14default_configENS1_35radix_sort_onesweep_config_selectorIiNS0_10empty_typeEEEZZNS1_29radix_sort_onesweep_iterationIS3_Lb0EN6thrust23THRUST_200600_302600_NS6detail15normal_iteratorINS9_10device_ptrIiEEEESE_PS5_SF_jNS0_19identity_decomposerENS1_16block_id_wrapperIjLb0EEEEE10hipError_tT1_PNSt15iterator_traitsISK_E10value_typeET2_T3_PNSL_ISQ_E10value_typeET4_T5_PSV_SW_PNS1_23onesweep_lookback_stateEbbT6_jjT7_P12ihipStream_tbENKUlT_T0_SK_SP_E_clISE_SE_SF_SF_EEDaS13_S14_SK_SP_EUlS13_E_NS1_11comp_targetILNS1_3genE4ELNS1_11target_archE910ELNS1_3gpuE8ELNS1_3repE0EEENS1_47radix_sort_onesweep_sort_config_static_selectorELNS0_4arch9wavefront6targetE1EEEvSK_.uses_vcc, 0
	.set _ZN7rocprim17ROCPRIM_400000_NS6detail17trampoline_kernelINS0_14default_configENS1_35radix_sort_onesweep_config_selectorIiNS0_10empty_typeEEEZZNS1_29radix_sort_onesweep_iterationIS3_Lb0EN6thrust23THRUST_200600_302600_NS6detail15normal_iteratorINS9_10device_ptrIiEEEESE_PS5_SF_jNS0_19identity_decomposerENS1_16block_id_wrapperIjLb0EEEEE10hipError_tT1_PNSt15iterator_traitsISK_E10value_typeET2_T3_PNSL_ISQ_E10value_typeET4_T5_PSV_SW_PNS1_23onesweep_lookback_stateEbbT6_jjT7_P12ihipStream_tbENKUlT_T0_SK_SP_E_clISE_SE_SF_SF_EEDaS13_S14_SK_SP_EUlS13_E_NS1_11comp_targetILNS1_3genE4ELNS1_11target_archE910ELNS1_3gpuE8ELNS1_3repE0EEENS1_47radix_sort_onesweep_sort_config_static_selectorELNS0_4arch9wavefront6targetE1EEEvSK_.uses_flat_scratch, 0
	.set _ZN7rocprim17ROCPRIM_400000_NS6detail17trampoline_kernelINS0_14default_configENS1_35radix_sort_onesweep_config_selectorIiNS0_10empty_typeEEEZZNS1_29radix_sort_onesweep_iterationIS3_Lb0EN6thrust23THRUST_200600_302600_NS6detail15normal_iteratorINS9_10device_ptrIiEEEESE_PS5_SF_jNS0_19identity_decomposerENS1_16block_id_wrapperIjLb0EEEEE10hipError_tT1_PNSt15iterator_traitsISK_E10value_typeET2_T3_PNSL_ISQ_E10value_typeET4_T5_PSV_SW_PNS1_23onesweep_lookback_stateEbbT6_jjT7_P12ihipStream_tbENKUlT_T0_SK_SP_E_clISE_SE_SF_SF_EEDaS13_S14_SK_SP_EUlS13_E_NS1_11comp_targetILNS1_3genE4ELNS1_11target_archE910ELNS1_3gpuE8ELNS1_3repE0EEENS1_47radix_sort_onesweep_sort_config_static_selectorELNS0_4arch9wavefront6targetE1EEEvSK_.has_dyn_sized_stack, 0
	.set _ZN7rocprim17ROCPRIM_400000_NS6detail17trampoline_kernelINS0_14default_configENS1_35radix_sort_onesweep_config_selectorIiNS0_10empty_typeEEEZZNS1_29radix_sort_onesweep_iterationIS3_Lb0EN6thrust23THRUST_200600_302600_NS6detail15normal_iteratorINS9_10device_ptrIiEEEESE_PS5_SF_jNS0_19identity_decomposerENS1_16block_id_wrapperIjLb0EEEEE10hipError_tT1_PNSt15iterator_traitsISK_E10value_typeET2_T3_PNSL_ISQ_E10value_typeET4_T5_PSV_SW_PNS1_23onesweep_lookback_stateEbbT6_jjT7_P12ihipStream_tbENKUlT_T0_SK_SP_E_clISE_SE_SF_SF_EEDaS13_S14_SK_SP_EUlS13_E_NS1_11comp_targetILNS1_3genE4ELNS1_11target_archE910ELNS1_3gpuE8ELNS1_3repE0EEENS1_47radix_sort_onesweep_sort_config_static_selectorELNS0_4arch9wavefront6targetE1EEEvSK_.has_recursion, 0
	.set _ZN7rocprim17ROCPRIM_400000_NS6detail17trampoline_kernelINS0_14default_configENS1_35radix_sort_onesweep_config_selectorIiNS0_10empty_typeEEEZZNS1_29radix_sort_onesweep_iterationIS3_Lb0EN6thrust23THRUST_200600_302600_NS6detail15normal_iteratorINS9_10device_ptrIiEEEESE_PS5_SF_jNS0_19identity_decomposerENS1_16block_id_wrapperIjLb0EEEEE10hipError_tT1_PNSt15iterator_traitsISK_E10value_typeET2_T3_PNSL_ISQ_E10value_typeET4_T5_PSV_SW_PNS1_23onesweep_lookback_stateEbbT6_jjT7_P12ihipStream_tbENKUlT_T0_SK_SP_E_clISE_SE_SF_SF_EEDaS13_S14_SK_SP_EUlS13_E_NS1_11comp_targetILNS1_3genE4ELNS1_11target_archE910ELNS1_3gpuE8ELNS1_3repE0EEENS1_47radix_sort_onesweep_sort_config_static_selectorELNS0_4arch9wavefront6targetE1EEEvSK_.has_indirect_call, 0
	.section	.AMDGPU.csdata,"",@progbits
; Kernel info:
; codeLenInByte = 0
; TotalNumSgprs: 6
; NumVgprs: 0
; NumAgprs: 0
; TotalNumVgprs: 0
; ScratchSize: 0
; MemoryBound: 0
; FloatMode: 240
; IeeeMode: 1
; LDSByteSize: 0 bytes/workgroup (compile time only)
; SGPRBlocks: 0
; VGPRBlocks: 0
; NumSGPRsForWavesPerEU: 6
; NumVGPRsForWavesPerEU: 1
; AccumOffset: 4
; Occupancy: 8
; WaveLimiterHint : 0
; COMPUTE_PGM_RSRC2:SCRATCH_EN: 0
; COMPUTE_PGM_RSRC2:USER_SGPR: 2
; COMPUTE_PGM_RSRC2:TRAP_HANDLER: 0
; COMPUTE_PGM_RSRC2:TGID_X_EN: 1
; COMPUTE_PGM_RSRC2:TGID_Y_EN: 0
; COMPUTE_PGM_RSRC2:TGID_Z_EN: 0
; COMPUTE_PGM_RSRC2:TIDIG_COMP_CNT: 0
; COMPUTE_PGM_RSRC3_GFX90A:ACCUM_OFFSET: 0
; COMPUTE_PGM_RSRC3_GFX90A:TG_SPLIT: 0
	.section	.text._ZN7rocprim17ROCPRIM_400000_NS6detail17trampoline_kernelINS0_14default_configENS1_35radix_sort_onesweep_config_selectorIiNS0_10empty_typeEEEZZNS1_29radix_sort_onesweep_iterationIS3_Lb0EN6thrust23THRUST_200600_302600_NS6detail15normal_iteratorINS9_10device_ptrIiEEEESE_PS5_SF_jNS0_19identity_decomposerENS1_16block_id_wrapperIjLb0EEEEE10hipError_tT1_PNSt15iterator_traitsISK_E10value_typeET2_T3_PNSL_ISQ_E10value_typeET4_T5_PSV_SW_PNS1_23onesweep_lookback_stateEbbT6_jjT7_P12ihipStream_tbENKUlT_T0_SK_SP_E_clISE_SE_SF_SF_EEDaS13_S14_SK_SP_EUlS13_E_NS1_11comp_targetILNS1_3genE3ELNS1_11target_archE908ELNS1_3gpuE7ELNS1_3repE0EEENS1_47radix_sort_onesweep_sort_config_static_selectorELNS0_4arch9wavefront6targetE1EEEvSK_,"axG",@progbits,_ZN7rocprim17ROCPRIM_400000_NS6detail17trampoline_kernelINS0_14default_configENS1_35radix_sort_onesweep_config_selectorIiNS0_10empty_typeEEEZZNS1_29radix_sort_onesweep_iterationIS3_Lb0EN6thrust23THRUST_200600_302600_NS6detail15normal_iteratorINS9_10device_ptrIiEEEESE_PS5_SF_jNS0_19identity_decomposerENS1_16block_id_wrapperIjLb0EEEEE10hipError_tT1_PNSt15iterator_traitsISK_E10value_typeET2_T3_PNSL_ISQ_E10value_typeET4_T5_PSV_SW_PNS1_23onesweep_lookback_stateEbbT6_jjT7_P12ihipStream_tbENKUlT_T0_SK_SP_E_clISE_SE_SF_SF_EEDaS13_S14_SK_SP_EUlS13_E_NS1_11comp_targetILNS1_3genE3ELNS1_11target_archE908ELNS1_3gpuE7ELNS1_3repE0EEENS1_47radix_sort_onesweep_sort_config_static_selectorELNS0_4arch9wavefront6targetE1EEEvSK_,comdat
	.protected	_ZN7rocprim17ROCPRIM_400000_NS6detail17trampoline_kernelINS0_14default_configENS1_35radix_sort_onesweep_config_selectorIiNS0_10empty_typeEEEZZNS1_29radix_sort_onesweep_iterationIS3_Lb0EN6thrust23THRUST_200600_302600_NS6detail15normal_iteratorINS9_10device_ptrIiEEEESE_PS5_SF_jNS0_19identity_decomposerENS1_16block_id_wrapperIjLb0EEEEE10hipError_tT1_PNSt15iterator_traitsISK_E10value_typeET2_T3_PNSL_ISQ_E10value_typeET4_T5_PSV_SW_PNS1_23onesweep_lookback_stateEbbT6_jjT7_P12ihipStream_tbENKUlT_T0_SK_SP_E_clISE_SE_SF_SF_EEDaS13_S14_SK_SP_EUlS13_E_NS1_11comp_targetILNS1_3genE3ELNS1_11target_archE908ELNS1_3gpuE7ELNS1_3repE0EEENS1_47radix_sort_onesweep_sort_config_static_selectorELNS0_4arch9wavefront6targetE1EEEvSK_ ; -- Begin function _ZN7rocprim17ROCPRIM_400000_NS6detail17trampoline_kernelINS0_14default_configENS1_35radix_sort_onesweep_config_selectorIiNS0_10empty_typeEEEZZNS1_29radix_sort_onesweep_iterationIS3_Lb0EN6thrust23THRUST_200600_302600_NS6detail15normal_iteratorINS9_10device_ptrIiEEEESE_PS5_SF_jNS0_19identity_decomposerENS1_16block_id_wrapperIjLb0EEEEE10hipError_tT1_PNSt15iterator_traitsISK_E10value_typeET2_T3_PNSL_ISQ_E10value_typeET4_T5_PSV_SW_PNS1_23onesweep_lookback_stateEbbT6_jjT7_P12ihipStream_tbENKUlT_T0_SK_SP_E_clISE_SE_SF_SF_EEDaS13_S14_SK_SP_EUlS13_E_NS1_11comp_targetILNS1_3genE3ELNS1_11target_archE908ELNS1_3gpuE7ELNS1_3repE0EEENS1_47radix_sort_onesweep_sort_config_static_selectorELNS0_4arch9wavefront6targetE1EEEvSK_
	.globl	_ZN7rocprim17ROCPRIM_400000_NS6detail17trampoline_kernelINS0_14default_configENS1_35radix_sort_onesweep_config_selectorIiNS0_10empty_typeEEEZZNS1_29radix_sort_onesweep_iterationIS3_Lb0EN6thrust23THRUST_200600_302600_NS6detail15normal_iteratorINS9_10device_ptrIiEEEESE_PS5_SF_jNS0_19identity_decomposerENS1_16block_id_wrapperIjLb0EEEEE10hipError_tT1_PNSt15iterator_traitsISK_E10value_typeET2_T3_PNSL_ISQ_E10value_typeET4_T5_PSV_SW_PNS1_23onesweep_lookback_stateEbbT6_jjT7_P12ihipStream_tbENKUlT_T0_SK_SP_E_clISE_SE_SF_SF_EEDaS13_S14_SK_SP_EUlS13_E_NS1_11comp_targetILNS1_3genE3ELNS1_11target_archE908ELNS1_3gpuE7ELNS1_3repE0EEENS1_47radix_sort_onesweep_sort_config_static_selectorELNS0_4arch9wavefront6targetE1EEEvSK_
	.p2align	8
	.type	_ZN7rocprim17ROCPRIM_400000_NS6detail17trampoline_kernelINS0_14default_configENS1_35radix_sort_onesweep_config_selectorIiNS0_10empty_typeEEEZZNS1_29radix_sort_onesweep_iterationIS3_Lb0EN6thrust23THRUST_200600_302600_NS6detail15normal_iteratorINS9_10device_ptrIiEEEESE_PS5_SF_jNS0_19identity_decomposerENS1_16block_id_wrapperIjLb0EEEEE10hipError_tT1_PNSt15iterator_traitsISK_E10value_typeET2_T3_PNSL_ISQ_E10value_typeET4_T5_PSV_SW_PNS1_23onesweep_lookback_stateEbbT6_jjT7_P12ihipStream_tbENKUlT_T0_SK_SP_E_clISE_SE_SF_SF_EEDaS13_S14_SK_SP_EUlS13_E_NS1_11comp_targetILNS1_3genE3ELNS1_11target_archE908ELNS1_3gpuE7ELNS1_3repE0EEENS1_47radix_sort_onesweep_sort_config_static_selectorELNS0_4arch9wavefront6targetE1EEEvSK_,@function
_ZN7rocprim17ROCPRIM_400000_NS6detail17trampoline_kernelINS0_14default_configENS1_35radix_sort_onesweep_config_selectorIiNS0_10empty_typeEEEZZNS1_29radix_sort_onesweep_iterationIS3_Lb0EN6thrust23THRUST_200600_302600_NS6detail15normal_iteratorINS9_10device_ptrIiEEEESE_PS5_SF_jNS0_19identity_decomposerENS1_16block_id_wrapperIjLb0EEEEE10hipError_tT1_PNSt15iterator_traitsISK_E10value_typeET2_T3_PNSL_ISQ_E10value_typeET4_T5_PSV_SW_PNS1_23onesweep_lookback_stateEbbT6_jjT7_P12ihipStream_tbENKUlT_T0_SK_SP_E_clISE_SE_SF_SF_EEDaS13_S14_SK_SP_EUlS13_E_NS1_11comp_targetILNS1_3genE3ELNS1_11target_archE908ELNS1_3gpuE7ELNS1_3repE0EEENS1_47radix_sort_onesweep_sort_config_static_selectorELNS0_4arch9wavefront6targetE1EEEvSK_: ; @_ZN7rocprim17ROCPRIM_400000_NS6detail17trampoline_kernelINS0_14default_configENS1_35radix_sort_onesweep_config_selectorIiNS0_10empty_typeEEEZZNS1_29radix_sort_onesweep_iterationIS3_Lb0EN6thrust23THRUST_200600_302600_NS6detail15normal_iteratorINS9_10device_ptrIiEEEESE_PS5_SF_jNS0_19identity_decomposerENS1_16block_id_wrapperIjLb0EEEEE10hipError_tT1_PNSt15iterator_traitsISK_E10value_typeET2_T3_PNSL_ISQ_E10value_typeET4_T5_PSV_SW_PNS1_23onesweep_lookback_stateEbbT6_jjT7_P12ihipStream_tbENKUlT_T0_SK_SP_E_clISE_SE_SF_SF_EEDaS13_S14_SK_SP_EUlS13_E_NS1_11comp_targetILNS1_3genE3ELNS1_11target_archE908ELNS1_3gpuE7ELNS1_3repE0EEENS1_47radix_sort_onesweep_sort_config_static_selectorELNS0_4arch9wavefront6targetE1EEEvSK_
; %bb.0:
	.section	.rodata,"a",@progbits
	.p2align	6, 0x0
	.amdhsa_kernel _ZN7rocprim17ROCPRIM_400000_NS6detail17trampoline_kernelINS0_14default_configENS1_35radix_sort_onesweep_config_selectorIiNS0_10empty_typeEEEZZNS1_29radix_sort_onesweep_iterationIS3_Lb0EN6thrust23THRUST_200600_302600_NS6detail15normal_iteratorINS9_10device_ptrIiEEEESE_PS5_SF_jNS0_19identity_decomposerENS1_16block_id_wrapperIjLb0EEEEE10hipError_tT1_PNSt15iterator_traitsISK_E10value_typeET2_T3_PNSL_ISQ_E10value_typeET4_T5_PSV_SW_PNS1_23onesweep_lookback_stateEbbT6_jjT7_P12ihipStream_tbENKUlT_T0_SK_SP_E_clISE_SE_SF_SF_EEDaS13_S14_SK_SP_EUlS13_E_NS1_11comp_targetILNS1_3genE3ELNS1_11target_archE908ELNS1_3gpuE7ELNS1_3repE0EEENS1_47radix_sort_onesweep_sort_config_static_selectorELNS0_4arch9wavefront6targetE1EEEvSK_
		.amdhsa_group_segment_fixed_size 0
		.amdhsa_private_segment_fixed_size 0
		.amdhsa_kernarg_size 88
		.amdhsa_user_sgpr_count 2
		.amdhsa_user_sgpr_dispatch_ptr 0
		.amdhsa_user_sgpr_queue_ptr 0
		.amdhsa_user_sgpr_kernarg_segment_ptr 1
		.amdhsa_user_sgpr_dispatch_id 0
		.amdhsa_user_sgpr_kernarg_preload_length 0
		.amdhsa_user_sgpr_kernarg_preload_offset 0
		.amdhsa_user_sgpr_private_segment_size 0
		.amdhsa_uses_dynamic_stack 0
		.amdhsa_enable_private_segment 0
		.amdhsa_system_sgpr_workgroup_id_x 1
		.amdhsa_system_sgpr_workgroup_id_y 0
		.amdhsa_system_sgpr_workgroup_id_z 0
		.amdhsa_system_sgpr_workgroup_info 0
		.amdhsa_system_vgpr_workitem_id 0
		.amdhsa_next_free_vgpr 1
		.amdhsa_next_free_sgpr 0
		.amdhsa_accum_offset 4
		.amdhsa_reserve_vcc 0
		.amdhsa_float_round_mode_32 0
		.amdhsa_float_round_mode_16_64 0
		.amdhsa_float_denorm_mode_32 3
		.amdhsa_float_denorm_mode_16_64 3
		.amdhsa_dx10_clamp 1
		.amdhsa_ieee_mode 1
		.amdhsa_fp16_overflow 0
		.amdhsa_tg_split 0
		.amdhsa_exception_fp_ieee_invalid_op 0
		.amdhsa_exception_fp_denorm_src 0
		.amdhsa_exception_fp_ieee_div_zero 0
		.amdhsa_exception_fp_ieee_overflow 0
		.amdhsa_exception_fp_ieee_underflow 0
		.amdhsa_exception_fp_ieee_inexact 0
		.amdhsa_exception_int_div_zero 0
	.end_amdhsa_kernel
	.section	.text._ZN7rocprim17ROCPRIM_400000_NS6detail17trampoline_kernelINS0_14default_configENS1_35radix_sort_onesweep_config_selectorIiNS0_10empty_typeEEEZZNS1_29radix_sort_onesweep_iterationIS3_Lb0EN6thrust23THRUST_200600_302600_NS6detail15normal_iteratorINS9_10device_ptrIiEEEESE_PS5_SF_jNS0_19identity_decomposerENS1_16block_id_wrapperIjLb0EEEEE10hipError_tT1_PNSt15iterator_traitsISK_E10value_typeET2_T3_PNSL_ISQ_E10value_typeET4_T5_PSV_SW_PNS1_23onesweep_lookback_stateEbbT6_jjT7_P12ihipStream_tbENKUlT_T0_SK_SP_E_clISE_SE_SF_SF_EEDaS13_S14_SK_SP_EUlS13_E_NS1_11comp_targetILNS1_3genE3ELNS1_11target_archE908ELNS1_3gpuE7ELNS1_3repE0EEENS1_47radix_sort_onesweep_sort_config_static_selectorELNS0_4arch9wavefront6targetE1EEEvSK_,"axG",@progbits,_ZN7rocprim17ROCPRIM_400000_NS6detail17trampoline_kernelINS0_14default_configENS1_35radix_sort_onesweep_config_selectorIiNS0_10empty_typeEEEZZNS1_29radix_sort_onesweep_iterationIS3_Lb0EN6thrust23THRUST_200600_302600_NS6detail15normal_iteratorINS9_10device_ptrIiEEEESE_PS5_SF_jNS0_19identity_decomposerENS1_16block_id_wrapperIjLb0EEEEE10hipError_tT1_PNSt15iterator_traitsISK_E10value_typeET2_T3_PNSL_ISQ_E10value_typeET4_T5_PSV_SW_PNS1_23onesweep_lookback_stateEbbT6_jjT7_P12ihipStream_tbENKUlT_T0_SK_SP_E_clISE_SE_SF_SF_EEDaS13_S14_SK_SP_EUlS13_E_NS1_11comp_targetILNS1_3genE3ELNS1_11target_archE908ELNS1_3gpuE7ELNS1_3repE0EEENS1_47radix_sort_onesweep_sort_config_static_selectorELNS0_4arch9wavefront6targetE1EEEvSK_,comdat
.Lfunc_end191:
	.size	_ZN7rocprim17ROCPRIM_400000_NS6detail17trampoline_kernelINS0_14default_configENS1_35radix_sort_onesweep_config_selectorIiNS0_10empty_typeEEEZZNS1_29radix_sort_onesweep_iterationIS3_Lb0EN6thrust23THRUST_200600_302600_NS6detail15normal_iteratorINS9_10device_ptrIiEEEESE_PS5_SF_jNS0_19identity_decomposerENS1_16block_id_wrapperIjLb0EEEEE10hipError_tT1_PNSt15iterator_traitsISK_E10value_typeET2_T3_PNSL_ISQ_E10value_typeET4_T5_PSV_SW_PNS1_23onesweep_lookback_stateEbbT6_jjT7_P12ihipStream_tbENKUlT_T0_SK_SP_E_clISE_SE_SF_SF_EEDaS13_S14_SK_SP_EUlS13_E_NS1_11comp_targetILNS1_3genE3ELNS1_11target_archE908ELNS1_3gpuE7ELNS1_3repE0EEENS1_47radix_sort_onesweep_sort_config_static_selectorELNS0_4arch9wavefront6targetE1EEEvSK_, .Lfunc_end191-_ZN7rocprim17ROCPRIM_400000_NS6detail17trampoline_kernelINS0_14default_configENS1_35radix_sort_onesweep_config_selectorIiNS0_10empty_typeEEEZZNS1_29radix_sort_onesweep_iterationIS3_Lb0EN6thrust23THRUST_200600_302600_NS6detail15normal_iteratorINS9_10device_ptrIiEEEESE_PS5_SF_jNS0_19identity_decomposerENS1_16block_id_wrapperIjLb0EEEEE10hipError_tT1_PNSt15iterator_traitsISK_E10value_typeET2_T3_PNSL_ISQ_E10value_typeET4_T5_PSV_SW_PNS1_23onesweep_lookback_stateEbbT6_jjT7_P12ihipStream_tbENKUlT_T0_SK_SP_E_clISE_SE_SF_SF_EEDaS13_S14_SK_SP_EUlS13_E_NS1_11comp_targetILNS1_3genE3ELNS1_11target_archE908ELNS1_3gpuE7ELNS1_3repE0EEENS1_47radix_sort_onesweep_sort_config_static_selectorELNS0_4arch9wavefront6targetE1EEEvSK_
                                        ; -- End function
	.set _ZN7rocprim17ROCPRIM_400000_NS6detail17trampoline_kernelINS0_14default_configENS1_35radix_sort_onesweep_config_selectorIiNS0_10empty_typeEEEZZNS1_29radix_sort_onesweep_iterationIS3_Lb0EN6thrust23THRUST_200600_302600_NS6detail15normal_iteratorINS9_10device_ptrIiEEEESE_PS5_SF_jNS0_19identity_decomposerENS1_16block_id_wrapperIjLb0EEEEE10hipError_tT1_PNSt15iterator_traitsISK_E10value_typeET2_T3_PNSL_ISQ_E10value_typeET4_T5_PSV_SW_PNS1_23onesweep_lookback_stateEbbT6_jjT7_P12ihipStream_tbENKUlT_T0_SK_SP_E_clISE_SE_SF_SF_EEDaS13_S14_SK_SP_EUlS13_E_NS1_11comp_targetILNS1_3genE3ELNS1_11target_archE908ELNS1_3gpuE7ELNS1_3repE0EEENS1_47radix_sort_onesweep_sort_config_static_selectorELNS0_4arch9wavefront6targetE1EEEvSK_.num_vgpr, 0
	.set _ZN7rocprim17ROCPRIM_400000_NS6detail17trampoline_kernelINS0_14default_configENS1_35radix_sort_onesweep_config_selectorIiNS0_10empty_typeEEEZZNS1_29radix_sort_onesweep_iterationIS3_Lb0EN6thrust23THRUST_200600_302600_NS6detail15normal_iteratorINS9_10device_ptrIiEEEESE_PS5_SF_jNS0_19identity_decomposerENS1_16block_id_wrapperIjLb0EEEEE10hipError_tT1_PNSt15iterator_traitsISK_E10value_typeET2_T3_PNSL_ISQ_E10value_typeET4_T5_PSV_SW_PNS1_23onesweep_lookback_stateEbbT6_jjT7_P12ihipStream_tbENKUlT_T0_SK_SP_E_clISE_SE_SF_SF_EEDaS13_S14_SK_SP_EUlS13_E_NS1_11comp_targetILNS1_3genE3ELNS1_11target_archE908ELNS1_3gpuE7ELNS1_3repE0EEENS1_47radix_sort_onesweep_sort_config_static_selectorELNS0_4arch9wavefront6targetE1EEEvSK_.num_agpr, 0
	.set _ZN7rocprim17ROCPRIM_400000_NS6detail17trampoline_kernelINS0_14default_configENS1_35radix_sort_onesweep_config_selectorIiNS0_10empty_typeEEEZZNS1_29radix_sort_onesweep_iterationIS3_Lb0EN6thrust23THRUST_200600_302600_NS6detail15normal_iteratorINS9_10device_ptrIiEEEESE_PS5_SF_jNS0_19identity_decomposerENS1_16block_id_wrapperIjLb0EEEEE10hipError_tT1_PNSt15iterator_traitsISK_E10value_typeET2_T3_PNSL_ISQ_E10value_typeET4_T5_PSV_SW_PNS1_23onesweep_lookback_stateEbbT6_jjT7_P12ihipStream_tbENKUlT_T0_SK_SP_E_clISE_SE_SF_SF_EEDaS13_S14_SK_SP_EUlS13_E_NS1_11comp_targetILNS1_3genE3ELNS1_11target_archE908ELNS1_3gpuE7ELNS1_3repE0EEENS1_47radix_sort_onesweep_sort_config_static_selectorELNS0_4arch9wavefront6targetE1EEEvSK_.numbered_sgpr, 0
	.set _ZN7rocprim17ROCPRIM_400000_NS6detail17trampoline_kernelINS0_14default_configENS1_35radix_sort_onesweep_config_selectorIiNS0_10empty_typeEEEZZNS1_29radix_sort_onesweep_iterationIS3_Lb0EN6thrust23THRUST_200600_302600_NS6detail15normal_iteratorINS9_10device_ptrIiEEEESE_PS5_SF_jNS0_19identity_decomposerENS1_16block_id_wrapperIjLb0EEEEE10hipError_tT1_PNSt15iterator_traitsISK_E10value_typeET2_T3_PNSL_ISQ_E10value_typeET4_T5_PSV_SW_PNS1_23onesweep_lookback_stateEbbT6_jjT7_P12ihipStream_tbENKUlT_T0_SK_SP_E_clISE_SE_SF_SF_EEDaS13_S14_SK_SP_EUlS13_E_NS1_11comp_targetILNS1_3genE3ELNS1_11target_archE908ELNS1_3gpuE7ELNS1_3repE0EEENS1_47radix_sort_onesweep_sort_config_static_selectorELNS0_4arch9wavefront6targetE1EEEvSK_.num_named_barrier, 0
	.set _ZN7rocprim17ROCPRIM_400000_NS6detail17trampoline_kernelINS0_14default_configENS1_35radix_sort_onesweep_config_selectorIiNS0_10empty_typeEEEZZNS1_29radix_sort_onesweep_iterationIS3_Lb0EN6thrust23THRUST_200600_302600_NS6detail15normal_iteratorINS9_10device_ptrIiEEEESE_PS5_SF_jNS0_19identity_decomposerENS1_16block_id_wrapperIjLb0EEEEE10hipError_tT1_PNSt15iterator_traitsISK_E10value_typeET2_T3_PNSL_ISQ_E10value_typeET4_T5_PSV_SW_PNS1_23onesweep_lookback_stateEbbT6_jjT7_P12ihipStream_tbENKUlT_T0_SK_SP_E_clISE_SE_SF_SF_EEDaS13_S14_SK_SP_EUlS13_E_NS1_11comp_targetILNS1_3genE3ELNS1_11target_archE908ELNS1_3gpuE7ELNS1_3repE0EEENS1_47radix_sort_onesweep_sort_config_static_selectorELNS0_4arch9wavefront6targetE1EEEvSK_.private_seg_size, 0
	.set _ZN7rocprim17ROCPRIM_400000_NS6detail17trampoline_kernelINS0_14default_configENS1_35radix_sort_onesweep_config_selectorIiNS0_10empty_typeEEEZZNS1_29radix_sort_onesweep_iterationIS3_Lb0EN6thrust23THRUST_200600_302600_NS6detail15normal_iteratorINS9_10device_ptrIiEEEESE_PS5_SF_jNS0_19identity_decomposerENS1_16block_id_wrapperIjLb0EEEEE10hipError_tT1_PNSt15iterator_traitsISK_E10value_typeET2_T3_PNSL_ISQ_E10value_typeET4_T5_PSV_SW_PNS1_23onesweep_lookback_stateEbbT6_jjT7_P12ihipStream_tbENKUlT_T0_SK_SP_E_clISE_SE_SF_SF_EEDaS13_S14_SK_SP_EUlS13_E_NS1_11comp_targetILNS1_3genE3ELNS1_11target_archE908ELNS1_3gpuE7ELNS1_3repE0EEENS1_47radix_sort_onesweep_sort_config_static_selectorELNS0_4arch9wavefront6targetE1EEEvSK_.uses_vcc, 0
	.set _ZN7rocprim17ROCPRIM_400000_NS6detail17trampoline_kernelINS0_14default_configENS1_35radix_sort_onesweep_config_selectorIiNS0_10empty_typeEEEZZNS1_29radix_sort_onesweep_iterationIS3_Lb0EN6thrust23THRUST_200600_302600_NS6detail15normal_iteratorINS9_10device_ptrIiEEEESE_PS5_SF_jNS0_19identity_decomposerENS1_16block_id_wrapperIjLb0EEEEE10hipError_tT1_PNSt15iterator_traitsISK_E10value_typeET2_T3_PNSL_ISQ_E10value_typeET4_T5_PSV_SW_PNS1_23onesweep_lookback_stateEbbT6_jjT7_P12ihipStream_tbENKUlT_T0_SK_SP_E_clISE_SE_SF_SF_EEDaS13_S14_SK_SP_EUlS13_E_NS1_11comp_targetILNS1_3genE3ELNS1_11target_archE908ELNS1_3gpuE7ELNS1_3repE0EEENS1_47radix_sort_onesweep_sort_config_static_selectorELNS0_4arch9wavefront6targetE1EEEvSK_.uses_flat_scratch, 0
	.set _ZN7rocprim17ROCPRIM_400000_NS6detail17trampoline_kernelINS0_14default_configENS1_35radix_sort_onesweep_config_selectorIiNS0_10empty_typeEEEZZNS1_29radix_sort_onesweep_iterationIS3_Lb0EN6thrust23THRUST_200600_302600_NS6detail15normal_iteratorINS9_10device_ptrIiEEEESE_PS5_SF_jNS0_19identity_decomposerENS1_16block_id_wrapperIjLb0EEEEE10hipError_tT1_PNSt15iterator_traitsISK_E10value_typeET2_T3_PNSL_ISQ_E10value_typeET4_T5_PSV_SW_PNS1_23onesweep_lookback_stateEbbT6_jjT7_P12ihipStream_tbENKUlT_T0_SK_SP_E_clISE_SE_SF_SF_EEDaS13_S14_SK_SP_EUlS13_E_NS1_11comp_targetILNS1_3genE3ELNS1_11target_archE908ELNS1_3gpuE7ELNS1_3repE0EEENS1_47radix_sort_onesweep_sort_config_static_selectorELNS0_4arch9wavefront6targetE1EEEvSK_.has_dyn_sized_stack, 0
	.set _ZN7rocprim17ROCPRIM_400000_NS6detail17trampoline_kernelINS0_14default_configENS1_35radix_sort_onesweep_config_selectorIiNS0_10empty_typeEEEZZNS1_29radix_sort_onesweep_iterationIS3_Lb0EN6thrust23THRUST_200600_302600_NS6detail15normal_iteratorINS9_10device_ptrIiEEEESE_PS5_SF_jNS0_19identity_decomposerENS1_16block_id_wrapperIjLb0EEEEE10hipError_tT1_PNSt15iterator_traitsISK_E10value_typeET2_T3_PNSL_ISQ_E10value_typeET4_T5_PSV_SW_PNS1_23onesweep_lookback_stateEbbT6_jjT7_P12ihipStream_tbENKUlT_T0_SK_SP_E_clISE_SE_SF_SF_EEDaS13_S14_SK_SP_EUlS13_E_NS1_11comp_targetILNS1_3genE3ELNS1_11target_archE908ELNS1_3gpuE7ELNS1_3repE0EEENS1_47radix_sort_onesweep_sort_config_static_selectorELNS0_4arch9wavefront6targetE1EEEvSK_.has_recursion, 0
	.set _ZN7rocprim17ROCPRIM_400000_NS6detail17trampoline_kernelINS0_14default_configENS1_35radix_sort_onesweep_config_selectorIiNS0_10empty_typeEEEZZNS1_29radix_sort_onesweep_iterationIS3_Lb0EN6thrust23THRUST_200600_302600_NS6detail15normal_iteratorINS9_10device_ptrIiEEEESE_PS5_SF_jNS0_19identity_decomposerENS1_16block_id_wrapperIjLb0EEEEE10hipError_tT1_PNSt15iterator_traitsISK_E10value_typeET2_T3_PNSL_ISQ_E10value_typeET4_T5_PSV_SW_PNS1_23onesweep_lookback_stateEbbT6_jjT7_P12ihipStream_tbENKUlT_T0_SK_SP_E_clISE_SE_SF_SF_EEDaS13_S14_SK_SP_EUlS13_E_NS1_11comp_targetILNS1_3genE3ELNS1_11target_archE908ELNS1_3gpuE7ELNS1_3repE0EEENS1_47radix_sort_onesweep_sort_config_static_selectorELNS0_4arch9wavefront6targetE1EEEvSK_.has_indirect_call, 0
	.section	.AMDGPU.csdata,"",@progbits
; Kernel info:
; codeLenInByte = 0
; TotalNumSgprs: 6
; NumVgprs: 0
; NumAgprs: 0
; TotalNumVgprs: 0
; ScratchSize: 0
; MemoryBound: 0
; FloatMode: 240
; IeeeMode: 1
; LDSByteSize: 0 bytes/workgroup (compile time only)
; SGPRBlocks: 0
; VGPRBlocks: 0
; NumSGPRsForWavesPerEU: 6
; NumVGPRsForWavesPerEU: 1
; AccumOffset: 4
; Occupancy: 8
; WaveLimiterHint : 0
; COMPUTE_PGM_RSRC2:SCRATCH_EN: 0
; COMPUTE_PGM_RSRC2:USER_SGPR: 2
; COMPUTE_PGM_RSRC2:TRAP_HANDLER: 0
; COMPUTE_PGM_RSRC2:TGID_X_EN: 1
; COMPUTE_PGM_RSRC2:TGID_Y_EN: 0
; COMPUTE_PGM_RSRC2:TGID_Z_EN: 0
; COMPUTE_PGM_RSRC2:TIDIG_COMP_CNT: 0
; COMPUTE_PGM_RSRC3_GFX90A:ACCUM_OFFSET: 0
; COMPUTE_PGM_RSRC3_GFX90A:TG_SPLIT: 0
	.section	.text._ZN7rocprim17ROCPRIM_400000_NS6detail17trampoline_kernelINS0_14default_configENS1_35radix_sort_onesweep_config_selectorIiNS0_10empty_typeEEEZZNS1_29radix_sort_onesweep_iterationIS3_Lb0EN6thrust23THRUST_200600_302600_NS6detail15normal_iteratorINS9_10device_ptrIiEEEESE_PS5_SF_jNS0_19identity_decomposerENS1_16block_id_wrapperIjLb0EEEEE10hipError_tT1_PNSt15iterator_traitsISK_E10value_typeET2_T3_PNSL_ISQ_E10value_typeET4_T5_PSV_SW_PNS1_23onesweep_lookback_stateEbbT6_jjT7_P12ihipStream_tbENKUlT_T0_SK_SP_E_clISE_SE_SF_SF_EEDaS13_S14_SK_SP_EUlS13_E_NS1_11comp_targetILNS1_3genE10ELNS1_11target_archE1201ELNS1_3gpuE5ELNS1_3repE0EEENS1_47radix_sort_onesweep_sort_config_static_selectorELNS0_4arch9wavefront6targetE1EEEvSK_,"axG",@progbits,_ZN7rocprim17ROCPRIM_400000_NS6detail17trampoline_kernelINS0_14default_configENS1_35radix_sort_onesweep_config_selectorIiNS0_10empty_typeEEEZZNS1_29radix_sort_onesweep_iterationIS3_Lb0EN6thrust23THRUST_200600_302600_NS6detail15normal_iteratorINS9_10device_ptrIiEEEESE_PS5_SF_jNS0_19identity_decomposerENS1_16block_id_wrapperIjLb0EEEEE10hipError_tT1_PNSt15iterator_traitsISK_E10value_typeET2_T3_PNSL_ISQ_E10value_typeET4_T5_PSV_SW_PNS1_23onesweep_lookback_stateEbbT6_jjT7_P12ihipStream_tbENKUlT_T0_SK_SP_E_clISE_SE_SF_SF_EEDaS13_S14_SK_SP_EUlS13_E_NS1_11comp_targetILNS1_3genE10ELNS1_11target_archE1201ELNS1_3gpuE5ELNS1_3repE0EEENS1_47radix_sort_onesweep_sort_config_static_selectorELNS0_4arch9wavefront6targetE1EEEvSK_,comdat
	.protected	_ZN7rocprim17ROCPRIM_400000_NS6detail17trampoline_kernelINS0_14default_configENS1_35radix_sort_onesweep_config_selectorIiNS0_10empty_typeEEEZZNS1_29radix_sort_onesweep_iterationIS3_Lb0EN6thrust23THRUST_200600_302600_NS6detail15normal_iteratorINS9_10device_ptrIiEEEESE_PS5_SF_jNS0_19identity_decomposerENS1_16block_id_wrapperIjLb0EEEEE10hipError_tT1_PNSt15iterator_traitsISK_E10value_typeET2_T3_PNSL_ISQ_E10value_typeET4_T5_PSV_SW_PNS1_23onesweep_lookback_stateEbbT6_jjT7_P12ihipStream_tbENKUlT_T0_SK_SP_E_clISE_SE_SF_SF_EEDaS13_S14_SK_SP_EUlS13_E_NS1_11comp_targetILNS1_3genE10ELNS1_11target_archE1201ELNS1_3gpuE5ELNS1_3repE0EEENS1_47radix_sort_onesweep_sort_config_static_selectorELNS0_4arch9wavefront6targetE1EEEvSK_ ; -- Begin function _ZN7rocprim17ROCPRIM_400000_NS6detail17trampoline_kernelINS0_14default_configENS1_35radix_sort_onesweep_config_selectorIiNS0_10empty_typeEEEZZNS1_29radix_sort_onesweep_iterationIS3_Lb0EN6thrust23THRUST_200600_302600_NS6detail15normal_iteratorINS9_10device_ptrIiEEEESE_PS5_SF_jNS0_19identity_decomposerENS1_16block_id_wrapperIjLb0EEEEE10hipError_tT1_PNSt15iterator_traitsISK_E10value_typeET2_T3_PNSL_ISQ_E10value_typeET4_T5_PSV_SW_PNS1_23onesweep_lookback_stateEbbT6_jjT7_P12ihipStream_tbENKUlT_T0_SK_SP_E_clISE_SE_SF_SF_EEDaS13_S14_SK_SP_EUlS13_E_NS1_11comp_targetILNS1_3genE10ELNS1_11target_archE1201ELNS1_3gpuE5ELNS1_3repE0EEENS1_47radix_sort_onesweep_sort_config_static_selectorELNS0_4arch9wavefront6targetE1EEEvSK_
	.globl	_ZN7rocprim17ROCPRIM_400000_NS6detail17trampoline_kernelINS0_14default_configENS1_35radix_sort_onesweep_config_selectorIiNS0_10empty_typeEEEZZNS1_29radix_sort_onesweep_iterationIS3_Lb0EN6thrust23THRUST_200600_302600_NS6detail15normal_iteratorINS9_10device_ptrIiEEEESE_PS5_SF_jNS0_19identity_decomposerENS1_16block_id_wrapperIjLb0EEEEE10hipError_tT1_PNSt15iterator_traitsISK_E10value_typeET2_T3_PNSL_ISQ_E10value_typeET4_T5_PSV_SW_PNS1_23onesweep_lookback_stateEbbT6_jjT7_P12ihipStream_tbENKUlT_T0_SK_SP_E_clISE_SE_SF_SF_EEDaS13_S14_SK_SP_EUlS13_E_NS1_11comp_targetILNS1_3genE10ELNS1_11target_archE1201ELNS1_3gpuE5ELNS1_3repE0EEENS1_47radix_sort_onesweep_sort_config_static_selectorELNS0_4arch9wavefront6targetE1EEEvSK_
	.p2align	8
	.type	_ZN7rocprim17ROCPRIM_400000_NS6detail17trampoline_kernelINS0_14default_configENS1_35radix_sort_onesweep_config_selectorIiNS0_10empty_typeEEEZZNS1_29radix_sort_onesweep_iterationIS3_Lb0EN6thrust23THRUST_200600_302600_NS6detail15normal_iteratorINS9_10device_ptrIiEEEESE_PS5_SF_jNS0_19identity_decomposerENS1_16block_id_wrapperIjLb0EEEEE10hipError_tT1_PNSt15iterator_traitsISK_E10value_typeET2_T3_PNSL_ISQ_E10value_typeET4_T5_PSV_SW_PNS1_23onesweep_lookback_stateEbbT6_jjT7_P12ihipStream_tbENKUlT_T0_SK_SP_E_clISE_SE_SF_SF_EEDaS13_S14_SK_SP_EUlS13_E_NS1_11comp_targetILNS1_3genE10ELNS1_11target_archE1201ELNS1_3gpuE5ELNS1_3repE0EEENS1_47radix_sort_onesweep_sort_config_static_selectorELNS0_4arch9wavefront6targetE1EEEvSK_,@function
_ZN7rocprim17ROCPRIM_400000_NS6detail17trampoline_kernelINS0_14default_configENS1_35radix_sort_onesweep_config_selectorIiNS0_10empty_typeEEEZZNS1_29radix_sort_onesweep_iterationIS3_Lb0EN6thrust23THRUST_200600_302600_NS6detail15normal_iteratorINS9_10device_ptrIiEEEESE_PS5_SF_jNS0_19identity_decomposerENS1_16block_id_wrapperIjLb0EEEEE10hipError_tT1_PNSt15iterator_traitsISK_E10value_typeET2_T3_PNSL_ISQ_E10value_typeET4_T5_PSV_SW_PNS1_23onesweep_lookback_stateEbbT6_jjT7_P12ihipStream_tbENKUlT_T0_SK_SP_E_clISE_SE_SF_SF_EEDaS13_S14_SK_SP_EUlS13_E_NS1_11comp_targetILNS1_3genE10ELNS1_11target_archE1201ELNS1_3gpuE5ELNS1_3repE0EEENS1_47radix_sort_onesweep_sort_config_static_selectorELNS0_4arch9wavefront6targetE1EEEvSK_: ; @_ZN7rocprim17ROCPRIM_400000_NS6detail17trampoline_kernelINS0_14default_configENS1_35radix_sort_onesweep_config_selectorIiNS0_10empty_typeEEEZZNS1_29radix_sort_onesweep_iterationIS3_Lb0EN6thrust23THRUST_200600_302600_NS6detail15normal_iteratorINS9_10device_ptrIiEEEESE_PS5_SF_jNS0_19identity_decomposerENS1_16block_id_wrapperIjLb0EEEEE10hipError_tT1_PNSt15iterator_traitsISK_E10value_typeET2_T3_PNSL_ISQ_E10value_typeET4_T5_PSV_SW_PNS1_23onesweep_lookback_stateEbbT6_jjT7_P12ihipStream_tbENKUlT_T0_SK_SP_E_clISE_SE_SF_SF_EEDaS13_S14_SK_SP_EUlS13_E_NS1_11comp_targetILNS1_3genE10ELNS1_11target_archE1201ELNS1_3gpuE5ELNS1_3repE0EEENS1_47radix_sort_onesweep_sort_config_static_selectorELNS0_4arch9wavefront6targetE1EEEvSK_
; %bb.0:
	.section	.rodata,"a",@progbits
	.p2align	6, 0x0
	.amdhsa_kernel _ZN7rocprim17ROCPRIM_400000_NS6detail17trampoline_kernelINS0_14default_configENS1_35radix_sort_onesweep_config_selectorIiNS0_10empty_typeEEEZZNS1_29radix_sort_onesweep_iterationIS3_Lb0EN6thrust23THRUST_200600_302600_NS6detail15normal_iteratorINS9_10device_ptrIiEEEESE_PS5_SF_jNS0_19identity_decomposerENS1_16block_id_wrapperIjLb0EEEEE10hipError_tT1_PNSt15iterator_traitsISK_E10value_typeET2_T3_PNSL_ISQ_E10value_typeET4_T5_PSV_SW_PNS1_23onesweep_lookback_stateEbbT6_jjT7_P12ihipStream_tbENKUlT_T0_SK_SP_E_clISE_SE_SF_SF_EEDaS13_S14_SK_SP_EUlS13_E_NS1_11comp_targetILNS1_3genE10ELNS1_11target_archE1201ELNS1_3gpuE5ELNS1_3repE0EEENS1_47radix_sort_onesweep_sort_config_static_selectorELNS0_4arch9wavefront6targetE1EEEvSK_
		.amdhsa_group_segment_fixed_size 0
		.amdhsa_private_segment_fixed_size 0
		.amdhsa_kernarg_size 88
		.amdhsa_user_sgpr_count 2
		.amdhsa_user_sgpr_dispatch_ptr 0
		.amdhsa_user_sgpr_queue_ptr 0
		.amdhsa_user_sgpr_kernarg_segment_ptr 1
		.amdhsa_user_sgpr_dispatch_id 0
		.amdhsa_user_sgpr_kernarg_preload_length 0
		.amdhsa_user_sgpr_kernarg_preload_offset 0
		.amdhsa_user_sgpr_private_segment_size 0
		.amdhsa_uses_dynamic_stack 0
		.amdhsa_enable_private_segment 0
		.amdhsa_system_sgpr_workgroup_id_x 1
		.amdhsa_system_sgpr_workgroup_id_y 0
		.amdhsa_system_sgpr_workgroup_id_z 0
		.amdhsa_system_sgpr_workgroup_info 0
		.amdhsa_system_vgpr_workitem_id 0
		.amdhsa_next_free_vgpr 1
		.amdhsa_next_free_sgpr 0
		.amdhsa_accum_offset 4
		.amdhsa_reserve_vcc 0
		.amdhsa_float_round_mode_32 0
		.amdhsa_float_round_mode_16_64 0
		.amdhsa_float_denorm_mode_32 3
		.amdhsa_float_denorm_mode_16_64 3
		.amdhsa_dx10_clamp 1
		.amdhsa_ieee_mode 1
		.amdhsa_fp16_overflow 0
		.amdhsa_tg_split 0
		.amdhsa_exception_fp_ieee_invalid_op 0
		.amdhsa_exception_fp_denorm_src 0
		.amdhsa_exception_fp_ieee_div_zero 0
		.amdhsa_exception_fp_ieee_overflow 0
		.amdhsa_exception_fp_ieee_underflow 0
		.amdhsa_exception_fp_ieee_inexact 0
		.amdhsa_exception_int_div_zero 0
	.end_amdhsa_kernel
	.section	.text._ZN7rocprim17ROCPRIM_400000_NS6detail17trampoline_kernelINS0_14default_configENS1_35radix_sort_onesweep_config_selectorIiNS0_10empty_typeEEEZZNS1_29radix_sort_onesweep_iterationIS3_Lb0EN6thrust23THRUST_200600_302600_NS6detail15normal_iteratorINS9_10device_ptrIiEEEESE_PS5_SF_jNS0_19identity_decomposerENS1_16block_id_wrapperIjLb0EEEEE10hipError_tT1_PNSt15iterator_traitsISK_E10value_typeET2_T3_PNSL_ISQ_E10value_typeET4_T5_PSV_SW_PNS1_23onesweep_lookback_stateEbbT6_jjT7_P12ihipStream_tbENKUlT_T0_SK_SP_E_clISE_SE_SF_SF_EEDaS13_S14_SK_SP_EUlS13_E_NS1_11comp_targetILNS1_3genE10ELNS1_11target_archE1201ELNS1_3gpuE5ELNS1_3repE0EEENS1_47radix_sort_onesweep_sort_config_static_selectorELNS0_4arch9wavefront6targetE1EEEvSK_,"axG",@progbits,_ZN7rocprim17ROCPRIM_400000_NS6detail17trampoline_kernelINS0_14default_configENS1_35radix_sort_onesweep_config_selectorIiNS0_10empty_typeEEEZZNS1_29radix_sort_onesweep_iterationIS3_Lb0EN6thrust23THRUST_200600_302600_NS6detail15normal_iteratorINS9_10device_ptrIiEEEESE_PS5_SF_jNS0_19identity_decomposerENS1_16block_id_wrapperIjLb0EEEEE10hipError_tT1_PNSt15iterator_traitsISK_E10value_typeET2_T3_PNSL_ISQ_E10value_typeET4_T5_PSV_SW_PNS1_23onesweep_lookback_stateEbbT6_jjT7_P12ihipStream_tbENKUlT_T0_SK_SP_E_clISE_SE_SF_SF_EEDaS13_S14_SK_SP_EUlS13_E_NS1_11comp_targetILNS1_3genE10ELNS1_11target_archE1201ELNS1_3gpuE5ELNS1_3repE0EEENS1_47radix_sort_onesweep_sort_config_static_selectorELNS0_4arch9wavefront6targetE1EEEvSK_,comdat
.Lfunc_end192:
	.size	_ZN7rocprim17ROCPRIM_400000_NS6detail17trampoline_kernelINS0_14default_configENS1_35radix_sort_onesweep_config_selectorIiNS0_10empty_typeEEEZZNS1_29radix_sort_onesweep_iterationIS3_Lb0EN6thrust23THRUST_200600_302600_NS6detail15normal_iteratorINS9_10device_ptrIiEEEESE_PS5_SF_jNS0_19identity_decomposerENS1_16block_id_wrapperIjLb0EEEEE10hipError_tT1_PNSt15iterator_traitsISK_E10value_typeET2_T3_PNSL_ISQ_E10value_typeET4_T5_PSV_SW_PNS1_23onesweep_lookback_stateEbbT6_jjT7_P12ihipStream_tbENKUlT_T0_SK_SP_E_clISE_SE_SF_SF_EEDaS13_S14_SK_SP_EUlS13_E_NS1_11comp_targetILNS1_3genE10ELNS1_11target_archE1201ELNS1_3gpuE5ELNS1_3repE0EEENS1_47radix_sort_onesweep_sort_config_static_selectorELNS0_4arch9wavefront6targetE1EEEvSK_, .Lfunc_end192-_ZN7rocprim17ROCPRIM_400000_NS6detail17trampoline_kernelINS0_14default_configENS1_35radix_sort_onesweep_config_selectorIiNS0_10empty_typeEEEZZNS1_29radix_sort_onesweep_iterationIS3_Lb0EN6thrust23THRUST_200600_302600_NS6detail15normal_iteratorINS9_10device_ptrIiEEEESE_PS5_SF_jNS0_19identity_decomposerENS1_16block_id_wrapperIjLb0EEEEE10hipError_tT1_PNSt15iterator_traitsISK_E10value_typeET2_T3_PNSL_ISQ_E10value_typeET4_T5_PSV_SW_PNS1_23onesweep_lookback_stateEbbT6_jjT7_P12ihipStream_tbENKUlT_T0_SK_SP_E_clISE_SE_SF_SF_EEDaS13_S14_SK_SP_EUlS13_E_NS1_11comp_targetILNS1_3genE10ELNS1_11target_archE1201ELNS1_3gpuE5ELNS1_3repE0EEENS1_47radix_sort_onesweep_sort_config_static_selectorELNS0_4arch9wavefront6targetE1EEEvSK_
                                        ; -- End function
	.set _ZN7rocprim17ROCPRIM_400000_NS6detail17trampoline_kernelINS0_14default_configENS1_35radix_sort_onesweep_config_selectorIiNS0_10empty_typeEEEZZNS1_29radix_sort_onesweep_iterationIS3_Lb0EN6thrust23THRUST_200600_302600_NS6detail15normal_iteratorINS9_10device_ptrIiEEEESE_PS5_SF_jNS0_19identity_decomposerENS1_16block_id_wrapperIjLb0EEEEE10hipError_tT1_PNSt15iterator_traitsISK_E10value_typeET2_T3_PNSL_ISQ_E10value_typeET4_T5_PSV_SW_PNS1_23onesweep_lookback_stateEbbT6_jjT7_P12ihipStream_tbENKUlT_T0_SK_SP_E_clISE_SE_SF_SF_EEDaS13_S14_SK_SP_EUlS13_E_NS1_11comp_targetILNS1_3genE10ELNS1_11target_archE1201ELNS1_3gpuE5ELNS1_3repE0EEENS1_47radix_sort_onesweep_sort_config_static_selectorELNS0_4arch9wavefront6targetE1EEEvSK_.num_vgpr, 0
	.set _ZN7rocprim17ROCPRIM_400000_NS6detail17trampoline_kernelINS0_14default_configENS1_35radix_sort_onesweep_config_selectorIiNS0_10empty_typeEEEZZNS1_29radix_sort_onesweep_iterationIS3_Lb0EN6thrust23THRUST_200600_302600_NS6detail15normal_iteratorINS9_10device_ptrIiEEEESE_PS5_SF_jNS0_19identity_decomposerENS1_16block_id_wrapperIjLb0EEEEE10hipError_tT1_PNSt15iterator_traitsISK_E10value_typeET2_T3_PNSL_ISQ_E10value_typeET4_T5_PSV_SW_PNS1_23onesweep_lookback_stateEbbT6_jjT7_P12ihipStream_tbENKUlT_T0_SK_SP_E_clISE_SE_SF_SF_EEDaS13_S14_SK_SP_EUlS13_E_NS1_11comp_targetILNS1_3genE10ELNS1_11target_archE1201ELNS1_3gpuE5ELNS1_3repE0EEENS1_47radix_sort_onesweep_sort_config_static_selectorELNS0_4arch9wavefront6targetE1EEEvSK_.num_agpr, 0
	.set _ZN7rocprim17ROCPRIM_400000_NS6detail17trampoline_kernelINS0_14default_configENS1_35radix_sort_onesweep_config_selectorIiNS0_10empty_typeEEEZZNS1_29radix_sort_onesweep_iterationIS3_Lb0EN6thrust23THRUST_200600_302600_NS6detail15normal_iteratorINS9_10device_ptrIiEEEESE_PS5_SF_jNS0_19identity_decomposerENS1_16block_id_wrapperIjLb0EEEEE10hipError_tT1_PNSt15iterator_traitsISK_E10value_typeET2_T3_PNSL_ISQ_E10value_typeET4_T5_PSV_SW_PNS1_23onesweep_lookback_stateEbbT6_jjT7_P12ihipStream_tbENKUlT_T0_SK_SP_E_clISE_SE_SF_SF_EEDaS13_S14_SK_SP_EUlS13_E_NS1_11comp_targetILNS1_3genE10ELNS1_11target_archE1201ELNS1_3gpuE5ELNS1_3repE0EEENS1_47radix_sort_onesweep_sort_config_static_selectorELNS0_4arch9wavefront6targetE1EEEvSK_.numbered_sgpr, 0
	.set _ZN7rocprim17ROCPRIM_400000_NS6detail17trampoline_kernelINS0_14default_configENS1_35radix_sort_onesweep_config_selectorIiNS0_10empty_typeEEEZZNS1_29radix_sort_onesweep_iterationIS3_Lb0EN6thrust23THRUST_200600_302600_NS6detail15normal_iteratorINS9_10device_ptrIiEEEESE_PS5_SF_jNS0_19identity_decomposerENS1_16block_id_wrapperIjLb0EEEEE10hipError_tT1_PNSt15iterator_traitsISK_E10value_typeET2_T3_PNSL_ISQ_E10value_typeET4_T5_PSV_SW_PNS1_23onesweep_lookback_stateEbbT6_jjT7_P12ihipStream_tbENKUlT_T0_SK_SP_E_clISE_SE_SF_SF_EEDaS13_S14_SK_SP_EUlS13_E_NS1_11comp_targetILNS1_3genE10ELNS1_11target_archE1201ELNS1_3gpuE5ELNS1_3repE0EEENS1_47radix_sort_onesweep_sort_config_static_selectorELNS0_4arch9wavefront6targetE1EEEvSK_.num_named_barrier, 0
	.set _ZN7rocprim17ROCPRIM_400000_NS6detail17trampoline_kernelINS0_14default_configENS1_35radix_sort_onesweep_config_selectorIiNS0_10empty_typeEEEZZNS1_29radix_sort_onesweep_iterationIS3_Lb0EN6thrust23THRUST_200600_302600_NS6detail15normal_iteratorINS9_10device_ptrIiEEEESE_PS5_SF_jNS0_19identity_decomposerENS1_16block_id_wrapperIjLb0EEEEE10hipError_tT1_PNSt15iterator_traitsISK_E10value_typeET2_T3_PNSL_ISQ_E10value_typeET4_T5_PSV_SW_PNS1_23onesweep_lookback_stateEbbT6_jjT7_P12ihipStream_tbENKUlT_T0_SK_SP_E_clISE_SE_SF_SF_EEDaS13_S14_SK_SP_EUlS13_E_NS1_11comp_targetILNS1_3genE10ELNS1_11target_archE1201ELNS1_3gpuE5ELNS1_3repE0EEENS1_47radix_sort_onesweep_sort_config_static_selectorELNS0_4arch9wavefront6targetE1EEEvSK_.private_seg_size, 0
	.set _ZN7rocprim17ROCPRIM_400000_NS6detail17trampoline_kernelINS0_14default_configENS1_35radix_sort_onesweep_config_selectorIiNS0_10empty_typeEEEZZNS1_29radix_sort_onesweep_iterationIS3_Lb0EN6thrust23THRUST_200600_302600_NS6detail15normal_iteratorINS9_10device_ptrIiEEEESE_PS5_SF_jNS0_19identity_decomposerENS1_16block_id_wrapperIjLb0EEEEE10hipError_tT1_PNSt15iterator_traitsISK_E10value_typeET2_T3_PNSL_ISQ_E10value_typeET4_T5_PSV_SW_PNS1_23onesweep_lookback_stateEbbT6_jjT7_P12ihipStream_tbENKUlT_T0_SK_SP_E_clISE_SE_SF_SF_EEDaS13_S14_SK_SP_EUlS13_E_NS1_11comp_targetILNS1_3genE10ELNS1_11target_archE1201ELNS1_3gpuE5ELNS1_3repE0EEENS1_47radix_sort_onesweep_sort_config_static_selectorELNS0_4arch9wavefront6targetE1EEEvSK_.uses_vcc, 0
	.set _ZN7rocprim17ROCPRIM_400000_NS6detail17trampoline_kernelINS0_14default_configENS1_35radix_sort_onesweep_config_selectorIiNS0_10empty_typeEEEZZNS1_29radix_sort_onesweep_iterationIS3_Lb0EN6thrust23THRUST_200600_302600_NS6detail15normal_iteratorINS9_10device_ptrIiEEEESE_PS5_SF_jNS0_19identity_decomposerENS1_16block_id_wrapperIjLb0EEEEE10hipError_tT1_PNSt15iterator_traitsISK_E10value_typeET2_T3_PNSL_ISQ_E10value_typeET4_T5_PSV_SW_PNS1_23onesweep_lookback_stateEbbT6_jjT7_P12ihipStream_tbENKUlT_T0_SK_SP_E_clISE_SE_SF_SF_EEDaS13_S14_SK_SP_EUlS13_E_NS1_11comp_targetILNS1_3genE10ELNS1_11target_archE1201ELNS1_3gpuE5ELNS1_3repE0EEENS1_47radix_sort_onesweep_sort_config_static_selectorELNS0_4arch9wavefront6targetE1EEEvSK_.uses_flat_scratch, 0
	.set _ZN7rocprim17ROCPRIM_400000_NS6detail17trampoline_kernelINS0_14default_configENS1_35radix_sort_onesweep_config_selectorIiNS0_10empty_typeEEEZZNS1_29radix_sort_onesweep_iterationIS3_Lb0EN6thrust23THRUST_200600_302600_NS6detail15normal_iteratorINS9_10device_ptrIiEEEESE_PS5_SF_jNS0_19identity_decomposerENS1_16block_id_wrapperIjLb0EEEEE10hipError_tT1_PNSt15iterator_traitsISK_E10value_typeET2_T3_PNSL_ISQ_E10value_typeET4_T5_PSV_SW_PNS1_23onesweep_lookback_stateEbbT6_jjT7_P12ihipStream_tbENKUlT_T0_SK_SP_E_clISE_SE_SF_SF_EEDaS13_S14_SK_SP_EUlS13_E_NS1_11comp_targetILNS1_3genE10ELNS1_11target_archE1201ELNS1_3gpuE5ELNS1_3repE0EEENS1_47radix_sort_onesweep_sort_config_static_selectorELNS0_4arch9wavefront6targetE1EEEvSK_.has_dyn_sized_stack, 0
	.set _ZN7rocprim17ROCPRIM_400000_NS6detail17trampoline_kernelINS0_14default_configENS1_35radix_sort_onesweep_config_selectorIiNS0_10empty_typeEEEZZNS1_29radix_sort_onesweep_iterationIS3_Lb0EN6thrust23THRUST_200600_302600_NS6detail15normal_iteratorINS9_10device_ptrIiEEEESE_PS5_SF_jNS0_19identity_decomposerENS1_16block_id_wrapperIjLb0EEEEE10hipError_tT1_PNSt15iterator_traitsISK_E10value_typeET2_T3_PNSL_ISQ_E10value_typeET4_T5_PSV_SW_PNS1_23onesweep_lookback_stateEbbT6_jjT7_P12ihipStream_tbENKUlT_T0_SK_SP_E_clISE_SE_SF_SF_EEDaS13_S14_SK_SP_EUlS13_E_NS1_11comp_targetILNS1_3genE10ELNS1_11target_archE1201ELNS1_3gpuE5ELNS1_3repE0EEENS1_47radix_sort_onesweep_sort_config_static_selectorELNS0_4arch9wavefront6targetE1EEEvSK_.has_recursion, 0
	.set _ZN7rocprim17ROCPRIM_400000_NS6detail17trampoline_kernelINS0_14default_configENS1_35radix_sort_onesweep_config_selectorIiNS0_10empty_typeEEEZZNS1_29radix_sort_onesweep_iterationIS3_Lb0EN6thrust23THRUST_200600_302600_NS6detail15normal_iteratorINS9_10device_ptrIiEEEESE_PS5_SF_jNS0_19identity_decomposerENS1_16block_id_wrapperIjLb0EEEEE10hipError_tT1_PNSt15iterator_traitsISK_E10value_typeET2_T3_PNSL_ISQ_E10value_typeET4_T5_PSV_SW_PNS1_23onesweep_lookback_stateEbbT6_jjT7_P12ihipStream_tbENKUlT_T0_SK_SP_E_clISE_SE_SF_SF_EEDaS13_S14_SK_SP_EUlS13_E_NS1_11comp_targetILNS1_3genE10ELNS1_11target_archE1201ELNS1_3gpuE5ELNS1_3repE0EEENS1_47radix_sort_onesweep_sort_config_static_selectorELNS0_4arch9wavefront6targetE1EEEvSK_.has_indirect_call, 0
	.section	.AMDGPU.csdata,"",@progbits
; Kernel info:
; codeLenInByte = 0
; TotalNumSgprs: 6
; NumVgprs: 0
; NumAgprs: 0
; TotalNumVgprs: 0
; ScratchSize: 0
; MemoryBound: 0
; FloatMode: 240
; IeeeMode: 1
; LDSByteSize: 0 bytes/workgroup (compile time only)
; SGPRBlocks: 0
; VGPRBlocks: 0
; NumSGPRsForWavesPerEU: 6
; NumVGPRsForWavesPerEU: 1
; AccumOffset: 4
; Occupancy: 8
; WaveLimiterHint : 0
; COMPUTE_PGM_RSRC2:SCRATCH_EN: 0
; COMPUTE_PGM_RSRC2:USER_SGPR: 2
; COMPUTE_PGM_RSRC2:TRAP_HANDLER: 0
; COMPUTE_PGM_RSRC2:TGID_X_EN: 1
; COMPUTE_PGM_RSRC2:TGID_Y_EN: 0
; COMPUTE_PGM_RSRC2:TGID_Z_EN: 0
; COMPUTE_PGM_RSRC2:TIDIG_COMP_CNT: 0
; COMPUTE_PGM_RSRC3_GFX90A:ACCUM_OFFSET: 0
; COMPUTE_PGM_RSRC3_GFX90A:TG_SPLIT: 0
	.section	.text._ZN7rocprim17ROCPRIM_400000_NS6detail17trampoline_kernelINS0_14default_configENS1_35radix_sort_onesweep_config_selectorIiNS0_10empty_typeEEEZZNS1_29radix_sort_onesweep_iterationIS3_Lb0EN6thrust23THRUST_200600_302600_NS6detail15normal_iteratorINS9_10device_ptrIiEEEESE_PS5_SF_jNS0_19identity_decomposerENS1_16block_id_wrapperIjLb0EEEEE10hipError_tT1_PNSt15iterator_traitsISK_E10value_typeET2_T3_PNSL_ISQ_E10value_typeET4_T5_PSV_SW_PNS1_23onesweep_lookback_stateEbbT6_jjT7_P12ihipStream_tbENKUlT_T0_SK_SP_E_clISE_SE_SF_SF_EEDaS13_S14_SK_SP_EUlS13_E_NS1_11comp_targetILNS1_3genE9ELNS1_11target_archE1100ELNS1_3gpuE3ELNS1_3repE0EEENS1_47radix_sort_onesweep_sort_config_static_selectorELNS0_4arch9wavefront6targetE1EEEvSK_,"axG",@progbits,_ZN7rocprim17ROCPRIM_400000_NS6detail17trampoline_kernelINS0_14default_configENS1_35radix_sort_onesweep_config_selectorIiNS0_10empty_typeEEEZZNS1_29radix_sort_onesweep_iterationIS3_Lb0EN6thrust23THRUST_200600_302600_NS6detail15normal_iteratorINS9_10device_ptrIiEEEESE_PS5_SF_jNS0_19identity_decomposerENS1_16block_id_wrapperIjLb0EEEEE10hipError_tT1_PNSt15iterator_traitsISK_E10value_typeET2_T3_PNSL_ISQ_E10value_typeET4_T5_PSV_SW_PNS1_23onesweep_lookback_stateEbbT6_jjT7_P12ihipStream_tbENKUlT_T0_SK_SP_E_clISE_SE_SF_SF_EEDaS13_S14_SK_SP_EUlS13_E_NS1_11comp_targetILNS1_3genE9ELNS1_11target_archE1100ELNS1_3gpuE3ELNS1_3repE0EEENS1_47radix_sort_onesweep_sort_config_static_selectorELNS0_4arch9wavefront6targetE1EEEvSK_,comdat
	.protected	_ZN7rocprim17ROCPRIM_400000_NS6detail17trampoline_kernelINS0_14default_configENS1_35radix_sort_onesweep_config_selectorIiNS0_10empty_typeEEEZZNS1_29radix_sort_onesweep_iterationIS3_Lb0EN6thrust23THRUST_200600_302600_NS6detail15normal_iteratorINS9_10device_ptrIiEEEESE_PS5_SF_jNS0_19identity_decomposerENS1_16block_id_wrapperIjLb0EEEEE10hipError_tT1_PNSt15iterator_traitsISK_E10value_typeET2_T3_PNSL_ISQ_E10value_typeET4_T5_PSV_SW_PNS1_23onesweep_lookback_stateEbbT6_jjT7_P12ihipStream_tbENKUlT_T0_SK_SP_E_clISE_SE_SF_SF_EEDaS13_S14_SK_SP_EUlS13_E_NS1_11comp_targetILNS1_3genE9ELNS1_11target_archE1100ELNS1_3gpuE3ELNS1_3repE0EEENS1_47radix_sort_onesweep_sort_config_static_selectorELNS0_4arch9wavefront6targetE1EEEvSK_ ; -- Begin function _ZN7rocprim17ROCPRIM_400000_NS6detail17trampoline_kernelINS0_14default_configENS1_35radix_sort_onesweep_config_selectorIiNS0_10empty_typeEEEZZNS1_29radix_sort_onesweep_iterationIS3_Lb0EN6thrust23THRUST_200600_302600_NS6detail15normal_iteratorINS9_10device_ptrIiEEEESE_PS5_SF_jNS0_19identity_decomposerENS1_16block_id_wrapperIjLb0EEEEE10hipError_tT1_PNSt15iterator_traitsISK_E10value_typeET2_T3_PNSL_ISQ_E10value_typeET4_T5_PSV_SW_PNS1_23onesweep_lookback_stateEbbT6_jjT7_P12ihipStream_tbENKUlT_T0_SK_SP_E_clISE_SE_SF_SF_EEDaS13_S14_SK_SP_EUlS13_E_NS1_11comp_targetILNS1_3genE9ELNS1_11target_archE1100ELNS1_3gpuE3ELNS1_3repE0EEENS1_47radix_sort_onesweep_sort_config_static_selectorELNS0_4arch9wavefront6targetE1EEEvSK_
	.globl	_ZN7rocprim17ROCPRIM_400000_NS6detail17trampoline_kernelINS0_14default_configENS1_35radix_sort_onesweep_config_selectorIiNS0_10empty_typeEEEZZNS1_29radix_sort_onesweep_iterationIS3_Lb0EN6thrust23THRUST_200600_302600_NS6detail15normal_iteratorINS9_10device_ptrIiEEEESE_PS5_SF_jNS0_19identity_decomposerENS1_16block_id_wrapperIjLb0EEEEE10hipError_tT1_PNSt15iterator_traitsISK_E10value_typeET2_T3_PNSL_ISQ_E10value_typeET4_T5_PSV_SW_PNS1_23onesweep_lookback_stateEbbT6_jjT7_P12ihipStream_tbENKUlT_T0_SK_SP_E_clISE_SE_SF_SF_EEDaS13_S14_SK_SP_EUlS13_E_NS1_11comp_targetILNS1_3genE9ELNS1_11target_archE1100ELNS1_3gpuE3ELNS1_3repE0EEENS1_47radix_sort_onesweep_sort_config_static_selectorELNS0_4arch9wavefront6targetE1EEEvSK_
	.p2align	8
	.type	_ZN7rocprim17ROCPRIM_400000_NS6detail17trampoline_kernelINS0_14default_configENS1_35radix_sort_onesweep_config_selectorIiNS0_10empty_typeEEEZZNS1_29radix_sort_onesweep_iterationIS3_Lb0EN6thrust23THRUST_200600_302600_NS6detail15normal_iteratorINS9_10device_ptrIiEEEESE_PS5_SF_jNS0_19identity_decomposerENS1_16block_id_wrapperIjLb0EEEEE10hipError_tT1_PNSt15iterator_traitsISK_E10value_typeET2_T3_PNSL_ISQ_E10value_typeET4_T5_PSV_SW_PNS1_23onesweep_lookback_stateEbbT6_jjT7_P12ihipStream_tbENKUlT_T0_SK_SP_E_clISE_SE_SF_SF_EEDaS13_S14_SK_SP_EUlS13_E_NS1_11comp_targetILNS1_3genE9ELNS1_11target_archE1100ELNS1_3gpuE3ELNS1_3repE0EEENS1_47radix_sort_onesweep_sort_config_static_selectorELNS0_4arch9wavefront6targetE1EEEvSK_,@function
_ZN7rocprim17ROCPRIM_400000_NS6detail17trampoline_kernelINS0_14default_configENS1_35radix_sort_onesweep_config_selectorIiNS0_10empty_typeEEEZZNS1_29radix_sort_onesweep_iterationIS3_Lb0EN6thrust23THRUST_200600_302600_NS6detail15normal_iteratorINS9_10device_ptrIiEEEESE_PS5_SF_jNS0_19identity_decomposerENS1_16block_id_wrapperIjLb0EEEEE10hipError_tT1_PNSt15iterator_traitsISK_E10value_typeET2_T3_PNSL_ISQ_E10value_typeET4_T5_PSV_SW_PNS1_23onesweep_lookback_stateEbbT6_jjT7_P12ihipStream_tbENKUlT_T0_SK_SP_E_clISE_SE_SF_SF_EEDaS13_S14_SK_SP_EUlS13_E_NS1_11comp_targetILNS1_3genE9ELNS1_11target_archE1100ELNS1_3gpuE3ELNS1_3repE0EEENS1_47radix_sort_onesweep_sort_config_static_selectorELNS0_4arch9wavefront6targetE1EEEvSK_: ; @_ZN7rocprim17ROCPRIM_400000_NS6detail17trampoline_kernelINS0_14default_configENS1_35radix_sort_onesweep_config_selectorIiNS0_10empty_typeEEEZZNS1_29radix_sort_onesweep_iterationIS3_Lb0EN6thrust23THRUST_200600_302600_NS6detail15normal_iteratorINS9_10device_ptrIiEEEESE_PS5_SF_jNS0_19identity_decomposerENS1_16block_id_wrapperIjLb0EEEEE10hipError_tT1_PNSt15iterator_traitsISK_E10value_typeET2_T3_PNSL_ISQ_E10value_typeET4_T5_PSV_SW_PNS1_23onesweep_lookback_stateEbbT6_jjT7_P12ihipStream_tbENKUlT_T0_SK_SP_E_clISE_SE_SF_SF_EEDaS13_S14_SK_SP_EUlS13_E_NS1_11comp_targetILNS1_3genE9ELNS1_11target_archE1100ELNS1_3gpuE3ELNS1_3repE0EEENS1_47radix_sort_onesweep_sort_config_static_selectorELNS0_4arch9wavefront6targetE1EEEvSK_
; %bb.0:
	.section	.rodata,"a",@progbits
	.p2align	6, 0x0
	.amdhsa_kernel _ZN7rocprim17ROCPRIM_400000_NS6detail17trampoline_kernelINS0_14default_configENS1_35radix_sort_onesweep_config_selectorIiNS0_10empty_typeEEEZZNS1_29radix_sort_onesweep_iterationIS3_Lb0EN6thrust23THRUST_200600_302600_NS6detail15normal_iteratorINS9_10device_ptrIiEEEESE_PS5_SF_jNS0_19identity_decomposerENS1_16block_id_wrapperIjLb0EEEEE10hipError_tT1_PNSt15iterator_traitsISK_E10value_typeET2_T3_PNSL_ISQ_E10value_typeET4_T5_PSV_SW_PNS1_23onesweep_lookback_stateEbbT6_jjT7_P12ihipStream_tbENKUlT_T0_SK_SP_E_clISE_SE_SF_SF_EEDaS13_S14_SK_SP_EUlS13_E_NS1_11comp_targetILNS1_3genE9ELNS1_11target_archE1100ELNS1_3gpuE3ELNS1_3repE0EEENS1_47radix_sort_onesweep_sort_config_static_selectorELNS0_4arch9wavefront6targetE1EEEvSK_
		.amdhsa_group_segment_fixed_size 0
		.amdhsa_private_segment_fixed_size 0
		.amdhsa_kernarg_size 88
		.amdhsa_user_sgpr_count 2
		.amdhsa_user_sgpr_dispatch_ptr 0
		.amdhsa_user_sgpr_queue_ptr 0
		.amdhsa_user_sgpr_kernarg_segment_ptr 1
		.amdhsa_user_sgpr_dispatch_id 0
		.amdhsa_user_sgpr_kernarg_preload_length 0
		.amdhsa_user_sgpr_kernarg_preload_offset 0
		.amdhsa_user_sgpr_private_segment_size 0
		.amdhsa_uses_dynamic_stack 0
		.amdhsa_enable_private_segment 0
		.amdhsa_system_sgpr_workgroup_id_x 1
		.amdhsa_system_sgpr_workgroup_id_y 0
		.amdhsa_system_sgpr_workgroup_id_z 0
		.amdhsa_system_sgpr_workgroup_info 0
		.amdhsa_system_vgpr_workitem_id 0
		.amdhsa_next_free_vgpr 1
		.amdhsa_next_free_sgpr 0
		.amdhsa_accum_offset 4
		.amdhsa_reserve_vcc 0
		.amdhsa_float_round_mode_32 0
		.amdhsa_float_round_mode_16_64 0
		.amdhsa_float_denorm_mode_32 3
		.amdhsa_float_denorm_mode_16_64 3
		.amdhsa_dx10_clamp 1
		.amdhsa_ieee_mode 1
		.amdhsa_fp16_overflow 0
		.amdhsa_tg_split 0
		.amdhsa_exception_fp_ieee_invalid_op 0
		.amdhsa_exception_fp_denorm_src 0
		.amdhsa_exception_fp_ieee_div_zero 0
		.amdhsa_exception_fp_ieee_overflow 0
		.amdhsa_exception_fp_ieee_underflow 0
		.amdhsa_exception_fp_ieee_inexact 0
		.amdhsa_exception_int_div_zero 0
	.end_amdhsa_kernel
	.section	.text._ZN7rocprim17ROCPRIM_400000_NS6detail17trampoline_kernelINS0_14default_configENS1_35radix_sort_onesweep_config_selectorIiNS0_10empty_typeEEEZZNS1_29radix_sort_onesweep_iterationIS3_Lb0EN6thrust23THRUST_200600_302600_NS6detail15normal_iteratorINS9_10device_ptrIiEEEESE_PS5_SF_jNS0_19identity_decomposerENS1_16block_id_wrapperIjLb0EEEEE10hipError_tT1_PNSt15iterator_traitsISK_E10value_typeET2_T3_PNSL_ISQ_E10value_typeET4_T5_PSV_SW_PNS1_23onesweep_lookback_stateEbbT6_jjT7_P12ihipStream_tbENKUlT_T0_SK_SP_E_clISE_SE_SF_SF_EEDaS13_S14_SK_SP_EUlS13_E_NS1_11comp_targetILNS1_3genE9ELNS1_11target_archE1100ELNS1_3gpuE3ELNS1_3repE0EEENS1_47radix_sort_onesweep_sort_config_static_selectorELNS0_4arch9wavefront6targetE1EEEvSK_,"axG",@progbits,_ZN7rocprim17ROCPRIM_400000_NS6detail17trampoline_kernelINS0_14default_configENS1_35radix_sort_onesweep_config_selectorIiNS0_10empty_typeEEEZZNS1_29radix_sort_onesweep_iterationIS3_Lb0EN6thrust23THRUST_200600_302600_NS6detail15normal_iteratorINS9_10device_ptrIiEEEESE_PS5_SF_jNS0_19identity_decomposerENS1_16block_id_wrapperIjLb0EEEEE10hipError_tT1_PNSt15iterator_traitsISK_E10value_typeET2_T3_PNSL_ISQ_E10value_typeET4_T5_PSV_SW_PNS1_23onesweep_lookback_stateEbbT6_jjT7_P12ihipStream_tbENKUlT_T0_SK_SP_E_clISE_SE_SF_SF_EEDaS13_S14_SK_SP_EUlS13_E_NS1_11comp_targetILNS1_3genE9ELNS1_11target_archE1100ELNS1_3gpuE3ELNS1_3repE0EEENS1_47radix_sort_onesweep_sort_config_static_selectorELNS0_4arch9wavefront6targetE1EEEvSK_,comdat
.Lfunc_end193:
	.size	_ZN7rocprim17ROCPRIM_400000_NS6detail17trampoline_kernelINS0_14default_configENS1_35radix_sort_onesweep_config_selectorIiNS0_10empty_typeEEEZZNS1_29radix_sort_onesweep_iterationIS3_Lb0EN6thrust23THRUST_200600_302600_NS6detail15normal_iteratorINS9_10device_ptrIiEEEESE_PS5_SF_jNS0_19identity_decomposerENS1_16block_id_wrapperIjLb0EEEEE10hipError_tT1_PNSt15iterator_traitsISK_E10value_typeET2_T3_PNSL_ISQ_E10value_typeET4_T5_PSV_SW_PNS1_23onesweep_lookback_stateEbbT6_jjT7_P12ihipStream_tbENKUlT_T0_SK_SP_E_clISE_SE_SF_SF_EEDaS13_S14_SK_SP_EUlS13_E_NS1_11comp_targetILNS1_3genE9ELNS1_11target_archE1100ELNS1_3gpuE3ELNS1_3repE0EEENS1_47radix_sort_onesweep_sort_config_static_selectorELNS0_4arch9wavefront6targetE1EEEvSK_, .Lfunc_end193-_ZN7rocprim17ROCPRIM_400000_NS6detail17trampoline_kernelINS0_14default_configENS1_35radix_sort_onesweep_config_selectorIiNS0_10empty_typeEEEZZNS1_29radix_sort_onesweep_iterationIS3_Lb0EN6thrust23THRUST_200600_302600_NS6detail15normal_iteratorINS9_10device_ptrIiEEEESE_PS5_SF_jNS0_19identity_decomposerENS1_16block_id_wrapperIjLb0EEEEE10hipError_tT1_PNSt15iterator_traitsISK_E10value_typeET2_T3_PNSL_ISQ_E10value_typeET4_T5_PSV_SW_PNS1_23onesweep_lookback_stateEbbT6_jjT7_P12ihipStream_tbENKUlT_T0_SK_SP_E_clISE_SE_SF_SF_EEDaS13_S14_SK_SP_EUlS13_E_NS1_11comp_targetILNS1_3genE9ELNS1_11target_archE1100ELNS1_3gpuE3ELNS1_3repE0EEENS1_47radix_sort_onesweep_sort_config_static_selectorELNS0_4arch9wavefront6targetE1EEEvSK_
                                        ; -- End function
	.set _ZN7rocprim17ROCPRIM_400000_NS6detail17trampoline_kernelINS0_14default_configENS1_35radix_sort_onesweep_config_selectorIiNS0_10empty_typeEEEZZNS1_29radix_sort_onesweep_iterationIS3_Lb0EN6thrust23THRUST_200600_302600_NS6detail15normal_iteratorINS9_10device_ptrIiEEEESE_PS5_SF_jNS0_19identity_decomposerENS1_16block_id_wrapperIjLb0EEEEE10hipError_tT1_PNSt15iterator_traitsISK_E10value_typeET2_T3_PNSL_ISQ_E10value_typeET4_T5_PSV_SW_PNS1_23onesweep_lookback_stateEbbT6_jjT7_P12ihipStream_tbENKUlT_T0_SK_SP_E_clISE_SE_SF_SF_EEDaS13_S14_SK_SP_EUlS13_E_NS1_11comp_targetILNS1_3genE9ELNS1_11target_archE1100ELNS1_3gpuE3ELNS1_3repE0EEENS1_47radix_sort_onesweep_sort_config_static_selectorELNS0_4arch9wavefront6targetE1EEEvSK_.num_vgpr, 0
	.set _ZN7rocprim17ROCPRIM_400000_NS6detail17trampoline_kernelINS0_14default_configENS1_35radix_sort_onesweep_config_selectorIiNS0_10empty_typeEEEZZNS1_29radix_sort_onesweep_iterationIS3_Lb0EN6thrust23THRUST_200600_302600_NS6detail15normal_iteratorINS9_10device_ptrIiEEEESE_PS5_SF_jNS0_19identity_decomposerENS1_16block_id_wrapperIjLb0EEEEE10hipError_tT1_PNSt15iterator_traitsISK_E10value_typeET2_T3_PNSL_ISQ_E10value_typeET4_T5_PSV_SW_PNS1_23onesweep_lookback_stateEbbT6_jjT7_P12ihipStream_tbENKUlT_T0_SK_SP_E_clISE_SE_SF_SF_EEDaS13_S14_SK_SP_EUlS13_E_NS1_11comp_targetILNS1_3genE9ELNS1_11target_archE1100ELNS1_3gpuE3ELNS1_3repE0EEENS1_47radix_sort_onesweep_sort_config_static_selectorELNS0_4arch9wavefront6targetE1EEEvSK_.num_agpr, 0
	.set _ZN7rocprim17ROCPRIM_400000_NS6detail17trampoline_kernelINS0_14default_configENS1_35radix_sort_onesweep_config_selectorIiNS0_10empty_typeEEEZZNS1_29radix_sort_onesweep_iterationIS3_Lb0EN6thrust23THRUST_200600_302600_NS6detail15normal_iteratorINS9_10device_ptrIiEEEESE_PS5_SF_jNS0_19identity_decomposerENS1_16block_id_wrapperIjLb0EEEEE10hipError_tT1_PNSt15iterator_traitsISK_E10value_typeET2_T3_PNSL_ISQ_E10value_typeET4_T5_PSV_SW_PNS1_23onesweep_lookback_stateEbbT6_jjT7_P12ihipStream_tbENKUlT_T0_SK_SP_E_clISE_SE_SF_SF_EEDaS13_S14_SK_SP_EUlS13_E_NS1_11comp_targetILNS1_3genE9ELNS1_11target_archE1100ELNS1_3gpuE3ELNS1_3repE0EEENS1_47radix_sort_onesweep_sort_config_static_selectorELNS0_4arch9wavefront6targetE1EEEvSK_.numbered_sgpr, 0
	.set _ZN7rocprim17ROCPRIM_400000_NS6detail17trampoline_kernelINS0_14default_configENS1_35radix_sort_onesweep_config_selectorIiNS0_10empty_typeEEEZZNS1_29radix_sort_onesweep_iterationIS3_Lb0EN6thrust23THRUST_200600_302600_NS6detail15normal_iteratorINS9_10device_ptrIiEEEESE_PS5_SF_jNS0_19identity_decomposerENS1_16block_id_wrapperIjLb0EEEEE10hipError_tT1_PNSt15iterator_traitsISK_E10value_typeET2_T3_PNSL_ISQ_E10value_typeET4_T5_PSV_SW_PNS1_23onesweep_lookback_stateEbbT6_jjT7_P12ihipStream_tbENKUlT_T0_SK_SP_E_clISE_SE_SF_SF_EEDaS13_S14_SK_SP_EUlS13_E_NS1_11comp_targetILNS1_3genE9ELNS1_11target_archE1100ELNS1_3gpuE3ELNS1_3repE0EEENS1_47radix_sort_onesweep_sort_config_static_selectorELNS0_4arch9wavefront6targetE1EEEvSK_.num_named_barrier, 0
	.set _ZN7rocprim17ROCPRIM_400000_NS6detail17trampoline_kernelINS0_14default_configENS1_35radix_sort_onesweep_config_selectorIiNS0_10empty_typeEEEZZNS1_29radix_sort_onesweep_iterationIS3_Lb0EN6thrust23THRUST_200600_302600_NS6detail15normal_iteratorINS9_10device_ptrIiEEEESE_PS5_SF_jNS0_19identity_decomposerENS1_16block_id_wrapperIjLb0EEEEE10hipError_tT1_PNSt15iterator_traitsISK_E10value_typeET2_T3_PNSL_ISQ_E10value_typeET4_T5_PSV_SW_PNS1_23onesweep_lookback_stateEbbT6_jjT7_P12ihipStream_tbENKUlT_T0_SK_SP_E_clISE_SE_SF_SF_EEDaS13_S14_SK_SP_EUlS13_E_NS1_11comp_targetILNS1_3genE9ELNS1_11target_archE1100ELNS1_3gpuE3ELNS1_3repE0EEENS1_47radix_sort_onesweep_sort_config_static_selectorELNS0_4arch9wavefront6targetE1EEEvSK_.private_seg_size, 0
	.set _ZN7rocprim17ROCPRIM_400000_NS6detail17trampoline_kernelINS0_14default_configENS1_35radix_sort_onesweep_config_selectorIiNS0_10empty_typeEEEZZNS1_29radix_sort_onesweep_iterationIS3_Lb0EN6thrust23THRUST_200600_302600_NS6detail15normal_iteratorINS9_10device_ptrIiEEEESE_PS5_SF_jNS0_19identity_decomposerENS1_16block_id_wrapperIjLb0EEEEE10hipError_tT1_PNSt15iterator_traitsISK_E10value_typeET2_T3_PNSL_ISQ_E10value_typeET4_T5_PSV_SW_PNS1_23onesweep_lookback_stateEbbT6_jjT7_P12ihipStream_tbENKUlT_T0_SK_SP_E_clISE_SE_SF_SF_EEDaS13_S14_SK_SP_EUlS13_E_NS1_11comp_targetILNS1_3genE9ELNS1_11target_archE1100ELNS1_3gpuE3ELNS1_3repE0EEENS1_47radix_sort_onesweep_sort_config_static_selectorELNS0_4arch9wavefront6targetE1EEEvSK_.uses_vcc, 0
	.set _ZN7rocprim17ROCPRIM_400000_NS6detail17trampoline_kernelINS0_14default_configENS1_35radix_sort_onesweep_config_selectorIiNS0_10empty_typeEEEZZNS1_29radix_sort_onesweep_iterationIS3_Lb0EN6thrust23THRUST_200600_302600_NS6detail15normal_iteratorINS9_10device_ptrIiEEEESE_PS5_SF_jNS0_19identity_decomposerENS1_16block_id_wrapperIjLb0EEEEE10hipError_tT1_PNSt15iterator_traitsISK_E10value_typeET2_T3_PNSL_ISQ_E10value_typeET4_T5_PSV_SW_PNS1_23onesweep_lookback_stateEbbT6_jjT7_P12ihipStream_tbENKUlT_T0_SK_SP_E_clISE_SE_SF_SF_EEDaS13_S14_SK_SP_EUlS13_E_NS1_11comp_targetILNS1_3genE9ELNS1_11target_archE1100ELNS1_3gpuE3ELNS1_3repE0EEENS1_47radix_sort_onesweep_sort_config_static_selectorELNS0_4arch9wavefront6targetE1EEEvSK_.uses_flat_scratch, 0
	.set _ZN7rocprim17ROCPRIM_400000_NS6detail17trampoline_kernelINS0_14default_configENS1_35radix_sort_onesweep_config_selectorIiNS0_10empty_typeEEEZZNS1_29radix_sort_onesweep_iterationIS3_Lb0EN6thrust23THRUST_200600_302600_NS6detail15normal_iteratorINS9_10device_ptrIiEEEESE_PS5_SF_jNS0_19identity_decomposerENS1_16block_id_wrapperIjLb0EEEEE10hipError_tT1_PNSt15iterator_traitsISK_E10value_typeET2_T3_PNSL_ISQ_E10value_typeET4_T5_PSV_SW_PNS1_23onesweep_lookback_stateEbbT6_jjT7_P12ihipStream_tbENKUlT_T0_SK_SP_E_clISE_SE_SF_SF_EEDaS13_S14_SK_SP_EUlS13_E_NS1_11comp_targetILNS1_3genE9ELNS1_11target_archE1100ELNS1_3gpuE3ELNS1_3repE0EEENS1_47radix_sort_onesweep_sort_config_static_selectorELNS0_4arch9wavefront6targetE1EEEvSK_.has_dyn_sized_stack, 0
	.set _ZN7rocprim17ROCPRIM_400000_NS6detail17trampoline_kernelINS0_14default_configENS1_35radix_sort_onesweep_config_selectorIiNS0_10empty_typeEEEZZNS1_29radix_sort_onesweep_iterationIS3_Lb0EN6thrust23THRUST_200600_302600_NS6detail15normal_iteratorINS9_10device_ptrIiEEEESE_PS5_SF_jNS0_19identity_decomposerENS1_16block_id_wrapperIjLb0EEEEE10hipError_tT1_PNSt15iterator_traitsISK_E10value_typeET2_T3_PNSL_ISQ_E10value_typeET4_T5_PSV_SW_PNS1_23onesweep_lookback_stateEbbT6_jjT7_P12ihipStream_tbENKUlT_T0_SK_SP_E_clISE_SE_SF_SF_EEDaS13_S14_SK_SP_EUlS13_E_NS1_11comp_targetILNS1_3genE9ELNS1_11target_archE1100ELNS1_3gpuE3ELNS1_3repE0EEENS1_47radix_sort_onesweep_sort_config_static_selectorELNS0_4arch9wavefront6targetE1EEEvSK_.has_recursion, 0
	.set _ZN7rocprim17ROCPRIM_400000_NS6detail17trampoline_kernelINS0_14default_configENS1_35radix_sort_onesweep_config_selectorIiNS0_10empty_typeEEEZZNS1_29radix_sort_onesweep_iterationIS3_Lb0EN6thrust23THRUST_200600_302600_NS6detail15normal_iteratorINS9_10device_ptrIiEEEESE_PS5_SF_jNS0_19identity_decomposerENS1_16block_id_wrapperIjLb0EEEEE10hipError_tT1_PNSt15iterator_traitsISK_E10value_typeET2_T3_PNSL_ISQ_E10value_typeET4_T5_PSV_SW_PNS1_23onesweep_lookback_stateEbbT6_jjT7_P12ihipStream_tbENKUlT_T0_SK_SP_E_clISE_SE_SF_SF_EEDaS13_S14_SK_SP_EUlS13_E_NS1_11comp_targetILNS1_3genE9ELNS1_11target_archE1100ELNS1_3gpuE3ELNS1_3repE0EEENS1_47radix_sort_onesweep_sort_config_static_selectorELNS0_4arch9wavefront6targetE1EEEvSK_.has_indirect_call, 0
	.section	.AMDGPU.csdata,"",@progbits
; Kernel info:
; codeLenInByte = 0
; TotalNumSgprs: 6
; NumVgprs: 0
; NumAgprs: 0
; TotalNumVgprs: 0
; ScratchSize: 0
; MemoryBound: 0
; FloatMode: 240
; IeeeMode: 1
; LDSByteSize: 0 bytes/workgroup (compile time only)
; SGPRBlocks: 0
; VGPRBlocks: 0
; NumSGPRsForWavesPerEU: 6
; NumVGPRsForWavesPerEU: 1
; AccumOffset: 4
; Occupancy: 8
; WaveLimiterHint : 0
; COMPUTE_PGM_RSRC2:SCRATCH_EN: 0
; COMPUTE_PGM_RSRC2:USER_SGPR: 2
; COMPUTE_PGM_RSRC2:TRAP_HANDLER: 0
; COMPUTE_PGM_RSRC2:TGID_X_EN: 1
; COMPUTE_PGM_RSRC2:TGID_Y_EN: 0
; COMPUTE_PGM_RSRC2:TGID_Z_EN: 0
; COMPUTE_PGM_RSRC2:TIDIG_COMP_CNT: 0
; COMPUTE_PGM_RSRC3_GFX90A:ACCUM_OFFSET: 0
; COMPUTE_PGM_RSRC3_GFX90A:TG_SPLIT: 0
	.section	.text._ZN7rocprim17ROCPRIM_400000_NS6detail17trampoline_kernelINS0_14default_configENS1_35radix_sort_onesweep_config_selectorIiNS0_10empty_typeEEEZZNS1_29radix_sort_onesweep_iterationIS3_Lb0EN6thrust23THRUST_200600_302600_NS6detail15normal_iteratorINS9_10device_ptrIiEEEESE_PS5_SF_jNS0_19identity_decomposerENS1_16block_id_wrapperIjLb0EEEEE10hipError_tT1_PNSt15iterator_traitsISK_E10value_typeET2_T3_PNSL_ISQ_E10value_typeET4_T5_PSV_SW_PNS1_23onesweep_lookback_stateEbbT6_jjT7_P12ihipStream_tbENKUlT_T0_SK_SP_E_clISE_SE_SF_SF_EEDaS13_S14_SK_SP_EUlS13_E_NS1_11comp_targetILNS1_3genE8ELNS1_11target_archE1030ELNS1_3gpuE2ELNS1_3repE0EEENS1_47radix_sort_onesweep_sort_config_static_selectorELNS0_4arch9wavefront6targetE1EEEvSK_,"axG",@progbits,_ZN7rocprim17ROCPRIM_400000_NS6detail17trampoline_kernelINS0_14default_configENS1_35radix_sort_onesweep_config_selectorIiNS0_10empty_typeEEEZZNS1_29radix_sort_onesweep_iterationIS3_Lb0EN6thrust23THRUST_200600_302600_NS6detail15normal_iteratorINS9_10device_ptrIiEEEESE_PS5_SF_jNS0_19identity_decomposerENS1_16block_id_wrapperIjLb0EEEEE10hipError_tT1_PNSt15iterator_traitsISK_E10value_typeET2_T3_PNSL_ISQ_E10value_typeET4_T5_PSV_SW_PNS1_23onesweep_lookback_stateEbbT6_jjT7_P12ihipStream_tbENKUlT_T0_SK_SP_E_clISE_SE_SF_SF_EEDaS13_S14_SK_SP_EUlS13_E_NS1_11comp_targetILNS1_3genE8ELNS1_11target_archE1030ELNS1_3gpuE2ELNS1_3repE0EEENS1_47radix_sort_onesweep_sort_config_static_selectorELNS0_4arch9wavefront6targetE1EEEvSK_,comdat
	.protected	_ZN7rocprim17ROCPRIM_400000_NS6detail17trampoline_kernelINS0_14default_configENS1_35radix_sort_onesweep_config_selectorIiNS0_10empty_typeEEEZZNS1_29radix_sort_onesweep_iterationIS3_Lb0EN6thrust23THRUST_200600_302600_NS6detail15normal_iteratorINS9_10device_ptrIiEEEESE_PS5_SF_jNS0_19identity_decomposerENS1_16block_id_wrapperIjLb0EEEEE10hipError_tT1_PNSt15iterator_traitsISK_E10value_typeET2_T3_PNSL_ISQ_E10value_typeET4_T5_PSV_SW_PNS1_23onesweep_lookback_stateEbbT6_jjT7_P12ihipStream_tbENKUlT_T0_SK_SP_E_clISE_SE_SF_SF_EEDaS13_S14_SK_SP_EUlS13_E_NS1_11comp_targetILNS1_3genE8ELNS1_11target_archE1030ELNS1_3gpuE2ELNS1_3repE0EEENS1_47radix_sort_onesweep_sort_config_static_selectorELNS0_4arch9wavefront6targetE1EEEvSK_ ; -- Begin function _ZN7rocprim17ROCPRIM_400000_NS6detail17trampoline_kernelINS0_14default_configENS1_35radix_sort_onesweep_config_selectorIiNS0_10empty_typeEEEZZNS1_29radix_sort_onesweep_iterationIS3_Lb0EN6thrust23THRUST_200600_302600_NS6detail15normal_iteratorINS9_10device_ptrIiEEEESE_PS5_SF_jNS0_19identity_decomposerENS1_16block_id_wrapperIjLb0EEEEE10hipError_tT1_PNSt15iterator_traitsISK_E10value_typeET2_T3_PNSL_ISQ_E10value_typeET4_T5_PSV_SW_PNS1_23onesweep_lookback_stateEbbT6_jjT7_P12ihipStream_tbENKUlT_T0_SK_SP_E_clISE_SE_SF_SF_EEDaS13_S14_SK_SP_EUlS13_E_NS1_11comp_targetILNS1_3genE8ELNS1_11target_archE1030ELNS1_3gpuE2ELNS1_3repE0EEENS1_47radix_sort_onesweep_sort_config_static_selectorELNS0_4arch9wavefront6targetE1EEEvSK_
	.globl	_ZN7rocprim17ROCPRIM_400000_NS6detail17trampoline_kernelINS0_14default_configENS1_35radix_sort_onesweep_config_selectorIiNS0_10empty_typeEEEZZNS1_29radix_sort_onesweep_iterationIS3_Lb0EN6thrust23THRUST_200600_302600_NS6detail15normal_iteratorINS9_10device_ptrIiEEEESE_PS5_SF_jNS0_19identity_decomposerENS1_16block_id_wrapperIjLb0EEEEE10hipError_tT1_PNSt15iterator_traitsISK_E10value_typeET2_T3_PNSL_ISQ_E10value_typeET4_T5_PSV_SW_PNS1_23onesweep_lookback_stateEbbT6_jjT7_P12ihipStream_tbENKUlT_T0_SK_SP_E_clISE_SE_SF_SF_EEDaS13_S14_SK_SP_EUlS13_E_NS1_11comp_targetILNS1_3genE8ELNS1_11target_archE1030ELNS1_3gpuE2ELNS1_3repE0EEENS1_47radix_sort_onesweep_sort_config_static_selectorELNS0_4arch9wavefront6targetE1EEEvSK_
	.p2align	8
	.type	_ZN7rocprim17ROCPRIM_400000_NS6detail17trampoline_kernelINS0_14default_configENS1_35radix_sort_onesweep_config_selectorIiNS0_10empty_typeEEEZZNS1_29radix_sort_onesweep_iterationIS3_Lb0EN6thrust23THRUST_200600_302600_NS6detail15normal_iteratorINS9_10device_ptrIiEEEESE_PS5_SF_jNS0_19identity_decomposerENS1_16block_id_wrapperIjLb0EEEEE10hipError_tT1_PNSt15iterator_traitsISK_E10value_typeET2_T3_PNSL_ISQ_E10value_typeET4_T5_PSV_SW_PNS1_23onesweep_lookback_stateEbbT6_jjT7_P12ihipStream_tbENKUlT_T0_SK_SP_E_clISE_SE_SF_SF_EEDaS13_S14_SK_SP_EUlS13_E_NS1_11comp_targetILNS1_3genE8ELNS1_11target_archE1030ELNS1_3gpuE2ELNS1_3repE0EEENS1_47radix_sort_onesweep_sort_config_static_selectorELNS0_4arch9wavefront6targetE1EEEvSK_,@function
_ZN7rocprim17ROCPRIM_400000_NS6detail17trampoline_kernelINS0_14default_configENS1_35radix_sort_onesweep_config_selectorIiNS0_10empty_typeEEEZZNS1_29radix_sort_onesweep_iterationIS3_Lb0EN6thrust23THRUST_200600_302600_NS6detail15normal_iteratorINS9_10device_ptrIiEEEESE_PS5_SF_jNS0_19identity_decomposerENS1_16block_id_wrapperIjLb0EEEEE10hipError_tT1_PNSt15iterator_traitsISK_E10value_typeET2_T3_PNSL_ISQ_E10value_typeET4_T5_PSV_SW_PNS1_23onesweep_lookback_stateEbbT6_jjT7_P12ihipStream_tbENKUlT_T0_SK_SP_E_clISE_SE_SF_SF_EEDaS13_S14_SK_SP_EUlS13_E_NS1_11comp_targetILNS1_3genE8ELNS1_11target_archE1030ELNS1_3gpuE2ELNS1_3repE0EEENS1_47radix_sort_onesweep_sort_config_static_selectorELNS0_4arch9wavefront6targetE1EEEvSK_: ; @_ZN7rocprim17ROCPRIM_400000_NS6detail17trampoline_kernelINS0_14default_configENS1_35radix_sort_onesweep_config_selectorIiNS0_10empty_typeEEEZZNS1_29radix_sort_onesweep_iterationIS3_Lb0EN6thrust23THRUST_200600_302600_NS6detail15normal_iteratorINS9_10device_ptrIiEEEESE_PS5_SF_jNS0_19identity_decomposerENS1_16block_id_wrapperIjLb0EEEEE10hipError_tT1_PNSt15iterator_traitsISK_E10value_typeET2_T3_PNSL_ISQ_E10value_typeET4_T5_PSV_SW_PNS1_23onesweep_lookback_stateEbbT6_jjT7_P12ihipStream_tbENKUlT_T0_SK_SP_E_clISE_SE_SF_SF_EEDaS13_S14_SK_SP_EUlS13_E_NS1_11comp_targetILNS1_3genE8ELNS1_11target_archE1030ELNS1_3gpuE2ELNS1_3repE0EEENS1_47radix_sort_onesweep_sort_config_static_selectorELNS0_4arch9wavefront6targetE1EEEvSK_
; %bb.0:
	.section	.rodata,"a",@progbits
	.p2align	6, 0x0
	.amdhsa_kernel _ZN7rocprim17ROCPRIM_400000_NS6detail17trampoline_kernelINS0_14default_configENS1_35radix_sort_onesweep_config_selectorIiNS0_10empty_typeEEEZZNS1_29radix_sort_onesweep_iterationIS3_Lb0EN6thrust23THRUST_200600_302600_NS6detail15normal_iteratorINS9_10device_ptrIiEEEESE_PS5_SF_jNS0_19identity_decomposerENS1_16block_id_wrapperIjLb0EEEEE10hipError_tT1_PNSt15iterator_traitsISK_E10value_typeET2_T3_PNSL_ISQ_E10value_typeET4_T5_PSV_SW_PNS1_23onesweep_lookback_stateEbbT6_jjT7_P12ihipStream_tbENKUlT_T0_SK_SP_E_clISE_SE_SF_SF_EEDaS13_S14_SK_SP_EUlS13_E_NS1_11comp_targetILNS1_3genE8ELNS1_11target_archE1030ELNS1_3gpuE2ELNS1_3repE0EEENS1_47radix_sort_onesweep_sort_config_static_selectorELNS0_4arch9wavefront6targetE1EEEvSK_
		.amdhsa_group_segment_fixed_size 0
		.amdhsa_private_segment_fixed_size 0
		.amdhsa_kernarg_size 88
		.amdhsa_user_sgpr_count 2
		.amdhsa_user_sgpr_dispatch_ptr 0
		.amdhsa_user_sgpr_queue_ptr 0
		.amdhsa_user_sgpr_kernarg_segment_ptr 1
		.amdhsa_user_sgpr_dispatch_id 0
		.amdhsa_user_sgpr_kernarg_preload_length 0
		.amdhsa_user_sgpr_kernarg_preload_offset 0
		.amdhsa_user_sgpr_private_segment_size 0
		.amdhsa_uses_dynamic_stack 0
		.amdhsa_enable_private_segment 0
		.amdhsa_system_sgpr_workgroup_id_x 1
		.amdhsa_system_sgpr_workgroup_id_y 0
		.amdhsa_system_sgpr_workgroup_id_z 0
		.amdhsa_system_sgpr_workgroup_info 0
		.amdhsa_system_vgpr_workitem_id 0
		.amdhsa_next_free_vgpr 1
		.amdhsa_next_free_sgpr 0
		.amdhsa_accum_offset 4
		.amdhsa_reserve_vcc 0
		.amdhsa_float_round_mode_32 0
		.amdhsa_float_round_mode_16_64 0
		.amdhsa_float_denorm_mode_32 3
		.amdhsa_float_denorm_mode_16_64 3
		.amdhsa_dx10_clamp 1
		.amdhsa_ieee_mode 1
		.amdhsa_fp16_overflow 0
		.amdhsa_tg_split 0
		.amdhsa_exception_fp_ieee_invalid_op 0
		.amdhsa_exception_fp_denorm_src 0
		.amdhsa_exception_fp_ieee_div_zero 0
		.amdhsa_exception_fp_ieee_overflow 0
		.amdhsa_exception_fp_ieee_underflow 0
		.amdhsa_exception_fp_ieee_inexact 0
		.amdhsa_exception_int_div_zero 0
	.end_amdhsa_kernel
	.section	.text._ZN7rocprim17ROCPRIM_400000_NS6detail17trampoline_kernelINS0_14default_configENS1_35radix_sort_onesweep_config_selectorIiNS0_10empty_typeEEEZZNS1_29radix_sort_onesweep_iterationIS3_Lb0EN6thrust23THRUST_200600_302600_NS6detail15normal_iteratorINS9_10device_ptrIiEEEESE_PS5_SF_jNS0_19identity_decomposerENS1_16block_id_wrapperIjLb0EEEEE10hipError_tT1_PNSt15iterator_traitsISK_E10value_typeET2_T3_PNSL_ISQ_E10value_typeET4_T5_PSV_SW_PNS1_23onesweep_lookback_stateEbbT6_jjT7_P12ihipStream_tbENKUlT_T0_SK_SP_E_clISE_SE_SF_SF_EEDaS13_S14_SK_SP_EUlS13_E_NS1_11comp_targetILNS1_3genE8ELNS1_11target_archE1030ELNS1_3gpuE2ELNS1_3repE0EEENS1_47radix_sort_onesweep_sort_config_static_selectorELNS0_4arch9wavefront6targetE1EEEvSK_,"axG",@progbits,_ZN7rocprim17ROCPRIM_400000_NS6detail17trampoline_kernelINS0_14default_configENS1_35radix_sort_onesweep_config_selectorIiNS0_10empty_typeEEEZZNS1_29radix_sort_onesweep_iterationIS3_Lb0EN6thrust23THRUST_200600_302600_NS6detail15normal_iteratorINS9_10device_ptrIiEEEESE_PS5_SF_jNS0_19identity_decomposerENS1_16block_id_wrapperIjLb0EEEEE10hipError_tT1_PNSt15iterator_traitsISK_E10value_typeET2_T3_PNSL_ISQ_E10value_typeET4_T5_PSV_SW_PNS1_23onesweep_lookback_stateEbbT6_jjT7_P12ihipStream_tbENKUlT_T0_SK_SP_E_clISE_SE_SF_SF_EEDaS13_S14_SK_SP_EUlS13_E_NS1_11comp_targetILNS1_3genE8ELNS1_11target_archE1030ELNS1_3gpuE2ELNS1_3repE0EEENS1_47radix_sort_onesweep_sort_config_static_selectorELNS0_4arch9wavefront6targetE1EEEvSK_,comdat
.Lfunc_end194:
	.size	_ZN7rocprim17ROCPRIM_400000_NS6detail17trampoline_kernelINS0_14default_configENS1_35radix_sort_onesweep_config_selectorIiNS0_10empty_typeEEEZZNS1_29radix_sort_onesweep_iterationIS3_Lb0EN6thrust23THRUST_200600_302600_NS6detail15normal_iteratorINS9_10device_ptrIiEEEESE_PS5_SF_jNS0_19identity_decomposerENS1_16block_id_wrapperIjLb0EEEEE10hipError_tT1_PNSt15iterator_traitsISK_E10value_typeET2_T3_PNSL_ISQ_E10value_typeET4_T5_PSV_SW_PNS1_23onesweep_lookback_stateEbbT6_jjT7_P12ihipStream_tbENKUlT_T0_SK_SP_E_clISE_SE_SF_SF_EEDaS13_S14_SK_SP_EUlS13_E_NS1_11comp_targetILNS1_3genE8ELNS1_11target_archE1030ELNS1_3gpuE2ELNS1_3repE0EEENS1_47radix_sort_onesweep_sort_config_static_selectorELNS0_4arch9wavefront6targetE1EEEvSK_, .Lfunc_end194-_ZN7rocprim17ROCPRIM_400000_NS6detail17trampoline_kernelINS0_14default_configENS1_35radix_sort_onesweep_config_selectorIiNS0_10empty_typeEEEZZNS1_29radix_sort_onesweep_iterationIS3_Lb0EN6thrust23THRUST_200600_302600_NS6detail15normal_iteratorINS9_10device_ptrIiEEEESE_PS5_SF_jNS0_19identity_decomposerENS1_16block_id_wrapperIjLb0EEEEE10hipError_tT1_PNSt15iterator_traitsISK_E10value_typeET2_T3_PNSL_ISQ_E10value_typeET4_T5_PSV_SW_PNS1_23onesweep_lookback_stateEbbT6_jjT7_P12ihipStream_tbENKUlT_T0_SK_SP_E_clISE_SE_SF_SF_EEDaS13_S14_SK_SP_EUlS13_E_NS1_11comp_targetILNS1_3genE8ELNS1_11target_archE1030ELNS1_3gpuE2ELNS1_3repE0EEENS1_47radix_sort_onesweep_sort_config_static_selectorELNS0_4arch9wavefront6targetE1EEEvSK_
                                        ; -- End function
	.set _ZN7rocprim17ROCPRIM_400000_NS6detail17trampoline_kernelINS0_14default_configENS1_35radix_sort_onesweep_config_selectorIiNS0_10empty_typeEEEZZNS1_29radix_sort_onesweep_iterationIS3_Lb0EN6thrust23THRUST_200600_302600_NS6detail15normal_iteratorINS9_10device_ptrIiEEEESE_PS5_SF_jNS0_19identity_decomposerENS1_16block_id_wrapperIjLb0EEEEE10hipError_tT1_PNSt15iterator_traitsISK_E10value_typeET2_T3_PNSL_ISQ_E10value_typeET4_T5_PSV_SW_PNS1_23onesweep_lookback_stateEbbT6_jjT7_P12ihipStream_tbENKUlT_T0_SK_SP_E_clISE_SE_SF_SF_EEDaS13_S14_SK_SP_EUlS13_E_NS1_11comp_targetILNS1_3genE8ELNS1_11target_archE1030ELNS1_3gpuE2ELNS1_3repE0EEENS1_47radix_sort_onesweep_sort_config_static_selectorELNS0_4arch9wavefront6targetE1EEEvSK_.num_vgpr, 0
	.set _ZN7rocprim17ROCPRIM_400000_NS6detail17trampoline_kernelINS0_14default_configENS1_35radix_sort_onesweep_config_selectorIiNS0_10empty_typeEEEZZNS1_29radix_sort_onesweep_iterationIS3_Lb0EN6thrust23THRUST_200600_302600_NS6detail15normal_iteratorINS9_10device_ptrIiEEEESE_PS5_SF_jNS0_19identity_decomposerENS1_16block_id_wrapperIjLb0EEEEE10hipError_tT1_PNSt15iterator_traitsISK_E10value_typeET2_T3_PNSL_ISQ_E10value_typeET4_T5_PSV_SW_PNS1_23onesweep_lookback_stateEbbT6_jjT7_P12ihipStream_tbENKUlT_T0_SK_SP_E_clISE_SE_SF_SF_EEDaS13_S14_SK_SP_EUlS13_E_NS1_11comp_targetILNS1_3genE8ELNS1_11target_archE1030ELNS1_3gpuE2ELNS1_3repE0EEENS1_47radix_sort_onesweep_sort_config_static_selectorELNS0_4arch9wavefront6targetE1EEEvSK_.num_agpr, 0
	.set _ZN7rocprim17ROCPRIM_400000_NS6detail17trampoline_kernelINS0_14default_configENS1_35radix_sort_onesweep_config_selectorIiNS0_10empty_typeEEEZZNS1_29radix_sort_onesweep_iterationIS3_Lb0EN6thrust23THRUST_200600_302600_NS6detail15normal_iteratorINS9_10device_ptrIiEEEESE_PS5_SF_jNS0_19identity_decomposerENS1_16block_id_wrapperIjLb0EEEEE10hipError_tT1_PNSt15iterator_traitsISK_E10value_typeET2_T3_PNSL_ISQ_E10value_typeET4_T5_PSV_SW_PNS1_23onesweep_lookback_stateEbbT6_jjT7_P12ihipStream_tbENKUlT_T0_SK_SP_E_clISE_SE_SF_SF_EEDaS13_S14_SK_SP_EUlS13_E_NS1_11comp_targetILNS1_3genE8ELNS1_11target_archE1030ELNS1_3gpuE2ELNS1_3repE0EEENS1_47radix_sort_onesweep_sort_config_static_selectorELNS0_4arch9wavefront6targetE1EEEvSK_.numbered_sgpr, 0
	.set _ZN7rocprim17ROCPRIM_400000_NS6detail17trampoline_kernelINS0_14default_configENS1_35radix_sort_onesweep_config_selectorIiNS0_10empty_typeEEEZZNS1_29radix_sort_onesweep_iterationIS3_Lb0EN6thrust23THRUST_200600_302600_NS6detail15normal_iteratorINS9_10device_ptrIiEEEESE_PS5_SF_jNS0_19identity_decomposerENS1_16block_id_wrapperIjLb0EEEEE10hipError_tT1_PNSt15iterator_traitsISK_E10value_typeET2_T3_PNSL_ISQ_E10value_typeET4_T5_PSV_SW_PNS1_23onesweep_lookback_stateEbbT6_jjT7_P12ihipStream_tbENKUlT_T0_SK_SP_E_clISE_SE_SF_SF_EEDaS13_S14_SK_SP_EUlS13_E_NS1_11comp_targetILNS1_3genE8ELNS1_11target_archE1030ELNS1_3gpuE2ELNS1_3repE0EEENS1_47radix_sort_onesweep_sort_config_static_selectorELNS0_4arch9wavefront6targetE1EEEvSK_.num_named_barrier, 0
	.set _ZN7rocprim17ROCPRIM_400000_NS6detail17trampoline_kernelINS0_14default_configENS1_35radix_sort_onesweep_config_selectorIiNS0_10empty_typeEEEZZNS1_29radix_sort_onesweep_iterationIS3_Lb0EN6thrust23THRUST_200600_302600_NS6detail15normal_iteratorINS9_10device_ptrIiEEEESE_PS5_SF_jNS0_19identity_decomposerENS1_16block_id_wrapperIjLb0EEEEE10hipError_tT1_PNSt15iterator_traitsISK_E10value_typeET2_T3_PNSL_ISQ_E10value_typeET4_T5_PSV_SW_PNS1_23onesweep_lookback_stateEbbT6_jjT7_P12ihipStream_tbENKUlT_T0_SK_SP_E_clISE_SE_SF_SF_EEDaS13_S14_SK_SP_EUlS13_E_NS1_11comp_targetILNS1_3genE8ELNS1_11target_archE1030ELNS1_3gpuE2ELNS1_3repE0EEENS1_47radix_sort_onesweep_sort_config_static_selectorELNS0_4arch9wavefront6targetE1EEEvSK_.private_seg_size, 0
	.set _ZN7rocprim17ROCPRIM_400000_NS6detail17trampoline_kernelINS0_14default_configENS1_35radix_sort_onesweep_config_selectorIiNS0_10empty_typeEEEZZNS1_29radix_sort_onesweep_iterationIS3_Lb0EN6thrust23THRUST_200600_302600_NS6detail15normal_iteratorINS9_10device_ptrIiEEEESE_PS5_SF_jNS0_19identity_decomposerENS1_16block_id_wrapperIjLb0EEEEE10hipError_tT1_PNSt15iterator_traitsISK_E10value_typeET2_T3_PNSL_ISQ_E10value_typeET4_T5_PSV_SW_PNS1_23onesweep_lookback_stateEbbT6_jjT7_P12ihipStream_tbENKUlT_T0_SK_SP_E_clISE_SE_SF_SF_EEDaS13_S14_SK_SP_EUlS13_E_NS1_11comp_targetILNS1_3genE8ELNS1_11target_archE1030ELNS1_3gpuE2ELNS1_3repE0EEENS1_47radix_sort_onesweep_sort_config_static_selectorELNS0_4arch9wavefront6targetE1EEEvSK_.uses_vcc, 0
	.set _ZN7rocprim17ROCPRIM_400000_NS6detail17trampoline_kernelINS0_14default_configENS1_35radix_sort_onesweep_config_selectorIiNS0_10empty_typeEEEZZNS1_29radix_sort_onesweep_iterationIS3_Lb0EN6thrust23THRUST_200600_302600_NS6detail15normal_iteratorINS9_10device_ptrIiEEEESE_PS5_SF_jNS0_19identity_decomposerENS1_16block_id_wrapperIjLb0EEEEE10hipError_tT1_PNSt15iterator_traitsISK_E10value_typeET2_T3_PNSL_ISQ_E10value_typeET4_T5_PSV_SW_PNS1_23onesweep_lookback_stateEbbT6_jjT7_P12ihipStream_tbENKUlT_T0_SK_SP_E_clISE_SE_SF_SF_EEDaS13_S14_SK_SP_EUlS13_E_NS1_11comp_targetILNS1_3genE8ELNS1_11target_archE1030ELNS1_3gpuE2ELNS1_3repE0EEENS1_47radix_sort_onesweep_sort_config_static_selectorELNS0_4arch9wavefront6targetE1EEEvSK_.uses_flat_scratch, 0
	.set _ZN7rocprim17ROCPRIM_400000_NS6detail17trampoline_kernelINS0_14default_configENS1_35radix_sort_onesweep_config_selectorIiNS0_10empty_typeEEEZZNS1_29radix_sort_onesweep_iterationIS3_Lb0EN6thrust23THRUST_200600_302600_NS6detail15normal_iteratorINS9_10device_ptrIiEEEESE_PS5_SF_jNS0_19identity_decomposerENS1_16block_id_wrapperIjLb0EEEEE10hipError_tT1_PNSt15iterator_traitsISK_E10value_typeET2_T3_PNSL_ISQ_E10value_typeET4_T5_PSV_SW_PNS1_23onesweep_lookback_stateEbbT6_jjT7_P12ihipStream_tbENKUlT_T0_SK_SP_E_clISE_SE_SF_SF_EEDaS13_S14_SK_SP_EUlS13_E_NS1_11comp_targetILNS1_3genE8ELNS1_11target_archE1030ELNS1_3gpuE2ELNS1_3repE0EEENS1_47radix_sort_onesweep_sort_config_static_selectorELNS0_4arch9wavefront6targetE1EEEvSK_.has_dyn_sized_stack, 0
	.set _ZN7rocprim17ROCPRIM_400000_NS6detail17trampoline_kernelINS0_14default_configENS1_35radix_sort_onesweep_config_selectorIiNS0_10empty_typeEEEZZNS1_29radix_sort_onesweep_iterationIS3_Lb0EN6thrust23THRUST_200600_302600_NS6detail15normal_iteratorINS9_10device_ptrIiEEEESE_PS5_SF_jNS0_19identity_decomposerENS1_16block_id_wrapperIjLb0EEEEE10hipError_tT1_PNSt15iterator_traitsISK_E10value_typeET2_T3_PNSL_ISQ_E10value_typeET4_T5_PSV_SW_PNS1_23onesweep_lookback_stateEbbT6_jjT7_P12ihipStream_tbENKUlT_T0_SK_SP_E_clISE_SE_SF_SF_EEDaS13_S14_SK_SP_EUlS13_E_NS1_11comp_targetILNS1_3genE8ELNS1_11target_archE1030ELNS1_3gpuE2ELNS1_3repE0EEENS1_47radix_sort_onesweep_sort_config_static_selectorELNS0_4arch9wavefront6targetE1EEEvSK_.has_recursion, 0
	.set _ZN7rocprim17ROCPRIM_400000_NS6detail17trampoline_kernelINS0_14default_configENS1_35radix_sort_onesweep_config_selectorIiNS0_10empty_typeEEEZZNS1_29radix_sort_onesweep_iterationIS3_Lb0EN6thrust23THRUST_200600_302600_NS6detail15normal_iteratorINS9_10device_ptrIiEEEESE_PS5_SF_jNS0_19identity_decomposerENS1_16block_id_wrapperIjLb0EEEEE10hipError_tT1_PNSt15iterator_traitsISK_E10value_typeET2_T3_PNSL_ISQ_E10value_typeET4_T5_PSV_SW_PNS1_23onesweep_lookback_stateEbbT6_jjT7_P12ihipStream_tbENKUlT_T0_SK_SP_E_clISE_SE_SF_SF_EEDaS13_S14_SK_SP_EUlS13_E_NS1_11comp_targetILNS1_3genE8ELNS1_11target_archE1030ELNS1_3gpuE2ELNS1_3repE0EEENS1_47radix_sort_onesweep_sort_config_static_selectorELNS0_4arch9wavefront6targetE1EEEvSK_.has_indirect_call, 0
	.section	.AMDGPU.csdata,"",@progbits
; Kernel info:
; codeLenInByte = 0
; TotalNumSgprs: 6
; NumVgprs: 0
; NumAgprs: 0
; TotalNumVgprs: 0
; ScratchSize: 0
; MemoryBound: 0
; FloatMode: 240
; IeeeMode: 1
; LDSByteSize: 0 bytes/workgroup (compile time only)
; SGPRBlocks: 0
; VGPRBlocks: 0
; NumSGPRsForWavesPerEU: 6
; NumVGPRsForWavesPerEU: 1
; AccumOffset: 4
; Occupancy: 8
; WaveLimiterHint : 0
; COMPUTE_PGM_RSRC2:SCRATCH_EN: 0
; COMPUTE_PGM_RSRC2:USER_SGPR: 2
; COMPUTE_PGM_RSRC2:TRAP_HANDLER: 0
; COMPUTE_PGM_RSRC2:TGID_X_EN: 1
; COMPUTE_PGM_RSRC2:TGID_Y_EN: 0
; COMPUTE_PGM_RSRC2:TGID_Z_EN: 0
; COMPUTE_PGM_RSRC2:TIDIG_COMP_CNT: 0
; COMPUTE_PGM_RSRC3_GFX90A:ACCUM_OFFSET: 0
; COMPUTE_PGM_RSRC3_GFX90A:TG_SPLIT: 0
	.section	.text._ZN7rocprim17ROCPRIM_400000_NS6detail17trampoline_kernelINS0_14default_configENS1_35radix_sort_onesweep_config_selectorIiNS0_10empty_typeEEEZZNS1_29radix_sort_onesweep_iterationIS3_Lb0EN6thrust23THRUST_200600_302600_NS6detail15normal_iteratorINS9_10device_ptrIiEEEESE_PS5_SF_jNS0_19identity_decomposerENS1_16block_id_wrapperIjLb0EEEEE10hipError_tT1_PNSt15iterator_traitsISK_E10value_typeET2_T3_PNSL_ISQ_E10value_typeET4_T5_PSV_SW_PNS1_23onesweep_lookback_stateEbbT6_jjT7_P12ihipStream_tbENKUlT_T0_SK_SP_E_clISE_PiSF_SF_EEDaS13_S14_SK_SP_EUlS13_E_NS1_11comp_targetILNS1_3genE0ELNS1_11target_archE4294967295ELNS1_3gpuE0ELNS1_3repE0EEENS1_47radix_sort_onesweep_sort_config_static_selectorELNS0_4arch9wavefront6targetE1EEEvSK_,"axG",@progbits,_ZN7rocprim17ROCPRIM_400000_NS6detail17trampoline_kernelINS0_14default_configENS1_35radix_sort_onesweep_config_selectorIiNS0_10empty_typeEEEZZNS1_29radix_sort_onesweep_iterationIS3_Lb0EN6thrust23THRUST_200600_302600_NS6detail15normal_iteratorINS9_10device_ptrIiEEEESE_PS5_SF_jNS0_19identity_decomposerENS1_16block_id_wrapperIjLb0EEEEE10hipError_tT1_PNSt15iterator_traitsISK_E10value_typeET2_T3_PNSL_ISQ_E10value_typeET4_T5_PSV_SW_PNS1_23onesweep_lookback_stateEbbT6_jjT7_P12ihipStream_tbENKUlT_T0_SK_SP_E_clISE_PiSF_SF_EEDaS13_S14_SK_SP_EUlS13_E_NS1_11comp_targetILNS1_3genE0ELNS1_11target_archE4294967295ELNS1_3gpuE0ELNS1_3repE0EEENS1_47radix_sort_onesweep_sort_config_static_selectorELNS0_4arch9wavefront6targetE1EEEvSK_,comdat
	.protected	_ZN7rocprim17ROCPRIM_400000_NS6detail17trampoline_kernelINS0_14default_configENS1_35radix_sort_onesweep_config_selectorIiNS0_10empty_typeEEEZZNS1_29radix_sort_onesweep_iterationIS3_Lb0EN6thrust23THRUST_200600_302600_NS6detail15normal_iteratorINS9_10device_ptrIiEEEESE_PS5_SF_jNS0_19identity_decomposerENS1_16block_id_wrapperIjLb0EEEEE10hipError_tT1_PNSt15iterator_traitsISK_E10value_typeET2_T3_PNSL_ISQ_E10value_typeET4_T5_PSV_SW_PNS1_23onesweep_lookback_stateEbbT6_jjT7_P12ihipStream_tbENKUlT_T0_SK_SP_E_clISE_PiSF_SF_EEDaS13_S14_SK_SP_EUlS13_E_NS1_11comp_targetILNS1_3genE0ELNS1_11target_archE4294967295ELNS1_3gpuE0ELNS1_3repE0EEENS1_47radix_sort_onesweep_sort_config_static_selectorELNS0_4arch9wavefront6targetE1EEEvSK_ ; -- Begin function _ZN7rocprim17ROCPRIM_400000_NS6detail17trampoline_kernelINS0_14default_configENS1_35radix_sort_onesweep_config_selectorIiNS0_10empty_typeEEEZZNS1_29radix_sort_onesweep_iterationIS3_Lb0EN6thrust23THRUST_200600_302600_NS6detail15normal_iteratorINS9_10device_ptrIiEEEESE_PS5_SF_jNS0_19identity_decomposerENS1_16block_id_wrapperIjLb0EEEEE10hipError_tT1_PNSt15iterator_traitsISK_E10value_typeET2_T3_PNSL_ISQ_E10value_typeET4_T5_PSV_SW_PNS1_23onesweep_lookback_stateEbbT6_jjT7_P12ihipStream_tbENKUlT_T0_SK_SP_E_clISE_PiSF_SF_EEDaS13_S14_SK_SP_EUlS13_E_NS1_11comp_targetILNS1_3genE0ELNS1_11target_archE4294967295ELNS1_3gpuE0ELNS1_3repE0EEENS1_47radix_sort_onesweep_sort_config_static_selectorELNS0_4arch9wavefront6targetE1EEEvSK_
	.globl	_ZN7rocprim17ROCPRIM_400000_NS6detail17trampoline_kernelINS0_14default_configENS1_35radix_sort_onesweep_config_selectorIiNS0_10empty_typeEEEZZNS1_29radix_sort_onesweep_iterationIS3_Lb0EN6thrust23THRUST_200600_302600_NS6detail15normal_iteratorINS9_10device_ptrIiEEEESE_PS5_SF_jNS0_19identity_decomposerENS1_16block_id_wrapperIjLb0EEEEE10hipError_tT1_PNSt15iterator_traitsISK_E10value_typeET2_T3_PNSL_ISQ_E10value_typeET4_T5_PSV_SW_PNS1_23onesweep_lookback_stateEbbT6_jjT7_P12ihipStream_tbENKUlT_T0_SK_SP_E_clISE_PiSF_SF_EEDaS13_S14_SK_SP_EUlS13_E_NS1_11comp_targetILNS1_3genE0ELNS1_11target_archE4294967295ELNS1_3gpuE0ELNS1_3repE0EEENS1_47radix_sort_onesweep_sort_config_static_selectorELNS0_4arch9wavefront6targetE1EEEvSK_
	.p2align	8
	.type	_ZN7rocprim17ROCPRIM_400000_NS6detail17trampoline_kernelINS0_14default_configENS1_35radix_sort_onesweep_config_selectorIiNS0_10empty_typeEEEZZNS1_29radix_sort_onesweep_iterationIS3_Lb0EN6thrust23THRUST_200600_302600_NS6detail15normal_iteratorINS9_10device_ptrIiEEEESE_PS5_SF_jNS0_19identity_decomposerENS1_16block_id_wrapperIjLb0EEEEE10hipError_tT1_PNSt15iterator_traitsISK_E10value_typeET2_T3_PNSL_ISQ_E10value_typeET4_T5_PSV_SW_PNS1_23onesweep_lookback_stateEbbT6_jjT7_P12ihipStream_tbENKUlT_T0_SK_SP_E_clISE_PiSF_SF_EEDaS13_S14_SK_SP_EUlS13_E_NS1_11comp_targetILNS1_3genE0ELNS1_11target_archE4294967295ELNS1_3gpuE0ELNS1_3repE0EEENS1_47radix_sort_onesweep_sort_config_static_selectorELNS0_4arch9wavefront6targetE1EEEvSK_,@function
_ZN7rocprim17ROCPRIM_400000_NS6detail17trampoline_kernelINS0_14default_configENS1_35radix_sort_onesweep_config_selectorIiNS0_10empty_typeEEEZZNS1_29radix_sort_onesweep_iterationIS3_Lb0EN6thrust23THRUST_200600_302600_NS6detail15normal_iteratorINS9_10device_ptrIiEEEESE_PS5_SF_jNS0_19identity_decomposerENS1_16block_id_wrapperIjLb0EEEEE10hipError_tT1_PNSt15iterator_traitsISK_E10value_typeET2_T3_PNSL_ISQ_E10value_typeET4_T5_PSV_SW_PNS1_23onesweep_lookback_stateEbbT6_jjT7_P12ihipStream_tbENKUlT_T0_SK_SP_E_clISE_PiSF_SF_EEDaS13_S14_SK_SP_EUlS13_E_NS1_11comp_targetILNS1_3genE0ELNS1_11target_archE4294967295ELNS1_3gpuE0ELNS1_3repE0EEENS1_47radix_sort_onesweep_sort_config_static_selectorELNS0_4arch9wavefront6targetE1EEEvSK_: ; @_ZN7rocprim17ROCPRIM_400000_NS6detail17trampoline_kernelINS0_14default_configENS1_35radix_sort_onesweep_config_selectorIiNS0_10empty_typeEEEZZNS1_29radix_sort_onesweep_iterationIS3_Lb0EN6thrust23THRUST_200600_302600_NS6detail15normal_iteratorINS9_10device_ptrIiEEEESE_PS5_SF_jNS0_19identity_decomposerENS1_16block_id_wrapperIjLb0EEEEE10hipError_tT1_PNSt15iterator_traitsISK_E10value_typeET2_T3_PNSL_ISQ_E10value_typeET4_T5_PSV_SW_PNS1_23onesweep_lookback_stateEbbT6_jjT7_P12ihipStream_tbENKUlT_T0_SK_SP_E_clISE_PiSF_SF_EEDaS13_S14_SK_SP_EUlS13_E_NS1_11comp_targetILNS1_3genE0ELNS1_11target_archE4294967295ELNS1_3gpuE0ELNS1_3repE0EEENS1_47radix_sort_onesweep_sort_config_static_selectorELNS0_4arch9wavefront6targetE1EEEvSK_
; %bb.0:
	.section	.rodata,"a",@progbits
	.p2align	6, 0x0
	.amdhsa_kernel _ZN7rocprim17ROCPRIM_400000_NS6detail17trampoline_kernelINS0_14default_configENS1_35radix_sort_onesweep_config_selectorIiNS0_10empty_typeEEEZZNS1_29radix_sort_onesweep_iterationIS3_Lb0EN6thrust23THRUST_200600_302600_NS6detail15normal_iteratorINS9_10device_ptrIiEEEESE_PS5_SF_jNS0_19identity_decomposerENS1_16block_id_wrapperIjLb0EEEEE10hipError_tT1_PNSt15iterator_traitsISK_E10value_typeET2_T3_PNSL_ISQ_E10value_typeET4_T5_PSV_SW_PNS1_23onesweep_lookback_stateEbbT6_jjT7_P12ihipStream_tbENKUlT_T0_SK_SP_E_clISE_PiSF_SF_EEDaS13_S14_SK_SP_EUlS13_E_NS1_11comp_targetILNS1_3genE0ELNS1_11target_archE4294967295ELNS1_3gpuE0ELNS1_3repE0EEENS1_47radix_sort_onesweep_sort_config_static_selectorELNS0_4arch9wavefront6targetE1EEEvSK_
		.amdhsa_group_segment_fixed_size 0
		.amdhsa_private_segment_fixed_size 0
		.amdhsa_kernarg_size 88
		.amdhsa_user_sgpr_count 2
		.amdhsa_user_sgpr_dispatch_ptr 0
		.amdhsa_user_sgpr_queue_ptr 0
		.amdhsa_user_sgpr_kernarg_segment_ptr 1
		.amdhsa_user_sgpr_dispatch_id 0
		.amdhsa_user_sgpr_kernarg_preload_length 0
		.amdhsa_user_sgpr_kernarg_preload_offset 0
		.amdhsa_user_sgpr_private_segment_size 0
		.amdhsa_uses_dynamic_stack 0
		.amdhsa_enable_private_segment 0
		.amdhsa_system_sgpr_workgroup_id_x 1
		.amdhsa_system_sgpr_workgroup_id_y 0
		.amdhsa_system_sgpr_workgroup_id_z 0
		.amdhsa_system_sgpr_workgroup_info 0
		.amdhsa_system_vgpr_workitem_id 0
		.amdhsa_next_free_vgpr 1
		.amdhsa_next_free_sgpr 0
		.amdhsa_accum_offset 4
		.amdhsa_reserve_vcc 0
		.amdhsa_float_round_mode_32 0
		.amdhsa_float_round_mode_16_64 0
		.amdhsa_float_denorm_mode_32 3
		.amdhsa_float_denorm_mode_16_64 3
		.amdhsa_dx10_clamp 1
		.amdhsa_ieee_mode 1
		.amdhsa_fp16_overflow 0
		.amdhsa_tg_split 0
		.amdhsa_exception_fp_ieee_invalid_op 0
		.amdhsa_exception_fp_denorm_src 0
		.amdhsa_exception_fp_ieee_div_zero 0
		.amdhsa_exception_fp_ieee_overflow 0
		.amdhsa_exception_fp_ieee_underflow 0
		.amdhsa_exception_fp_ieee_inexact 0
		.amdhsa_exception_int_div_zero 0
	.end_amdhsa_kernel
	.section	.text._ZN7rocprim17ROCPRIM_400000_NS6detail17trampoline_kernelINS0_14default_configENS1_35radix_sort_onesweep_config_selectorIiNS0_10empty_typeEEEZZNS1_29radix_sort_onesweep_iterationIS3_Lb0EN6thrust23THRUST_200600_302600_NS6detail15normal_iteratorINS9_10device_ptrIiEEEESE_PS5_SF_jNS0_19identity_decomposerENS1_16block_id_wrapperIjLb0EEEEE10hipError_tT1_PNSt15iterator_traitsISK_E10value_typeET2_T3_PNSL_ISQ_E10value_typeET4_T5_PSV_SW_PNS1_23onesweep_lookback_stateEbbT6_jjT7_P12ihipStream_tbENKUlT_T0_SK_SP_E_clISE_PiSF_SF_EEDaS13_S14_SK_SP_EUlS13_E_NS1_11comp_targetILNS1_3genE0ELNS1_11target_archE4294967295ELNS1_3gpuE0ELNS1_3repE0EEENS1_47radix_sort_onesweep_sort_config_static_selectorELNS0_4arch9wavefront6targetE1EEEvSK_,"axG",@progbits,_ZN7rocprim17ROCPRIM_400000_NS6detail17trampoline_kernelINS0_14default_configENS1_35radix_sort_onesweep_config_selectorIiNS0_10empty_typeEEEZZNS1_29radix_sort_onesweep_iterationIS3_Lb0EN6thrust23THRUST_200600_302600_NS6detail15normal_iteratorINS9_10device_ptrIiEEEESE_PS5_SF_jNS0_19identity_decomposerENS1_16block_id_wrapperIjLb0EEEEE10hipError_tT1_PNSt15iterator_traitsISK_E10value_typeET2_T3_PNSL_ISQ_E10value_typeET4_T5_PSV_SW_PNS1_23onesweep_lookback_stateEbbT6_jjT7_P12ihipStream_tbENKUlT_T0_SK_SP_E_clISE_PiSF_SF_EEDaS13_S14_SK_SP_EUlS13_E_NS1_11comp_targetILNS1_3genE0ELNS1_11target_archE4294967295ELNS1_3gpuE0ELNS1_3repE0EEENS1_47radix_sort_onesweep_sort_config_static_selectorELNS0_4arch9wavefront6targetE1EEEvSK_,comdat
.Lfunc_end195:
	.size	_ZN7rocprim17ROCPRIM_400000_NS6detail17trampoline_kernelINS0_14default_configENS1_35radix_sort_onesweep_config_selectorIiNS0_10empty_typeEEEZZNS1_29radix_sort_onesweep_iterationIS3_Lb0EN6thrust23THRUST_200600_302600_NS6detail15normal_iteratorINS9_10device_ptrIiEEEESE_PS5_SF_jNS0_19identity_decomposerENS1_16block_id_wrapperIjLb0EEEEE10hipError_tT1_PNSt15iterator_traitsISK_E10value_typeET2_T3_PNSL_ISQ_E10value_typeET4_T5_PSV_SW_PNS1_23onesweep_lookback_stateEbbT6_jjT7_P12ihipStream_tbENKUlT_T0_SK_SP_E_clISE_PiSF_SF_EEDaS13_S14_SK_SP_EUlS13_E_NS1_11comp_targetILNS1_3genE0ELNS1_11target_archE4294967295ELNS1_3gpuE0ELNS1_3repE0EEENS1_47radix_sort_onesweep_sort_config_static_selectorELNS0_4arch9wavefront6targetE1EEEvSK_, .Lfunc_end195-_ZN7rocprim17ROCPRIM_400000_NS6detail17trampoline_kernelINS0_14default_configENS1_35radix_sort_onesweep_config_selectorIiNS0_10empty_typeEEEZZNS1_29radix_sort_onesweep_iterationIS3_Lb0EN6thrust23THRUST_200600_302600_NS6detail15normal_iteratorINS9_10device_ptrIiEEEESE_PS5_SF_jNS0_19identity_decomposerENS1_16block_id_wrapperIjLb0EEEEE10hipError_tT1_PNSt15iterator_traitsISK_E10value_typeET2_T3_PNSL_ISQ_E10value_typeET4_T5_PSV_SW_PNS1_23onesweep_lookback_stateEbbT6_jjT7_P12ihipStream_tbENKUlT_T0_SK_SP_E_clISE_PiSF_SF_EEDaS13_S14_SK_SP_EUlS13_E_NS1_11comp_targetILNS1_3genE0ELNS1_11target_archE4294967295ELNS1_3gpuE0ELNS1_3repE0EEENS1_47radix_sort_onesweep_sort_config_static_selectorELNS0_4arch9wavefront6targetE1EEEvSK_
                                        ; -- End function
	.set _ZN7rocprim17ROCPRIM_400000_NS6detail17trampoline_kernelINS0_14default_configENS1_35radix_sort_onesweep_config_selectorIiNS0_10empty_typeEEEZZNS1_29radix_sort_onesweep_iterationIS3_Lb0EN6thrust23THRUST_200600_302600_NS6detail15normal_iteratorINS9_10device_ptrIiEEEESE_PS5_SF_jNS0_19identity_decomposerENS1_16block_id_wrapperIjLb0EEEEE10hipError_tT1_PNSt15iterator_traitsISK_E10value_typeET2_T3_PNSL_ISQ_E10value_typeET4_T5_PSV_SW_PNS1_23onesweep_lookback_stateEbbT6_jjT7_P12ihipStream_tbENKUlT_T0_SK_SP_E_clISE_PiSF_SF_EEDaS13_S14_SK_SP_EUlS13_E_NS1_11comp_targetILNS1_3genE0ELNS1_11target_archE4294967295ELNS1_3gpuE0ELNS1_3repE0EEENS1_47radix_sort_onesweep_sort_config_static_selectorELNS0_4arch9wavefront6targetE1EEEvSK_.num_vgpr, 0
	.set _ZN7rocprim17ROCPRIM_400000_NS6detail17trampoline_kernelINS0_14default_configENS1_35radix_sort_onesweep_config_selectorIiNS0_10empty_typeEEEZZNS1_29radix_sort_onesweep_iterationIS3_Lb0EN6thrust23THRUST_200600_302600_NS6detail15normal_iteratorINS9_10device_ptrIiEEEESE_PS5_SF_jNS0_19identity_decomposerENS1_16block_id_wrapperIjLb0EEEEE10hipError_tT1_PNSt15iterator_traitsISK_E10value_typeET2_T3_PNSL_ISQ_E10value_typeET4_T5_PSV_SW_PNS1_23onesweep_lookback_stateEbbT6_jjT7_P12ihipStream_tbENKUlT_T0_SK_SP_E_clISE_PiSF_SF_EEDaS13_S14_SK_SP_EUlS13_E_NS1_11comp_targetILNS1_3genE0ELNS1_11target_archE4294967295ELNS1_3gpuE0ELNS1_3repE0EEENS1_47radix_sort_onesweep_sort_config_static_selectorELNS0_4arch9wavefront6targetE1EEEvSK_.num_agpr, 0
	.set _ZN7rocprim17ROCPRIM_400000_NS6detail17trampoline_kernelINS0_14default_configENS1_35radix_sort_onesweep_config_selectorIiNS0_10empty_typeEEEZZNS1_29radix_sort_onesweep_iterationIS3_Lb0EN6thrust23THRUST_200600_302600_NS6detail15normal_iteratorINS9_10device_ptrIiEEEESE_PS5_SF_jNS0_19identity_decomposerENS1_16block_id_wrapperIjLb0EEEEE10hipError_tT1_PNSt15iterator_traitsISK_E10value_typeET2_T3_PNSL_ISQ_E10value_typeET4_T5_PSV_SW_PNS1_23onesweep_lookback_stateEbbT6_jjT7_P12ihipStream_tbENKUlT_T0_SK_SP_E_clISE_PiSF_SF_EEDaS13_S14_SK_SP_EUlS13_E_NS1_11comp_targetILNS1_3genE0ELNS1_11target_archE4294967295ELNS1_3gpuE0ELNS1_3repE0EEENS1_47radix_sort_onesweep_sort_config_static_selectorELNS0_4arch9wavefront6targetE1EEEvSK_.numbered_sgpr, 0
	.set _ZN7rocprim17ROCPRIM_400000_NS6detail17trampoline_kernelINS0_14default_configENS1_35radix_sort_onesweep_config_selectorIiNS0_10empty_typeEEEZZNS1_29radix_sort_onesweep_iterationIS3_Lb0EN6thrust23THRUST_200600_302600_NS6detail15normal_iteratorINS9_10device_ptrIiEEEESE_PS5_SF_jNS0_19identity_decomposerENS1_16block_id_wrapperIjLb0EEEEE10hipError_tT1_PNSt15iterator_traitsISK_E10value_typeET2_T3_PNSL_ISQ_E10value_typeET4_T5_PSV_SW_PNS1_23onesweep_lookback_stateEbbT6_jjT7_P12ihipStream_tbENKUlT_T0_SK_SP_E_clISE_PiSF_SF_EEDaS13_S14_SK_SP_EUlS13_E_NS1_11comp_targetILNS1_3genE0ELNS1_11target_archE4294967295ELNS1_3gpuE0ELNS1_3repE0EEENS1_47radix_sort_onesweep_sort_config_static_selectorELNS0_4arch9wavefront6targetE1EEEvSK_.num_named_barrier, 0
	.set _ZN7rocprim17ROCPRIM_400000_NS6detail17trampoline_kernelINS0_14default_configENS1_35radix_sort_onesweep_config_selectorIiNS0_10empty_typeEEEZZNS1_29radix_sort_onesweep_iterationIS3_Lb0EN6thrust23THRUST_200600_302600_NS6detail15normal_iteratorINS9_10device_ptrIiEEEESE_PS5_SF_jNS0_19identity_decomposerENS1_16block_id_wrapperIjLb0EEEEE10hipError_tT1_PNSt15iterator_traitsISK_E10value_typeET2_T3_PNSL_ISQ_E10value_typeET4_T5_PSV_SW_PNS1_23onesweep_lookback_stateEbbT6_jjT7_P12ihipStream_tbENKUlT_T0_SK_SP_E_clISE_PiSF_SF_EEDaS13_S14_SK_SP_EUlS13_E_NS1_11comp_targetILNS1_3genE0ELNS1_11target_archE4294967295ELNS1_3gpuE0ELNS1_3repE0EEENS1_47radix_sort_onesweep_sort_config_static_selectorELNS0_4arch9wavefront6targetE1EEEvSK_.private_seg_size, 0
	.set _ZN7rocprim17ROCPRIM_400000_NS6detail17trampoline_kernelINS0_14default_configENS1_35radix_sort_onesweep_config_selectorIiNS0_10empty_typeEEEZZNS1_29radix_sort_onesweep_iterationIS3_Lb0EN6thrust23THRUST_200600_302600_NS6detail15normal_iteratorINS9_10device_ptrIiEEEESE_PS5_SF_jNS0_19identity_decomposerENS1_16block_id_wrapperIjLb0EEEEE10hipError_tT1_PNSt15iterator_traitsISK_E10value_typeET2_T3_PNSL_ISQ_E10value_typeET4_T5_PSV_SW_PNS1_23onesweep_lookback_stateEbbT6_jjT7_P12ihipStream_tbENKUlT_T0_SK_SP_E_clISE_PiSF_SF_EEDaS13_S14_SK_SP_EUlS13_E_NS1_11comp_targetILNS1_3genE0ELNS1_11target_archE4294967295ELNS1_3gpuE0ELNS1_3repE0EEENS1_47radix_sort_onesweep_sort_config_static_selectorELNS0_4arch9wavefront6targetE1EEEvSK_.uses_vcc, 0
	.set _ZN7rocprim17ROCPRIM_400000_NS6detail17trampoline_kernelINS0_14default_configENS1_35radix_sort_onesweep_config_selectorIiNS0_10empty_typeEEEZZNS1_29radix_sort_onesweep_iterationIS3_Lb0EN6thrust23THRUST_200600_302600_NS6detail15normal_iteratorINS9_10device_ptrIiEEEESE_PS5_SF_jNS0_19identity_decomposerENS1_16block_id_wrapperIjLb0EEEEE10hipError_tT1_PNSt15iterator_traitsISK_E10value_typeET2_T3_PNSL_ISQ_E10value_typeET4_T5_PSV_SW_PNS1_23onesweep_lookback_stateEbbT6_jjT7_P12ihipStream_tbENKUlT_T0_SK_SP_E_clISE_PiSF_SF_EEDaS13_S14_SK_SP_EUlS13_E_NS1_11comp_targetILNS1_3genE0ELNS1_11target_archE4294967295ELNS1_3gpuE0ELNS1_3repE0EEENS1_47radix_sort_onesweep_sort_config_static_selectorELNS0_4arch9wavefront6targetE1EEEvSK_.uses_flat_scratch, 0
	.set _ZN7rocprim17ROCPRIM_400000_NS6detail17trampoline_kernelINS0_14default_configENS1_35radix_sort_onesweep_config_selectorIiNS0_10empty_typeEEEZZNS1_29radix_sort_onesweep_iterationIS3_Lb0EN6thrust23THRUST_200600_302600_NS6detail15normal_iteratorINS9_10device_ptrIiEEEESE_PS5_SF_jNS0_19identity_decomposerENS1_16block_id_wrapperIjLb0EEEEE10hipError_tT1_PNSt15iterator_traitsISK_E10value_typeET2_T3_PNSL_ISQ_E10value_typeET4_T5_PSV_SW_PNS1_23onesweep_lookback_stateEbbT6_jjT7_P12ihipStream_tbENKUlT_T0_SK_SP_E_clISE_PiSF_SF_EEDaS13_S14_SK_SP_EUlS13_E_NS1_11comp_targetILNS1_3genE0ELNS1_11target_archE4294967295ELNS1_3gpuE0ELNS1_3repE0EEENS1_47radix_sort_onesweep_sort_config_static_selectorELNS0_4arch9wavefront6targetE1EEEvSK_.has_dyn_sized_stack, 0
	.set _ZN7rocprim17ROCPRIM_400000_NS6detail17trampoline_kernelINS0_14default_configENS1_35radix_sort_onesweep_config_selectorIiNS0_10empty_typeEEEZZNS1_29radix_sort_onesweep_iterationIS3_Lb0EN6thrust23THRUST_200600_302600_NS6detail15normal_iteratorINS9_10device_ptrIiEEEESE_PS5_SF_jNS0_19identity_decomposerENS1_16block_id_wrapperIjLb0EEEEE10hipError_tT1_PNSt15iterator_traitsISK_E10value_typeET2_T3_PNSL_ISQ_E10value_typeET4_T5_PSV_SW_PNS1_23onesweep_lookback_stateEbbT6_jjT7_P12ihipStream_tbENKUlT_T0_SK_SP_E_clISE_PiSF_SF_EEDaS13_S14_SK_SP_EUlS13_E_NS1_11comp_targetILNS1_3genE0ELNS1_11target_archE4294967295ELNS1_3gpuE0ELNS1_3repE0EEENS1_47radix_sort_onesweep_sort_config_static_selectorELNS0_4arch9wavefront6targetE1EEEvSK_.has_recursion, 0
	.set _ZN7rocprim17ROCPRIM_400000_NS6detail17trampoline_kernelINS0_14default_configENS1_35radix_sort_onesweep_config_selectorIiNS0_10empty_typeEEEZZNS1_29radix_sort_onesweep_iterationIS3_Lb0EN6thrust23THRUST_200600_302600_NS6detail15normal_iteratorINS9_10device_ptrIiEEEESE_PS5_SF_jNS0_19identity_decomposerENS1_16block_id_wrapperIjLb0EEEEE10hipError_tT1_PNSt15iterator_traitsISK_E10value_typeET2_T3_PNSL_ISQ_E10value_typeET4_T5_PSV_SW_PNS1_23onesweep_lookback_stateEbbT6_jjT7_P12ihipStream_tbENKUlT_T0_SK_SP_E_clISE_PiSF_SF_EEDaS13_S14_SK_SP_EUlS13_E_NS1_11comp_targetILNS1_3genE0ELNS1_11target_archE4294967295ELNS1_3gpuE0ELNS1_3repE0EEENS1_47radix_sort_onesweep_sort_config_static_selectorELNS0_4arch9wavefront6targetE1EEEvSK_.has_indirect_call, 0
	.section	.AMDGPU.csdata,"",@progbits
; Kernel info:
; codeLenInByte = 0
; TotalNumSgprs: 6
; NumVgprs: 0
; NumAgprs: 0
; TotalNumVgprs: 0
; ScratchSize: 0
; MemoryBound: 0
; FloatMode: 240
; IeeeMode: 1
; LDSByteSize: 0 bytes/workgroup (compile time only)
; SGPRBlocks: 0
; VGPRBlocks: 0
; NumSGPRsForWavesPerEU: 6
; NumVGPRsForWavesPerEU: 1
; AccumOffset: 4
; Occupancy: 8
; WaveLimiterHint : 0
; COMPUTE_PGM_RSRC2:SCRATCH_EN: 0
; COMPUTE_PGM_RSRC2:USER_SGPR: 2
; COMPUTE_PGM_RSRC2:TRAP_HANDLER: 0
; COMPUTE_PGM_RSRC2:TGID_X_EN: 1
; COMPUTE_PGM_RSRC2:TGID_Y_EN: 0
; COMPUTE_PGM_RSRC2:TGID_Z_EN: 0
; COMPUTE_PGM_RSRC2:TIDIG_COMP_CNT: 0
; COMPUTE_PGM_RSRC3_GFX90A:ACCUM_OFFSET: 0
; COMPUTE_PGM_RSRC3_GFX90A:TG_SPLIT: 0
	.section	.text._ZN7rocprim17ROCPRIM_400000_NS6detail17trampoline_kernelINS0_14default_configENS1_35radix_sort_onesweep_config_selectorIiNS0_10empty_typeEEEZZNS1_29radix_sort_onesweep_iterationIS3_Lb0EN6thrust23THRUST_200600_302600_NS6detail15normal_iteratorINS9_10device_ptrIiEEEESE_PS5_SF_jNS0_19identity_decomposerENS1_16block_id_wrapperIjLb0EEEEE10hipError_tT1_PNSt15iterator_traitsISK_E10value_typeET2_T3_PNSL_ISQ_E10value_typeET4_T5_PSV_SW_PNS1_23onesweep_lookback_stateEbbT6_jjT7_P12ihipStream_tbENKUlT_T0_SK_SP_E_clISE_PiSF_SF_EEDaS13_S14_SK_SP_EUlS13_E_NS1_11comp_targetILNS1_3genE6ELNS1_11target_archE950ELNS1_3gpuE13ELNS1_3repE0EEENS1_47radix_sort_onesweep_sort_config_static_selectorELNS0_4arch9wavefront6targetE1EEEvSK_,"axG",@progbits,_ZN7rocprim17ROCPRIM_400000_NS6detail17trampoline_kernelINS0_14default_configENS1_35radix_sort_onesweep_config_selectorIiNS0_10empty_typeEEEZZNS1_29radix_sort_onesweep_iterationIS3_Lb0EN6thrust23THRUST_200600_302600_NS6detail15normal_iteratorINS9_10device_ptrIiEEEESE_PS5_SF_jNS0_19identity_decomposerENS1_16block_id_wrapperIjLb0EEEEE10hipError_tT1_PNSt15iterator_traitsISK_E10value_typeET2_T3_PNSL_ISQ_E10value_typeET4_T5_PSV_SW_PNS1_23onesweep_lookback_stateEbbT6_jjT7_P12ihipStream_tbENKUlT_T0_SK_SP_E_clISE_PiSF_SF_EEDaS13_S14_SK_SP_EUlS13_E_NS1_11comp_targetILNS1_3genE6ELNS1_11target_archE950ELNS1_3gpuE13ELNS1_3repE0EEENS1_47radix_sort_onesweep_sort_config_static_selectorELNS0_4arch9wavefront6targetE1EEEvSK_,comdat
	.protected	_ZN7rocprim17ROCPRIM_400000_NS6detail17trampoline_kernelINS0_14default_configENS1_35radix_sort_onesweep_config_selectorIiNS0_10empty_typeEEEZZNS1_29radix_sort_onesweep_iterationIS3_Lb0EN6thrust23THRUST_200600_302600_NS6detail15normal_iteratorINS9_10device_ptrIiEEEESE_PS5_SF_jNS0_19identity_decomposerENS1_16block_id_wrapperIjLb0EEEEE10hipError_tT1_PNSt15iterator_traitsISK_E10value_typeET2_T3_PNSL_ISQ_E10value_typeET4_T5_PSV_SW_PNS1_23onesweep_lookback_stateEbbT6_jjT7_P12ihipStream_tbENKUlT_T0_SK_SP_E_clISE_PiSF_SF_EEDaS13_S14_SK_SP_EUlS13_E_NS1_11comp_targetILNS1_3genE6ELNS1_11target_archE950ELNS1_3gpuE13ELNS1_3repE0EEENS1_47radix_sort_onesweep_sort_config_static_selectorELNS0_4arch9wavefront6targetE1EEEvSK_ ; -- Begin function _ZN7rocprim17ROCPRIM_400000_NS6detail17trampoline_kernelINS0_14default_configENS1_35radix_sort_onesweep_config_selectorIiNS0_10empty_typeEEEZZNS1_29radix_sort_onesweep_iterationIS3_Lb0EN6thrust23THRUST_200600_302600_NS6detail15normal_iteratorINS9_10device_ptrIiEEEESE_PS5_SF_jNS0_19identity_decomposerENS1_16block_id_wrapperIjLb0EEEEE10hipError_tT1_PNSt15iterator_traitsISK_E10value_typeET2_T3_PNSL_ISQ_E10value_typeET4_T5_PSV_SW_PNS1_23onesweep_lookback_stateEbbT6_jjT7_P12ihipStream_tbENKUlT_T0_SK_SP_E_clISE_PiSF_SF_EEDaS13_S14_SK_SP_EUlS13_E_NS1_11comp_targetILNS1_3genE6ELNS1_11target_archE950ELNS1_3gpuE13ELNS1_3repE0EEENS1_47radix_sort_onesweep_sort_config_static_selectorELNS0_4arch9wavefront6targetE1EEEvSK_
	.globl	_ZN7rocprim17ROCPRIM_400000_NS6detail17trampoline_kernelINS0_14default_configENS1_35radix_sort_onesweep_config_selectorIiNS0_10empty_typeEEEZZNS1_29radix_sort_onesweep_iterationIS3_Lb0EN6thrust23THRUST_200600_302600_NS6detail15normal_iteratorINS9_10device_ptrIiEEEESE_PS5_SF_jNS0_19identity_decomposerENS1_16block_id_wrapperIjLb0EEEEE10hipError_tT1_PNSt15iterator_traitsISK_E10value_typeET2_T3_PNSL_ISQ_E10value_typeET4_T5_PSV_SW_PNS1_23onesweep_lookback_stateEbbT6_jjT7_P12ihipStream_tbENKUlT_T0_SK_SP_E_clISE_PiSF_SF_EEDaS13_S14_SK_SP_EUlS13_E_NS1_11comp_targetILNS1_3genE6ELNS1_11target_archE950ELNS1_3gpuE13ELNS1_3repE0EEENS1_47radix_sort_onesweep_sort_config_static_selectorELNS0_4arch9wavefront6targetE1EEEvSK_
	.p2align	8
	.type	_ZN7rocprim17ROCPRIM_400000_NS6detail17trampoline_kernelINS0_14default_configENS1_35radix_sort_onesweep_config_selectorIiNS0_10empty_typeEEEZZNS1_29radix_sort_onesweep_iterationIS3_Lb0EN6thrust23THRUST_200600_302600_NS6detail15normal_iteratorINS9_10device_ptrIiEEEESE_PS5_SF_jNS0_19identity_decomposerENS1_16block_id_wrapperIjLb0EEEEE10hipError_tT1_PNSt15iterator_traitsISK_E10value_typeET2_T3_PNSL_ISQ_E10value_typeET4_T5_PSV_SW_PNS1_23onesweep_lookback_stateEbbT6_jjT7_P12ihipStream_tbENKUlT_T0_SK_SP_E_clISE_PiSF_SF_EEDaS13_S14_SK_SP_EUlS13_E_NS1_11comp_targetILNS1_3genE6ELNS1_11target_archE950ELNS1_3gpuE13ELNS1_3repE0EEENS1_47radix_sort_onesweep_sort_config_static_selectorELNS0_4arch9wavefront6targetE1EEEvSK_,@function
_ZN7rocprim17ROCPRIM_400000_NS6detail17trampoline_kernelINS0_14default_configENS1_35radix_sort_onesweep_config_selectorIiNS0_10empty_typeEEEZZNS1_29radix_sort_onesweep_iterationIS3_Lb0EN6thrust23THRUST_200600_302600_NS6detail15normal_iteratorINS9_10device_ptrIiEEEESE_PS5_SF_jNS0_19identity_decomposerENS1_16block_id_wrapperIjLb0EEEEE10hipError_tT1_PNSt15iterator_traitsISK_E10value_typeET2_T3_PNSL_ISQ_E10value_typeET4_T5_PSV_SW_PNS1_23onesweep_lookback_stateEbbT6_jjT7_P12ihipStream_tbENKUlT_T0_SK_SP_E_clISE_PiSF_SF_EEDaS13_S14_SK_SP_EUlS13_E_NS1_11comp_targetILNS1_3genE6ELNS1_11target_archE950ELNS1_3gpuE13ELNS1_3repE0EEENS1_47radix_sort_onesweep_sort_config_static_selectorELNS0_4arch9wavefront6targetE1EEEvSK_: ; @_ZN7rocprim17ROCPRIM_400000_NS6detail17trampoline_kernelINS0_14default_configENS1_35radix_sort_onesweep_config_selectorIiNS0_10empty_typeEEEZZNS1_29radix_sort_onesweep_iterationIS3_Lb0EN6thrust23THRUST_200600_302600_NS6detail15normal_iteratorINS9_10device_ptrIiEEEESE_PS5_SF_jNS0_19identity_decomposerENS1_16block_id_wrapperIjLb0EEEEE10hipError_tT1_PNSt15iterator_traitsISK_E10value_typeET2_T3_PNSL_ISQ_E10value_typeET4_T5_PSV_SW_PNS1_23onesweep_lookback_stateEbbT6_jjT7_P12ihipStream_tbENKUlT_T0_SK_SP_E_clISE_PiSF_SF_EEDaS13_S14_SK_SP_EUlS13_E_NS1_11comp_targetILNS1_3genE6ELNS1_11target_archE950ELNS1_3gpuE13ELNS1_3repE0EEENS1_47radix_sort_onesweep_sort_config_static_selectorELNS0_4arch9wavefront6targetE1EEEvSK_
; %bb.0:
	s_load_dwordx2 s[28:29], s[0:1], 0x38
	s_load_dwordx4 s[20:23], s[0:1], 0x44
	s_load_dwordx4 s[24:27], s[0:1], 0x0
	;; [unrolled: 1-line block ×3, first 2 shown]
	s_mov_b64 s[4:5], -1
	v_mbcnt_lo_u32_b32 v1, -1, 0
	s_waitcnt lgkmcnt(0)
	s_cmp_ge_u32 s2, s22
	s_cbranch_scc0 .LBB196_82
; %bb.1:
	s_load_dword s3, s[0:1], 0x20
	s_lshl_b32 s6, s22, 13
	s_lshl_b32 s4, s2, 13
	s_mov_b32 s5, 0
	v_and_b32_e32 v10, 0x3ff, v0
	s_waitcnt lgkmcnt(0)
	s_sub_i32 s3, s3, s6
	s_lshl_b64 s[4:5], s[4:5], 2
	v_mbcnt_hi_u32_b32 v16, -1, v1
	s_add_u32 s4, s24, s4
	v_and_b32_e32 v6, 63, v16
	v_lshlrev_b32_e32 v2, 3, v10
	s_addc_u32 s5, s25, s5
	v_and_b32_e32 v7, 0x1e00, v2
	v_lshlrev_b32_e32 v2, 2, v6
	v_mov_b32_e32 v3, 0
	v_lshl_add_u64 v[4:5], s[4:5], 0, v[2:3]
	v_lshlrev_b32_e32 v2, 2, v7
	v_lshl_add_u64 v[12:13], v[4:5], 0, v[2:3]
	v_or_b32_e32 v11, v6, v7
	v_bfrev_b32_e32 v2, -2
	v_cmp_gt_u32_e32 vcc, s3, v11
	v_mov_b32_e32 v3, v2
	v_mov_b32_e32 v4, v2
	;; [unrolled: 1-line block ×7, first 2 shown]
	s_and_saveexec_b64 s[4:5], vcc
	s_cbranch_execz .LBB196_3
; %bb.2:
	global_load_dword v18, v[12:13], off
	v_mov_b32_e32 v19, v2
	v_mov_b32_e32 v20, v2
	;; [unrolled: 1-line block ×7, first 2 shown]
	s_waitcnt vmcnt(0)
	v_mov_b64_e32 v[2:3], v[18:19]
	v_mov_b64_e32 v[4:5], v[20:21]
	;; [unrolled: 1-line block ×4, first 2 shown]
.LBB196_3:
	s_or_b64 exec, exec, s[4:5]
	v_or_b32_e32 v14, 64, v11
	v_cmp_gt_u32_e32 vcc, s3, v14
	s_and_saveexec_b64 s[4:5], vcc
	s_cbranch_execz .LBB196_5
; %bb.4:
	global_load_dword v3, v[12:13], off offset:256
.LBB196_5:
	s_or_b64 exec, exec, s[4:5]
	v_or_b32_e32 v14, 0x80, v11
	v_cmp_gt_u32_e32 vcc, s3, v14
	s_and_saveexec_b64 s[4:5], vcc
	s_cbranch_execz .LBB196_7
; %bb.6:
	global_load_dword v4, v[12:13], off offset:512
.LBB196_7:
	s_or_b64 exec, exec, s[4:5]
	v_or_b32_e32 v14, 0xc0, v11
	v_cmp_gt_u32_e32 vcc, s3, v14
	s_and_saveexec_b64 s[4:5], vcc
	s_cbranch_execz .LBB196_9
; %bb.8:
	global_load_dword v5, v[12:13], off offset:768
.LBB196_9:
	s_or_b64 exec, exec, s[4:5]
	v_or_b32_e32 v14, 0x100, v11
	v_cmp_gt_u32_e32 vcc, s3, v14
	s_and_saveexec_b64 s[4:5], vcc
	s_cbranch_execz .LBB196_11
; %bb.10:
	global_load_dword v6, v[12:13], off offset:1024
.LBB196_11:
	s_or_b64 exec, exec, s[4:5]
	v_or_b32_e32 v14, 0x140, v11
	v_cmp_gt_u32_e32 vcc, s3, v14
	s_and_saveexec_b64 s[4:5], vcc
	s_cbranch_execz .LBB196_13
; %bb.12:
	global_load_dword v7, v[12:13], off offset:1280
.LBB196_13:
	s_or_b64 exec, exec, s[4:5]
	v_or_b32_e32 v14, 0x180, v11
	v_cmp_gt_u32_e32 vcc, s3, v14
	s_and_saveexec_b64 s[4:5], vcc
	s_cbranch_execz .LBB196_15
; %bb.14:
	global_load_dword v8, v[12:13], off offset:1536
.LBB196_15:
	s_or_b64 exec, exec, s[4:5]
	v_or_b32_e32 v11, 0x1c0, v11
	v_cmp_gt_u32_e32 vcc, s3, v11
	s_and_saveexec_b64 s[4:5], vcc
	s_cbranch_execz .LBB196_17
; %bb.16:
	global_load_dword v9, v[12:13], off offset:1792
.LBB196_17:
	s_or_b64 exec, exec, s[4:5]
	s_load_dword s4, s[0:1], 0x64
	s_load_dword s22, s[0:1], 0x58
	s_add_u32 s5, s0, 0x58
	s_addc_u32 s6, s1, 0
	v_mov_b32_e32 v13, 0
	s_waitcnt lgkmcnt(0)
	s_lshr_b32 s7, s4, 16
	s_cmp_lt_u32 s2, s22
	s_cselect_b32 s4, 12, 18
	s_add_u32 s4, s5, s4
	s_addc_u32 s5, s6, 0
	global_load_ushort v30, v13, s[4:5]
	v_xor_b32_e32 v11, 0x80000000, v2
	v_lshrrev_b32_e32 v15, s20, v11
	s_lshl_b32 s4, -1, s21
	v_bfe_u32 v2, v0, 10, 10
	v_bfe_u32 v12, v0, 20, 10
	v_bitop3_b32 v31, v15, s4, v15 bitop3:0x30
	v_mad_u32_u24 v2, v12, s7, v2
	v_and_b32_e32 v12, 1, v31
	v_lshlrev_b32_e32 v15, 30, v31
	v_mov_b32_e32 v14, v13
	v_mov_b32_e32 v20, v13
	v_lshlrev_b32_e32 v19, 29, v31
	v_lshlrev_b32_e32 v21, 28, v31
	v_lshl_add_u64 v[28:29], v[12:13], 0, -1
	v_cmp_ne_u32_e32 vcc, 0, v12
	v_not_b32_e32 v12, v15
	v_mov_b32_e32 v18, v13
	v_mov_b32_e32 v22, v13
	s_not_b32 s23, s4
	v_lshlrev_b32_e32 v23, 27, v31
	v_cmp_gt_i64_e64 s[4:5], 0, v[14:15]
	v_not_b32_e32 v14, v19
	v_cmp_gt_i64_e64 s[8:9], 0, v[20:21]
	v_not_b32_e32 v15, v21
	v_xor_b32_e32 v21, vcc_hi, v29
	v_ashrrev_i32_e32 v12, 31, v12
	v_mov_b32_e32 v24, v13
	v_lshlrev_b32_e32 v25, 26, v31
	v_cmp_gt_i64_e64 s[6:7], 0, v[18:19]
	v_cmp_gt_i64_e64 s[10:11], 0, v[22:23]
	v_not_b32_e32 v18, v23
	v_xor_b32_e32 v22, vcc_lo, v28
	v_ashrrev_i32_e32 v14, 31, v14
	v_and_b32_e32 v21, exec_hi, v21
	v_xor_b32_e32 v23, s5, v12
	v_cmp_gt_i64_e64 s[12:13], 0, v[24:25]
	v_ashrrev_i32_e32 v15, 31, v15
	v_and_b32_e32 v22, exec_lo, v22
	v_xor_b32_e32 v12, s4, v12
	v_xor_b32_e32 v24, s7, v14
	v_and_b32_e32 v21, v21, v23
	v_mov_b32_e32 v26, v13
	v_lshlrev_b32_e32 v27, 25, v31
	v_not_b32_e32 v19, v25
	v_ashrrev_i32_e32 v18, 31, v18
	v_xor_b32_e32 v14, s6, v14
	v_xor_b32_e32 v25, s9, v15
	v_and_b32_e32 v12, v22, v12
	v_and_b32_e32 v21, v21, v24
	v_cmp_gt_i64_e64 s[14:15], 0, v[26:27]
	v_not_b32_e32 v20, v27
	v_ashrrev_i32_e32 v19, 31, v19
	v_xor_b32_e32 v26, s11, v18
	v_and_b32_e32 v12, v12, v14
	v_and_b32_e32 v14, v21, v25
	v_ashrrev_i32_e32 v20, 31, v20
	v_xor_b32_e32 v15, s8, v15
	v_xor_b32_e32 v27, s13, v19
	v_and_b32_e32 v14, v14, v26
	v_xor_b32_e32 v18, s10, v18
	v_xor_b32_e32 v28, s15, v20
	v_and_b32_e32 v12, v12, v15
	v_and_b32_e32 v14, v14, v27
	;; [unrolled: 1-line block ×4, first 2 shown]
	v_xor_b32_e32 v19, s12, v19
	v_xor_b32_e32 v20, s14, v20
	v_and_b32_e32 v12, v12, v19
	v_and_b32_e32 v12, v12, v20
	s_movk_i32 s30, 0x44
	v_mul_lo_u32 v32, v31, s30
	v_mul_u32_u24_e32 v17, 20, v10
	ds_write2_b32 v17, v13, v13 offset0:16 offset1:17
	ds_write2_b32 v17, v13, v13 offset0:18 offset1:19
	ds_write_b32 v17, v13 offset:80
	s_waitcnt lgkmcnt(0)
	s_barrier
	s_waitcnt vmcnt(0)
	; wave barrier
	v_mad_u64_u32 v[14:15], s[4:5], v2, v30, v[10:11]
	v_lshrrev_b32_e32 v2, 4, v14
	v_lshlrev_b32_e32 v15, 24, v31
	v_and_b32_e32 v30, 0xffffffc, v2
	v_mov_b32_e32 v14, v13
	v_not_b32_e32 v2, v15
	v_cmp_gt_i64_e32 vcc, 0, v[14:15]
	v_ashrrev_i32_e32 v2, 31, v2
	v_add_u32_e32 v22, v30, v32
	v_xor_b32_e32 v14, vcc_hi, v2
	v_xor_b32_e32 v2, vcc_lo, v2
	v_and_b32_e32 v15, v18, v14
	v_and_b32_e32 v14, v12, v2
	v_mbcnt_lo_u32_b32 v2, v14, 0
	v_mbcnt_hi_u32_b32 v18, v15, v2
	v_cmp_eq_u32_e32 vcc, 0, v18
	v_cmp_ne_u64_e64 s[4:5], 0, v[14:15]
	s_and_b64 s[6:7], s[4:5], vcc
	s_and_saveexec_b64 s[4:5], s[6:7]
; %bb.18:
	v_bcnt_u32_b32 v2, v14, 0
	v_bcnt_u32_b32 v2, v15, v2
	ds_write_b32 v22, v2 offset:64
; %bb.19:
	s_or_b64 exec, exec, s[4:5]
	v_xor_b32_e32 v14, 0x80000000, v3
	v_lshrrev_b32_e32 v2, s20, v14
	v_and_b32_e32 v15, s23, v2
	v_mul_lo_u32 v2, v15, s30
	v_and_b32_e32 v12, 1, v15
	v_add_u32_e32 v23, v30, v2
	v_lshl_add_u64 v[2:3], v[12:13], 0, -1
	v_cmp_ne_u32_e32 vcc, 0, v12
	; wave barrier
	s_nop 1
	v_xor_b32_e32 v3, vcc_hi, v3
	v_xor_b32_e32 v2, vcc_lo, v2
	v_and_b32_e32 v12, exec_hi, v3
	v_and_b32_e32 v20, exec_lo, v2
	v_lshlrev_b32_e32 v3, 30, v15
	v_mov_b32_e32 v2, v13
	v_cmp_gt_i64_e32 vcc, 0, v[2:3]
	v_not_b32_e32 v2, v3
	v_ashrrev_i32_e32 v2, 31, v2
	v_xor_b32_e32 v3, vcc_hi, v2
	v_xor_b32_e32 v2, vcc_lo, v2
	v_and_b32_e32 v12, v12, v3
	v_and_b32_e32 v20, v20, v2
	v_lshlrev_b32_e32 v3, 29, v15
	v_mov_b32_e32 v2, v13
	v_cmp_gt_i64_e32 vcc, 0, v[2:3]
	v_not_b32_e32 v2, v3
	v_ashrrev_i32_e32 v2, 31, v2
	v_xor_b32_e32 v3, vcc_hi, v2
	v_xor_b32_e32 v2, vcc_lo, v2
	v_and_b32_e32 v12, v12, v3
	v_and_b32_e32 v20, v20, v2
	;; [unrolled: 9-line block ×6, first 2 shown]
	v_lshlrev_b32_e32 v3, 24, v15
	v_mov_b32_e32 v2, v13
	v_cmp_gt_i64_e32 vcc, 0, v[2:3]
	v_not_b32_e32 v2, v3
	v_ashrrev_i32_e32 v2, 31, v2
	v_xor_b32_e32 v3, vcc_hi, v2
	v_xor_b32_e32 v2, vcc_lo, v2
	ds_read_b32 v19, v23 offset:64
	v_and_b32_e32 v2, v20, v2
	v_and_b32_e32 v3, v12, v3
	v_mbcnt_lo_u32_b32 v12, v2, 0
	v_mbcnt_hi_u32_b32 v20, v3, v12
	v_cmp_eq_u32_e32 vcc, 0, v20
	v_cmp_ne_u64_e64 s[4:5], 0, v[2:3]
	s_and_b64 s[6:7], s[4:5], vcc
	; wave barrier
	s_and_saveexec_b64 s[4:5], s[6:7]
	s_cbranch_execz .LBB196_21
; %bb.20:
	v_bcnt_u32_b32 v2, v2, 0
	v_bcnt_u32_b32 v2, v3, v2
	s_waitcnt lgkmcnt(0)
	v_add_u32_e32 v2, v19, v2
	ds_write_b32 v23, v2 offset:64
.LBB196_21:
	s_or_b64 exec, exec, s[4:5]
	v_xor_b32_e32 v15, 0x80000000, v4
	v_lshrrev_b32_e32 v2, s20, v15
	v_and_b32_e32 v4, s23, v2
	s_movk_i32 s6, 0x44
	v_mul_lo_u32 v2, v4, s6
	v_add_u32_e32 v27, v30, v2
	v_and_b32_e32 v2, 1, v4
	v_mov_b32_e32 v3, 0
	v_lshl_add_u64 v[12:13], v[2:3], 0, -1
	v_cmp_ne_u32_e32 vcc, 0, v2
	; wave barrier
	s_nop 1
	v_xor_b32_e32 v12, vcc_lo, v12
	v_xor_b32_e32 v2, vcc_hi, v13
	v_and_b32_e32 v24, exec_lo, v12
	v_lshlrev_b32_e32 v13, 30, v4
	v_mov_b32_e32 v12, v3
	v_cmp_gt_i64_e32 vcc, 0, v[12:13]
	v_not_b32_e32 v12, v13
	v_ashrrev_i32_e32 v12, 31, v12
	v_and_b32_e32 v2, exec_hi, v2
	v_xor_b32_e32 v13, vcc_hi, v12
	v_xor_b32_e32 v12, vcc_lo, v12
	v_and_b32_e32 v2, v2, v13
	v_and_b32_e32 v24, v24, v12
	v_lshlrev_b32_e32 v13, 29, v4
	v_mov_b32_e32 v12, v3
	v_cmp_gt_i64_e32 vcc, 0, v[12:13]
	v_not_b32_e32 v12, v13
	v_ashrrev_i32_e32 v12, 31, v12
	v_xor_b32_e32 v13, vcc_hi, v12
	v_xor_b32_e32 v12, vcc_lo, v12
	v_and_b32_e32 v2, v2, v13
	v_and_b32_e32 v24, v24, v12
	v_lshlrev_b32_e32 v13, 28, v4
	v_mov_b32_e32 v12, v3
	v_cmp_gt_i64_e32 vcc, 0, v[12:13]
	v_not_b32_e32 v12, v13
	v_ashrrev_i32_e32 v12, 31, v12
	;; [unrolled: 9-line block ×5, first 2 shown]
	v_xor_b32_e32 v13, vcc_hi, v12
	v_xor_b32_e32 v12, vcc_lo, v12
	v_and_b32_e32 v2, v2, v13
	v_lshlrev_b32_e32 v13, 24, v4
	v_and_b32_e32 v24, v24, v12
	v_mov_b32_e32 v12, v3
	v_not_b32_e32 v4, v13
	v_cmp_gt_i64_e32 vcc, 0, v[12:13]
	v_ashrrev_i32_e32 v4, 31, v4
	ds_read_b32 v21, v27 offset:64
	v_xor_b32_e32 v12, vcc_hi, v4
	v_xor_b32_e32 v4, vcc_lo, v4
	v_and_b32_e32 v13, v2, v12
	v_and_b32_e32 v12, v24, v4
	v_mbcnt_lo_u32_b32 v2, v12, 0
	v_mbcnt_hi_u32_b32 v25, v13, v2
	v_cmp_eq_u32_e32 vcc, 0, v25
	v_cmp_ne_u64_e64 s[4:5], 0, v[12:13]
	s_and_b64 s[8:9], s[4:5], vcc
	; wave barrier
	s_and_saveexec_b64 s[4:5], s[8:9]
	s_cbranch_execz .LBB196_23
; %bb.22:
	v_bcnt_u32_b32 v2, v12, 0
	v_bcnt_u32_b32 v2, v13, v2
	s_waitcnt lgkmcnt(0)
	v_add_u32_e32 v2, v21, v2
	ds_write_b32 v27, v2 offset:64
.LBB196_23:
	s_or_b64 exec, exec, s[4:5]
	v_xor_b32_e32 v12, 0x80000000, v5
	v_lshrrev_b32_e32 v2, s20, v12
	v_and_b32_e32 v13, s23, v2
	v_mul_lo_u32 v2, v13, s6
	v_add_u32_e32 v31, v30, v2
	v_and_b32_e32 v2, 1, v13
	v_lshl_add_u64 v[4:5], v[2:3], 0, -1
	v_cmp_ne_u32_e32 vcc, 0, v2
	; wave barrier
	s_nop 1
	v_xor_b32_e32 v4, vcc_lo, v4
	v_xor_b32_e32 v2, vcc_hi, v5
	v_and_b32_e32 v24, exec_lo, v4
	v_lshlrev_b32_e32 v5, 30, v13
	v_mov_b32_e32 v4, v3
	v_cmp_gt_i64_e32 vcc, 0, v[4:5]
	v_not_b32_e32 v4, v5
	v_ashrrev_i32_e32 v4, 31, v4
	v_and_b32_e32 v2, exec_hi, v2
	v_xor_b32_e32 v5, vcc_hi, v4
	v_xor_b32_e32 v4, vcc_lo, v4
	v_and_b32_e32 v2, v2, v5
	v_and_b32_e32 v24, v24, v4
	v_lshlrev_b32_e32 v5, 29, v13
	v_mov_b32_e32 v4, v3
	v_cmp_gt_i64_e32 vcc, 0, v[4:5]
	v_not_b32_e32 v4, v5
	v_ashrrev_i32_e32 v4, 31, v4
	v_xor_b32_e32 v5, vcc_hi, v4
	v_xor_b32_e32 v4, vcc_lo, v4
	v_and_b32_e32 v2, v2, v5
	v_and_b32_e32 v24, v24, v4
	v_lshlrev_b32_e32 v5, 28, v13
	v_mov_b32_e32 v4, v3
	v_cmp_gt_i64_e32 vcc, 0, v[4:5]
	v_not_b32_e32 v4, v5
	v_ashrrev_i32_e32 v4, 31, v4
	;; [unrolled: 9-line block ×5, first 2 shown]
	v_xor_b32_e32 v5, vcc_hi, v4
	v_xor_b32_e32 v4, vcc_lo, v4
	v_and_b32_e32 v2, v2, v5
	v_lshlrev_b32_e32 v5, 24, v13
	v_and_b32_e32 v24, v24, v4
	v_mov_b32_e32 v4, v3
	v_not_b32_e32 v3, v5
	v_cmp_gt_i64_e32 vcc, 0, v[4:5]
	v_ashrrev_i32_e32 v3, 31, v3
	ds_read_b32 v26, v31 offset:64
	v_xor_b32_e32 v4, vcc_hi, v3
	v_xor_b32_e32 v5, vcc_lo, v3
	v_and_b32_e32 v3, v2, v4
	v_and_b32_e32 v2, v24, v5
	v_mbcnt_lo_u32_b32 v4, v2, 0
	v_mbcnt_hi_u32_b32 v28, v3, v4
	v_cmp_eq_u32_e32 vcc, 0, v28
	v_cmp_ne_u64_e64 s[4:5], 0, v[2:3]
	s_and_b64 s[6:7], s[4:5], vcc
	; wave barrier
	s_and_saveexec_b64 s[4:5], s[6:7]
	s_cbranch_execz .LBB196_25
; %bb.24:
	v_bcnt_u32_b32 v2, v2, 0
	v_bcnt_u32_b32 v2, v3, v2
	s_waitcnt lgkmcnt(0)
	v_add_u32_e32 v2, v26, v2
	ds_write_b32 v31, v2 offset:64
.LBB196_25:
	s_or_b64 exec, exec, s[4:5]
	v_xor_b32_e32 v13, 0x80000000, v6
	v_lshrrev_b32_e32 v2, s20, v13
	v_and_b32_e32 v24, s23, v2
	s_movk_i32 s6, 0x44
	v_mul_lo_u32 v2, v24, s6
	v_add_u32_e32 v6, v30, v2
	v_and_b32_e32 v2, 1, v24
	v_mov_b32_e32 v3, 0
	v_lshl_add_u64 v[4:5], v[2:3], 0, -1
	v_cmp_ne_u32_e32 vcc, 0, v2
	; wave barrier
	s_nop 1
	v_xor_b32_e32 v4, vcc_lo, v4
	v_xor_b32_e32 v2, vcc_hi, v5
	v_and_b32_e32 v32, exec_lo, v4
	v_lshlrev_b32_e32 v5, 30, v24
	v_mov_b32_e32 v4, v3
	v_cmp_gt_i64_e32 vcc, 0, v[4:5]
	v_not_b32_e32 v4, v5
	v_ashrrev_i32_e32 v4, 31, v4
	v_and_b32_e32 v2, exec_hi, v2
	v_xor_b32_e32 v5, vcc_hi, v4
	v_xor_b32_e32 v4, vcc_lo, v4
	v_and_b32_e32 v2, v2, v5
	v_and_b32_e32 v32, v32, v4
	v_lshlrev_b32_e32 v5, 29, v24
	v_mov_b32_e32 v4, v3
	v_cmp_gt_i64_e32 vcc, 0, v[4:5]
	v_not_b32_e32 v4, v5
	v_ashrrev_i32_e32 v4, 31, v4
	v_xor_b32_e32 v5, vcc_hi, v4
	v_xor_b32_e32 v4, vcc_lo, v4
	v_and_b32_e32 v2, v2, v5
	v_and_b32_e32 v32, v32, v4
	v_lshlrev_b32_e32 v5, 28, v24
	v_mov_b32_e32 v4, v3
	v_cmp_gt_i64_e32 vcc, 0, v[4:5]
	v_not_b32_e32 v4, v5
	v_ashrrev_i32_e32 v4, 31, v4
	;; [unrolled: 9-line block ×6, first 2 shown]
	v_xor_b32_e32 v5, vcc_hi, v4
	v_xor_b32_e32 v4, vcc_lo, v4
	ds_read_b32 v29, v6 offset:64
	v_and_b32_e32 v4, v32, v4
	v_and_b32_e32 v5, v2, v5
	v_mbcnt_lo_u32_b32 v2, v4, 0
	v_mbcnt_hi_u32_b32 v32, v5, v2
	v_cmp_eq_u32_e32 vcc, 0, v32
	v_cmp_ne_u64_e64 s[4:5], 0, v[4:5]
	s_and_b64 s[8:9], s[4:5], vcc
	; wave barrier
	s_and_saveexec_b64 s[4:5], s[8:9]
	s_cbranch_execz .LBB196_27
; %bb.26:
	v_bcnt_u32_b32 v2, v4, 0
	v_bcnt_u32_b32 v2, v5, v2
	s_waitcnt lgkmcnt(0)
	v_add_u32_e32 v2, v29, v2
	ds_write_b32 v6, v2 offset:64
.LBB196_27:
	s_or_b64 exec, exec, s[4:5]
	v_xor_b32_e32 v24, 0x80000000, v7
	v_lshrrev_b32_e32 v2, s20, v24
	v_and_b32_e32 v34, s23, v2
	v_mul_lo_u32 v2, v34, s6
	v_add_u32_e32 v7, v30, v2
	v_and_b32_e32 v2, 1, v34
	v_lshl_add_u64 v[4:5], v[2:3], 0, -1
	v_cmp_ne_u32_e32 vcc, 0, v2
	; wave barrier
	s_nop 1
	v_xor_b32_e32 v4, vcc_lo, v4
	v_xor_b32_e32 v2, vcc_hi, v5
	v_and_b32_e32 v35, exec_lo, v4
	v_lshlrev_b32_e32 v5, 30, v34
	v_mov_b32_e32 v4, v3
	v_cmp_gt_i64_e32 vcc, 0, v[4:5]
	v_not_b32_e32 v4, v5
	v_ashrrev_i32_e32 v4, 31, v4
	v_and_b32_e32 v2, exec_hi, v2
	v_xor_b32_e32 v5, vcc_hi, v4
	v_xor_b32_e32 v4, vcc_lo, v4
	v_and_b32_e32 v2, v2, v5
	v_and_b32_e32 v35, v35, v4
	v_lshlrev_b32_e32 v5, 29, v34
	v_mov_b32_e32 v4, v3
	v_cmp_gt_i64_e32 vcc, 0, v[4:5]
	v_not_b32_e32 v4, v5
	v_ashrrev_i32_e32 v4, 31, v4
	v_xor_b32_e32 v5, vcc_hi, v4
	v_xor_b32_e32 v4, vcc_lo, v4
	v_and_b32_e32 v2, v2, v5
	v_and_b32_e32 v35, v35, v4
	v_lshlrev_b32_e32 v5, 28, v34
	v_mov_b32_e32 v4, v3
	v_cmp_gt_i64_e32 vcc, 0, v[4:5]
	v_not_b32_e32 v4, v5
	v_ashrrev_i32_e32 v4, 31, v4
	;; [unrolled: 9-line block ×5, first 2 shown]
	v_xor_b32_e32 v5, vcc_hi, v4
	v_xor_b32_e32 v4, vcc_lo, v4
	v_and_b32_e32 v2, v2, v5
	v_lshlrev_b32_e32 v5, 24, v34
	v_and_b32_e32 v35, v35, v4
	v_mov_b32_e32 v4, v3
	v_not_b32_e32 v3, v5
	v_cmp_gt_i64_e32 vcc, 0, v[4:5]
	v_ashrrev_i32_e32 v3, 31, v3
	ds_read_b32 v33, v7 offset:64
	v_xor_b32_e32 v4, vcc_hi, v3
	v_xor_b32_e32 v5, vcc_lo, v3
	v_and_b32_e32 v3, v2, v4
	v_and_b32_e32 v2, v35, v5
	v_mbcnt_lo_u32_b32 v4, v2, 0
	v_mbcnt_hi_u32_b32 v34, v3, v4
	v_cmp_eq_u32_e32 vcc, 0, v34
	v_cmp_ne_u64_e64 s[4:5], 0, v[2:3]
	s_and_b64 s[6:7], s[4:5], vcc
	; wave barrier
	s_and_saveexec_b64 s[4:5], s[6:7]
	s_cbranch_execz .LBB196_29
; %bb.28:
	v_bcnt_u32_b32 v2, v2, 0
	v_bcnt_u32_b32 v2, v3, v2
	s_waitcnt lgkmcnt(0)
	v_add_u32_e32 v2, v33, v2
	ds_write_b32 v7, v2 offset:64
.LBB196_29:
	s_or_b64 exec, exec, s[4:5]
	v_xor_b32_e32 v8, 0x80000000, v8
	v_lshrrev_b32_e32 v2, s20, v8
	v_and_b32_e32 v36, s23, v2
	s_movk_i32 s6, 0x44
	v_mul_lo_u32 v2, v36, s6
	v_add_u32_e32 v38, v30, v2
	v_and_b32_e32 v2, 1, v36
	v_mov_b32_e32 v3, 0
	v_lshl_add_u64 v[4:5], v[2:3], 0, -1
	v_cmp_ne_u32_e32 vcc, 0, v2
	; wave barrier
	s_nop 1
	v_xor_b32_e32 v4, vcc_lo, v4
	v_xor_b32_e32 v2, vcc_hi, v5
	v_and_b32_e32 v37, exec_lo, v4
	v_lshlrev_b32_e32 v5, 30, v36
	v_mov_b32_e32 v4, v3
	v_cmp_gt_i64_e32 vcc, 0, v[4:5]
	v_not_b32_e32 v4, v5
	v_ashrrev_i32_e32 v4, 31, v4
	v_and_b32_e32 v2, exec_hi, v2
	v_xor_b32_e32 v5, vcc_hi, v4
	v_xor_b32_e32 v4, vcc_lo, v4
	v_and_b32_e32 v2, v2, v5
	v_and_b32_e32 v37, v37, v4
	v_lshlrev_b32_e32 v5, 29, v36
	v_mov_b32_e32 v4, v3
	v_cmp_gt_i64_e32 vcc, 0, v[4:5]
	v_not_b32_e32 v4, v5
	v_ashrrev_i32_e32 v4, 31, v4
	v_xor_b32_e32 v5, vcc_hi, v4
	v_xor_b32_e32 v4, vcc_lo, v4
	v_and_b32_e32 v2, v2, v5
	v_and_b32_e32 v37, v37, v4
	v_lshlrev_b32_e32 v5, 28, v36
	v_mov_b32_e32 v4, v3
	v_cmp_gt_i64_e32 vcc, 0, v[4:5]
	v_not_b32_e32 v4, v5
	v_ashrrev_i32_e32 v4, 31, v4
	;; [unrolled: 9-line block ×6, first 2 shown]
	v_xor_b32_e32 v5, vcc_hi, v4
	v_xor_b32_e32 v4, vcc_lo, v4
	ds_read_b32 v35, v38 offset:64
	v_and_b32_e32 v4, v37, v4
	v_and_b32_e32 v5, v2, v5
	v_mbcnt_lo_u32_b32 v2, v4, 0
	v_mbcnt_hi_u32_b32 v36, v5, v2
	v_cmp_eq_u32_e32 vcc, 0, v36
	v_cmp_ne_u64_e64 s[4:5], 0, v[4:5]
	s_and_b64 s[8:9], s[4:5], vcc
	; wave barrier
	s_and_saveexec_b64 s[4:5], s[8:9]
	s_cbranch_execz .LBB196_31
; %bb.30:
	v_bcnt_u32_b32 v2, v4, 0
	v_bcnt_u32_b32 v2, v5, v2
	s_waitcnt lgkmcnt(0)
	v_add_u32_e32 v2, v35, v2
	ds_write_b32 v38, v2 offset:64
.LBB196_31:
	s_or_b64 exec, exec, s[4:5]
	v_xor_b32_e32 v9, 0x80000000, v9
	v_lshrrev_b32_e32 v2, s20, v9
	v_and_b32_e32 v39, s23, v2
	v_mul_lo_u32 v2, v39, s6
	v_add_u32_e32 v40, v30, v2
	v_and_b32_e32 v2, 1, v39
	v_lshl_add_u64 v[4:5], v[2:3], 0, -1
	v_cmp_ne_u32_e32 vcc, 0, v2
	; wave barrier
	s_nop 1
	v_xor_b32_e32 v4, vcc_lo, v4
	v_xor_b32_e32 v2, vcc_hi, v5
	v_and_b32_e32 v30, exec_lo, v4
	v_lshlrev_b32_e32 v5, 30, v39
	v_mov_b32_e32 v4, v3
	v_cmp_gt_i64_e32 vcc, 0, v[4:5]
	v_not_b32_e32 v4, v5
	v_ashrrev_i32_e32 v4, 31, v4
	v_and_b32_e32 v2, exec_hi, v2
	v_xor_b32_e32 v5, vcc_hi, v4
	v_xor_b32_e32 v4, vcc_lo, v4
	v_and_b32_e32 v2, v2, v5
	v_and_b32_e32 v30, v30, v4
	v_lshlrev_b32_e32 v5, 29, v39
	v_mov_b32_e32 v4, v3
	v_cmp_gt_i64_e32 vcc, 0, v[4:5]
	v_not_b32_e32 v4, v5
	v_ashrrev_i32_e32 v4, 31, v4
	v_xor_b32_e32 v5, vcc_hi, v4
	v_xor_b32_e32 v4, vcc_lo, v4
	v_and_b32_e32 v2, v2, v5
	v_and_b32_e32 v30, v30, v4
	v_lshlrev_b32_e32 v5, 28, v39
	v_mov_b32_e32 v4, v3
	v_cmp_gt_i64_e32 vcc, 0, v[4:5]
	v_not_b32_e32 v4, v5
	v_ashrrev_i32_e32 v4, 31, v4
	;; [unrolled: 9-line block ×5, first 2 shown]
	v_xor_b32_e32 v5, vcc_hi, v4
	v_xor_b32_e32 v4, vcc_lo, v4
	v_and_b32_e32 v2, v2, v5
	v_lshlrev_b32_e32 v5, 24, v39
	v_and_b32_e32 v30, v30, v4
	v_mov_b32_e32 v4, v3
	v_not_b32_e32 v3, v5
	v_cmp_gt_i64_e32 vcc, 0, v[4:5]
	v_ashrrev_i32_e32 v3, 31, v3
	ds_read_b32 v37, v40 offset:64
	v_xor_b32_e32 v4, vcc_hi, v3
	v_xor_b32_e32 v5, vcc_lo, v3
	v_and_b32_e32 v3, v2, v4
	v_and_b32_e32 v2, v30, v5
	v_mbcnt_lo_u32_b32 v4, v2, 0
	v_mbcnt_hi_u32_b32 v39, v3, v4
	v_cmp_eq_u32_e32 vcc, 0, v39
	v_cmp_ne_u64_e64 s[4:5], 0, v[2:3]
	s_and_b64 s[6:7], s[4:5], vcc
	; wave barrier
	s_and_saveexec_b64 s[4:5], s[6:7]
	s_cbranch_execz .LBB196_33
; %bb.32:
	v_bcnt_u32_b32 v2, v2, 0
	v_bcnt_u32_b32 v2, v3, v2
	s_waitcnt lgkmcnt(0)
	v_add_u32_e32 v2, v37, v2
	ds_write_b32 v40, v2 offset:64
.LBB196_33:
	s_or_b64 exec, exec, s[4:5]
	; wave barrier
	s_waitcnt lgkmcnt(0)
	s_barrier
	ds_read2_b32 v[4:5], v17 offset0:16 offset1:17
	ds_read2_b32 v[2:3], v17 offset0:18 offset1:19
	ds_read_b32 v30, v17 offset:80
	v_cmp_lt_u32_e64 s[10:11], 31, v16
	s_waitcnt lgkmcnt(1)
	v_add3_u32 v41, v5, v4, v2
	s_waitcnt lgkmcnt(0)
	v_add3_u32 v30, v41, v3, v30
	v_and_b32_e32 v41, 15, v16
	v_cmp_eq_u32_e32 vcc, 0, v41
	v_mov_b32_dpp v42, v30 row_shr:1 row_mask:0xf bank_mask:0xf
	v_cmp_lt_u32_e64 s[8:9], 1, v41
	v_cndmask_b32_e64 v42, v42, 0, vcc
	v_add_u32_e32 v30, v42, v30
	v_cmp_lt_u32_e64 s[4:5], 3, v41
	v_cmp_lt_u32_e64 s[6:7], 7, v41
	v_mov_b32_dpp v42, v30 row_shr:2 row_mask:0xf bank_mask:0xf
	v_cndmask_b32_e64 v42, 0, v42, s[8:9]
	v_add_u32_e32 v30, v30, v42
	s_nop 1
	v_mov_b32_dpp v42, v30 row_shr:4 row_mask:0xf bank_mask:0xf
	v_cndmask_b32_e64 v42, 0, v42, s[4:5]
	v_add_u32_e32 v30, v30, v42
	s_nop 1
	v_mov_b32_dpp v42, v30 row_shr:8 row_mask:0xf bank_mask:0xf
	v_cndmask_b32_e64 v41, 0, v42, s[6:7]
	v_add_u32_e32 v30, v30, v41
	v_bfe_i32 v42, v16, 4, 1
	s_nop 0
	v_mov_b32_dpp v41, v30 row_bcast:15 row_mask:0xf bank_mask:0xf
	v_and_b32_e32 v41, v42, v41
	v_add_u32_e32 v30, v30, v41
	v_lshrrev_b32_e32 v42, 6, v10
	s_nop 0
	v_mov_b32_dpp v41, v30 row_bcast:31 row_mask:0xf bank_mask:0xf
	v_cndmask_b32_e64 v41, 0, v41, s[10:11]
	v_add_u32_e32 v41, v30, v41
	v_and_b32_e32 v30, 63, v10
	v_cmp_eq_u32_e64 s[10:11], 63, v30
	s_and_saveexec_b64 s[12:13], s[10:11]
; %bb.34:
	v_lshlrev_b32_e32 v30, 2, v42
	ds_write_b32 v30, v41
; %bb.35:
	s_or_b64 exec, exec, s[12:13]
	v_cmp_gt_u32_e64 s[10:11], 16, v10
	v_lshlrev_b32_e32 v30, 2, v10
	s_waitcnt lgkmcnt(0)
	s_barrier
	s_and_saveexec_b64 s[12:13], s[10:11]
	s_cbranch_execz .LBB196_37
; %bb.36:
	ds_read_b32 v43, v30
	s_waitcnt lgkmcnt(0)
	s_nop 0
	v_mov_b32_dpp v44, v43 row_shr:1 row_mask:0xf bank_mask:0xf
	v_cndmask_b32_e64 v44, v44, 0, vcc
	v_add_u32_e32 v43, v44, v43
	s_nop 1
	v_mov_b32_dpp v44, v43 row_shr:2 row_mask:0xf bank_mask:0xf
	v_cndmask_b32_e64 v44, 0, v44, s[8:9]
	v_add_u32_e32 v43, v43, v44
	s_nop 1
	v_mov_b32_dpp v44, v43 row_shr:4 row_mask:0xf bank_mask:0xf
	v_cndmask_b32_e64 v44, 0, v44, s[4:5]
	;; [unrolled: 4-line block ×3, first 2 shown]
	v_add_u32_e32 v43, v43, v44
	ds_write_b32 v30, v43
.LBB196_37:
	s_or_b64 exec, exec, s[12:13]
	v_cmp_lt_u32_e32 vcc, 63, v10
	v_mov_b32_e32 v43, 0
	s_waitcnt lgkmcnt(0)
	s_barrier
	s_and_saveexec_b64 s[4:5], vcc
; %bb.38:
	v_lshl_add_u32 v42, v42, 2, -4
	ds_read_b32 v43, v42
; %bb.39:
	s_or_b64 exec, exec, s[4:5]
	v_subrev_co_u32_e32 v42, vcc, 1, v16
	v_and_b32_e32 v44, 64, v16
	v_cmp_lt_i32_e64 s[4:5], v42, v44
	s_waitcnt lgkmcnt(0)
	v_add_u32_e32 v41, v43, v41
	s_movk_i32 s6, 0x100
	v_cndmask_b32_e64 v16, v42, v16, s[4:5]
	v_lshlrev_b32_e32 v16, 2, v16
	ds_bpermute_b32 v16, v16, v41
	s_movk_i32 s4, 0xff
	v_cmp_lt_u32_e64 s[4:5], s4, v10
	s_waitcnt lgkmcnt(0)
	v_cndmask_b32_e32 v16, v16, v43, vcc
	v_cmp_ne_u32_e32 vcc, 0, v10
	s_nop 1
	v_cndmask_b32_e32 v16, 0, v16, vcc
	v_add_u32_e32 v4, v16, v4
	v_add_u32_e32 v5, v4, v5
	;; [unrolled: 1-line block ×4, first 2 shown]
	ds_write2_b32 v17, v16, v4 offset0:16 offset1:17
	ds_write2_b32 v17, v5, v2 offset0:18 offset1:19
	ds_write_b32 v17, v3 offset:80
	s_waitcnt lgkmcnt(0)
	s_barrier
	ds_read_b32 v22, v22 offset:64
	ds_read_b32 v23, v23 offset:64
	;; [unrolled: 1-line block ×8, first 2 shown]
	v_cmp_gt_u32_e32 vcc, s6, v10
                                        ; implicit-def: $vgpr16
                                        ; implicit-def: $vgpr17
	s_and_saveexec_b64 s[8:9], vcc
	s_cbranch_execz .LBB196_43
; %bb.40:
	v_mul_u32_u24_e32 v2, 0x44, v10
	ds_read_b32 v16, v2 offset:64
	v_add_u32_e32 v3, 1, v10
	v_cmp_ne_u32_e64 s[6:7], s6, v3
	v_mov_b32_e32 v2, 0x2000
	s_and_saveexec_b64 s[10:11], s[6:7]
; %bb.41:
	v_mul_u32_u24_e32 v2, 0x44, v3
	ds_read_b32 v2, v2 offset:64
; %bb.42:
	s_or_b64 exec, exec, s[10:11]
	s_waitcnt lgkmcnt(0)
	v_sub_u32_e32 v17, v2, v16
.LBB196_43:
	s_or_b64 exec, exec, s[8:9]
	v_mov_b32_e32 v3, 0
	s_waitcnt lgkmcnt(0)
	s_barrier
	s_and_saveexec_b64 s[6:7], vcc
	s_cbranch_execz .LBB196_53
; %bb.44:
	v_lshl_add_u32 v2, s2, 8, v10
	v_lshl_add_u64 v[4:5], v[2:3], 2, s[28:29]
	v_or_b32_e32 v2, 2.0, v17
	s_mov_b64 s[8:9], 0
	s_brev_b32 s14, -4
	s_mov_b32 s15, s2
	v_mov_b32_e32 v43, 0
	global_store_dword v[4:5], v2, off sc1
                                        ; implicit-def: $sgpr10_sgpr11
	s_branch .LBB196_47
.LBB196_45:                             ;   in Loop: Header=BB196_47 Depth=1
	s_or_b64 exec, exec, s[12:13]
.LBB196_46:                             ;   in Loop: Header=BB196_47 Depth=1
	s_or_b64 exec, exec, s[10:11]
	v_and_b32_e32 v6, 0x3fffffff, v2
	v_add_u32_e32 v43, v6, v43
	v_cmp_gt_i32_e64 s[10:11], -2.0, v2
	s_and_b64 s[12:13], exec, s[10:11]
	s_or_b64 s[8:9], s[12:13], s[8:9]
	s_andn2_b64 exec, exec, s[8:9]
	s_cbranch_execz .LBB196_52
.LBB196_47:                             ; =>This Loop Header: Depth=1
                                        ;     Child Loop BB196_50 Depth 2
	s_or_b64 s[10:11], s[10:11], exec
	s_cmp_eq_u32 s15, 0
	s_cbranch_scc1 .LBB196_51
; %bb.48:                               ;   in Loop: Header=BB196_47 Depth=1
	s_add_i32 s15, s15, -1
	v_lshl_or_b32 v2, s15, 8, v10
	v_lshl_add_u64 v[6:7], v[2:3], 2, s[28:29]
	global_load_dword v2, v[6:7], off sc1
	s_waitcnt vmcnt(0)
	v_cmp_gt_u32_e32 vcc, 2.0, v2
	s_and_saveexec_b64 s[10:11], vcc
	s_cbranch_execz .LBB196_46
; %bb.49:                               ;   in Loop: Header=BB196_47 Depth=1
	s_mov_b64 s[12:13], 0
.LBB196_50:                             ;   Parent Loop BB196_47 Depth=1
                                        ; =>  This Inner Loop Header: Depth=2
	global_load_dword v2, v[6:7], off sc1
	s_waitcnt vmcnt(0)
	v_cmp_lt_u32_e32 vcc, s14, v2
	s_or_b64 s[12:13], vcc, s[12:13]
	s_andn2_b64 exec, exec, s[12:13]
	s_cbranch_execnz .LBB196_50
	s_branch .LBB196_45
.LBB196_51:                             ;   in Loop: Header=BB196_47 Depth=1
                                        ; implicit-def: $sgpr15
	s_and_b64 s[12:13], exec, s[10:11]
	s_or_b64 s[8:9], s[12:13], s[8:9]
	s_andn2_b64 exec, exec, s[8:9]
	s_cbranch_execnz .LBB196_47
.LBB196_52:
	s_or_b64 exec, exec, s[8:9]
	v_add_u32_e32 v2, v43, v17
	v_or_b32_e32 v2, 0x80000000, v2
	global_store_dword v[4:5], v2, off sc1
	global_load_dword v2, v30, s[16:17]
	v_sub_u32_e32 v3, v43, v16
	s_waitcnt vmcnt(0)
	v_add_u32_e32 v2, v3, v2
	ds_write_b32 v30, v2
.LBB196_53:
	s_or_b64 exec, exec, s[6:7]
	v_add_u32_e32 v4, v22, v18
	v_add3_u32 v5, v20, v19, v23
	v_add3_u32 v6, v25, v21, v27
	;; [unrolled: 1-line block ×7, first 2 shown]
	v_lshlrev_b32_e32 v22, 2, v21
	v_lshlrev_b32_e32 v23, 2, v20
	;; [unrolled: 1-line block ×8, first 2 shown]
	s_mov_b64 s[6:7], -1
	s_mov_b32 s10, 0
	v_mov_b32_e32 v3, 0
	s_movk_i32 s11, 0x400
	s_movk_i32 s12, 0x800
	;; [unrolled: 1-line block ×3, first 2 shown]
	s_branch .LBB196_55
.LBB196_54:                             ;   in Loop: Header=BB196_55 Depth=1
	s_or_b64 exec, exec, s[8:9]
	s_xor_b64 s[8:9], s[6:7], -1
	s_addk_i32 s10, 0xc000
	v_add_u32_e32 v10, 0x1000, v10
	s_mov_b64 s[6:7], 0
	s_and_b64 vcc, exec, s[8:9]
	s_barrier
	s_cbranch_vccnz .LBB196_79
.LBB196_55:                             ; =>This Inner Loop Header: Depth=1
	v_subrev_co_u32_e32 v4, vcc, 0x1000, v4
	s_and_saveexec_b64 s[8:9], vcc
	s_cbranch_execz .LBB196_63
; %bb.56:                               ;   in Loop: Header=BB196_55 Depth=1
	v_add_u32_e32 v2, s10, v31
	ds_write_b32 v2, v11 offset:1024
	s_or_b64 exec, exec, s[8:9]
	v_subrev_co_u32_e32 v5, vcc, 0x1000, v5
	s_and_saveexec_b64 s[8:9], vcc
	s_cbranch_execnz .LBB196_64
.LBB196_57:                             ;   in Loop: Header=BB196_55 Depth=1
	s_or_b64 exec, exec, s[8:9]
	v_subrev_co_u32_e32 v6, vcc, 0x1000, v6
	s_and_saveexec_b64 s[8:9], vcc
	s_cbranch_execz .LBB196_65
.LBB196_58:                             ;   in Loop: Header=BB196_55 Depth=1
	v_add_u32_e32 v2, s10, v28
	ds_write_b32 v2, v15 offset:1024
	s_or_b64 exec, exec, s[8:9]
	v_subrev_co_u32_e32 v7, vcc, 0x1000, v7
	s_and_saveexec_b64 s[8:9], vcc
	s_cbranch_execnz .LBB196_66
.LBB196_59:                             ;   in Loop: Header=BB196_55 Depth=1
	s_or_b64 exec, exec, s[8:9]
	v_subrev_co_u32_e32 v18, vcc, 0x1000, v18
	s_and_saveexec_b64 s[8:9], vcc
	s_cbranch_execz .LBB196_67
.LBB196_60:                             ;   in Loop: Header=BB196_55 Depth=1
	v_add_u32_e32 v2, s10, v26
	ds_write_b32 v2, v13 offset:1024
	s_or_b64 exec, exec, s[8:9]
	v_subrev_co_u32_e32 v19, vcc, 0x1000, v19
	s_and_saveexec_b64 s[8:9], vcc
	s_cbranch_execnz .LBB196_68
.LBB196_61:                             ;   in Loop: Header=BB196_55 Depth=1
	s_or_b64 exec, exec, s[8:9]
	v_subrev_co_u32_e32 v20, vcc, 0x1000, v20
	s_and_saveexec_b64 s[8:9], vcc
	s_cbranch_execz .LBB196_69
.LBB196_62:                             ;   in Loop: Header=BB196_55 Depth=1
	v_add_u32_e32 v2, s10, v23
	ds_write_b32 v2, v8 offset:1024
	s_or_b64 exec, exec, s[8:9]
	v_subrev_co_u32_e32 v21, vcc, 0x1000, v21
	s_and_saveexec_b64 s[8:9], vcc
	s_cbranch_execnz .LBB196_70
	s_branch .LBB196_71
.LBB196_63:                             ;   in Loop: Header=BB196_55 Depth=1
	s_or_b64 exec, exec, s[8:9]
	v_subrev_co_u32_e32 v5, vcc, 0x1000, v5
	s_and_saveexec_b64 s[8:9], vcc
	s_cbranch_execz .LBB196_57
.LBB196_64:                             ;   in Loop: Header=BB196_55 Depth=1
	v_add_u32_e32 v2, s10, v29
	ds_write_b32 v2, v14 offset:1024
	s_or_b64 exec, exec, s[8:9]
	v_subrev_co_u32_e32 v6, vcc, 0x1000, v6
	s_and_saveexec_b64 s[8:9], vcc
	s_cbranch_execnz .LBB196_58
.LBB196_65:                             ;   in Loop: Header=BB196_55 Depth=1
	s_or_b64 exec, exec, s[8:9]
	v_subrev_co_u32_e32 v7, vcc, 0x1000, v7
	s_and_saveexec_b64 s[8:9], vcc
	s_cbranch_execz .LBB196_59
.LBB196_66:                             ;   in Loop: Header=BB196_55 Depth=1
	v_add_u32_e32 v2, s10, v27
	ds_write_b32 v2, v12 offset:1024
	s_or_b64 exec, exec, s[8:9]
	v_subrev_co_u32_e32 v18, vcc, 0x1000, v18
	s_and_saveexec_b64 s[8:9], vcc
	s_cbranch_execnz .LBB196_60
.LBB196_67:                             ;   in Loop: Header=BB196_55 Depth=1
	s_or_b64 exec, exec, s[8:9]
	v_subrev_co_u32_e32 v19, vcc, 0x1000, v19
	s_and_saveexec_b64 s[8:9], vcc
	s_cbranch_execz .LBB196_61
.LBB196_68:                             ;   in Loop: Header=BB196_55 Depth=1
	v_add_u32_e32 v2, s10, v25
	ds_write_b32 v2, v24 offset:1024
	s_or_b64 exec, exec, s[8:9]
	v_subrev_co_u32_e32 v20, vcc, 0x1000, v20
	s_and_saveexec_b64 s[8:9], vcc
	s_cbranch_execnz .LBB196_62
.LBB196_69:                             ;   in Loop: Header=BB196_55 Depth=1
	s_or_b64 exec, exec, s[8:9]
	v_subrev_co_u32_e32 v21, vcc, 0x1000, v21
	s_and_saveexec_b64 s[8:9], vcc
.LBB196_70:                             ;   in Loop: Header=BB196_55 Depth=1
	v_add_u32_e32 v2, s10, v22
	ds_write_b32 v2, v9 offset:1024
.LBB196_71:                             ;   in Loop: Header=BB196_55 Depth=1
	s_or_b64 exec, exec, s[8:9]
	v_cmp_gt_u32_e32 vcc, s3, v10
	s_waitcnt lgkmcnt(0)
	s_barrier
	s_and_saveexec_b64 s[8:9], vcc
	s_cbranch_execz .LBB196_73
; %bb.72:                               ;   in Loop: Header=BB196_55 Depth=1
	ds_read_b32 v2, v30 offset:1024
	s_waitcnt lgkmcnt(0)
	v_lshrrev_b32_e32 v32, s20, v2
	v_and_b32_e32 v32, s23, v32
	v_lshlrev_b32_e32 v32, 2, v32
	ds_read_b32 v32, v32
	v_xor_b32_e32 v34, 0x80000000, v2
	s_waitcnt lgkmcnt(0)
	v_add_u32_e32 v2, v10, v32
	v_lshl_add_u64 v[32:33], v[2:3], 2, s[26:27]
	global_store_dword v[32:33], v34, off
.LBB196_73:                             ;   in Loop: Header=BB196_55 Depth=1
	s_or_b64 exec, exec, s[8:9]
	v_add_u32_e32 v2, 0x400, v10
	v_cmp_gt_u32_e32 vcc, s3, v2
	s_and_saveexec_b64 s[8:9], vcc
	s_cbranch_execz .LBB196_75
; %bb.74:                               ;   in Loop: Header=BB196_55 Depth=1
	ds_read_b32 v2, v30 offset:5120
	s_waitcnt lgkmcnt(0)
	v_lshrrev_b32_e32 v32, s20, v2
	v_and_b32_e32 v32, s23, v32
	v_lshlrev_b32_e32 v32, 2, v32
	ds_read_b32 v32, v32
	v_xor_b32_e32 v34, 0x80000000, v2
	s_waitcnt lgkmcnt(0)
	v_add3_u32 v2, v10, v32, s11
	v_lshl_add_u64 v[32:33], v[2:3], 2, s[26:27]
	global_store_dword v[32:33], v34, off
.LBB196_75:                             ;   in Loop: Header=BB196_55 Depth=1
	s_or_b64 exec, exec, s[8:9]
	v_add_u32_e32 v2, 0x800, v10
	v_cmp_gt_u32_e32 vcc, s3, v2
	s_and_saveexec_b64 s[8:9], vcc
	s_cbranch_execz .LBB196_77
; %bb.76:                               ;   in Loop: Header=BB196_55 Depth=1
	ds_read_b32 v2, v30 offset:9216
	s_waitcnt lgkmcnt(0)
	v_lshrrev_b32_e32 v32, s20, v2
	v_and_b32_e32 v32, s23, v32
	v_lshlrev_b32_e32 v32, 2, v32
	ds_read_b32 v32, v32
	v_xor_b32_e32 v34, 0x80000000, v2
	s_waitcnt lgkmcnt(0)
	v_add3_u32 v2, v10, v32, s12
	v_lshl_add_u64 v[32:33], v[2:3], 2, s[26:27]
	global_store_dword v[32:33], v34, off
.LBB196_77:                             ;   in Loop: Header=BB196_55 Depth=1
	s_or_b64 exec, exec, s[8:9]
	v_add_u32_e32 v2, 0xc00, v10
	v_cmp_gt_u32_e32 vcc, s3, v2
	s_and_saveexec_b64 s[8:9], vcc
	s_cbranch_execz .LBB196_54
; %bb.78:                               ;   in Loop: Header=BB196_55 Depth=1
	ds_read_b32 v2, v30 offset:13312
	s_waitcnt lgkmcnt(0)
	v_lshrrev_b32_e32 v32, s20, v2
	v_and_b32_e32 v32, s23, v32
	v_lshlrev_b32_e32 v32, 2, v32
	ds_read_b32 v32, v32
	v_xor_b32_e32 v34, 0x80000000, v2
	s_waitcnt lgkmcnt(0)
	v_add3_u32 v2, v10, v32, s13
	v_lshl_add_u64 v[32:33], v[2:3], 2, s[26:27]
	global_store_dword v[32:33], v34, off
	s_branch .LBB196_54
.LBB196_79:
	s_add_i32 s22, s22, -1
	s_cmp_eq_u32 s2, s22
	s_cselect_b64 s[6:7], -1, 0
	s_xor_b64 s[4:5], s[4:5], -1
	s_and_b64 s[6:7], s[4:5], s[6:7]
	s_and_saveexec_b64 s[4:5], s[6:7]
	s_cbranch_execz .LBB196_81
; %bb.80:
	ds_read_b32 v2, v30
	s_waitcnt lgkmcnt(0)
	v_add3_u32 v2, v16, v17, v2
	global_store_dword v30, v2, s[18:19]
.LBB196_81:
	s_or_b64 exec, exec, s[4:5]
	s_mov_b64 s[4:5], 0
.LBB196_82:
	s_and_b64 vcc, exec, s[4:5]
	s_cbranch_vccz .LBB196_139
; %bb.83:
	s_lshl_b32 s4, s2, 13
	s_mov_b32 s5, 0
	s_lshl_b64 s[4:5], s[4:5], 2
	v_mbcnt_hi_u32_b32 v6, -1, v1
	v_and_b32_e32 v2, 0x3ff, v0
	s_add_u32 s4, s24, s4
	v_and_b32_e32 v1, 63, v6
	s_addc_u32 s5, s25, s5
	v_lshlrev_b32_e32 v4, 2, v1
	v_mov_b32_e32 v5, 0
	v_lshlrev_b32_e32 v1, 5, v2
	v_lshl_add_u64 v[8:9], s[4:5], 0, v[4:5]
	v_and_b32_e32 v4, 0x7800, v1
	v_lshl_add_u64 v[10:11], v[8:9], 0, v[4:5]
	global_load_dword v1, v[10:11], off
	s_load_dword s4, s[0:1], 0x64
	s_load_dword s3, s[0:1], 0x58
	s_add_u32 s0, s0, 0x58
	s_addc_u32 s1, s1, 0
	v_mul_u32_u24_e32 v7, 20, v2
	s_waitcnt lgkmcnt(0)
	s_lshr_b32 s4, s4, 16
	s_cmp_lt_u32 s2, s3
	s_cselect_b32 s5, 12, 18
	s_add_u32 s0, s0, s5
	s_addc_u32 s1, s1, 0
	global_load_ushort v13, v5, s[0:1]
	ds_write2_b32 v7, v5, v5 offset0:16 offset1:17
	ds_write2_b32 v7, v5, v5 offset0:18 offset1:19
	ds_write_b32 v7, v5 offset:80
	global_load_dword v8, v[10:11], off offset:256
	global_load_dword v9, v[10:11], off offset:512
	;; [unrolled: 1-line block ×7, first 2 shown]
	v_bfe_u32 v3, v0, 10, 10
	v_bfe_u32 v4, v0, 20, 10
	v_mad_u32_u24 v10, v4, s4, v3
	s_lshl_b32 s0, -1, s21
	v_mov_b32_e32 v0, v5
	s_not_b32 s12, s0
	v_mov_b32_e32 v16, v5
	v_mov_b32_e32 v18, v5
	v_mov_b32_e32 v22, v5
	s_movk_i32 s10, 0x44
	s_waitcnt lgkmcnt(0)
	s_barrier
	s_waitcnt vmcnt(8)
	; wave barrier
	v_xor_b32_e32 v3, 0x80000000, v1
	v_lshrrev_b32_e32 v1, s20, v3
	v_bitop3_b32 v14, v1, s0, v1 bitop3:0x30
	v_and_b32_e32 v4, 1, v14
	v_lshlrev_b32_e32 v1, 30, v14
	v_lshlrev_b32_e32 v17, 29, v14
	v_lshl_add_u64 v[28:29], v[4:5], 0, -1
	v_cmp_ne_u32_e32 vcc, 0, v4
	v_lshlrev_b32_e32 v19, 28, v14
	v_cmp_gt_i64_e64 s[4:5], 0, v[16:17]
	s_waitcnt vmcnt(7)
	v_mad_u64_u32 v[24:25], s[0:1], v10, v13, v[2:3]
	v_cmp_gt_i64_e64 s[0:1], 0, v[0:1]
	v_not_b32_e32 v0, v1
	v_not_b32_e32 v1, v17
	v_lshrrev_b32_e32 v13, 4, v24
	v_xor_b32_e32 v16, vcc_hi, v29
	v_xor_b32_e32 v17, vcc_lo, v28
	v_ashrrev_i32_e32 v0, 31, v0
	v_lshlrev_b32_e32 v23, 27, v14
	v_not_b32_e32 v4, v19
	v_ashrrev_i32_e32 v1, 31, v1
	v_and_b32_e32 v24, 0xffffffc, v13
	v_and_b32_e32 v13, exec_hi, v16
	v_and_b32_e32 v16, exec_lo, v17
	v_xor_b32_e32 v17, s1, v0
	v_xor_b32_e32 v0, s0, v0
	v_cmp_gt_i64_e64 s[6:7], 0, v[18:19]
	v_not_b32_e32 v10, v23
	v_ashrrev_i32_e32 v4, 31, v4
	v_xor_b32_e32 v18, s5, v1
	v_xor_b32_e32 v1, s4, v1
	v_and_b32_e32 v0, v16, v0
	v_cmp_gt_i64_e64 s[8:9], 0, v[22:23]
	v_ashrrev_i32_e32 v10, 31, v10
	v_xor_b32_e32 v19, s7, v4
	v_xor_b32_e32 v4, s6, v4
	v_and_b32_e32 v0, v0, v1
	v_lshlrev_b32_e32 v11, 26, v14
	v_xor_b32_e32 v22, s9, v10
	v_xor_b32_e32 v10, s8, v10
	v_and_b32_e32 v13, v13, v17
	v_and_b32_e32 v0, v0, v4
	;; [unrolled: 1-line block ×4, first 2 shown]
	v_mov_b32_e32 v10, v5
	v_not_b32_e32 v4, v11
	v_and_b32_e32 v1, v13, v19
	v_cmp_gt_i64_e32 vcc, 0, v[10:11]
	v_ashrrev_i32_e32 v4, 31, v4
	v_and_b32_e32 v1, v1, v22
	v_xor_b32_e32 v10, vcc_hi, v4
	v_xor_b32_e32 v4, vcc_lo, v4
	v_and_b32_e32 v10, v1, v10
	v_and_b32_e32 v4, v0, v4
	v_lshlrev_b32_e32 v1, 25, v14
	v_mov_b32_e32 v0, v5
	v_cmp_gt_i64_e32 vcc, 0, v[0:1]
	v_not_b32_e32 v0, v1
	v_ashrrev_i32_e32 v0, 31, v0
	v_xor_b32_e32 v1, vcc_hi, v0
	v_xor_b32_e32 v0, vcc_lo, v0
	v_and_b32_e32 v10, v10, v1
	v_and_b32_e32 v4, v4, v0
	v_lshlrev_b32_e32 v1, 24, v14
	v_mov_b32_e32 v0, v5
	v_cmp_gt_i64_e32 vcc, 0, v[0:1]
	v_not_b32_e32 v0, v1
	v_ashrrev_i32_e32 v0, 31, v0
	v_xor_b32_e32 v1, vcc_hi, v0
	v_xor_b32_e32 v0, vcc_lo, v0
	v_and_b32_e32 v0, v4, v0
	v_and_b32_e32 v1, v10, v1
	v_mbcnt_lo_u32_b32 v4, v0, 0
	v_mbcnt_hi_u32_b32 v10, v1, v4
	v_mul_lo_u32 v27, v14, s10
	v_cmp_eq_u32_e32 vcc, 0, v10
	v_cmp_ne_u64_e64 s[0:1], 0, v[0:1]
	s_and_b64 s[4:5], s[0:1], vcc
	v_add_u32_e32 v16, v24, v27
	s_and_saveexec_b64 s[0:1], s[4:5]
; %bb.84:
	v_bcnt_u32_b32 v0, v0, 0
	v_bcnt_u32_b32 v0, v1, v0
	ds_write_b32 v16, v0 offset:64
; %bb.85:
	s_or_b64 exec, exec, s[0:1]
	s_waitcnt vmcnt(6)
	v_xor_b32_e32 v8, 0x80000000, v8
	v_lshrrev_b32_e32 v0, s20, v8
	v_and_b32_e32 v13, s12, v0
	v_mul_lo_u32 v0, v13, s10
	v_and_b32_e32 v4, 1, v13
	v_add_u32_e32 v17, v24, v0
	v_lshl_add_u64 v[0:1], v[4:5], 0, -1
	v_cmp_ne_u32_e32 vcc, 0, v4
	; wave barrier
	s_nop 1
	v_xor_b32_e32 v1, vcc_hi, v1
	v_xor_b32_e32 v0, vcc_lo, v0
	v_and_b32_e32 v4, exec_hi, v1
	v_and_b32_e32 v14, exec_lo, v0
	v_lshlrev_b32_e32 v1, 30, v13
	v_mov_b32_e32 v0, v5
	v_cmp_gt_i64_e32 vcc, 0, v[0:1]
	v_not_b32_e32 v0, v1
	v_ashrrev_i32_e32 v0, 31, v0
	v_xor_b32_e32 v1, vcc_hi, v0
	v_xor_b32_e32 v0, vcc_lo, v0
	v_and_b32_e32 v4, v4, v1
	v_and_b32_e32 v14, v14, v0
	v_lshlrev_b32_e32 v1, 29, v13
	v_mov_b32_e32 v0, v5
	v_cmp_gt_i64_e32 vcc, 0, v[0:1]
	v_not_b32_e32 v0, v1
	v_ashrrev_i32_e32 v0, 31, v0
	v_xor_b32_e32 v1, vcc_hi, v0
	v_xor_b32_e32 v0, vcc_lo, v0
	v_and_b32_e32 v4, v4, v1
	v_and_b32_e32 v14, v14, v0
	;; [unrolled: 9-line block ×6, first 2 shown]
	v_lshlrev_b32_e32 v1, 24, v13
	v_mov_b32_e32 v0, v5
	v_cmp_gt_i64_e32 vcc, 0, v[0:1]
	v_not_b32_e32 v0, v1
	v_ashrrev_i32_e32 v0, 31, v0
	v_xor_b32_e32 v1, vcc_hi, v0
	v_xor_b32_e32 v0, vcc_lo, v0
	ds_read_b32 v11, v17 offset:64
	v_and_b32_e32 v0, v14, v0
	v_and_b32_e32 v1, v4, v1
	v_mbcnt_lo_u32_b32 v4, v0, 0
	v_mbcnt_hi_u32_b32 v13, v1, v4
	v_cmp_eq_u32_e32 vcc, 0, v13
	v_cmp_ne_u64_e64 s[0:1], 0, v[0:1]
	s_and_b64 s[4:5], s[0:1], vcc
	; wave barrier
	s_and_saveexec_b64 s[0:1], s[4:5]
	s_cbranch_execz .LBB196_87
; %bb.86:
	v_bcnt_u32_b32 v0, v0, 0
	v_bcnt_u32_b32 v0, v1, v0
	s_waitcnt lgkmcnt(0)
	v_add_u32_e32 v0, v11, v0
	ds_write_b32 v17, v0 offset:64
.LBB196_87:
	s_or_b64 exec, exec, s[0:1]
	s_waitcnt vmcnt(5)
	v_xor_b32_e32 v9, 0x80000000, v9
	v_lshrrev_b32_e32 v0, s20, v9
	v_and_b32_e32 v18, s12, v0
	s_movk_i32 s4, 0x44
	v_mul_lo_u32 v0, v18, s4
	v_add_u32_e32 v22, v24, v0
	v_and_b32_e32 v0, 1, v18
	v_mov_b32_e32 v1, 0
	v_lshl_add_u64 v[4:5], v[0:1], 0, -1
	v_cmp_ne_u32_e32 vcc, 0, v0
	; wave barrier
	s_nop 1
	v_xor_b32_e32 v4, vcc_lo, v4
	v_xor_b32_e32 v0, vcc_hi, v5
	v_and_b32_e32 v19, exec_lo, v4
	v_lshlrev_b32_e32 v5, 30, v18
	v_mov_b32_e32 v4, v1
	v_cmp_gt_i64_e32 vcc, 0, v[4:5]
	v_not_b32_e32 v4, v5
	v_ashrrev_i32_e32 v4, 31, v4
	v_and_b32_e32 v0, exec_hi, v0
	v_xor_b32_e32 v5, vcc_hi, v4
	v_xor_b32_e32 v4, vcc_lo, v4
	v_and_b32_e32 v0, v0, v5
	v_and_b32_e32 v19, v19, v4
	v_lshlrev_b32_e32 v5, 29, v18
	v_mov_b32_e32 v4, v1
	v_cmp_gt_i64_e32 vcc, 0, v[4:5]
	v_not_b32_e32 v4, v5
	v_ashrrev_i32_e32 v4, 31, v4
	v_xor_b32_e32 v5, vcc_hi, v4
	v_xor_b32_e32 v4, vcc_lo, v4
	v_and_b32_e32 v0, v0, v5
	v_and_b32_e32 v19, v19, v4
	v_lshlrev_b32_e32 v5, 28, v18
	v_mov_b32_e32 v4, v1
	v_cmp_gt_i64_e32 vcc, 0, v[4:5]
	v_not_b32_e32 v4, v5
	v_ashrrev_i32_e32 v4, 31, v4
	;; [unrolled: 9-line block ×6, first 2 shown]
	v_xor_b32_e32 v5, vcc_hi, v4
	v_xor_b32_e32 v4, vcc_lo, v4
	ds_read_b32 v14, v22 offset:64
	v_and_b32_e32 v4, v19, v4
	v_and_b32_e32 v5, v0, v5
	v_mbcnt_lo_u32_b32 v0, v4, 0
	v_mbcnt_hi_u32_b32 v18, v5, v0
	v_cmp_eq_u32_e32 vcc, 0, v18
	v_cmp_ne_u64_e64 s[0:1], 0, v[4:5]
	s_and_b64 s[6:7], s[0:1], vcc
	; wave barrier
	s_and_saveexec_b64 s[0:1], s[6:7]
	s_cbranch_execz .LBB196_89
; %bb.88:
	v_bcnt_u32_b32 v0, v4, 0
	v_bcnt_u32_b32 v0, v5, v0
	s_waitcnt lgkmcnt(0)
	v_add_u32_e32 v0, v14, v0
	ds_write_b32 v22, v0 offset:64
.LBB196_89:
	s_or_b64 exec, exec, s[0:1]
	s_waitcnt vmcnt(4)
	v_xor_b32_e32 v12, 0x80000000, v12
	v_lshrrev_b32_e32 v0, s20, v12
	v_and_b32_e32 v23, s12, v0
	v_mul_lo_u32 v0, v23, s4
	v_add_u32_e32 v27, v24, v0
	v_and_b32_e32 v0, 1, v23
	v_lshl_add_u64 v[4:5], v[0:1], 0, -1
	v_cmp_ne_u32_e32 vcc, 0, v0
	; wave barrier
	s_nop 1
	v_xor_b32_e32 v4, vcc_lo, v4
	v_xor_b32_e32 v0, vcc_hi, v5
	v_and_b32_e32 v25, exec_lo, v4
	v_lshlrev_b32_e32 v5, 30, v23
	v_mov_b32_e32 v4, v1
	v_cmp_gt_i64_e32 vcc, 0, v[4:5]
	v_not_b32_e32 v4, v5
	v_ashrrev_i32_e32 v4, 31, v4
	v_and_b32_e32 v0, exec_hi, v0
	v_xor_b32_e32 v5, vcc_hi, v4
	v_xor_b32_e32 v4, vcc_lo, v4
	v_and_b32_e32 v0, v0, v5
	v_and_b32_e32 v25, v25, v4
	v_lshlrev_b32_e32 v5, 29, v23
	v_mov_b32_e32 v4, v1
	v_cmp_gt_i64_e32 vcc, 0, v[4:5]
	v_not_b32_e32 v4, v5
	v_ashrrev_i32_e32 v4, 31, v4
	v_xor_b32_e32 v5, vcc_hi, v4
	v_xor_b32_e32 v4, vcc_lo, v4
	v_and_b32_e32 v0, v0, v5
	v_and_b32_e32 v25, v25, v4
	v_lshlrev_b32_e32 v5, 28, v23
	v_mov_b32_e32 v4, v1
	v_cmp_gt_i64_e32 vcc, 0, v[4:5]
	v_not_b32_e32 v4, v5
	v_ashrrev_i32_e32 v4, 31, v4
	;; [unrolled: 9-line block ×5, first 2 shown]
	v_xor_b32_e32 v5, vcc_hi, v4
	v_xor_b32_e32 v4, vcc_lo, v4
	v_and_b32_e32 v0, v0, v5
	v_lshlrev_b32_e32 v5, 24, v23
	v_and_b32_e32 v25, v25, v4
	v_mov_b32_e32 v4, v1
	v_not_b32_e32 v1, v5
	v_cmp_gt_i64_e32 vcc, 0, v[4:5]
	v_ashrrev_i32_e32 v1, 31, v1
	ds_read_b32 v19, v27 offset:64
	v_xor_b32_e32 v4, vcc_hi, v1
	v_xor_b32_e32 v5, vcc_lo, v1
	v_and_b32_e32 v1, v0, v4
	v_and_b32_e32 v0, v25, v5
	v_mbcnt_lo_u32_b32 v4, v0, 0
	v_mbcnt_hi_u32_b32 v23, v1, v4
	v_cmp_eq_u32_e32 vcc, 0, v23
	v_cmp_ne_u64_e64 s[0:1], 0, v[0:1]
	s_and_b64 s[4:5], s[0:1], vcc
	; wave barrier
	s_and_saveexec_b64 s[0:1], s[4:5]
	s_cbranch_execz .LBB196_91
; %bb.90:
	v_bcnt_u32_b32 v0, v0, 0
	v_bcnt_u32_b32 v0, v1, v0
	s_waitcnt lgkmcnt(0)
	v_add_u32_e32 v0, v19, v0
	ds_write_b32 v27, v0 offset:64
.LBB196_91:
	s_or_b64 exec, exec, s[0:1]
	s_waitcnt vmcnt(3)
	v_xor_b32_e32 v15, 0x80000000, v15
	v_lshrrev_b32_e32 v0, s20, v15
	v_and_b32_e32 v28, s12, v0
	s_movk_i32 s4, 0x44
	v_mul_lo_u32 v0, v28, s4
	v_add_u32_e32 v30, v24, v0
	v_and_b32_e32 v0, 1, v28
	v_mov_b32_e32 v1, 0
	v_lshl_add_u64 v[4:5], v[0:1], 0, -1
	v_cmp_ne_u32_e32 vcc, 0, v0
	; wave barrier
	s_nop 1
	v_xor_b32_e32 v4, vcc_lo, v4
	v_xor_b32_e32 v0, vcc_hi, v5
	v_and_b32_e32 v29, exec_lo, v4
	v_lshlrev_b32_e32 v5, 30, v28
	v_mov_b32_e32 v4, v1
	v_cmp_gt_i64_e32 vcc, 0, v[4:5]
	v_not_b32_e32 v4, v5
	v_ashrrev_i32_e32 v4, 31, v4
	v_and_b32_e32 v0, exec_hi, v0
	v_xor_b32_e32 v5, vcc_hi, v4
	v_xor_b32_e32 v4, vcc_lo, v4
	v_and_b32_e32 v0, v0, v5
	v_and_b32_e32 v29, v29, v4
	v_lshlrev_b32_e32 v5, 29, v28
	v_mov_b32_e32 v4, v1
	v_cmp_gt_i64_e32 vcc, 0, v[4:5]
	v_not_b32_e32 v4, v5
	v_ashrrev_i32_e32 v4, 31, v4
	v_xor_b32_e32 v5, vcc_hi, v4
	v_xor_b32_e32 v4, vcc_lo, v4
	v_and_b32_e32 v0, v0, v5
	v_and_b32_e32 v29, v29, v4
	v_lshlrev_b32_e32 v5, 28, v28
	v_mov_b32_e32 v4, v1
	v_cmp_gt_i64_e32 vcc, 0, v[4:5]
	v_not_b32_e32 v4, v5
	v_ashrrev_i32_e32 v4, 31, v4
	;; [unrolled: 9-line block ×6, first 2 shown]
	v_xor_b32_e32 v5, vcc_hi, v4
	v_xor_b32_e32 v4, vcc_lo, v4
	ds_read_b32 v25, v30 offset:64
	v_and_b32_e32 v4, v29, v4
	v_and_b32_e32 v5, v0, v5
	v_mbcnt_lo_u32_b32 v0, v4, 0
	v_mbcnt_hi_u32_b32 v28, v5, v0
	v_cmp_eq_u32_e32 vcc, 0, v28
	v_cmp_ne_u64_e64 s[0:1], 0, v[4:5]
	s_and_b64 s[6:7], s[0:1], vcc
	; wave barrier
	s_and_saveexec_b64 s[0:1], s[6:7]
	s_cbranch_execz .LBB196_93
; %bb.92:
	v_bcnt_u32_b32 v0, v4, 0
	v_bcnt_u32_b32 v0, v5, v0
	s_waitcnt lgkmcnt(0)
	v_add_u32_e32 v0, v25, v0
	ds_write_b32 v30, v0 offset:64
.LBB196_93:
	s_or_b64 exec, exec, s[0:1]
	s_waitcnt vmcnt(2)
	v_xor_b32_e32 v20, 0x80000000, v20
	v_lshrrev_b32_e32 v0, s20, v20
	v_and_b32_e32 v31, s12, v0
	v_mul_lo_u32 v0, v31, s4
	v_add_u32_e32 v33, v24, v0
	v_and_b32_e32 v0, 1, v31
	v_lshl_add_u64 v[4:5], v[0:1], 0, -1
	v_cmp_ne_u32_e32 vcc, 0, v0
	; wave barrier
	s_nop 1
	v_xor_b32_e32 v4, vcc_lo, v4
	v_xor_b32_e32 v0, vcc_hi, v5
	v_and_b32_e32 v32, exec_lo, v4
	v_lshlrev_b32_e32 v5, 30, v31
	v_mov_b32_e32 v4, v1
	v_cmp_gt_i64_e32 vcc, 0, v[4:5]
	v_not_b32_e32 v4, v5
	v_ashrrev_i32_e32 v4, 31, v4
	v_and_b32_e32 v0, exec_hi, v0
	v_xor_b32_e32 v5, vcc_hi, v4
	v_xor_b32_e32 v4, vcc_lo, v4
	v_and_b32_e32 v0, v0, v5
	v_and_b32_e32 v32, v32, v4
	v_lshlrev_b32_e32 v5, 29, v31
	v_mov_b32_e32 v4, v1
	v_cmp_gt_i64_e32 vcc, 0, v[4:5]
	v_not_b32_e32 v4, v5
	v_ashrrev_i32_e32 v4, 31, v4
	v_xor_b32_e32 v5, vcc_hi, v4
	v_xor_b32_e32 v4, vcc_lo, v4
	v_and_b32_e32 v0, v0, v5
	v_and_b32_e32 v32, v32, v4
	v_lshlrev_b32_e32 v5, 28, v31
	v_mov_b32_e32 v4, v1
	v_cmp_gt_i64_e32 vcc, 0, v[4:5]
	v_not_b32_e32 v4, v5
	v_ashrrev_i32_e32 v4, 31, v4
	;; [unrolled: 9-line block ×5, first 2 shown]
	v_xor_b32_e32 v5, vcc_hi, v4
	v_xor_b32_e32 v4, vcc_lo, v4
	v_and_b32_e32 v0, v0, v5
	v_lshlrev_b32_e32 v5, 24, v31
	v_and_b32_e32 v32, v32, v4
	v_mov_b32_e32 v4, v1
	v_not_b32_e32 v1, v5
	v_cmp_gt_i64_e32 vcc, 0, v[4:5]
	v_ashrrev_i32_e32 v1, 31, v1
	ds_read_b32 v29, v33 offset:64
	v_xor_b32_e32 v4, vcc_hi, v1
	v_xor_b32_e32 v5, vcc_lo, v1
	v_and_b32_e32 v1, v0, v4
	v_and_b32_e32 v0, v32, v5
	v_mbcnt_lo_u32_b32 v4, v0, 0
	v_mbcnt_hi_u32_b32 v31, v1, v4
	v_cmp_eq_u32_e32 vcc, 0, v31
	v_cmp_ne_u64_e64 s[0:1], 0, v[0:1]
	s_and_b64 s[4:5], s[0:1], vcc
	; wave barrier
	s_and_saveexec_b64 s[0:1], s[4:5]
	s_cbranch_execz .LBB196_95
; %bb.94:
	v_bcnt_u32_b32 v0, v0, 0
	v_bcnt_u32_b32 v0, v1, v0
	s_waitcnt lgkmcnt(0)
	v_add_u32_e32 v0, v29, v0
	ds_write_b32 v33, v0 offset:64
.LBB196_95:
	s_or_b64 exec, exec, s[0:1]
	s_waitcnt vmcnt(1)
	v_xor_b32_e32 v26, 0x80000000, v26
	v_lshrrev_b32_e32 v0, s20, v26
	v_and_b32_e32 v34, s12, v0
	s_movk_i32 s4, 0x44
	v_mul_lo_u32 v0, v34, s4
	v_add_u32_e32 v36, v24, v0
	v_and_b32_e32 v0, 1, v34
	v_mov_b32_e32 v1, 0
	v_lshl_add_u64 v[4:5], v[0:1], 0, -1
	v_cmp_ne_u32_e32 vcc, 0, v0
	; wave barrier
	s_nop 1
	v_xor_b32_e32 v4, vcc_lo, v4
	v_xor_b32_e32 v0, vcc_hi, v5
	v_and_b32_e32 v35, exec_lo, v4
	v_lshlrev_b32_e32 v5, 30, v34
	v_mov_b32_e32 v4, v1
	v_cmp_gt_i64_e32 vcc, 0, v[4:5]
	v_not_b32_e32 v4, v5
	v_ashrrev_i32_e32 v4, 31, v4
	v_and_b32_e32 v0, exec_hi, v0
	v_xor_b32_e32 v5, vcc_hi, v4
	v_xor_b32_e32 v4, vcc_lo, v4
	v_and_b32_e32 v0, v0, v5
	v_and_b32_e32 v35, v35, v4
	v_lshlrev_b32_e32 v5, 29, v34
	v_mov_b32_e32 v4, v1
	v_cmp_gt_i64_e32 vcc, 0, v[4:5]
	v_not_b32_e32 v4, v5
	v_ashrrev_i32_e32 v4, 31, v4
	v_xor_b32_e32 v5, vcc_hi, v4
	v_xor_b32_e32 v4, vcc_lo, v4
	v_and_b32_e32 v0, v0, v5
	v_and_b32_e32 v35, v35, v4
	v_lshlrev_b32_e32 v5, 28, v34
	v_mov_b32_e32 v4, v1
	v_cmp_gt_i64_e32 vcc, 0, v[4:5]
	v_not_b32_e32 v4, v5
	v_ashrrev_i32_e32 v4, 31, v4
	v_xor_b32_e32 v5, vcc_hi, v4
	v_xor_b32_e32 v4, vcc_lo, v4
	v_and_b32_e32 v0, v0, v5
	v_and_b32_e32 v35, v35, v4
	v_lshlrev_b32_e32 v5, 27, v34
	v_mov_b32_e32 v4, v1
	v_cmp_gt_i64_e32 vcc, 0, v[4:5]
	v_not_b32_e32 v4, v5
	v_ashrrev_i32_e32 v4, 31, v4
	v_xor_b32_e32 v5, vcc_hi, v4
	v_xor_b32_e32 v4, vcc_lo, v4
	v_and_b32_e32 v0, v0, v5
	v_and_b32_e32 v35, v35, v4
	v_lshlrev_b32_e32 v5, 26, v34
	v_mov_b32_e32 v4, v1
	v_cmp_gt_i64_e32 vcc, 0, v[4:5]
	v_not_b32_e32 v4, v5
	v_ashrrev_i32_e32 v4, 31, v4
	v_xor_b32_e32 v5, vcc_hi, v4
	v_xor_b32_e32 v4, vcc_lo, v4
	v_and_b32_e32 v0, v0, v5
	v_and_b32_e32 v35, v35, v4
	v_lshlrev_b32_e32 v5, 25, v34
	v_mov_b32_e32 v4, v1
	v_cmp_gt_i64_e32 vcc, 0, v[4:5]
	v_not_b32_e32 v4, v5
	v_ashrrev_i32_e32 v4, 31, v4
	v_xor_b32_e32 v5, vcc_hi, v4
	v_xor_b32_e32 v4, vcc_lo, v4
	v_and_b32_e32 v0, v0, v5
	v_and_b32_e32 v35, v35, v4
	v_lshlrev_b32_e32 v5, 24, v34
	v_mov_b32_e32 v4, v1
	v_cmp_gt_i64_e32 vcc, 0, v[4:5]
	v_not_b32_e32 v4, v5
	v_ashrrev_i32_e32 v4, 31, v4
	v_xor_b32_e32 v5, vcc_hi, v4
	v_xor_b32_e32 v4, vcc_lo, v4
	ds_read_b32 v32, v36 offset:64
	v_and_b32_e32 v4, v35, v4
	v_and_b32_e32 v5, v0, v5
	v_mbcnt_lo_u32_b32 v0, v4, 0
	v_mbcnt_hi_u32_b32 v34, v5, v0
	v_cmp_eq_u32_e32 vcc, 0, v34
	v_cmp_ne_u64_e64 s[0:1], 0, v[4:5]
	s_and_b64 s[6:7], s[0:1], vcc
	; wave barrier
	s_and_saveexec_b64 s[0:1], s[6:7]
	s_cbranch_execz .LBB196_97
; %bb.96:
	v_bcnt_u32_b32 v0, v4, 0
	v_bcnt_u32_b32 v0, v5, v0
	s_waitcnt lgkmcnt(0)
	v_add_u32_e32 v0, v32, v0
	ds_write_b32 v36, v0 offset:64
.LBB196_97:
	s_or_b64 exec, exec, s[0:1]
	s_waitcnt vmcnt(0)
	v_xor_b32_e32 v21, 0x80000000, v21
	v_lshrrev_b32_e32 v0, s20, v21
	v_and_b32_e32 v37, s12, v0
	v_mul_lo_u32 v0, v37, s4
	v_add_u32_e32 v38, v24, v0
	v_and_b32_e32 v0, 1, v37
	v_lshl_add_u64 v[4:5], v[0:1], 0, -1
	v_cmp_ne_u32_e32 vcc, 0, v0
	; wave barrier
	s_nop 1
	v_xor_b32_e32 v4, vcc_lo, v4
	v_xor_b32_e32 v0, vcc_hi, v5
	v_and_b32_e32 v24, exec_lo, v4
	v_lshlrev_b32_e32 v5, 30, v37
	v_mov_b32_e32 v4, v1
	v_cmp_gt_i64_e32 vcc, 0, v[4:5]
	v_not_b32_e32 v4, v5
	v_ashrrev_i32_e32 v4, 31, v4
	v_and_b32_e32 v0, exec_hi, v0
	v_xor_b32_e32 v5, vcc_hi, v4
	v_xor_b32_e32 v4, vcc_lo, v4
	v_and_b32_e32 v0, v0, v5
	v_and_b32_e32 v24, v24, v4
	v_lshlrev_b32_e32 v5, 29, v37
	v_mov_b32_e32 v4, v1
	v_cmp_gt_i64_e32 vcc, 0, v[4:5]
	v_not_b32_e32 v4, v5
	v_ashrrev_i32_e32 v4, 31, v4
	v_xor_b32_e32 v5, vcc_hi, v4
	v_xor_b32_e32 v4, vcc_lo, v4
	v_and_b32_e32 v0, v0, v5
	v_and_b32_e32 v24, v24, v4
	v_lshlrev_b32_e32 v5, 28, v37
	v_mov_b32_e32 v4, v1
	v_cmp_gt_i64_e32 vcc, 0, v[4:5]
	v_not_b32_e32 v4, v5
	v_ashrrev_i32_e32 v4, 31, v4
	;; [unrolled: 9-line block ×5, first 2 shown]
	v_xor_b32_e32 v5, vcc_hi, v4
	v_xor_b32_e32 v4, vcc_lo, v4
	v_and_b32_e32 v0, v0, v5
	v_lshlrev_b32_e32 v5, 24, v37
	v_and_b32_e32 v24, v24, v4
	v_mov_b32_e32 v4, v1
	v_not_b32_e32 v1, v5
	v_cmp_gt_i64_e32 vcc, 0, v[4:5]
	v_ashrrev_i32_e32 v1, 31, v1
	ds_read_b32 v35, v38 offset:64
	v_xor_b32_e32 v4, vcc_hi, v1
	v_xor_b32_e32 v5, vcc_lo, v1
	v_and_b32_e32 v1, v0, v4
	v_and_b32_e32 v0, v24, v5
	v_mbcnt_lo_u32_b32 v4, v0, 0
	v_mbcnt_hi_u32_b32 v37, v1, v4
	v_cmp_eq_u32_e32 vcc, 0, v37
	v_cmp_ne_u64_e64 s[0:1], 0, v[0:1]
	s_and_b64 s[4:5], s[0:1], vcc
	; wave barrier
	s_and_saveexec_b64 s[0:1], s[4:5]
	s_cbranch_execz .LBB196_99
; %bb.98:
	v_bcnt_u32_b32 v0, v0, 0
	v_bcnt_u32_b32 v0, v1, v0
	s_waitcnt lgkmcnt(0)
	v_add_u32_e32 v0, v35, v0
	ds_write_b32 v38, v0 offset:64
.LBB196_99:
	s_or_b64 exec, exec, s[0:1]
	; wave barrier
	s_waitcnt lgkmcnt(0)
	s_barrier
	ds_read2_b32 v[4:5], v7 offset0:16 offset1:17
	ds_read2_b32 v[0:1], v7 offset0:18 offset1:19
	ds_read_b32 v24, v7 offset:80
	v_cmp_lt_u32_e64 s[8:9], 31, v6
	s_waitcnt lgkmcnt(1)
	v_add3_u32 v39, v5, v4, v0
	s_waitcnt lgkmcnt(0)
	v_add3_u32 v24, v39, v1, v24
	v_and_b32_e32 v39, 15, v6
	v_cmp_eq_u32_e32 vcc, 0, v39
	v_mov_b32_dpp v40, v24 row_shr:1 row_mask:0xf bank_mask:0xf
	v_cmp_lt_u32_e64 s[0:1], 1, v39
	v_cndmask_b32_e64 v40, v40, 0, vcc
	v_add_u32_e32 v24, v40, v24
	v_cmp_lt_u32_e64 s[6:7], 3, v39
	v_cmp_lt_u32_e64 s[4:5], 7, v39
	v_mov_b32_dpp v40, v24 row_shr:2 row_mask:0xf bank_mask:0xf
	v_cndmask_b32_e64 v40, 0, v40, s[0:1]
	v_add_u32_e32 v24, v24, v40
	s_nop 1
	v_mov_b32_dpp v40, v24 row_shr:4 row_mask:0xf bank_mask:0xf
	v_cndmask_b32_e64 v40, 0, v40, s[6:7]
	v_add_u32_e32 v24, v24, v40
	s_nop 1
	v_mov_b32_dpp v40, v24 row_shr:8 row_mask:0xf bank_mask:0xf
	v_cndmask_b32_e64 v39, 0, v40, s[4:5]
	v_add_u32_e32 v24, v24, v39
	v_bfe_i32 v40, v6, 4, 1
	s_nop 0
	v_mov_b32_dpp v39, v24 row_bcast:15 row_mask:0xf bank_mask:0xf
	v_and_b32_e32 v39, v40, v39
	v_add_u32_e32 v24, v24, v39
	v_lshrrev_b32_e32 v40, 6, v2
	s_nop 0
	v_mov_b32_dpp v39, v24 row_bcast:31 row_mask:0xf bank_mask:0xf
	v_cndmask_b32_e64 v39, 0, v39, s[8:9]
	v_add_u32_e32 v39, v24, v39
	v_and_b32_e32 v24, 63, v2
	v_cmp_eq_u32_e64 s[8:9], 63, v24
	s_and_saveexec_b64 s[10:11], s[8:9]
; %bb.100:
	v_lshlrev_b32_e32 v24, 2, v40
	ds_write_b32 v24, v39
; %bb.101:
	s_or_b64 exec, exec, s[10:11]
	v_cmp_gt_u32_e64 s[8:9], 16, v2
	v_lshlrev_b32_e32 v24, 2, v2
	s_waitcnt lgkmcnt(0)
	s_barrier
	s_and_saveexec_b64 s[10:11], s[8:9]
	s_cbranch_execz .LBB196_103
; %bb.102:
	ds_read_b32 v41, v24
	s_waitcnt lgkmcnt(0)
	s_nop 0
	v_mov_b32_dpp v42, v41 row_shr:1 row_mask:0xf bank_mask:0xf
	v_cndmask_b32_e64 v42, v42, 0, vcc
	v_add_u32_e32 v41, v42, v41
	s_nop 1
	v_mov_b32_dpp v42, v41 row_shr:2 row_mask:0xf bank_mask:0xf
	v_cndmask_b32_e64 v42, 0, v42, s[0:1]
	v_add_u32_e32 v41, v41, v42
	s_nop 1
	v_mov_b32_dpp v42, v41 row_shr:4 row_mask:0xf bank_mask:0xf
	v_cndmask_b32_e64 v42, 0, v42, s[6:7]
	;; [unrolled: 4-line block ×3, first 2 shown]
	v_add_u32_e32 v41, v41, v42
	ds_write_b32 v24, v41
.LBB196_103:
	s_or_b64 exec, exec, s[10:11]
	v_cmp_lt_u32_e32 vcc, 63, v2
	v_mov_b32_e32 v41, 0
	s_waitcnt lgkmcnt(0)
	s_barrier
	s_and_saveexec_b64 s[0:1], vcc
; %bb.104:
	v_lshl_add_u32 v40, v40, 2, -4
	ds_read_b32 v41, v40
; %bb.105:
	s_or_b64 exec, exec, s[0:1]
	v_subrev_co_u32_e32 v40, vcc, 1, v6
	v_and_b32_e32 v42, 64, v6
	v_cmp_lt_i32_e64 s[0:1], v40, v42
	s_waitcnt lgkmcnt(0)
	v_add_u32_e32 v39, v41, v39
	s_movk_i32 s4, 0x100
	v_cndmask_b32_e64 v6, v40, v6, s[0:1]
	v_lshlrev_b32_e32 v6, 2, v6
	ds_bpermute_b32 v6, v6, v39
	s_movk_i32 s0, 0xff
	v_cmp_lt_u32_e64 s[0:1], s0, v2
	s_waitcnt lgkmcnt(0)
	v_cndmask_b32_e32 v6, v6, v41, vcc
	v_cmp_ne_u32_e32 vcc, 0, v2
	s_nop 1
	v_cndmask_b32_e32 v6, 0, v6, vcc
	v_add_u32_e32 v4, v6, v4
	v_add_u32_e32 v5, v4, v5
	;; [unrolled: 1-line block ×4, first 2 shown]
	ds_write2_b32 v7, v6, v4 offset0:16 offset1:17
	ds_write2_b32 v7, v5, v0 offset0:18 offset1:19
	ds_write_b32 v7, v1 offset:80
	s_waitcnt lgkmcnt(0)
	s_barrier
	ds_read_b32 v42, v16 offset:64
	ds_read_b32 v39, v17 offset:64
	;; [unrolled: 1-line block ×8, first 2 shown]
	v_cmp_gt_u32_e32 vcc, s4, v2
                                        ; implicit-def: $vgpr16
                                        ; implicit-def: $vgpr17
	s_and_saveexec_b64 s[6:7], vcc
	s_cbranch_execz .LBB196_109
; %bb.106:
	v_mul_u32_u24_e32 v0, 0x44, v2
	ds_read_b32 v16, v0 offset:64
	v_add_u32_e32 v1, 1, v2
	v_cmp_ne_u32_e64 s[4:5], s4, v1
	v_mov_b32_e32 v0, 0x2000
	s_and_saveexec_b64 s[8:9], s[4:5]
; %bb.107:
	v_mul_u32_u24_e32 v0, 0x44, v1
	ds_read_b32 v0, v0 offset:64
; %bb.108:
	s_or_b64 exec, exec, s[8:9]
	s_waitcnt lgkmcnt(0)
	v_sub_u32_e32 v17, v0, v16
.LBB196_109:
	s_or_b64 exec, exec, s[6:7]
	v_mov_b32_e32 v1, 0
	s_waitcnt lgkmcnt(0)
	s_barrier
	s_and_saveexec_b64 s[4:5], vcc
	s_cbranch_execz .LBB196_119
; %bb.110:
	v_lshl_add_u32 v0, s2, 8, v2
	v_lshl_add_u64 v[4:5], v[0:1], 2, s[28:29]
	v_or_b32_e32 v0, 2.0, v17
	s_mov_b64 s[6:7], 0
	s_brev_b32 s13, -4
	s_mov_b32 s14, s2
	v_mov_b32_e32 v36, 0
	global_store_dword v[4:5], v0, off sc1
                                        ; implicit-def: $sgpr8_sgpr9
	s_branch .LBB196_113
.LBB196_111:                            ;   in Loop: Header=BB196_113 Depth=1
	s_or_b64 exec, exec, s[10:11]
.LBB196_112:                            ;   in Loop: Header=BB196_113 Depth=1
	s_or_b64 exec, exec, s[8:9]
	v_and_b32_e32 v6, 0x3fffffff, v0
	v_add_u32_e32 v36, v6, v36
	v_cmp_gt_i32_e64 s[8:9], -2.0, v0
	s_and_b64 s[10:11], exec, s[8:9]
	s_or_b64 s[6:7], s[10:11], s[6:7]
	s_andn2_b64 exec, exec, s[6:7]
	s_cbranch_execz .LBB196_118
.LBB196_113:                            ; =>This Loop Header: Depth=1
                                        ;     Child Loop BB196_116 Depth 2
	s_or_b64 s[8:9], s[8:9], exec
	s_cmp_eq_u32 s14, 0
	s_cbranch_scc1 .LBB196_117
; %bb.114:                              ;   in Loop: Header=BB196_113 Depth=1
	s_add_i32 s14, s14, -1
	v_lshl_or_b32 v0, s14, 8, v2
	v_lshl_add_u64 v[6:7], v[0:1], 2, s[28:29]
	global_load_dword v0, v[6:7], off sc1
	s_waitcnt vmcnt(0)
	v_cmp_gt_u32_e32 vcc, 2.0, v0
	s_and_saveexec_b64 s[8:9], vcc
	s_cbranch_execz .LBB196_112
; %bb.115:                              ;   in Loop: Header=BB196_113 Depth=1
	s_mov_b64 s[10:11], 0
.LBB196_116:                            ;   Parent Loop BB196_113 Depth=1
                                        ; =>  This Inner Loop Header: Depth=2
	global_load_dword v0, v[6:7], off sc1
	s_waitcnt vmcnt(0)
	v_cmp_lt_u32_e32 vcc, s13, v0
	s_or_b64 s[10:11], vcc, s[10:11]
	s_andn2_b64 exec, exec, s[10:11]
	s_cbranch_execnz .LBB196_116
	s_branch .LBB196_111
.LBB196_117:                            ;   in Loop: Header=BB196_113 Depth=1
                                        ; implicit-def: $sgpr14
	s_and_b64 s[10:11], exec, s[8:9]
	s_or_b64 s[6:7], s[10:11], s[6:7]
	s_andn2_b64 exec, exec, s[6:7]
	s_cbranch_execnz .LBB196_113
.LBB196_118:
	s_or_b64 exec, exec, s[6:7]
	v_add_u32_e32 v0, v36, v17
	v_or_b32_e32 v0, 0x80000000, v0
	global_store_dword v[4:5], v0, off sc1
	global_load_dword v0, v24, s[16:17]
	v_sub_u32_e32 v1, v36, v16
	s_waitcnt vmcnt(0)
	v_add_u32_e32 v0, v1, v0
	ds_write_b32 v24, v0
.LBB196_119:
	s_or_b64 exec, exec, s[4:5]
	v_add_u32_e32 v0, v37, v35
	v_add_u32_e32 v1, v34, v32
	;; [unrolled: 1-line block ×8, first 2 shown]
	v_add_lshl_u32 v5, v0, v33, 2
	v_add3_u32 v6, v37, v33, v35
	v_add_lshl_u32 v7, v1, v22, 2
	v_add3_u32 v10, v34, v22, v32
	;; [unrolled: 2-line block ×7, first 2 shown]
	v_lshlrev_b32_e32 v13, 2, v4
	s_mov_b64 s[4:5], -1
	s_mov_b32 s8, 0
	s_movk_i32 s9, 0x1000
	v_mov_b32_e32 v1, 0
	s_movk_i32 s10, 0x400
	s_movk_i32 s11, 0x800
	;; [unrolled: 1-line block ×3, first 2 shown]
	s_mov_b32 s14, 0
	s_branch .LBB196_121
.LBB196_120:                            ;   in Loop: Header=BB196_121 Depth=1
	s_or_b64 exec, exec, s[6:7]
	s_waitcnt lgkmcnt(0)
	s_barrier
	ds_read2st64_b32 v[30:31], v24 offset0:4 offset1:20
	s_xor_b64 s[6:7], s[4:5], -1
	s_addk_i32 s14, 0xc000
	s_addk_i32 s8, 0xf000
	s_mov_b64 s[4:5], 0
	s_waitcnt lgkmcnt(0)
	v_lshrrev_b32_e32 v0, s20, v30
	v_and_b32_e32 v0, s12, v0
	v_lshlrev_b32_e32 v0, 2, v0
	ds_read2st64_b32 v[32:33], v24 offset0:36 offset1:52
	ds_read_b32 v0, v0
	v_lshrrev_b32_e32 v34, s20, v31
	v_and_b32_e32 v34, s12, v34
	v_lshlrev_b32_e32 v34, 2, v34
	s_waitcnt lgkmcnt(1)
	v_lshrrev_b32_e32 v36, s20, v33
	v_lshrrev_b32_e32 v35, s20, v32
	v_and_b32_e32 v36, s12, v36
	v_and_b32_e32 v35, s12, v35
	v_lshlrev_b32_e32 v36, 2, v36
	v_lshlrev_b32_e32 v35, 2, v35
	ds_read_b32 v37, v34
	ds_read_b32 v38, v35
	;; [unrolled: 1-line block ×3, first 2 shown]
	s_waitcnt lgkmcnt(3)
	v_add_u32_e32 v0, v2, v0
	v_xor_b32_e32 v30, 0x80000000, v30
	v_lshl_add_u64 v[34:35], v[0:1], 2, s[26:27]
	s_waitcnt lgkmcnt(2)
	v_add3_u32 v0, v2, v37, s10
	global_store_dword v[34:35], v30, off
	v_xor_b32_e32 v34, 0x80000000, v31
	v_lshl_add_u64 v[30:31], v[0:1], 2, s[26:27]
	s_waitcnt lgkmcnt(1)
	v_add3_u32 v0, v2, v38, s11
	global_store_dword v[30:31], v34, off
	;; [unrolled: 5-line block ×3, first 2 shown]
	v_xor_b32_e32 v32, 0x80000000, v33
	v_lshl_add_u64 v[30:31], v[0:1], 2, s[26:27]
	v_add_u32_e32 v2, 0x1000, v2
	s_and_b64 vcc, exec, s[6:7]
	global_store_dword v[30:31], v32, off
	s_barrier
	s_cbranch_vccnz .LBB196_137
.LBB196_121:                            ; =>This Inner Loop Header: Depth=1
	v_add_u32_e32 v0, s8, v4
	v_cmp_gt_u32_e32 vcc, s9, v0
	s_and_saveexec_b64 s[6:7], vcc
; %bb.122:                              ;   in Loop: Header=BB196_121 Depth=1
	v_add_u32_e32 v0, s14, v13
	ds_write_b32 v0, v3 offset:1024
; %bb.123:                              ;   in Loop: Header=BB196_121 Depth=1
	s_or_b64 exec, exec, s[6:7]
	v_add_u32_e32 v0, s8, v11
	v_cmp_gt_u32_e32 vcc, s9, v0
	s_and_saveexec_b64 s[6:7], vcc
; %bb.124:                              ;   in Loop: Header=BB196_121 Depth=1
	v_add_u32_e32 v0, s14, v18
	ds_write_b32 v0, v8 offset:1024
; %bb.125:                              ;   in Loop: Header=BB196_121 Depth=1
	s_or_b64 exec, exec, s[6:7]
	;; [unrolled: 8-line block ×7, first 2 shown]
	v_add_u32_e32 v0, s8, v6
	v_cmp_gt_u32_e32 vcc, s9, v0
	s_and_saveexec_b64 s[6:7], vcc
	s_cbranch_execz .LBB196_120
; %bb.136:                              ;   in Loop: Header=BB196_121 Depth=1
	v_add_u32_e32 v0, s14, v5
	ds_write_b32 v0, v21 offset:1024
	s_branch .LBB196_120
.LBB196_137:
	s_add_i32 s3, s3, -1
	s_cmp_eq_u32 s2, s3
	s_cselect_b64 s[2:3], -1, 0
	s_xor_b64 s[0:1], s[0:1], -1
	s_and_b64 s[0:1], s[0:1], s[2:3]
	s_and_saveexec_b64 s[2:3], s[0:1]
	s_cbranch_execz .LBB196_139
; %bb.138:
	ds_read_b32 v0, v24
	s_waitcnt lgkmcnt(0)
	v_add3_u32 v0, v16, v17, v0
	global_store_dword v24, v0, s[18:19]
.LBB196_139:
	s_endpgm
	.section	.rodata,"a",@progbits
	.p2align	6, 0x0
	.amdhsa_kernel _ZN7rocprim17ROCPRIM_400000_NS6detail17trampoline_kernelINS0_14default_configENS1_35radix_sort_onesweep_config_selectorIiNS0_10empty_typeEEEZZNS1_29radix_sort_onesweep_iterationIS3_Lb0EN6thrust23THRUST_200600_302600_NS6detail15normal_iteratorINS9_10device_ptrIiEEEESE_PS5_SF_jNS0_19identity_decomposerENS1_16block_id_wrapperIjLb0EEEEE10hipError_tT1_PNSt15iterator_traitsISK_E10value_typeET2_T3_PNSL_ISQ_E10value_typeET4_T5_PSV_SW_PNS1_23onesweep_lookback_stateEbbT6_jjT7_P12ihipStream_tbENKUlT_T0_SK_SP_E_clISE_PiSF_SF_EEDaS13_S14_SK_SP_EUlS13_E_NS1_11comp_targetILNS1_3genE6ELNS1_11target_archE950ELNS1_3gpuE13ELNS1_3repE0EEENS1_47radix_sort_onesweep_sort_config_static_selectorELNS0_4arch9wavefront6targetE1EEEvSK_
		.amdhsa_group_segment_fixed_size 20552
		.amdhsa_private_segment_fixed_size 0
		.amdhsa_kernarg_size 344
		.amdhsa_user_sgpr_count 2
		.amdhsa_user_sgpr_dispatch_ptr 0
		.amdhsa_user_sgpr_queue_ptr 0
		.amdhsa_user_sgpr_kernarg_segment_ptr 1
		.amdhsa_user_sgpr_dispatch_id 0
		.amdhsa_user_sgpr_kernarg_preload_length 0
		.amdhsa_user_sgpr_kernarg_preload_offset 0
		.amdhsa_user_sgpr_private_segment_size 0
		.amdhsa_uses_dynamic_stack 0
		.amdhsa_enable_private_segment 0
		.amdhsa_system_sgpr_workgroup_id_x 1
		.amdhsa_system_sgpr_workgroup_id_y 0
		.amdhsa_system_sgpr_workgroup_id_z 0
		.amdhsa_system_sgpr_workgroup_info 0
		.amdhsa_system_vgpr_workitem_id 2
		.amdhsa_next_free_vgpr 46
		.amdhsa_next_free_sgpr 31
		.amdhsa_accum_offset 48
		.amdhsa_reserve_vcc 1
		.amdhsa_float_round_mode_32 0
		.amdhsa_float_round_mode_16_64 0
		.amdhsa_float_denorm_mode_32 3
		.amdhsa_float_denorm_mode_16_64 3
		.amdhsa_dx10_clamp 1
		.amdhsa_ieee_mode 1
		.amdhsa_fp16_overflow 0
		.amdhsa_tg_split 0
		.amdhsa_exception_fp_ieee_invalid_op 0
		.amdhsa_exception_fp_denorm_src 0
		.amdhsa_exception_fp_ieee_div_zero 0
		.amdhsa_exception_fp_ieee_overflow 0
		.amdhsa_exception_fp_ieee_underflow 0
		.amdhsa_exception_fp_ieee_inexact 0
		.amdhsa_exception_int_div_zero 0
	.end_amdhsa_kernel
	.section	.text._ZN7rocprim17ROCPRIM_400000_NS6detail17trampoline_kernelINS0_14default_configENS1_35radix_sort_onesweep_config_selectorIiNS0_10empty_typeEEEZZNS1_29radix_sort_onesweep_iterationIS3_Lb0EN6thrust23THRUST_200600_302600_NS6detail15normal_iteratorINS9_10device_ptrIiEEEESE_PS5_SF_jNS0_19identity_decomposerENS1_16block_id_wrapperIjLb0EEEEE10hipError_tT1_PNSt15iterator_traitsISK_E10value_typeET2_T3_PNSL_ISQ_E10value_typeET4_T5_PSV_SW_PNS1_23onesweep_lookback_stateEbbT6_jjT7_P12ihipStream_tbENKUlT_T0_SK_SP_E_clISE_PiSF_SF_EEDaS13_S14_SK_SP_EUlS13_E_NS1_11comp_targetILNS1_3genE6ELNS1_11target_archE950ELNS1_3gpuE13ELNS1_3repE0EEENS1_47radix_sort_onesweep_sort_config_static_selectorELNS0_4arch9wavefront6targetE1EEEvSK_,"axG",@progbits,_ZN7rocprim17ROCPRIM_400000_NS6detail17trampoline_kernelINS0_14default_configENS1_35radix_sort_onesweep_config_selectorIiNS0_10empty_typeEEEZZNS1_29radix_sort_onesweep_iterationIS3_Lb0EN6thrust23THRUST_200600_302600_NS6detail15normal_iteratorINS9_10device_ptrIiEEEESE_PS5_SF_jNS0_19identity_decomposerENS1_16block_id_wrapperIjLb0EEEEE10hipError_tT1_PNSt15iterator_traitsISK_E10value_typeET2_T3_PNSL_ISQ_E10value_typeET4_T5_PSV_SW_PNS1_23onesweep_lookback_stateEbbT6_jjT7_P12ihipStream_tbENKUlT_T0_SK_SP_E_clISE_PiSF_SF_EEDaS13_S14_SK_SP_EUlS13_E_NS1_11comp_targetILNS1_3genE6ELNS1_11target_archE950ELNS1_3gpuE13ELNS1_3repE0EEENS1_47radix_sort_onesweep_sort_config_static_selectorELNS0_4arch9wavefront6targetE1EEEvSK_,comdat
.Lfunc_end196:
	.size	_ZN7rocprim17ROCPRIM_400000_NS6detail17trampoline_kernelINS0_14default_configENS1_35radix_sort_onesweep_config_selectorIiNS0_10empty_typeEEEZZNS1_29radix_sort_onesweep_iterationIS3_Lb0EN6thrust23THRUST_200600_302600_NS6detail15normal_iteratorINS9_10device_ptrIiEEEESE_PS5_SF_jNS0_19identity_decomposerENS1_16block_id_wrapperIjLb0EEEEE10hipError_tT1_PNSt15iterator_traitsISK_E10value_typeET2_T3_PNSL_ISQ_E10value_typeET4_T5_PSV_SW_PNS1_23onesweep_lookback_stateEbbT6_jjT7_P12ihipStream_tbENKUlT_T0_SK_SP_E_clISE_PiSF_SF_EEDaS13_S14_SK_SP_EUlS13_E_NS1_11comp_targetILNS1_3genE6ELNS1_11target_archE950ELNS1_3gpuE13ELNS1_3repE0EEENS1_47radix_sort_onesweep_sort_config_static_selectorELNS0_4arch9wavefront6targetE1EEEvSK_, .Lfunc_end196-_ZN7rocprim17ROCPRIM_400000_NS6detail17trampoline_kernelINS0_14default_configENS1_35radix_sort_onesweep_config_selectorIiNS0_10empty_typeEEEZZNS1_29radix_sort_onesweep_iterationIS3_Lb0EN6thrust23THRUST_200600_302600_NS6detail15normal_iteratorINS9_10device_ptrIiEEEESE_PS5_SF_jNS0_19identity_decomposerENS1_16block_id_wrapperIjLb0EEEEE10hipError_tT1_PNSt15iterator_traitsISK_E10value_typeET2_T3_PNSL_ISQ_E10value_typeET4_T5_PSV_SW_PNS1_23onesweep_lookback_stateEbbT6_jjT7_P12ihipStream_tbENKUlT_T0_SK_SP_E_clISE_PiSF_SF_EEDaS13_S14_SK_SP_EUlS13_E_NS1_11comp_targetILNS1_3genE6ELNS1_11target_archE950ELNS1_3gpuE13ELNS1_3repE0EEENS1_47radix_sort_onesweep_sort_config_static_selectorELNS0_4arch9wavefront6targetE1EEEvSK_
                                        ; -- End function
	.set _ZN7rocprim17ROCPRIM_400000_NS6detail17trampoline_kernelINS0_14default_configENS1_35radix_sort_onesweep_config_selectorIiNS0_10empty_typeEEEZZNS1_29radix_sort_onesweep_iterationIS3_Lb0EN6thrust23THRUST_200600_302600_NS6detail15normal_iteratorINS9_10device_ptrIiEEEESE_PS5_SF_jNS0_19identity_decomposerENS1_16block_id_wrapperIjLb0EEEEE10hipError_tT1_PNSt15iterator_traitsISK_E10value_typeET2_T3_PNSL_ISQ_E10value_typeET4_T5_PSV_SW_PNS1_23onesweep_lookback_stateEbbT6_jjT7_P12ihipStream_tbENKUlT_T0_SK_SP_E_clISE_PiSF_SF_EEDaS13_S14_SK_SP_EUlS13_E_NS1_11comp_targetILNS1_3genE6ELNS1_11target_archE950ELNS1_3gpuE13ELNS1_3repE0EEENS1_47radix_sort_onesweep_sort_config_static_selectorELNS0_4arch9wavefront6targetE1EEEvSK_.num_vgpr, 46
	.set _ZN7rocprim17ROCPRIM_400000_NS6detail17trampoline_kernelINS0_14default_configENS1_35radix_sort_onesweep_config_selectorIiNS0_10empty_typeEEEZZNS1_29radix_sort_onesweep_iterationIS3_Lb0EN6thrust23THRUST_200600_302600_NS6detail15normal_iteratorINS9_10device_ptrIiEEEESE_PS5_SF_jNS0_19identity_decomposerENS1_16block_id_wrapperIjLb0EEEEE10hipError_tT1_PNSt15iterator_traitsISK_E10value_typeET2_T3_PNSL_ISQ_E10value_typeET4_T5_PSV_SW_PNS1_23onesweep_lookback_stateEbbT6_jjT7_P12ihipStream_tbENKUlT_T0_SK_SP_E_clISE_PiSF_SF_EEDaS13_S14_SK_SP_EUlS13_E_NS1_11comp_targetILNS1_3genE6ELNS1_11target_archE950ELNS1_3gpuE13ELNS1_3repE0EEENS1_47radix_sort_onesweep_sort_config_static_selectorELNS0_4arch9wavefront6targetE1EEEvSK_.num_agpr, 0
	.set _ZN7rocprim17ROCPRIM_400000_NS6detail17trampoline_kernelINS0_14default_configENS1_35radix_sort_onesweep_config_selectorIiNS0_10empty_typeEEEZZNS1_29radix_sort_onesweep_iterationIS3_Lb0EN6thrust23THRUST_200600_302600_NS6detail15normal_iteratorINS9_10device_ptrIiEEEESE_PS5_SF_jNS0_19identity_decomposerENS1_16block_id_wrapperIjLb0EEEEE10hipError_tT1_PNSt15iterator_traitsISK_E10value_typeET2_T3_PNSL_ISQ_E10value_typeET4_T5_PSV_SW_PNS1_23onesweep_lookback_stateEbbT6_jjT7_P12ihipStream_tbENKUlT_T0_SK_SP_E_clISE_PiSF_SF_EEDaS13_S14_SK_SP_EUlS13_E_NS1_11comp_targetILNS1_3genE6ELNS1_11target_archE950ELNS1_3gpuE13ELNS1_3repE0EEENS1_47radix_sort_onesweep_sort_config_static_selectorELNS0_4arch9wavefront6targetE1EEEvSK_.numbered_sgpr, 31
	.set _ZN7rocprim17ROCPRIM_400000_NS6detail17trampoline_kernelINS0_14default_configENS1_35radix_sort_onesweep_config_selectorIiNS0_10empty_typeEEEZZNS1_29radix_sort_onesweep_iterationIS3_Lb0EN6thrust23THRUST_200600_302600_NS6detail15normal_iteratorINS9_10device_ptrIiEEEESE_PS5_SF_jNS0_19identity_decomposerENS1_16block_id_wrapperIjLb0EEEEE10hipError_tT1_PNSt15iterator_traitsISK_E10value_typeET2_T3_PNSL_ISQ_E10value_typeET4_T5_PSV_SW_PNS1_23onesweep_lookback_stateEbbT6_jjT7_P12ihipStream_tbENKUlT_T0_SK_SP_E_clISE_PiSF_SF_EEDaS13_S14_SK_SP_EUlS13_E_NS1_11comp_targetILNS1_3genE6ELNS1_11target_archE950ELNS1_3gpuE13ELNS1_3repE0EEENS1_47radix_sort_onesweep_sort_config_static_selectorELNS0_4arch9wavefront6targetE1EEEvSK_.num_named_barrier, 0
	.set _ZN7rocprim17ROCPRIM_400000_NS6detail17trampoline_kernelINS0_14default_configENS1_35radix_sort_onesweep_config_selectorIiNS0_10empty_typeEEEZZNS1_29radix_sort_onesweep_iterationIS3_Lb0EN6thrust23THRUST_200600_302600_NS6detail15normal_iteratorINS9_10device_ptrIiEEEESE_PS5_SF_jNS0_19identity_decomposerENS1_16block_id_wrapperIjLb0EEEEE10hipError_tT1_PNSt15iterator_traitsISK_E10value_typeET2_T3_PNSL_ISQ_E10value_typeET4_T5_PSV_SW_PNS1_23onesweep_lookback_stateEbbT6_jjT7_P12ihipStream_tbENKUlT_T0_SK_SP_E_clISE_PiSF_SF_EEDaS13_S14_SK_SP_EUlS13_E_NS1_11comp_targetILNS1_3genE6ELNS1_11target_archE950ELNS1_3gpuE13ELNS1_3repE0EEENS1_47radix_sort_onesweep_sort_config_static_selectorELNS0_4arch9wavefront6targetE1EEEvSK_.private_seg_size, 0
	.set _ZN7rocprim17ROCPRIM_400000_NS6detail17trampoline_kernelINS0_14default_configENS1_35radix_sort_onesweep_config_selectorIiNS0_10empty_typeEEEZZNS1_29radix_sort_onesweep_iterationIS3_Lb0EN6thrust23THRUST_200600_302600_NS6detail15normal_iteratorINS9_10device_ptrIiEEEESE_PS5_SF_jNS0_19identity_decomposerENS1_16block_id_wrapperIjLb0EEEEE10hipError_tT1_PNSt15iterator_traitsISK_E10value_typeET2_T3_PNSL_ISQ_E10value_typeET4_T5_PSV_SW_PNS1_23onesweep_lookback_stateEbbT6_jjT7_P12ihipStream_tbENKUlT_T0_SK_SP_E_clISE_PiSF_SF_EEDaS13_S14_SK_SP_EUlS13_E_NS1_11comp_targetILNS1_3genE6ELNS1_11target_archE950ELNS1_3gpuE13ELNS1_3repE0EEENS1_47radix_sort_onesweep_sort_config_static_selectorELNS0_4arch9wavefront6targetE1EEEvSK_.uses_vcc, 1
	.set _ZN7rocprim17ROCPRIM_400000_NS6detail17trampoline_kernelINS0_14default_configENS1_35radix_sort_onesweep_config_selectorIiNS0_10empty_typeEEEZZNS1_29radix_sort_onesweep_iterationIS3_Lb0EN6thrust23THRUST_200600_302600_NS6detail15normal_iteratorINS9_10device_ptrIiEEEESE_PS5_SF_jNS0_19identity_decomposerENS1_16block_id_wrapperIjLb0EEEEE10hipError_tT1_PNSt15iterator_traitsISK_E10value_typeET2_T3_PNSL_ISQ_E10value_typeET4_T5_PSV_SW_PNS1_23onesweep_lookback_stateEbbT6_jjT7_P12ihipStream_tbENKUlT_T0_SK_SP_E_clISE_PiSF_SF_EEDaS13_S14_SK_SP_EUlS13_E_NS1_11comp_targetILNS1_3genE6ELNS1_11target_archE950ELNS1_3gpuE13ELNS1_3repE0EEENS1_47radix_sort_onesweep_sort_config_static_selectorELNS0_4arch9wavefront6targetE1EEEvSK_.uses_flat_scratch, 0
	.set _ZN7rocprim17ROCPRIM_400000_NS6detail17trampoline_kernelINS0_14default_configENS1_35radix_sort_onesweep_config_selectorIiNS0_10empty_typeEEEZZNS1_29radix_sort_onesweep_iterationIS3_Lb0EN6thrust23THRUST_200600_302600_NS6detail15normal_iteratorINS9_10device_ptrIiEEEESE_PS5_SF_jNS0_19identity_decomposerENS1_16block_id_wrapperIjLb0EEEEE10hipError_tT1_PNSt15iterator_traitsISK_E10value_typeET2_T3_PNSL_ISQ_E10value_typeET4_T5_PSV_SW_PNS1_23onesweep_lookback_stateEbbT6_jjT7_P12ihipStream_tbENKUlT_T0_SK_SP_E_clISE_PiSF_SF_EEDaS13_S14_SK_SP_EUlS13_E_NS1_11comp_targetILNS1_3genE6ELNS1_11target_archE950ELNS1_3gpuE13ELNS1_3repE0EEENS1_47radix_sort_onesweep_sort_config_static_selectorELNS0_4arch9wavefront6targetE1EEEvSK_.has_dyn_sized_stack, 0
	.set _ZN7rocprim17ROCPRIM_400000_NS6detail17trampoline_kernelINS0_14default_configENS1_35radix_sort_onesweep_config_selectorIiNS0_10empty_typeEEEZZNS1_29radix_sort_onesweep_iterationIS3_Lb0EN6thrust23THRUST_200600_302600_NS6detail15normal_iteratorINS9_10device_ptrIiEEEESE_PS5_SF_jNS0_19identity_decomposerENS1_16block_id_wrapperIjLb0EEEEE10hipError_tT1_PNSt15iterator_traitsISK_E10value_typeET2_T3_PNSL_ISQ_E10value_typeET4_T5_PSV_SW_PNS1_23onesweep_lookback_stateEbbT6_jjT7_P12ihipStream_tbENKUlT_T0_SK_SP_E_clISE_PiSF_SF_EEDaS13_S14_SK_SP_EUlS13_E_NS1_11comp_targetILNS1_3genE6ELNS1_11target_archE950ELNS1_3gpuE13ELNS1_3repE0EEENS1_47radix_sort_onesweep_sort_config_static_selectorELNS0_4arch9wavefront6targetE1EEEvSK_.has_recursion, 0
	.set _ZN7rocprim17ROCPRIM_400000_NS6detail17trampoline_kernelINS0_14default_configENS1_35radix_sort_onesweep_config_selectorIiNS0_10empty_typeEEEZZNS1_29radix_sort_onesweep_iterationIS3_Lb0EN6thrust23THRUST_200600_302600_NS6detail15normal_iteratorINS9_10device_ptrIiEEEESE_PS5_SF_jNS0_19identity_decomposerENS1_16block_id_wrapperIjLb0EEEEE10hipError_tT1_PNSt15iterator_traitsISK_E10value_typeET2_T3_PNSL_ISQ_E10value_typeET4_T5_PSV_SW_PNS1_23onesweep_lookback_stateEbbT6_jjT7_P12ihipStream_tbENKUlT_T0_SK_SP_E_clISE_PiSF_SF_EEDaS13_S14_SK_SP_EUlS13_E_NS1_11comp_targetILNS1_3genE6ELNS1_11target_archE950ELNS1_3gpuE13ELNS1_3repE0EEENS1_47radix_sort_onesweep_sort_config_static_selectorELNS0_4arch9wavefront6targetE1EEEvSK_.has_indirect_call, 0
	.section	.AMDGPU.csdata,"",@progbits
; Kernel info:
; codeLenInByte = 11196
; TotalNumSgprs: 37
; NumVgprs: 46
; NumAgprs: 0
; TotalNumVgprs: 46
; ScratchSize: 0
; MemoryBound: 0
; FloatMode: 240
; IeeeMode: 1
; LDSByteSize: 20552 bytes/workgroup (compile time only)
; SGPRBlocks: 4
; VGPRBlocks: 5
; NumSGPRsForWavesPerEU: 37
; NumVGPRsForWavesPerEU: 46
; AccumOffset: 48
; Occupancy: 8
; WaveLimiterHint : 1
; COMPUTE_PGM_RSRC2:SCRATCH_EN: 0
; COMPUTE_PGM_RSRC2:USER_SGPR: 2
; COMPUTE_PGM_RSRC2:TRAP_HANDLER: 0
; COMPUTE_PGM_RSRC2:TGID_X_EN: 1
; COMPUTE_PGM_RSRC2:TGID_Y_EN: 0
; COMPUTE_PGM_RSRC2:TGID_Z_EN: 0
; COMPUTE_PGM_RSRC2:TIDIG_COMP_CNT: 2
; COMPUTE_PGM_RSRC3_GFX90A:ACCUM_OFFSET: 11
; COMPUTE_PGM_RSRC3_GFX90A:TG_SPLIT: 0
	.section	.text._ZN7rocprim17ROCPRIM_400000_NS6detail17trampoline_kernelINS0_14default_configENS1_35radix_sort_onesweep_config_selectorIiNS0_10empty_typeEEEZZNS1_29radix_sort_onesweep_iterationIS3_Lb0EN6thrust23THRUST_200600_302600_NS6detail15normal_iteratorINS9_10device_ptrIiEEEESE_PS5_SF_jNS0_19identity_decomposerENS1_16block_id_wrapperIjLb0EEEEE10hipError_tT1_PNSt15iterator_traitsISK_E10value_typeET2_T3_PNSL_ISQ_E10value_typeET4_T5_PSV_SW_PNS1_23onesweep_lookback_stateEbbT6_jjT7_P12ihipStream_tbENKUlT_T0_SK_SP_E_clISE_PiSF_SF_EEDaS13_S14_SK_SP_EUlS13_E_NS1_11comp_targetILNS1_3genE5ELNS1_11target_archE942ELNS1_3gpuE9ELNS1_3repE0EEENS1_47radix_sort_onesweep_sort_config_static_selectorELNS0_4arch9wavefront6targetE1EEEvSK_,"axG",@progbits,_ZN7rocprim17ROCPRIM_400000_NS6detail17trampoline_kernelINS0_14default_configENS1_35radix_sort_onesweep_config_selectorIiNS0_10empty_typeEEEZZNS1_29radix_sort_onesweep_iterationIS3_Lb0EN6thrust23THRUST_200600_302600_NS6detail15normal_iteratorINS9_10device_ptrIiEEEESE_PS5_SF_jNS0_19identity_decomposerENS1_16block_id_wrapperIjLb0EEEEE10hipError_tT1_PNSt15iterator_traitsISK_E10value_typeET2_T3_PNSL_ISQ_E10value_typeET4_T5_PSV_SW_PNS1_23onesweep_lookback_stateEbbT6_jjT7_P12ihipStream_tbENKUlT_T0_SK_SP_E_clISE_PiSF_SF_EEDaS13_S14_SK_SP_EUlS13_E_NS1_11comp_targetILNS1_3genE5ELNS1_11target_archE942ELNS1_3gpuE9ELNS1_3repE0EEENS1_47radix_sort_onesweep_sort_config_static_selectorELNS0_4arch9wavefront6targetE1EEEvSK_,comdat
	.protected	_ZN7rocprim17ROCPRIM_400000_NS6detail17trampoline_kernelINS0_14default_configENS1_35radix_sort_onesweep_config_selectorIiNS0_10empty_typeEEEZZNS1_29radix_sort_onesweep_iterationIS3_Lb0EN6thrust23THRUST_200600_302600_NS6detail15normal_iteratorINS9_10device_ptrIiEEEESE_PS5_SF_jNS0_19identity_decomposerENS1_16block_id_wrapperIjLb0EEEEE10hipError_tT1_PNSt15iterator_traitsISK_E10value_typeET2_T3_PNSL_ISQ_E10value_typeET4_T5_PSV_SW_PNS1_23onesweep_lookback_stateEbbT6_jjT7_P12ihipStream_tbENKUlT_T0_SK_SP_E_clISE_PiSF_SF_EEDaS13_S14_SK_SP_EUlS13_E_NS1_11comp_targetILNS1_3genE5ELNS1_11target_archE942ELNS1_3gpuE9ELNS1_3repE0EEENS1_47radix_sort_onesweep_sort_config_static_selectorELNS0_4arch9wavefront6targetE1EEEvSK_ ; -- Begin function _ZN7rocprim17ROCPRIM_400000_NS6detail17trampoline_kernelINS0_14default_configENS1_35radix_sort_onesweep_config_selectorIiNS0_10empty_typeEEEZZNS1_29radix_sort_onesweep_iterationIS3_Lb0EN6thrust23THRUST_200600_302600_NS6detail15normal_iteratorINS9_10device_ptrIiEEEESE_PS5_SF_jNS0_19identity_decomposerENS1_16block_id_wrapperIjLb0EEEEE10hipError_tT1_PNSt15iterator_traitsISK_E10value_typeET2_T3_PNSL_ISQ_E10value_typeET4_T5_PSV_SW_PNS1_23onesweep_lookback_stateEbbT6_jjT7_P12ihipStream_tbENKUlT_T0_SK_SP_E_clISE_PiSF_SF_EEDaS13_S14_SK_SP_EUlS13_E_NS1_11comp_targetILNS1_3genE5ELNS1_11target_archE942ELNS1_3gpuE9ELNS1_3repE0EEENS1_47radix_sort_onesweep_sort_config_static_selectorELNS0_4arch9wavefront6targetE1EEEvSK_
	.globl	_ZN7rocprim17ROCPRIM_400000_NS6detail17trampoline_kernelINS0_14default_configENS1_35radix_sort_onesweep_config_selectorIiNS0_10empty_typeEEEZZNS1_29radix_sort_onesweep_iterationIS3_Lb0EN6thrust23THRUST_200600_302600_NS6detail15normal_iteratorINS9_10device_ptrIiEEEESE_PS5_SF_jNS0_19identity_decomposerENS1_16block_id_wrapperIjLb0EEEEE10hipError_tT1_PNSt15iterator_traitsISK_E10value_typeET2_T3_PNSL_ISQ_E10value_typeET4_T5_PSV_SW_PNS1_23onesweep_lookback_stateEbbT6_jjT7_P12ihipStream_tbENKUlT_T0_SK_SP_E_clISE_PiSF_SF_EEDaS13_S14_SK_SP_EUlS13_E_NS1_11comp_targetILNS1_3genE5ELNS1_11target_archE942ELNS1_3gpuE9ELNS1_3repE0EEENS1_47radix_sort_onesweep_sort_config_static_selectorELNS0_4arch9wavefront6targetE1EEEvSK_
	.p2align	8
	.type	_ZN7rocprim17ROCPRIM_400000_NS6detail17trampoline_kernelINS0_14default_configENS1_35radix_sort_onesweep_config_selectorIiNS0_10empty_typeEEEZZNS1_29radix_sort_onesweep_iterationIS3_Lb0EN6thrust23THRUST_200600_302600_NS6detail15normal_iteratorINS9_10device_ptrIiEEEESE_PS5_SF_jNS0_19identity_decomposerENS1_16block_id_wrapperIjLb0EEEEE10hipError_tT1_PNSt15iterator_traitsISK_E10value_typeET2_T3_PNSL_ISQ_E10value_typeET4_T5_PSV_SW_PNS1_23onesweep_lookback_stateEbbT6_jjT7_P12ihipStream_tbENKUlT_T0_SK_SP_E_clISE_PiSF_SF_EEDaS13_S14_SK_SP_EUlS13_E_NS1_11comp_targetILNS1_3genE5ELNS1_11target_archE942ELNS1_3gpuE9ELNS1_3repE0EEENS1_47radix_sort_onesweep_sort_config_static_selectorELNS0_4arch9wavefront6targetE1EEEvSK_,@function
_ZN7rocprim17ROCPRIM_400000_NS6detail17trampoline_kernelINS0_14default_configENS1_35radix_sort_onesweep_config_selectorIiNS0_10empty_typeEEEZZNS1_29radix_sort_onesweep_iterationIS3_Lb0EN6thrust23THRUST_200600_302600_NS6detail15normal_iteratorINS9_10device_ptrIiEEEESE_PS5_SF_jNS0_19identity_decomposerENS1_16block_id_wrapperIjLb0EEEEE10hipError_tT1_PNSt15iterator_traitsISK_E10value_typeET2_T3_PNSL_ISQ_E10value_typeET4_T5_PSV_SW_PNS1_23onesweep_lookback_stateEbbT6_jjT7_P12ihipStream_tbENKUlT_T0_SK_SP_E_clISE_PiSF_SF_EEDaS13_S14_SK_SP_EUlS13_E_NS1_11comp_targetILNS1_3genE5ELNS1_11target_archE942ELNS1_3gpuE9ELNS1_3repE0EEENS1_47radix_sort_onesweep_sort_config_static_selectorELNS0_4arch9wavefront6targetE1EEEvSK_: ; @_ZN7rocprim17ROCPRIM_400000_NS6detail17trampoline_kernelINS0_14default_configENS1_35radix_sort_onesweep_config_selectorIiNS0_10empty_typeEEEZZNS1_29radix_sort_onesweep_iterationIS3_Lb0EN6thrust23THRUST_200600_302600_NS6detail15normal_iteratorINS9_10device_ptrIiEEEESE_PS5_SF_jNS0_19identity_decomposerENS1_16block_id_wrapperIjLb0EEEEE10hipError_tT1_PNSt15iterator_traitsISK_E10value_typeET2_T3_PNSL_ISQ_E10value_typeET4_T5_PSV_SW_PNS1_23onesweep_lookback_stateEbbT6_jjT7_P12ihipStream_tbENKUlT_T0_SK_SP_E_clISE_PiSF_SF_EEDaS13_S14_SK_SP_EUlS13_E_NS1_11comp_targetILNS1_3genE5ELNS1_11target_archE942ELNS1_3gpuE9ELNS1_3repE0EEENS1_47radix_sort_onesweep_sort_config_static_selectorELNS0_4arch9wavefront6targetE1EEEvSK_
; %bb.0:
	.section	.rodata,"a",@progbits
	.p2align	6, 0x0
	.amdhsa_kernel _ZN7rocprim17ROCPRIM_400000_NS6detail17trampoline_kernelINS0_14default_configENS1_35radix_sort_onesweep_config_selectorIiNS0_10empty_typeEEEZZNS1_29radix_sort_onesweep_iterationIS3_Lb0EN6thrust23THRUST_200600_302600_NS6detail15normal_iteratorINS9_10device_ptrIiEEEESE_PS5_SF_jNS0_19identity_decomposerENS1_16block_id_wrapperIjLb0EEEEE10hipError_tT1_PNSt15iterator_traitsISK_E10value_typeET2_T3_PNSL_ISQ_E10value_typeET4_T5_PSV_SW_PNS1_23onesweep_lookback_stateEbbT6_jjT7_P12ihipStream_tbENKUlT_T0_SK_SP_E_clISE_PiSF_SF_EEDaS13_S14_SK_SP_EUlS13_E_NS1_11comp_targetILNS1_3genE5ELNS1_11target_archE942ELNS1_3gpuE9ELNS1_3repE0EEENS1_47radix_sort_onesweep_sort_config_static_selectorELNS0_4arch9wavefront6targetE1EEEvSK_
		.amdhsa_group_segment_fixed_size 0
		.amdhsa_private_segment_fixed_size 0
		.amdhsa_kernarg_size 88
		.amdhsa_user_sgpr_count 2
		.amdhsa_user_sgpr_dispatch_ptr 0
		.amdhsa_user_sgpr_queue_ptr 0
		.amdhsa_user_sgpr_kernarg_segment_ptr 1
		.amdhsa_user_sgpr_dispatch_id 0
		.amdhsa_user_sgpr_kernarg_preload_length 0
		.amdhsa_user_sgpr_kernarg_preload_offset 0
		.amdhsa_user_sgpr_private_segment_size 0
		.amdhsa_uses_dynamic_stack 0
		.amdhsa_enable_private_segment 0
		.amdhsa_system_sgpr_workgroup_id_x 1
		.amdhsa_system_sgpr_workgroup_id_y 0
		.amdhsa_system_sgpr_workgroup_id_z 0
		.amdhsa_system_sgpr_workgroup_info 0
		.amdhsa_system_vgpr_workitem_id 0
		.amdhsa_next_free_vgpr 1
		.amdhsa_next_free_sgpr 0
		.amdhsa_accum_offset 4
		.amdhsa_reserve_vcc 0
		.amdhsa_float_round_mode_32 0
		.amdhsa_float_round_mode_16_64 0
		.amdhsa_float_denorm_mode_32 3
		.amdhsa_float_denorm_mode_16_64 3
		.amdhsa_dx10_clamp 1
		.amdhsa_ieee_mode 1
		.amdhsa_fp16_overflow 0
		.amdhsa_tg_split 0
		.amdhsa_exception_fp_ieee_invalid_op 0
		.amdhsa_exception_fp_denorm_src 0
		.amdhsa_exception_fp_ieee_div_zero 0
		.amdhsa_exception_fp_ieee_overflow 0
		.amdhsa_exception_fp_ieee_underflow 0
		.amdhsa_exception_fp_ieee_inexact 0
		.amdhsa_exception_int_div_zero 0
	.end_amdhsa_kernel
	.section	.text._ZN7rocprim17ROCPRIM_400000_NS6detail17trampoline_kernelINS0_14default_configENS1_35radix_sort_onesweep_config_selectorIiNS0_10empty_typeEEEZZNS1_29radix_sort_onesweep_iterationIS3_Lb0EN6thrust23THRUST_200600_302600_NS6detail15normal_iteratorINS9_10device_ptrIiEEEESE_PS5_SF_jNS0_19identity_decomposerENS1_16block_id_wrapperIjLb0EEEEE10hipError_tT1_PNSt15iterator_traitsISK_E10value_typeET2_T3_PNSL_ISQ_E10value_typeET4_T5_PSV_SW_PNS1_23onesweep_lookback_stateEbbT6_jjT7_P12ihipStream_tbENKUlT_T0_SK_SP_E_clISE_PiSF_SF_EEDaS13_S14_SK_SP_EUlS13_E_NS1_11comp_targetILNS1_3genE5ELNS1_11target_archE942ELNS1_3gpuE9ELNS1_3repE0EEENS1_47radix_sort_onesweep_sort_config_static_selectorELNS0_4arch9wavefront6targetE1EEEvSK_,"axG",@progbits,_ZN7rocprim17ROCPRIM_400000_NS6detail17trampoline_kernelINS0_14default_configENS1_35radix_sort_onesweep_config_selectorIiNS0_10empty_typeEEEZZNS1_29radix_sort_onesweep_iterationIS3_Lb0EN6thrust23THRUST_200600_302600_NS6detail15normal_iteratorINS9_10device_ptrIiEEEESE_PS5_SF_jNS0_19identity_decomposerENS1_16block_id_wrapperIjLb0EEEEE10hipError_tT1_PNSt15iterator_traitsISK_E10value_typeET2_T3_PNSL_ISQ_E10value_typeET4_T5_PSV_SW_PNS1_23onesweep_lookback_stateEbbT6_jjT7_P12ihipStream_tbENKUlT_T0_SK_SP_E_clISE_PiSF_SF_EEDaS13_S14_SK_SP_EUlS13_E_NS1_11comp_targetILNS1_3genE5ELNS1_11target_archE942ELNS1_3gpuE9ELNS1_3repE0EEENS1_47radix_sort_onesweep_sort_config_static_selectorELNS0_4arch9wavefront6targetE1EEEvSK_,comdat
.Lfunc_end197:
	.size	_ZN7rocprim17ROCPRIM_400000_NS6detail17trampoline_kernelINS0_14default_configENS1_35radix_sort_onesweep_config_selectorIiNS0_10empty_typeEEEZZNS1_29radix_sort_onesweep_iterationIS3_Lb0EN6thrust23THRUST_200600_302600_NS6detail15normal_iteratorINS9_10device_ptrIiEEEESE_PS5_SF_jNS0_19identity_decomposerENS1_16block_id_wrapperIjLb0EEEEE10hipError_tT1_PNSt15iterator_traitsISK_E10value_typeET2_T3_PNSL_ISQ_E10value_typeET4_T5_PSV_SW_PNS1_23onesweep_lookback_stateEbbT6_jjT7_P12ihipStream_tbENKUlT_T0_SK_SP_E_clISE_PiSF_SF_EEDaS13_S14_SK_SP_EUlS13_E_NS1_11comp_targetILNS1_3genE5ELNS1_11target_archE942ELNS1_3gpuE9ELNS1_3repE0EEENS1_47radix_sort_onesweep_sort_config_static_selectorELNS0_4arch9wavefront6targetE1EEEvSK_, .Lfunc_end197-_ZN7rocprim17ROCPRIM_400000_NS6detail17trampoline_kernelINS0_14default_configENS1_35radix_sort_onesweep_config_selectorIiNS0_10empty_typeEEEZZNS1_29radix_sort_onesweep_iterationIS3_Lb0EN6thrust23THRUST_200600_302600_NS6detail15normal_iteratorINS9_10device_ptrIiEEEESE_PS5_SF_jNS0_19identity_decomposerENS1_16block_id_wrapperIjLb0EEEEE10hipError_tT1_PNSt15iterator_traitsISK_E10value_typeET2_T3_PNSL_ISQ_E10value_typeET4_T5_PSV_SW_PNS1_23onesweep_lookback_stateEbbT6_jjT7_P12ihipStream_tbENKUlT_T0_SK_SP_E_clISE_PiSF_SF_EEDaS13_S14_SK_SP_EUlS13_E_NS1_11comp_targetILNS1_3genE5ELNS1_11target_archE942ELNS1_3gpuE9ELNS1_3repE0EEENS1_47radix_sort_onesweep_sort_config_static_selectorELNS0_4arch9wavefront6targetE1EEEvSK_
                                        ; -- End function
	.set _ZN7rocprim17ROCPRIM_400000_NS6detail17trampoline_kernelINS0_14default_configENS1_35radix_sort_onesweep_config_selectorIiNS0_10empty_typeEEEZZNS1_29radix_sort_onesweep_iterationIS3_Lb0EN6thrust23THRUST_200600_302600_NS6detail15normal_iteratorINS9_10device_ptrIiEEEESE_PS5_SF_jNS0_19identity_decomposerENS1_16block_id_wrapperIjLb0EEEEE10hipError_tT1_PNSt15iterator_traitsISK_E10value_typeET2_T3_PNSL_ISQ_E10value_typeET4_T5_PSV_SW_PNS1_23onesweep_lookback_stateEbbT6_jjT7_P12ihipStream_tbENKUlT_T0_SK_SP_E_clISE_PiSF_SF_EEDaS13_S14_SK_SP_EUlS13_E_NS1_11comp_targetILNS1_3genE5ELNS1_11target_archE942ELNS1_3gpuE9ELNS1_3repE0EEENS1_47radix_sort_onesweep_sort_config_static_selectorELNS0_4arch9wavefront6targetE1EEEvSK_.num_vgpr, 0
	.set _ZN7rocprim17ROCPRIM_400000_NS6detail17trampoline_kernelINS0_14default_configENS1_35radix_sort_onesweep_config_selectorIiNS0_10empty_typeEEEZZNS1_29radix_sort_onesweep_iterationIS3_Lb0EN6thrust23THRUST_200600_302600_NS6detail15normal_iteratorINS9_10device_ptrIiEEEESE_PS5_SF_jNS0_19identity_decomposerENS1_16block_id_wrapperIjLb0EEEEE10hipError_tT1_PNSt15iterator_traitsISK_E10value_typeET2_T3_PNSL_ISQ_E10value_typeET4_T5_PSV_SW_PNS1_23onesweep_lookback_stateEbbT6_jjT7_P12ihipStream_tbENKUlT_T0_SK_SP_E_clISE_PiSF_SF_EEDaS13_S14_SK_SP_EUlS13_E_NS1_11comp_targetILNS1_3genE5ELNS1_11target_archE942ELNS1_3gpuE9ELNS1_3repE0EEENS1_47radix_sort_onesweep_sort_config_static_selectorELNS0_4arch9wavefront6targetE1EEEvSK_.num_agpr, 0
	.set _ZN7rocprim17ROCPRIM_400000_NS6detail17trampoline_kernelINS0_14default_configENS1_35radix_sort_onesweep_config_selectorIiNS0_10empty_typeEEEZZNS1_29radix_sort_onesweep_iterationIS3_Lb0EN6thrust23THRUST_200600_302600_NS6detail15normal_iteratorINS9_10device_ptrIiEEEESE_PS5_SF_jNS0_19identity_decomposerENS1_16block_id_wrapperIjLb0EEEEE10hipError_tT1_PNSt15iterator_traitsISK_E10value_typeET2_T3_PNSL_ISQ_E10value_typeET4_T5_PSV_SW_PNS1_23onesweep_lookback_stateEbbT6_jjT7_P12ihipStream_tbENKUlT_T0_SK_SP_E_clISE_PiSF_SF_EEDaS13_S14_SK_SP_EUlS13_E_NS1_11comp_targetILNS1_3genE5ELNS1_11target_archE942ELNS1_3gpuE9ELNS1_3repE0EEENS1_47radix_sort_onesweep_sort_config_static_selectorELNS0_4arch9wavefront6targetE1EEEvSK_.numbered_sgpr, 0
	.set _ZN7rocprim17ROCPRIM_400000_NS6detail17trampoline_kernelINS0_14default_configENS1_35radix_sort_onesweep_config_selectorIiNS0_10empty_typeEEEZZNS1_29radix_sort_onesweep_iterationIS3_Lb0EN6thrust23THRUST_200600_302600_NS6detail15normal_iteratorINS9_10device_ptrIiEEEESE_PS5_SF_jNS0_19identity_decomposerENS1_16block_id_wrapperIjLb0EEEEE10hipError_tT1_PNSt15iterator_traitsISK_E10value_typeET2_T3_PNSL_ISQ_E10value_typeET4_T5_PSV_SW_PNS1_23onesweep_lookback_stateEbbT6_jjT7_P12ihipStream_tbENKUlT_T0_SK_SP_E_clISE_PiSF_SF_EEDaS13_S14_SK_SP_EUlS13_E_NS1_11comp_targetILNS1_3genE5ELNS1_11target_archE942ELNS1_3gpuE9ELNS1_3repE0EEENS1_47radix_sort_onesweep_sort_config_static_selectorELNS0_4arch9wavefront6targetE1EEEvSK_.num_named_barrier, 0
	.set _ZN7rocprim17ROCPRIM_400000_NS6detail17trampoline_kernelINS0_14default_configENS1_35radix_sort_onesweep_config_selectorIiNS0_10empty_typeEEEZZNS1_29radix_sort_onesweep_iterationIS3_Lb0EN6thrust23THRUST_200600_302600_NS6detail15normal_iteratorINS9_10device_ptrIiEEEESE_PS5_SF_jNS0_19identity_decomposerENS1_16block_id_wrapperIjLb0EEEEE10hipError_tT1_PNSt15iterator_traitsISK_E10value_typeET2_T3_PNSL_ISQ_E10value_typeET4_T5_PSV_SW_PNS1_23onesweep_lookback_stateEbbT6_jjT7_P12ihipStream_tbENKUlT_T0_SK_SP_E_clISE_PiSF_SF_EEDaS13_S14_SK_SP_EUlS13_E_NS1_11comp_targetILNS1_3genE5ELNS1_11target_archE942ELNS1_3gpuE9ELNS1_3repE0EEENS1_47radix_sort_onesweep_sort_config_static_selectorELNS0_4arch9wavefront6targetE1EEEvSK_.private_seg_size, 0
	.set _ZN7rocprim17ROCPRIM_400000_NS6detail17trampoline_kernelINS0_14default_configENS1_35radix_sort_onesweep_config_selectorIiNS0_10empty_typeEEEZZNS1_29radix_sort_onesweep_iterationIS3_Lb0EN6thrust23THRUST_200600_302600_NS6detail15normal_iteratorINS9_10device_ptrIiEEEESE_PS5_SF_jNS0_19identity_decomposerENS1_16block_id_wrapperIjLb0EEEEE10hipError_tT1_PNSt15iterator_traitsISK_E10value_typeET2_T3_PNSL_ISQ_E10value_typeET4_T5_PSV_SW_PNS1_23onesweep_lookback_stateEbbT6_jjT7_P12ihipStream_tbENKUlT_T0_SK_SP_E_clISE_PiSF_SF_EEDaS13_S14_SK_SP_EUlS13_E_NS1_11comp_targetILNS1_3genE5ELNS1_11target_archE942ELNS1_3gpuE9ELNS1_3repE0EEENS1_47radix_sort_onesweep_sort_config_static_selectorELNS0_4arch9wavefront6targetE1EEEvSK_.uses_vcc, 0
	.set _ZN7rocprim17ROCPRIM_400000_NS6detail17trampoline_kernelINS0_14default_configENS1_35radix_sort_onesweep_config_selectorIiNS0_10empty_typeEEEZZNS1_29radix_sort_onesweep_iterationIS3_Lb0EN6thrust23THRUST_200600_302600_NS6detail15normal_iteratorINS9_10device_ptrIiEEEESE_PS5_SF_jNS0_19identity_decomposerENS1_16block_id_wrapperIjLb0EEEEE10hipError_tT1_PNSt15iterator_traitsISK_E10value_typeET2_T3_PNSL_ISQ_E10value_typeET4_T5_PSV_SW_PNS1_23onesweep_lookback_stateEbbT6_jjT7_P12ihipStream_tbENKUlT_T0_SK_SP_E_clISE_PiSF_SF_EEDaS13_S14_SK_SP_EUlS13_E_NS1_11comp_targetILNS1_3genE5ELNS1_11target_archE942ELNS1_3gpuE9ELNS1_3repE0EEENS1_47radix_sort_onesweep_sort_config_static_selectorELNS0_4arch9wavefront6targetE1EEEvSK_.uses_flat_scratch, 0
	.set _ZN7rocprim17ROCPRIM_400000_NS6detail17trampoline_kernelINS0_14default_configENS1_35radix_sort_onesweep_config_selectorIiNS0_10empty_typeEEEZZNS1_29radix_sort_onesweep_iterationIS3_Lb0EN6thrust23THRUST_200600_302600_NS6detail15normal_iteratorINS9_10device_ptrIiEEEESE_PS5_SF_jNS0_19identity_decomposerENS1_16block_id_wrapperIjLb0EEEEE10hipError_tT1_PNSt15iterator_traitsISK_E10value_typeET2_T3_PNSL_ISQ_E10value_typeET4_T5_PSV_SW_PNS1_23onesweep_lookback_stateEbbT6_jjT7_P12ihipStream_tbENKUlT_T0_SK_SP_E_clISE_PiSF_SF_EEDaS13_S14_SK_SP_EUlS13_E_NS1_11comp_targetILNS1_3genE5ELNS1_11target_archE942ELNS1_3gpuE9ELNS1_3repE0EEENS1_47radix_sort_onesweep_sort_config_static_selectorELNS0_4arch9wavefront6targetE1EEEvSK_.has_dyn_sized_stack, 0
	.set _ZN7rocprim17ROCPRIM_400000_NS6detail17trampoline_kernelINS0_14default_configENS1_35radix_sort_onesweep_config_selectorIiNS0_10empty_typeEEEZZNS1_29radix_sort_onesweep_iterationIS3_Lb0EN6thrust23THRUST_200600_302600_NS6detail15normal_iteratorINS9_10device_ptrIiEEEESE_PS5_SF_jNS0_19identity_decomposerENS1_16block_id_wrapperIjLb0EEEEE10hipError_tT1_PNSt15iterator_traitsISK_E10value_typeET2_T3_PNSL_ISQ_E10value_typeET4_T5_PSV_SW_PNS1_23onesweep_lookback_stateEbbT6_jjT7_P12ihipStream_tbENKUlT_T0_SK_SP_E_clISE_PiSF_SF_EEDaS13_S14_SK_SP_EUlS13_E_NS1_11comp_targetILNS1_3genE5ELNS1_11target_archE942ELNS1_3gpuE9ELNS1_3repE0EEENS1_47radix_sort_onesweep_sort_config_static_selectorELNS0_4arch9wavefront6targetE1EEEvSK_.has_recursion, 0
	.set _ZN7rocprim17ROCPRIM_400000_NS6detail17trampoline_kernelINS0_14default_configENS1_35radix_sort_onesweep_config_selectorIiNS0_10empty_typeEEEZZNS1_29radix_sort_onesweep_iterationIS3_Lb0EN6thrust23THRUST_200600_302600_NS6detail15normal_iteratorINS9_10device_ptrIiEEEESE_PS5_SF_jNS0_19identity_decomposerENS1_16block_id_wrapperIjLb0EEEEE10hipError_tT1_PNSt15iterator_traitsISK_E10value_typeET2_T3_PNSL_ISQ_E10value_typeET4_T5_PSV_SW_PNS1_23onesweep_lookback_stateEbbT6_jjT7_P12ihipStream_tbENKUlT_T0_SK_SP_E_clISE_PiSF_SF_EEDaS13_S14_SK_SP_EUlS13_E_NS1_11comp_targetILNS1_3genE5ELNS1_11target_archE942ELNS1_3gpuE9ELNS1_3repE0EEENS1_47radix_sort_onesweep_sort_config_static_selectorELNS0_4arch9wavefront6targetE1EEEvSK_.has_indirect_call, 0
	.section	.AMDGPU.csdata,"",@progbits
; Kernel info:
; codeLenInByte = 0
; TotalNumSgprs: 6
; NumVgprs: 0
; NumAgprs: 0
; TotalNumVgprs: 0
; ScratchSize: 0
; MemoryBound: 0
; FloatMode: 240
; IeeeMode: 1
; LDSByteSize: 0 bytes/workgroup (compile time only)
; SGPRBlocks: 0
; VGPRBlocks: 0
; NumSGPRsForWavesPerEU: 6
; NumVGPRsForWavesPerEU: 1
; AccumOffset: 4
; Occupancy: 8
; WaveLimiterHint : 0
; COMPUTE_PGM_RSRC2:SCRATCH_EN: 0
; COMPUTE_PGM_RSRC2:USER_SGPR: 2
; COMPUTE_PGM_RSRC2:TRAP_HANDLER: 0
; COMPUTE_PGM_RSRC2:TGID_X_EN: 1
; COMPUTE_PGM_RSRC2:TGID_Y_EN: 0
; COMPUTE_PGM_RSRC2:TGID_Z_EN: 0
; COMPUTE_PGM_RSRC2:TIDIG_COMP_CNT: 0
; COMPUTE_PGM_RSRC3_GFX90A:ACCUM_OFFSET: 0
; COMPUTE_PGM_RSRC3_GFX90A:TG_SPLIT: 0
	.section	.text._ZN7rocprim17ROCPRIM_400000_NS6detail17trampoline_kernelINS0_14default_configENS1_35radix_sort_onesweep_config_selectorIiNS0_10empty_typeEEEZZNS1_29radix_sort_onesweep_iterationIS3_Lb0EN6thrust23THRUST_200600_302600_NS6detail15normal_iteratorINS9_10device_ptrIiEEEESE_PS5_SF_jNS0_19identity_decomposerENS1_16block_id_wrapperIjLb0EEEEE10hipError_tT1_PNSt15iterator_traitsISK_E10value_typeET2_T3_PNSL_ISQ_E10value_typeET4_T5_PSV_SW_PNS1_23onesweep_lookback_stateEbbT6_jjT7_P12ihipStream_tbENKUlT_T0_SK_SP_E_clISE_PiSF_SF_EEDaS13_S14_SK_SP_EUlS13_E_NS1_11comp_targetILNS1_3genE2ELNS1_11target_archE906ELNS1_3gpuE6ELNS1_3repE0EEENS1_47radix_sort_onesweep_sort_config_static_selectorELNS0_4arch9wavefront6targetE1EEEvSK_,"axG",@progbits,_ZN7rocprim17ROCPRIM_400000_NS6detail17trampoline_kernelINS0_14default_configENS1_35radix_sort_onesweep_config_selectorIiNS0_10empty_typeEEEZZNS1_29radix_sort_onesweep_iterationIS3_Lb0EN6thrust23THRUST_200600_302600_NS6detail15normal_iteratorINS9_10device_ptrIiEEEESE_PS5_SF_jNS0_19identity_decomposerENS1_16block_id_wrapperIjLb0EEEEE10hipError_tT1_PNSt15iterator_traitsISK_E10value_typeET2_T3_PNSL_ISQ_E10value_typeET4_T5_PSV_SW_PNS1_23onesweep_lookback_stateEbbT6_jjT7_P12ihipStream_tbENKUlT_T0_SK_SP_E_clISE_PiSF_SF_EEDaS13_S14_SK_SP_EUlS13_E_NS1_11comp_targetILNS1_3genE2ELNS1_11target_archE906ELNS1_3gpuE6ELNS1_3repE0EEENS1_47radix_sort_onesweep_sort_config_static_selectorELNS0_4arch9wavefront6targetE1EEEvSK_,comdat
	.protected	_ZN7rocprim17ROCPRIM_400000_NS6detail17trampoline_kernelINS0_14default_configENS1_35radix_sort_onesweep_config_selectorIiNS0_10empty_typeEEEZZNS1_29radix_sort_onesweep_iterationIS3_Lb0EN6thrust23THRUST_200600_302600_NS6detail15normal_iteratorINS9_10device_ptrIiEEEESE_PS5_SF_jNS0_19identity_decomposerENS1_16block_id_wrapperIjLb0EEEEE10hipError_tT1_PNSt15iterator_traitsISK_E10value_typeET2_T3_PNSL_ISQ_E10value_typeET4_T5_PSV_SW_PNS1_23onesweep_lookback_stateEbbT6_jjT7_P12ihipStream_tbENKUlT_T0_SK_SP_E_clISE_PiSF_SF_EEDaS13_S14_SK_SP_EUlS13_E_NS1_11comp_targetILNS1_3genE2ELNS1_11target_archE906ELNS1_3gpuE6ELNS1_3repE0EEENS1_47radix_sort_onesweep_sort_config_static_selectorELNS0_4arch9wavefront6targetE1EEEvSK_ ; -- Begin function _ZN7rocprim17ROCPRIM_400000_NS6detail17trampoline_kernelINS0_14default_configENS1_35radix_sort_onesweep_config_selectorIiNS0_10empty_typeEEEZZNS1_29radix_sort_onesweep_iterationIS3_Lb0EN6thrust23THRUST_200600_302600_NS6detail15normal_iteratorINS9_10device_ptrIiEEEESE_PS5_SF_jNS0_19identity_decomposerENS1_16block_id_wrapperIjLb0EEEEE10hipError_tT1_PNSt15iterator_traitsISK_E10value_typeET2_T3_PNSL_ISQ_E10value_typeET4_T5_PSV_SW_PNS1_23onesweep_lookback_stateEbbT6_jjT7_P12ihipStream_tbENKUlT_T0_SK_SP_E_clISE_PiSF_SF_EEDaS13_S14_SK_SP_EUlS13_E_NS1_11comp_targetILNS1_3genE2ELNS1_11target_archE906ELNS1_3gpuE6ELNS1_3repE0EEENS1_47radix_sort_onesweep_sort_config_static_selectorELNS0_4arch9wavefront6targetE1EEEvSK_
	.globl	_ZN7rocprim17ROCPRIM_400000_NS6detail17trampoline_kernelINS0_14default_configENS1_35radix_sort_onesweep_config_selectorIiNS0_10empty_typeEEEZZNS1_29radix_sort_onesweep_iterationIS3_Lb0EN6thrust23THRUST_200600_302600_NS6detail15normal_iteratorINS9_10device_ptrIiEEEESE_PS5_SF_jNS0_19identity_decomposerENS1_16block_id_wrapperIjLb0EEEEE10hipError_tT1_PNSt15iterator_traitsISK_E10value_typeET2_T3_PNSL_ISQ_E10value_typeET4_T5_PSV_SW_PNS1_23onesweep_lookback_stateEbbT6_jjT7_P12ihipStream_tbENKUlT_T0_SK_SP_E_clISE_PiSF_SF_EEDaS13_S14_SK_SP_EUlS13_E_NS1_11comp_targetILNS1_3genE2ELNS1_11target_archE906ELNS1_3gpuE6ELNS1_3repE0EEENS1_47radix_sort_onesweep_sort_config_static_selectorELNS0_4arch9wavefront6targetE1EEEvSK_
	.p2align	8
	.type	_ZN7rocprim17ROCPRIM_400000_NS6detail17trampoline_kernelINS0_14default_configENS1_35radix_sort_onesweep_config_selectorIiNS0_10empty_typeEEEZZNS1_29radix_sort_onesweep_iterationIS3_Lb0EN6thrust23THRUST_200600_302600_NS6detail15normal_iteratorINS9_10device_ptrIiEEEESE_PS5_SF_jNS0_19identity_decomposerENS1_16block_id_wrapperIjLb0EEEEE10hipError_tT1_PNSt15iterator_traitsISK_E10value_typeET2_T3_PNSL_ISQ_E10value_typeET4_T5_PSV_SW_PNS1_23onesweep_lookback_stateEbbT6_jjT7_P12ihipStream_tbENKUlT_T0_SK_SP_E_clISE_PiSF_SF_EEDaS13_S14_SK_SP_EUlS13_E_NS1_11comp_targetILNS1_3genE2ELNS1_11target_archE906ELNS1_3gpuE6ELNS1_3repE0EEENS1_47radix_sort_onesweep_sort_config_static_selectorELNS0_4arch9wavefront6targetE1EEEvSK_,@function
_ZN7rocprim17ROCPRIM_400000_NS6detail17trampoline_kernelINS0_14default_configENS1_35radix_sort_onesweep_config_selectorIiNS0_10empty_typeEEEZZNS1_29radix_sort_onesweep_iterationIS3_Lb0EN6thrust23THRUST_200600_302600_NS6detail15normal_iteratorINS9_10device_ptrIiEEEESE_PS5_SF_jNS0_19identity_decomposerENS1_16block_id_wrapperIjLb0EEEEE10hipError_tT1_PNSt15iterator_traitsISK_E10value_typeET2_T3_PNSL_ISQ_E10value_typeET4_T5_PSV_SW_PNS1_23onesweep_lookback_stateEbbT6_jjT7_P12ihipStream_tbENKUlT_T0_SK_SP_E_clISE_PiSF_SF_EEDaS13_S14_SK_SP_EUlS13_E_NS1_11comp_targetILNS1_3genE2ELNS1_11target_archE906ELNS1_3gpuE6ELNS1_3repE0EEENS1_47radix_sort_onesweep_sort_config_static_selectorELNS0_4arch9wavefront6targetE1EEEvSK_: ; @_ZN7rocprim17ROCPRIM_400000_NS6detail17trampoline_kernelINS0_14default_configENS1_35radix_sort_onesweep_config_selectorIiNS0_10empty_typeEEEZZNS1_29radix_sort_onesweep_iterationIS3_Lb0EN6thrust23THRUST_200600_302600_NS6detail15normal_iteratorINS9_10device_ptrIiEEEESE_PS5_SF_jNS0_19identity_decomposerENS1_16block_id_wrapperIjLb0EEEEE10hipError_tT1_PNSt15iterator_traitsISK_E10value_typeET2_T3_PNSL_ISQ_E10value_typeET4_T5_PSV_SW_PNS1_23onesweep_lookback_stateEbbT6_jjT7_P12ihipStream_tbENKUlT_T0_SK_SP_E_clISE_PiSF_SF_EEDaS13_S14_SK_SP_EUlS13_E_NS1_11comp_targetILNS1_3genE2ELNS1_11target_archE906ELNS1_3gpuE6ELNS1_3repE0EEENS1_47radix_sort_onesweep_sort_config_static_selectorELNS0_4arch9wavefront6targetE1EEEvSK_
; %bb.0:
	.section	.rodata,"a",@progbits
	.p2align	6, 0x0
	.amdhsa_kernel _ZN7rocprim17ROCPRIM_400000_NS6detail17trampoline_kernelINS0_14default_configENS1_35radix_sort_onesweep_config_selectorIiNS0_10empty_typeEEEZZNS1_29radix_sort_onesweep_iterationIS3_Lb0EN6thrust23THRUST_200600_302600_NS6detail15normal_iteratorINS9_10device_ptrIiEEEESE_PS5_SF_jNS0_19identity_decomposerENS1_16block_id_wrapperIjLb0EEEEE10hipError_tT1_PNSt15iterator_traitsISK_E10value_typeET2_T3_PNSL_ISQ_E10value_typeET4_T5_PSV_SW_PNS1_23onesweep_lookback_stateEbbT6_jjT7_P12ihipStream_tbENKUlT_T0_SK_SP_E_clISE_PiSF_SF_EEDaS13_S14_SK_SP_EUlS13_E_NS1_11comp_targetILNS1_3genE2ELNS1_11target_archE906ELNS1_3gpuE6ELNS1_3repE0EEENS1_47radix_sort_onesweep_sort_config_static_selectorELNS0_4arch9wavefront6targetE1EEEvSK_
		.amdhsa_group_segment_fixed_size 0
		.amdhsa_private_segment_fixed_size 0
		.amdhsa_kernarg_size 88
		.amdhsa_user_sgpr_count 2
		.amdhsa_user_sgpr_dispatch_ptr 0
		.amdhsa_user_sgpr_queue_ptr 0
		.amdhsa_user_sgpr_kernarg_segment_ptr 1
		.amdhsa_user_sgpr_dispatch_id 0
		.amdhsa_user_sgpr_kernarg_preload_length 0
		.amdhsa_user_sgpr_kernarg_preload_offset 0
		.amdhsa_user_sgpr_private_segment_size 0
		.amdhsa_uses_dynamic_stack 0
		.amdhsa_enable_private_segment 0
		.amdhsa_system_sgpr_workgroup_id_x 1
		.amdhsa_system_sgpr_workgroup_id_y 0
		.amdhsa_system_sgpr_workgroup_id_z 0
		.amdhsa_system_sgpr_workgroup_info 0
		.amdhsa_system_vgpr_workitem_id 0
		.amdhsa_next_free_vgpr 1
		.amdhsa_next_free_sgpr 0
		.amdhsa_accum_offset 4
		.amdhsa_reserve_vcc 0
		.amdhsa_float_round_mode_32 0
		.amdhsa_float_round_mode_16_64 0
		.amdhsa_float_denorm_mode_32 3
		.amdhsa_float_denorm_mode_16_64 3
		.amdhsa_dx10_clamp 1
		.amdhsa_ieee_mode 1
		.amdhsa_fp16_overflow 0
		.amdhsa_tg_split 0
		.amdhsa_exception_fp_ieee_invalid_op 0
		.amdhsa_exception_fp_denorm_src 0
		.amdhsa_exception_fp_ieee_div_zero 0
		.amdhsa_exception_fp_ieee_overflow 0
		.amdhsa_exception_fp_ieee_underflow 0
		.amdhsa_exception_fp_ieee_inexact 0
		.amdhsa_exception_int_div_zero 0
	.end_amdhsa_kernel
	.section	.text._ZN7rocprim17ROCPRIM_400000_NS6detail17trampoline_kernelINS0_14default_configENS1_35radix_sort_onesweep_config_selectorIiNS0_10empty_typeEEEZZNS1_29radix_sort_onesweep_iterationIS3_Lb0EN6thrust23THRUST_200600_302600_NS6detail15normal_iteratorINS9_10device_ptrIiEEEESE_PS5_SF_jNS0_19identity_decomposerENS1_16block_id_wrapperIjLb0EEEEE10hipError_tT1_PNSt15iterator_traitsISK_E10value_typeET2_T3_PNSL_ISQ_E10value_typeET4_T5_PSV_SW_PNS1_23onesweep_lookback_stateEbbT6_jjT7_P12ihipStream_tbENKUlT_T0_SK_SP_E_clISE_PiSF_SF_EEDaS13_S14_SK_SP_EUlS13_E_NS1_11comp_targetILNS1_3genE2ELNS1_11target_archE906ELNS1_3gpuE6ELNS1_3repE0EEENS1_47radix_sort_onesweep_sort_config_static_selectorELNS0_4arch9wavefront6targetE1EEEvSK_,"axG",@progbits,_ZN7rocprim17ROCPRIM_400000_NS6detail17trampoline_kernelINS0_14default_configENS1_35radix_sort_onesweep_config_selectorIiNS0_10empty_typeEEEZZNS1_29radix_sort_onesweep_iterationIS3_Lb0EN6thrust23THRUST_200600_302600_NS6detail15normal_iteratorINS9_10device_ptrIiEEEESE_PS5_SF_jNS0_19identity_decomposerENS1_16block_id_wrapperIjLb0EEEEE10hipError_tT1_PNSt15iterator_traitsISK_E10value_typeET2_T3_PNSL_ISQ_E10value_typeET4_T5_PSV_SW_PNS1_23onesweep_lookback_stateEbbT6_jjT7_P12ihipStream_tbENKUlT_T0_SK_SP_E_clISE_PiSF_SF_EEDaS13_S14_SK_SP_EUlS13_E_NS1_11comp_targetILNS1_3genE2ELNS1_11target_archE906ELNS1_3gpuE6ELNS1_3repE0EEENS1_47radix_sort_onesweep_sort_config_static_selectorELNS0_4arch9wavefront6targetE1EEEvSK_,comdat
.Lfunc_end198:
	.size	_ZN7rocprim17ROCPRIM_400000_NS6detail17trampoline_kernelINS0_14default_configENS1_35radix_sort_onesweep_config_selectorIiNS0_10empty_typeEEEZZNS1_29radix_sort_onesweep_iterationIS3_Lb0EN6thrust23THRUST_200600_302600_NS6detail15normal_iteratorINS9_10device_ptrIiEEEESE_PS5_SF_jNS0_19identity_decomposerENS1_16block_id_wrapperIjLb0EEEEE10hipError_tT1_PNSt15iterator_traitsISK_E10value_typeET2_T3_PNSL_ISQ_E10value_typeET4_T5_PSV_SW_PNS1_23onesweep_lookback_stateEbbT6_jjT7_P12ihipStream_tbENKUlT_T0_SK_SP_E_clISE_PiSF_SF_EEDaS13_S14_SK_SP_EUlS13_E_NS1_11comp_targetILNS1_3genE2ELNS1_11target_archE906ELNS1_3gpuE6ELNS1_3repE0EEENS1_47radix_sort_onesweep_sort_config_static_selectorELNS0_4arch9wavefront6targetE1EEEvSK_, .Lfunc_end198-_ZN7rocprim17ROCPRIM_400000_NS6detail17trampoline_kernelINS0_14default_configENS1_35radix_sort_onesweep_config_selectorIiNS0_10empty_typeEEEZZNS1_29radix_sort_onesweep_iterationIS3_Lb0EN6thrust23THRUST_200600_302600_NS6detail15normal_iteratorINS9_10device_ptrIiEEEESE_PS5_SF_jNS0_19identity_decomposerENS1_16block_id_wrapperIjLb0EEEEE10hipError_tT1_PNSt15iterator_traitsISK_E10value_typeET2_T3_PNSL_ISQ_E10value_typeET4_T5_PSV_SW_PNS1_23onesweep_lookback_stateEbbT6_jjT7_P12ihipStream_tbENKUlT_T0_SK_SP_E_clISE_PiSF_SF_EEDaS13_S14_SK_SP_EUlS13_E_NS1_11comp_targetILNS1_3genE2ELNS1_11target_archE906ELNS1_3gpuE6ELNS1_3repE0EEENS1_47radix_sort_onesweep_sort_config_static_selectorELNS0_4arch9wavefront6targetE1EEEvSK_
                                        ; -- End function
	.set _ZN7rocprim17ROCPRIM_400000_NS6detail17trampoline_kernelINS0_14default_configENS1_35radix_sort_onesweep_config_selectorIiNS0_10empty_typeEEEZZNS1_29radix_sort_onesweep_iterationIS3_Lb0EN6thrust23THRUST_200600_302600_NS6detail15normal_iteratorINS9_10device_ptrIiEEEESE_PS5_SF_jNS0_19identity_decomposerENS1_16block_id_wrapperIjLb0EEEEE10hipError_tT1_PNSt15iterator_traitsISK_E10value_typeET2_T3_PNSL_ISQ_E10value_typeET4_T5_PSV_SW_PNS1_23onesweep_lookback_stateEbbT6_jjT7_P12ihipStream_tbENKUlT_T0_SK_SP_E_clISE_PiSF_SF_EEDaS13_S14_SK_SP_EUlS13_E_NS1_11comp_targetILNS1_3genE2ELNS1_11target_archE906ELNS1_3gpuE6ELNS1_3repE0EEENS1_47radix_sort_onesweep_sort_config_static_selectorELNS0_4arch9wavefront6targetE1EEEvSK_.num_vgpr, 0
	.set _ZN7rocprim17ROCPRIM_400000_NS6detail17trampoline_kernelINS0_14default_configENS1_35radix_sort_onesweep_config_selectorIiNS0_10empty_typeEEEZZNS1_29radix_sort_onesweep_iterationIS3_Lb0EN6thrust23THRUST_200600_302600_NS6detail15normal_iteratorINS9_10device_ptrIiEEEESE_PS5_SF_jNS0_19identity_decomposerENS1_16block_id_wrapperIjLb0EEEEE10hipError_tT1_PNSt15iterator_traitsISK_E10value_typeET2_T3_PNSL_ISQ_E10value_typeET4_T5_PSV_SW_PNS1_23onesweep_lookback_stateEbbT6_jjT7_P12ihipStream_tbENKUlT_T0_SK_SP_E_clISE_PiSF_SF_EEDaS13_S14_SK_SP_EUlS13_E_NS1_11comp_targetILNS1_3genE2ELNS1_11target_archE906ELNS1_3gpuE6ELNS1_3repE0EEENS1_47radix_sort_onesweep_sort_config_static_selectorELNS0_4arch9wavefront6targetE1EEEvSK_.num_agpr, 0
	.set _ZN7rocprim17ROCPRIM_400000_NS6detail17trampoline_kernelINS0_14default_configENS1_35radix_sort_onesweep_config_selectorIiNS0_10empty_typeEEEZZNS1_29radix_sort_onesweep_iterationIS3_Lb0EN6thrust23THRUST_200600_302600_NS6detail15normal_iteratorINS9_10device_ptrIiEEEESE_PS5_SF_jNS0_19identity_decomposerENS1_16block_id_wrapperIjLb0EEEEE10hipError_tT1_PNSt15iterator_traitsISK_E10value_typeET2_T3_PNSL_ISQ_E10value_typeET4_T5_PSV_SW_PNS1_23onesweep_lookback_stateEbbT6_jjT7_P12ihipStream_tbENKUlT_T0_SK_SP_E_clISE_PiSF_SF_EEDaS13_S14_SK_SP_EUlS13_E_NS1_11comp_targetILNS1_3genE2ELNS1_11target_archE906ELNS1_3gpuE6ELNS1_3repE0EEENS1_47radix_sort_onesweep_sort_config_static_selectorELNS0_4arch9wavefront6targetE1EEEvSK_.numbered_sgpr, 0
	.set _ZN7rocprim17ROCPRIM_400000_NS6detail17trampoline_kernelINS0_14default_configENS1_35radix_sort_onesweep_config_selectorIiNS0_10empty_typeEEEZZNS1_29radix_sort_onesweep_iterationIS3_Lb0EN6thrust23THRUST_200600_302600_NS6detail15normal_iteratorINS9_10device_ptrIiEEEESE_PS5_SF_jNS0_19identity_decomposerENS1_16block_id_wrapperIjLb0EEEEE10hipError_tT1_PNSt15iterator_traitsISK_E10value_typeET2_T3_PNSL_ISQ_E10value_typeET4_T5_PSV_SW_PNS1_23onesweep_lookback_stateEbbT6_jjT7_P12ihipStream_tbENKUlT_T0_SK_SP_E_clISE_PiSF_SF_EEDaS13_S14_SK_SP_EUlS13_E_NS1_11comp_targetILNS1_3genE2ELNS1_11target_archE906ELNS1_3gpuE6ELNS1_3repE0EEENS1_47radix_sort_onesweep_sort_config_static_selectorELNS0_4arch9wavefront6targetE1EEEvSK_.num_named_barrier, 0
	.set _ZN7rocprim17ROCPRIM_400000_NS6detail17trampoline_kernelINS0_14default_configENS1_35radix_sort_onesweep_config_selectorIiNS0_10empty_typeEEEZZNS1_29radix_sort_onesweep_iterationIS3_Lb0EN6thrust23THRUST_200600_302600_NS6detail15normal_iteratorINS9_10device_ptrIiEEEESE_PS5_SF_jNS0_19identity_decomposerENS1_16block_id_wrapperIjLb0EEEEE10hipError_tT1_PNSt15iterator_traitsISK_E10value_typeET2_T3_PNSL_ISQ_E10value_typeET4_T5_PSV_SW_PNS1_23onesweep_lookback_stateEbbT6_jjT7_P12ihipStream_tbENKUlT_T0_SK_SP_E_clISE_PiSF_SF_EEDaS13_S14_SK_SP_EUlS13_E_NS1_11comp_targetILNS1_3genE2ELNS1_11target_archE906ELNS1_3gpuE6ELNS1_3repE0EEENS1_47radix_sort_onesweep_sort_config_static_selectorELNS0_4arch9wavefront6targetE1EEEvSK_.private_seg_size, 0
	.set _ZN7rocprim17ROCPRIM_400000_NS6detail17trampoline_kernelINS0_14default_configENS1_35radix_sort_onesweep_config_selectorIiNS0_10empty_typeEEEZZNS1_29radix_sort_onesweep_iterationIS3_Lb0EN6thrust23THRUST_200600_302600_NS6detail15normal_iteratorINS9_10device_ptrIiEEEESE_PS5_SF_jNS0_19identity_decomposerENS1_16block_id_wrapperIjLb0EEEEE10hipError_tT1_PNSt15iterator_traitsISK_E10value_typeET2_T3_PNSL_ISQ_E10value_typeET4_T5_PSV_SW_PNS1_23onesweep_lookback_stateEbbT6_jjT7_P12ihipStream_tbENKUlT_T0_SK_SP_E_clISE_PiSF_SF_EEDaS13_S14_SK_SP_EUlS13_E_NS1_11comp_targetILNS1_3genE2ELNS1_11target_archE906ELNS1_3gpuE6ELNS1_3repE0EEENS1_47radix_sort_onesweep_sort_config_static_selectorELNS0_4arch9wavefront6targetE1EEEvSK_.uses_vcc, 0
	.set _ZN7rocprim17ROCPRIM_400000_NS6detail17trampoline_kernelINS0_14default_configENS1_35radix_sort_onesweep_config_selectorIiNS0_10empty_typeEEEZZNS1_29radix_sort_onesweep_iterationIS3_Lb0EN6thrust23THRUST_200600_302600_NS6detail15normal_iteratorINS9_10device_ptrIiEEEESE_PS5_SF_jNS0_19identity_decomposerENS1_16block_id_wrapperIjLb0EEEEE10hipError_tT1_PNSt15iterator_traitsISK_E10value_typeET2_T3_PNSL_ISQ_E10value_typeET4_T5_PSV_SW_PNS1_23onesweep_lookback_stateEbbT6_jjT7_P12ihipStream_tbENKUlT_T0_SK_SP_E_clISE_PiSF_SF_EEDaS13_S14_SK_SP_EUlS13_E_NS1_11comp_targetILNS1_3genE2ELNS1_11target_archE906ELNS1_3gpuE6ELNS1_3repE0EEENS1_47radix_sort_onesweep_sort_config_static_selectorELNS0_4arch9wavefront6targetE1EEEvSK_.uses_flat_scratch, 0
	.set _ZN7rocprim17ROCPRIM_400000_NS6detail17trampoline_kernelINS0_14default_configENS1_35radix_sort_onesweep_config_selectorIiNS0_10empty_typeEEEZZNS1_29radix_sort_onesweep_iterationIS3_Lb0EN6thrust23THRUST_200600_302600_NS6detail15normal_iteratorINS9_10device_ptrIiEEEESE_PS5_SF_jNS0_19identity_decomposerENS1_16block_id_wrapperIjLb0EEEEE10hipError_tT1_PNSt15iterator_traitsISK_E10value_typeET2_T3_PNSL_ISQ_E10value_typeET4_T5_PSV_SW_PNS1_23onesweep_lookback_stateEbbT6_jjT7_P12ihipStream_tbENKUlT_T0_SK_SP_E_clISE_PiSF_SF_EEDaS13_S14_SK_SP_EUlS13_E_NS1_11comp_targetILNS1_3genE2ELNS1_11target_archE906ELNS1_3gpuE6ELNS1_3repE0EEENS1_47radix_sort_onesweep_sort_config_static_selectorELNS0_4arch9wavefront6targetE1EEEvSK_.has_dyn_sized_stack, 0
	.set _ZN7rocprim17ROCPRIM_400000_NS6detail17trampoline_kernelINS0_14default_configENS1_35radix_sort_onesweep_config_selectorIiNS0_10empty_typeEEEZZNS1_29radix_sort_onesweep_iterationIS3_Lb0EN6thrust23THRUST_200600_302600_NS6detail15normal_iteratorINS9_10device_ptrIiEEEESE_PS5_SF_jNS0_19identity_decomposerENS1_16block_id_wrapperIjLb0EEEEE10hipError_tT1_PNSt15iterator_traitsISK_E10value_typeET2_T3_PNSL_ISQ_E10value_typeET4_T5_PSV_SW_PNS1_23onesweep_lookback_stateEbbT6_jjT7_P12ihipStream_tbENKUlT_T0_SK_SP_E_clISE_PiSF_SF_EEDaS13_S14_SK_SP_EUlS13_E_NS1_11comp_targetILNS1_3genE2ELNS1_11target_archE906ELNS1_3gpuE6ELNS1_3repE0EEENS1_47radix_sort_onesweep_sort_config_static_selectorELNS0_4arch9wavefront6targetE1EEEvSK_.has_recursion, 0
	.set _ZN7rocprim17ROCPRIM_400000_NS6detail17trampoline_kernelINS0_14default_configENS1_35radix_sort_onesweep_config_selectorIiNS0_10empty_typeEEEZZNS1_29radix_sort_onesweep_iterationIS3_Lb0EN6thrust23THRUST_200600_302600_NS6detail15normal_iteratorINS9_10device_ptrIiEEEESE_PS5_SF_jNS0_19identity_decomposerENS1_16block_id_wrapperIjLb0EEEEE10hipError_tT1_PNSt15iterator_traitsISK_E10value_typeET2_T3_PNSL_ISQ_E10value_typeET4_T5_PSV_SW_PNS1_23onesweep_lookback_stateEbbT6_jjT7_P12ihipStream_tbENKUlT_T0_SK_SP_E_clISE_PiSF_SF_EEDaS13_S14_SK_SP_EUlS13_E_NS1_11comp_targetILNS1_3genE2ELNS1_11target_archE906ELNS1_3gpuE6ELNS1_3repE0EEENS1_47radix_sort_onesweep_sort_config_static_selectorELNS0_4arch9wavefront6targetE1EEEvSK_.has_indirect_call, 0
	.section	.AMDGPU.csdata,"",@progbits
; Kernel info:
; codeLenInByte = 0
; TotalNumSgprs: 6
; NumVgprs: 0
; NumAgprs: 0
; TotalNumVgprs: 0
; ScratchSize: 0
; MemoryBound: 0
; FloatMode: 240
; IeeeMode: 1
; LDSByteSize: 0 bytes/workgroup (compile time only)
; SGPRBlocks: 0
; VGPRBlocks: 0
; NumSGPRsForWavesPerEU: 6
; NumVGPRsForWavesPerEU: 1
; AccumOffset: 4
; Occupancy: 8
; WaveLimiterHint : 0
; COMPUTE_PGM_RSRC2:SCRATCH_EN: 0
; COMPUTE_PGM_RSRC2:USER_SGPR: 2
; COMPUTE_PGM_RSRC2:TRAP_HANDLER: 0
; COMPUTE_PGM_RSRC2:TGID_X_EN: 1
; COMPUTE_PGM_RSRC2:TGID_Y_EN: 0
; COMPUTE_PGM_RSRC2:TGID_Z_EN: 0
; COMPUTE_PGM_RSRC2:TIDIG_COMP_CNT: 0
; COMPUTE_PGM_RSRC3_GFX90A:ACCUM_OFFSET: 0
; COMPUTE_PGM_RSRC3_GFX90A:TG_SPLIT: 0
	.section	.text._ZN7rocprim17ROCPRIM_400000_NS6detail17trampoline_kernelINS0_14default_configENS1_35radix_sort_onesweep_config_selectorIiNS0_10empty_typeEEEZZNS1_29radix_sort_onesweep_iterationIS3_Lb0EN6thrust23THRUST_200600_302600_NS6detail15normal_iteratorINS9_10device_ptrIiEEEESE_PS5_SF_jNS0_19identity_decomposerENS1_16block_id_wrapperIjLb0EEEEE10hipError_tT1_PNSt15iterator_traitsISK_E10value_typeET2_T3_PNSL_ISQ_E10value_typeET4_T5_PSV_SW_PNS1_23onesweep_lookback_stateEbbT6_jjT7_P12ihipStream_tbENKUlT_T0_SK_SP_E_clISE_PiSF_SF_EEDaS13_S14_SK_SP_EUlS13_E_NS1_11comp_targetILNS1_3genE4ELNS1_11target_archE910ELNS1_3gpuE8ELNS1_3repE0EEENS1_47radix_sort_onesweep_sort_config_static_selectorELNS0_4arch9wavefront6targetE1EEEvSK_,"axG",@progbits,_ZN7rocprim17ROCPRIM_400000_NS6detail17trampoline_kernelINS0_14default_configENS1_35radix_sort_onesweep_config_selectorIiNS0_10empty_typeEEEZZNS1_29radix_sort_onesweep_iterationIS3_Lb0EN6thrust23THRUST_200600_302600_NS6detail15normal_iteratorINS9_10device_ptrIiEEEESE_PS5_SF_jNS0_19identity_decomposerENS1_16block_id_wrapperIjLb0EEEEE10hipError_tT1_PNSt15iterator_traitsISK_E10value_typeET2_T3_PNSL_ISQ_E10value_typeET4_T5_PSV_SW_PNS1_23onesweep_lookback_stateEbbT6_jjT7_P12ihipStream_tbENKUlT_T0_SK_SP_E_clISE_PiSF_SF_EEDaS13_S14_SK_SP_EUlS13_E_NS1_11comp_targetILNS1_3genE4ELNS1_11target_archE910ELNS1_3gpuE8ELNS1_3repE0EEENS1_47radix_sort_onesweep_sort_config_static_selectorELNS0_4arch9wavefront6targetE1EEEvSK_,comdat
	.protected	_ZN7rocprim17ROCPRIM_400000_NS6detail17trampoline_kernelINS0_14default_configENS1_35radix_sort_onesweep_config_selectorIiNS0_10empty_typeEEEZZNS1_29radix_sort_onesweep_iterationIS3_Lb0EN6thrust23THRUST_200600_302600_NS6detail15normal_iteratorINS9_10device_ptrIiEEEESE_PS5_SF_jNS0_19identity_decomposerENS1_16block_id_wrapperIjLb0EEEEE10hipError_tT1_PNSt15iterator_traitsISK_E10value_typeET2_T3_PNSL_ISQ_E10value_typeET4_T5_PSV_SW_PNS1_23onesweep_lookback_stateEbbT6_jjT7_P12ihipStream_tbENKUlT_T0_SK_SP_E_clISE_PiSF_SF_EEDaS13_S14_SK_SP_EUlS13_E_NS1_11comp_targetILNS1_3genE4ELNS1_11target_archE910ELNS1_3gpuE8ELNS1_3repE0EEENS1_47radix_sort_onesweep_sort_config_static_selectorELNS0_4arch9wavefront6targetE1EEEvSK_ ; -- Begin function _ZN7rocprim17ROCPRIM_400000_NS6detail17trampoline_kernelINS0_14default_configENS1_35radix_sort_onesweep_config_selectorIiNS0_10empty_typeEEEZZNS1_29radix_sort_onesweep_iterationIS3_Lb0EN6thrust23THRUST_200600_302600_NS6detail15normal_iteratorINS9_10device_ptrIiEEEESE_PS5_SF_jNS0_19identity_decomposerENS1_16block_id_wrapperIjLb0EEEEE10hipError_tT1_PNSt15iterator_traitsISK_E10value_typeET2_T3_PNSL_ISQ_E10value_typeET4_T5_PSV_SW_PNS1_23onesweep_lookback_stateEbbT6_jjT7_P12ihipStream_tbENKUlT_T0_SK_SP_E_clISE_PiSF_SF_EEDaS13_S14_SK_SP_EUlS13_E_NS1_11comp_targetILNS1_3genE4ELNS1_11target_archE910ELNS1_3gpuE8ELNS1_3repE0EEENS1_47radix_sort_onesweep_sort_config_static_selectorELNS0_4arch9wavefront6targetE1EEEvSK_
	.globl	_ZN7rocprim17ROCPRIM_400000_NS6detail17trampoline_kernelINS0_14default_configENS1_35radix_sort_onesweep_config_selectorIiNS0_10empty_typeEEEZZNS1_29radix_sort_onesweep_iterationIS3_Lb0EN6thrust23THRUST_200600_302600_NS6detail15normal_iteratorINS9_10device_ptrIiEEEESE_PS5_SF_jNS0_19identity_decomposerENS1_16block_id_wrapperIjLb0EEEEE10hipError_tT1_PNSt15iterator_traitsISK_E10value_typeET2_T3_PNSL_ISQ_E10value_typeET4_T5_PSV_SW_PNS1_23onesweep_lookback_stateEbbT6_jjT7_P12ihipStream_tbENKUlT_T0_SK_SP_E_clISE_PiSF_SF_EEDaS13_S14_SK_SP_EUlS13_E_NS1_11comp_targetILNS1_3genE4ELNS1_11target_archE910ELNS1_3gpuE8ELNS1_3repE0EEENS1_47radix_sort_onesweep_sort_config_static_selectorELNS0_4arch9wavefront6targetE1EEEvSK_
	.p2align	8
	.type	_ZN7rocprim17ROCPRIM_400000_NS6detail17trampoline_kernelINS0_14default_configENS1_35radix_sort_onesweep_config_selectorIiNS0_10empty_typeEEEZZNS1_29radix_sort_onesweep_iterationIS3_Lb0EN6thrust23THRUST_200600_302600_NS6detail15normal_iteratorINS9_10device_ptrIiEEEESE_PS5_SF_jNS0_19identity_decomposerENS1_16block_id_wrapperIjLb0EEEEE10hipError_tT1_PNSt15iterator_traitsISK_E10value_typeET2_T3_PNSL_ISQ_E10value_typeET4_T5_PSV_SW_PNS1_23onesweep_lookback_stateEbbT6_jjT7_P12ihipStream_tbENKUlT_T0_SK_SP_E_clISE_PiSF_SF_EEDaS13_S14_SK_SP_EUlS13_E_NS1_11comp_targetILNS1_3genE4ELNS1_11target_archE910ELNS1_3gpuE8ELNS1_3repE0EEENS1_47radix_sort_onesweep_sort_config_static_selectorELNS0_4arch9wavefront6targetE1EEEvSK_,@function
_ZN7rocprim17ROCPRIM_400000_NS6detail17trampoline_kernelINS0_14default_configENS1_35radix_sort_onesweep_config_selectorIiNS0_10empty_typeEEEZZNS1_29radix_sort_onesweep_iterationIS3_Lb0EN6thrust23THRUST_200600_302600_NS6detail15normal_iteratorINS9_10device_ptrIiEEEESE_PS5_SF_jNS0_19identity_decomposerENS1_16block_id_wrapperIjLb0EEEEE10hipError_tT1_PNSt15iterator_traitsISK_E10value_typeET2_T3_PNSL_ISQ_E10value_typeET4_T5_PSV_SW_PNS1_23onesweep_lookback_stateEbbT6_jjT7_P12ihipStream_tbENKUlT_T0_SK_SP_E_clISE_PiSF_SF_EEDaS13_S14_SK_SP_EUlS13_E_NS1_11comp_targetILNS1_3genE4ELNS1_11target_archE910ELNS1_3gpuE8ELNS1_3repE0EEENS1_47radix_sort_onesweep_sort_config_static_selectorELNS0_4arch9wavefront6targetE1EEEvSK_: ; @_ZN7rocprim17ROCPRIM_400000_NS6detail17trampoline_kernelINS0_14default_configENS1_35radix_sort_onesweep_config_selectorIiNS0_10empty_typeEEEZZNS1_29radix_sort_onesweep_iterationIS3_Lb0EN6thrust23THRUST_200600_302600_NS6detail15normal_iteratorINS9_10device_ptrIiEEEESE_PS5_SF_jNS0_19identity_decomposerENS1_16block_id_wrapperIjLb0EEEEE10hipError_tT1_PNSt15iterator_traitsISK_E10value_typeET2_T3_PNSL_ISQ_E10value_typeET4_T5_PSV_SW_PNS1_23onesweep_lookback_stateEbbT6_jjT7_P12ihipStream_tbENKUlT_T0_SK_SP_E_clISE_PiSF_SF_EEDaS13_S14_SK_SP_EUlS13_E_NS1_11comp_targetILNS1_3genE4ELNS1_11target_archE910ELNS1_3gpuE8ELNS1_3repE0EEENS1_47radix_sort_onesweep_sort_config_static_selectorELNS0_4arch9wavefront6targetE1EEEvSK_
; %bb.0:
	.section	.rodata,"a",@progbits
	.p2align	6, 0x0
	.amdhsa_kernel _ZN7rocprim17ROCPRIM_400000_NS6detail17trampoline_kernelINS0_14default_configENS1_35radix_sort_onesweep_config_selectorIiNS0_10empty_typeEEEZZNS1_29radix_sort_onesweep_iterationIS3_Lb0EN6thrust23THRUST_200600_302600_NS6detail15normal_iteratorINS9_10device_ptrIiEEEESE_PS5_SF_jNS0_19identity_decomposerENS1_16block_id_wrapperIjLb0EEEEE10hipError_tT1_PNSt15iterator_traitsISK_E10value_typeET2_T3_PNSL_ISQ_E10value_typeET4_T5_PSV_SW_PNS1_23onesweep_lookback_stateEbbT6_jjT7_P12ihipStream_tbENKUlT_T0_SK_SP_E_clISE_PiSF_SF_EEDaS13_S14_SK_SP_EUlS13_E_NS1_11comp_targetILNS1_3genE4ELNS1_11target_archE910ELNS1_3gpuE8ELNS1_3repE0EEENS1_47radix_sort_onesweep_sort_config_static_selectorELNS0_4arch9wavefront6targetE1EEEvSK_
		.amdhsa_group_segment_fixed_size 0
		.amdhsa_private_segment_fixed_size 0
		.amdhsa_kernarg_size 88
		.amdhsa_user_sgpr_count 2
		.amdhsa_user_sgpr_dispatch_ptr 0
		.amdhsa_user_sgpr_queue_ptr 0
		.amdhsa_user_sgpr_kernarg_segment_ptr 1
		.amdhsa_user_sgpr_dispatch_id 0
		.amdhsa_user_sgpr_kernarg_preload_length 0
		.amdhsa_user_sgpr_kernarg_preload_offset 0
		.amdhsa_user_sgpr_private_segment_size 0
		.amdhsa_uses_dynamic_stack 0
		.amdhsa_enable_private_segment 0
		.amdhsa_system_sgpr_workgroup_id_x 1
		.amdhsa_system_sgpr_workgroup_id_y 0
		.amdhsa_system_sgpr_workgroup_id_z 0
		.amdhsa_system_sgpr_workgroup_info 0
		.amdhsa_system_vgpr_workitem_id 0
		.amdhsa_next_free_vgpr 1
		.amdhsa_next_free_sgpr 0
		.amdhsa_accum_offset 4
		.amdhsa_reserve_vcc 0
		.amdhsa_float_round_mode_32 0
		.amdhsa_float_round_mode_16_64 0
		.amdhsa_float_denorm_mode_32 3
		.amdhsa_float_denorm_mode_16_64 3
		.amdhsa_dx10_clamp 1
		.amdhsa_ieee_mode 1
		.amdhsa_fp16_overflow 0
		.amdhsa_tg_split 0
		.amdhsa_exception_fp_ieee_invalid_op 0
		.amdhsa_exception_fp_denorm_src 0
		.amdhsa_exception_fp_ieee_div_zero 0
		.amdhsa_exception_fp_ieee_overflow 0
		.amdhsa_exception_fp_ieee_underflow 0
		.amdhsa_exception_fp_ieee_inexact 0
		.amdhsa_exception_int_div_zero 0
	.end_amdhsa_kernel
	.section	.text._ZN7rocprim17ROCPRIM_400000_NS6detail17trampoline_kernelINS0_14default_configENS1_35radix_sort_onesweep_config_selectorIiNS0_10empty_typeEEEZZNS1_29radix_sort_onesweep_iterationIS3_Lb0EN6thrust23THRUST_200600_302600_NS6detail15normal_iteratorINS9_10device_ptrIiEEEESE_PS5_SF_jNS0_19identity_decomposerENS1_16block_id_wrapperIjLb0EEEEE10hipError_tT1_PNSt15iterator_traitsISK_E10value_typeET2_T3_PNSL_ISQ_E10value_typeET4_T5_PSV_SW_PNS1_23onesweep_lookback_stateEbbT6_jjT7_P12ihipStream_tbENKUlT_T0_SK_SP_E_clISE_PiSF_SF_EEDaS13_S14_SK_SP_EUlS13_E_NS1_11comp_targetILNS1_3genE4ELNS1_11target_archE910ELNS1_3gpuE8ELNS1_3repE0EEENS1_47radix_sort_onesweep_sort_config_static_selectorELNS0_4arch9wavefront6targetE1EEEvSK_,"axG",@progbits,_ZN7rocprim17ROCPRIM_400000_NS6detail17trampoline_kernelINS0_14default_configENS1_35radix_sort_onesweep_config_selectorIiNS0_10empty_typeEEEZZNS1_29radix_sort_onesweep_iterationIS3_Lb0EN6thrust23THRUST_200600_302600_NS6detail15normal_iteratorINS9_10device_ptrIiEEEESE_PS5_SF_jNS0_19identity_decomposerENS1_16block_id_wrapperIjLb0EEEEE10hipError_tT1_PNSt15iterator_traitsISK_E10value_typeET2_T3_PNSL_ISQ_E10value_typeET4_T5_PSV_SW_PNS1_23onesweep_lookback_stateEbbT6_jjT7_P12ihipStream_tbENKUlT_T0_SK_SP_E_clISE_PiSF_SF_EEDaS13_S14_SK_SP_EUlS13_E_NS1_11comp_targetILNS1_3genE4ELNS1_11target_archE910ELNS1_3gpuE8ELNS1_3repE0EEENS1_47radix_sort_onesweep_sort_config_static_selectorELNS0_4arch9wavefront6targetE1EEEvSK_,comdat
.Lfunc_end199:
	.size	_ZN7rocprim17ROCPRIM_400000_NS6detail17trampoline_kernelINS0_14default_configENS1_35radix_sort_onesweep_config_selectorIiNS0_10empty_typeEEEZZNS1_29radix_sort_onesweep_iterationIS3_Lb0EN6thrust23THRUST_200600_302600_NS6detail15normal_iteratorINS9_10device_ptrIiEEEESE_PS5_SF_jNS0_19identity_decomposerENS1_16block_id_wrapperIjLb0EEEEE10hipError_tT1_PNSt15iterator_traitsISK_E10value_typeET2_T3_PNSL_ISQ_E10value_typeET4_T5_PSV_SW_PNS1_23onesweep_lookback_stateEbbT6_jjT7_P12ihipStream_tbENKUlT_T0_SK_SP_E_clISE_PiSF_SF_EEDaS13_S14_SK_SP_EUlS13_E_NS1_11comp_targetILNS1_3genE4ELNS1_11target_archE910ELNS1_3gpuE8ELNS1_3repE0EEENS1_47radix_sort_onesweep_sort_config_static_selectorELNS0_4arch9wavefront6targetE1EEEvSK_, .Lfunc_end199-_ZN7rocprim17ROCPRIM_400000_NS6detail17trampoline_kernelINS0_14default_configENS1_35radix_sort_onesweep_config_selectorIiNS0_10empty_typeEEEZZNS1_29radix_sort_onesweep_iterationIS3_Lb0EN6thrust23THRUST_200600_302600_NS6detail15normal_iteratorINS9_10device_ptrIiEEEESE_PS5_SF_jNS0_19identity_decomposerENS1_16block_id_wrapperIjLb0EEEEE10hipError_tT1_PNSt15iterator_traitsISK_E10value_typeET2_T3_PNSL_ISQ_E10value_typeET4_T5_PSV_SW_PNS1_23onesweep_lookback_stateEbbT6_jjT7_P12ihipStream_tbENKUlT_T0_SK_SP_E_clISE_PiSF_SF_EEDaS13_S14_SK_SP_EUlS13_E_NS1_11comp_targetILNS1_3genE4ELNS1_11target_archE910ELNS1_3gpuE8ELNS1_3repE0EEENS1_47radix_sort_onesweep_sort_config_static_selectorELNS0_4arch9wavefront6targetE1EEEvSK_
                                        ; -- End function
	.set _ZN7rocprim17ROCPRIM_400000_NS6detail17trampoline_kernelINS0_14default_configENS1_35radix_sort_onesweep_config_selectorIiNS0_10empty_typeEEEZZNS1_29radix_sort_onesweep_iterationIS3_Lb0EN6thrust23THRUST_200600_302600_NS6detail15normal_iteratorINS9_10device_ptrIiEEEESE_PS5_SF_jNS0_19identity_decomposerENS1_16block_id_wrapperIjLb0EEEEE10hipError_tT1_PNSt15iterator_traitsISK_E10value_typeET2_T3_PNSL_ISQ_E10value_typeET4_T5_PSV_SW_PNS1_23onesweep_lookback_stateEbbT6_jjT7_P12ihipStream_tbENKUlT_T0_SK_SP_E_clISE_PiSF_SF_EEDaS13_S14_SK_SP_EUlS13_E_NS1_11comp_targetILNS1_3genE4ELNS1_11target_archE910ELNS1_3gpuE8ELNS1_3repE0EEENS1_47radix_sort_onesweep_sort_config_static_selectorELNS0_4arch9wavefront6targetE1EEEvSK_.num_vgpr, 0
	.set _ZN7rocprim17ROCPRIM_400000_NS6detail17trampoline_kernelINS0_14default_configENS1_35radix_sort_onesweep_config_selectorIiNS0_10empty_typeEEEZZNS1_29radix_sort_onesweep_iterationIS3_Lb0EN6thrust23THRUST_200600_302600_NS6detail15normal_iteratorINS9_10device_ptrIiEEEESE_PS5_SF_jNS0_19identity_decomposerENS1_16block_id_wrapperIjLb0EEEEE10hipError_tT1_PNSt15iterator_traitsISK_E10value_typeET2_T3_PNSL_ISQ_E10value_typeET4_T5_PSV_SW_PNS1_23onesweep_lookback_stateEbbT6_jjT7_P12ihipStream_tbENKUlT_T0_SK_SP_E_clISE_PiSF_SF_EEDaS13_S14_SK_SP_EUlS13_E_NS1_11comp_targetILNS1_3genE4ELNS1_11target_archE910ELNS1_3gpuE8ELNS1_3repE0EEENS1_47radix_sort_onesweep_sort_config_static_selectorELNS0_4arch9wavefront6targetE1EEEvSK_.num_agpr, 0
	.set _ZN7rocprim17ROCPRIM_400000_NS6detail17trampoline_kernelINS0_14default_configENS1_35radix_sort_onesweep_config_selectorIiNS0_10empty_typeEEEZZNS1_29radix_sort_onesweep_iterationIS3_Lb0EN6thrust23THRUST_200600_302600_NS6detail15normal_iteratorINS9_10device_ptrIiEEEESE_PS5_SF_jNS0_19identity_decomposerENS1_16block_id_wrapperIjLb0EEEEE10hipError_tT1_PNSt15iterator_traitsISK_E10value_typeET2_T3_PNSL_ISQ_E10value_typeET4_T5_PSV_SW_PNS1_23onesweep_lookback_stateEbbT6_jjT7_P12ihipStream_tbENKUlT_T0_SK_SP_E_clISE_PiSF_SF_EEDaS13_S14_SK_SP_EUlS13_E_NS1_11comp_targetILNS1_3genE4ELNS1_11target_archE910ELNS1_3gpuE8ELNS1_3repE0EEENS1_47radix_sort_onesweep_sort_config_static_selectorELNS0_4arch9wavefront6targetE1EEEvSK_.numbered_sgpr, 0
	.set _ZN7rocprim17ROCPRIM_400000_NS6detail17trampoline_kernelINS0_14default_configENS1_35radix_sort_onesweep_config_selectorIiNS0_10empty_typeEEEZZNS1_29radix_sort_onesweep_iterationIS3_Lb0EN6thrust23THRUST_200600_302600_NS6detail15normal_iteratorINS9_10device_ptrIiEEEESE_PS5_SF_jNS0_19identity_decomposerENS1_16block_id_wrapperIjLb0EEEEE10hipError_tT1_PNSt15iterator_traitsISK_E10value_typeET2_T3_PNSL_ISQ_E10value_typeET4_T5_PSV_SW_PNS1_23onesweep_lookback_stateEbbT6_jjT7_P12ihipStream_tbENKUlT_T0_SK_SP_E_clISE_PiSF_SF_EEDaS13_S14_SK_SP_EUlS13_E_NS1_11comp_targetILNS1_3genE4ELNS1_11target_archE910ELNS1_3gpuE8ELNS1_3repE0EEENS1_47radix_sort_onesweep_sort_config_static_selectorELNS0_4arch9wavefront6targetE1EEEvSK_.num_named_barrier, 0
	.set _ZN7rocprim17ROCPRIM_400000_NS6detail17trampoline_kernelINS0_14default_configENS1_35radix_sort_onesweep_config_selectorIiNS0_10empty_typeEEEZZNS1_29radix_sort_onesweep_iterationIS3_Lb0EN6thrust23THRUST_200600_302600_NS6detail15normal_iteratorINS9_10device_ptrIiEEEESE_PS5_SF_jNS0_19identity_decomposerENS1_16block_id_wrapperIjLb0EEEEE10hipError_tT1_PNSt15iterator_traitsISK_E10value_typeET2_T3_PNSL_ISQ_E10value_typeET4_T5_PSV_SW_PNS1_23onesweep_lookback_stateEbbT6_jjT7_P12ihipStream_tbENKUlT_T0_SK_SP_E_clISE_PiSF_SF_EEDaS13_S14_SK_SP_EUlS13_E_NS1_11comp_targetILNS1_3genE4ELNS1_11target_archE910ELNS1_3gpuE8ELNS1_3repE0EEENS1_47radix_sort_onesweep_sort_config_static_selectorELNS0_4arch9wavefront6targetE1EEEvSK_.private_seg_size, 0
	.set _ZN7rocprim17ROCPRIM_400000_NS6detail17trampoline_kernelINS0_14default_configENS1_35radix_sort_onesweep_config_selectorIiNS0_10empty_typeEEEZZNS1_29radix_sort_onesweep_iterationIS3_Lb0EN6thrust23THRUST_200600_302600_NS6detail15normal_iteratorINS9_10device_ptrIiEEEESE_PS5_SF_jNS0_19identity_decomposerENS1_16block_id_wrapperIjLb0EEEEE10hipError_tT1_PNSt15iterator_traitsISK_E10value_typeET2_T3_PNSL_ISQ_E10value_typeET4_T5_PSV_SW_PNS1_23onesweep_lookback_stateEbbT6_jjT7_P12ihipStream_tbENKUlT_T0_SK_SP_E_clISE_PiSF_SF_EEDaS13_S14_SK_SP_EUlS13_E_NS1_11comp_targetILNS1_3genE4ELNS1_11target_archE910ELNS1_3gpuE8ELNS1_3repE0EEENS1_47radix_sort_onesweep_sort_config_static_selectorELNS0_4arch9wavefront6targetE1EEEvSK_.uses_vcc, 0
	.set _ZN7rocprim17ROCPRIM_400000_NS6detail17trampoline_kernelINS0_14default_configENS1_35radix_sort_onesweep_config_selectorIiNS0_10empty_typeEEEZZNS1_29radix_sort_onesweep_iterationIS3_Lb0EN6thrust23THRUST_200600_302600_NS6detail15normal_iteratorINS9_10device_ptrIiEEEESE_PS5_SF_jNS0_19identity_decomposerENS1_16block_id_wrapperIjLb0EEEEE10hipError_tT1_PNSt15iterator_traitsISK_E10value_typeET2_T3_PNSL_ISQ_E10value_typeET4_T5_PSV_SW_PNS1_23onesweep_lookback_stateEbbT6_jjT7_P12ihipStream_tbENKUlT_T0_SK_SP_E_clISE_PiSF_SF_EEDaS13_S14_SK_SP_EUlS13_E_NS1_11comp_targetILNS1_3genE4ELNS1_11target_archE910ELNS1_3gpuE8ELNS1_3repE0EEENS1_47radix_sort_onesweep_sort_config_static_selectorELNS0_4arch9wavefront6targetE1EEEvSK_.uses_flat_scratch, 0
	.set _ZN7rocprim17ROCPRIM_400000_NS6detail17trampoline_kernelINS0_14default_configENS1_35radix_sort_onesweep_config_selectorIiNS0_10empty_typeEEEZZNS1_29radix_sort_onesweep_iterationIS3_Lb0EN6thrust23THRUST_200600_302600_NS6detail15normal_iteratorINS9_10device_ptrIiEEEESE_PS5_SF_jNS0_19identity_decomposerENS1_16block_id_wrapperIjLb0EEEEE10hipError_tT1_PNSt15iterator_traitsISK_E10value_typeET2_T3_PNSL_ISQ_E10value_typeET4_T5_PSV_SW_PNS1_23onesweep_lookback_stateEbbT6_jjT7_P12ihipStream_tbENKUlT_T0_SK_SP_E_clISE_PiSF_SF_EEDaS13_S14_SK_SP_EUlS13_E_NS1_11comp_targetILNS1_3genE4ELNS1_11target_archE910ELNS1_3gpuE8ELNS1_3repE0EEENS1_47radix_sort_onesweep_sort_config_static_selectorELNS0_4arch9wavefront6targetE1EEEvSK_.has_dyn_sized_stack, 0
	.set _ZN7rocprim17ROCPRIM_400000_NS6detail17trampoline_kernelINS0_14default_configENS1_35radix_sort_onesweep_config_selectorIiNS0_10empty_typeEEEZZNS1_29radix_sort_onesweep_iterationIS3_Lb0EN6thrust23THRUST_200600_302600_NS6detail15normal_iteratorINS9_10device_ptrIiEEEESE_PS5_SF_jNS0_19identity_decomposerENS1_16block_id_wrapperIjLb0EEEEE10hipError_tT1_PNSt15iterator_traitsISK_E10value_typeET2_T3_PNSL_ISQ_E10value_typeET4_T5_PSV_SW_PNS1_23onesweep_lookback_stateEbbT6_jjT7_P12ihipStream_tbENKUlT_T0_SK_SP_E_clISE_PiSF_SF_EEDaS13_S14_SK_SP_EUlS13_E_NS1_11comp_targetILNS1_3genE4ELNS1_11target_archE910ELNS1_3gpuE8ELNS1_3repE0EEENS1_47radix_sort_onesweep_sort_config_static_selectorELNS0_4arch9wavefront6targetE1EEEvSK_.has_recursion, 0
	.set _ZN7rocprim17ROCPRIM_400000_NS6detail17trampoline_kernelINS0_14default_configENS1_35radix_sort_onesweep_config_selectorIiNS0_10empty_typeEEEZZNS1_29radix_sort_onesweep_iterationIS3_Lb0EN6thrust23THRUST_200600_302600_NS6detail15normal_iteratorINS9_10device_ptrIiEEEESE_PS5_SF_jNS0_19identity_decomposerENS1_16block_id_wrapperIjLb0EEEEE10hipError_tT1_PNSt15iterator_traitsISK_E10value_typeET2_T3_PNSL_ISQ_E10value_typeET4_T5_PSV_SW_PNS1_23onesweep_lookback_stateEbbT6_jjT7_P12ihipStream_tbENKUlT_T0_SK_SP_E_clISE_PiSF_SF_EEDaS13_S14_SK_SP_EUlS13_E_NS1_11comp_targetILNS1_3genE4ELNS1_11target_archE910ELNS1_3gpuE8ELNS1_3repE0EEENS1_47radix_sort_onesweep_sort_config_static_selectorELNS0_4arch9wavefront6targetE1EEEvSK_.has_indirect_call, 0
	.section	.AMDGPU.csdata,"",@progbits
; Kernel info:
; codeLenInByte = 0
; TotalNumSgprs: 6
; NumVgprs: 0
; NumAgprs: 0
; TotalNumVgprs: 0
; ScratchSize: 0
; MemoryBound: 0
; FloatMode: 240
; IeeeMode: 1
; LDSByteSize: 0 bytes/workgroup (compile time only)
; SGPRBlocks: 0
; VGPRBlocks: 0
; NumSGPRsForWavesPerEU: 6
; NumVGPRsForWavesPerEU: 1
; AccumOffset: 4
; Occupancy: 8
; WaveLimiterHint : 0
; COMPUTE_PGM_RSRC2:SCRATCH_EN: 0
; COMPUTE_PGM_RSRC2:USER_SGPR: 2
; COMPUTE_PGM_RSRC2:TRAP_HANDLER: 0
; COMPUTE_PGM_RSRC2:TGID_X_EN: 1
; COMPUTE_PGM_RSRC2:TGID_Y_EN: 0
; COMPUTE_PGM_RSRC2:TGID_Z_EN: 0
; COMPUTE_PGM_RSRC2:TIDIG_COMP_CNT: 0
; COMPUTE_PGM_RSRC3_GFX90A:ACCUM_OFFSET: 0
; COMPUTE_PGM_RSRC3_GFX90A:TG_SPLIT: 0
	.section	.text._ZN7rocprim17ROCPRIM_400000_NS6detail17trampoline_kernelINS0_14default_configENS1_35radix_sort_onesweep_config_selectorIiNS0_10empty_typeEEEZZNS1_29radix_sort_onesweep_iterationIS3_Lb0EN6thrust23THRUST_200600_302600_NS6detail15normal_iteratorINS9_10device_ptrIiEEEESE_PS5_SF_jNS0_19identity_decomposerENS1_16block_id_wrapperIjLb0EEEEE10hipError_tT1_PNSt15iterator_traitsISK_E10value_typeET2_T3_PNSL_ISQ_E10value_typeET4_T5_PSV_SW_PNS1_23onesweep_lookback_stateEbbT6_jjT7_P12ihipStream_tbENKUlT_T0_SK_SP_E_clISE_PiSF_SF_EEDaS13_S14_SK_SP_EUlS13_E_NS1_11comp_targetILNS1_3genE3ELNS1_11target_archE908ELNS1_3gpuE7ELNS1_3repE0EEENS1_47radix_sort_onesweep_sort_config_static_selectorELNS0_4arch9wavefront6targetE1EEEvSK_,"axG",@progbits,_ZN7rocprim17ROCPRIM_400000_NS6detail17trampoline_kernelINS0_14default_configENS1_35radix_sort_onesweep_config_selectorIiNS0_10empty_typeEEEZZNS1_29radix_sort_onesweep_iterationIS3_Lb0EN6thrust23THRUST_200600_302600_NS6detail15normal_iteratorINS9_10device_ptrIiEEEESE_PS5_SF_jNS0_19identity_decomposerENS1_16block_id_wrapperIjLb0EEEEE10hipError_tT1_PNSt15iterator_traitsISK_E10value_typeET2_T3_PNSL_ISQ_E10value_typeET4_T5_PSV_SW_PNS1_23onesweep_lookback_stateEbbT6_jjT7_P12ihipStream_tbENKUlT_T0_SK_SP_E_clISE_PiSF_SF_EEDaS13_S14_SK_SP_EUlS13_E_NS1_11comp_targetILNS1_3genE3ELNS1_11target_archE908ELNS1_3gpuE7ELNS1_3repE0EEENS1_47radix_sort_onesweep_sort_config_static_selectorELNS0_4arch9wavefront6targetE1EEEvSK_,comdat
	.protected	_ZN7rocprim17ROCPRIM_400000_NS6detail17trampoline_kernelINS0_14default_configENS1_35radix_sort_onesweep_config_selectorIiNS0_10empty_typeEEEZZNS1_29radix_sort_onesweep_iterationIS3_Lb0EN6thrust23THRUST_200600_302600_NS6detail15normal_iteratorINS9_10device_ptrIiEEEESE_PS5_SF_jNS0_19identity_decomposerENS1_16block_id_wrapperIjLb0EEEEE10hipError_tT1_PNSt15iterator_traitsISK_E10value_typeET2_T3_PNSL_ISQ_E10value_typeET4_T5_PSV_SW_PNS1_23onesweep_lookback_stateEbbT6_jjT7_P12ihipStream_tbENKUlT_T0_SK_SP_E_clISE_PiSF_SF_EEDaS13_S14_SK_SP_EUlS13_E_NS1_11comp_targetILNS1_3genE3ELNS1_11target_archE908ELNS1_3gpuE7ELNS1_3repE0EEENS1_47radix_sort_onesweep_sort_config_static_selectorELNS0_4arch9wavefront6targetE1EEEvSK_ ; -- Begin function _ZN7rocprim17ROCPRIM_400000_NS6detail17trampoline_kernelINS0_14default_configENS1_35radix_sort_onesweep_config_selectorIiNS0_10empty_typeEEEZZNS1_29radix_sort_onesweep_iterationIS3_Lb0EN6thrust23THRUST_200600_302600_NS6detail15normal_iteratorINS9_10device_ptrIiEEEESE_PS5_SF_jNS0_19identity_decomposerENS1_16block_id_wrapperIjLb0EEEEE10hipError_tT1_PNSt15iterator_traitsISK_E10value_typeET2_T3_PNSL_ISQ_E10value_typeET4_T5_PSV_SW_PNS1_23onesweep_lookback_stateEbbT6_jjT7_P12ihipStream_tbENKUlT_T0_SK_SP_E_clISE_PiSF_SF_EEDaS13_S14_SK_SP_EUlS13_E_NS1_11comp_targetILNS1_3genE3ELNS1_11target_archE908ELNS1_3gpuE7ELNS1_3repE0EEENS1_47radix_sort_onesweep_sort_config_static_selectorELNS0_4arch9wavefront6targetE1EEEvSK_
	.globl	_ZN7rocprim17ROCPRIM_400000_NS6detail17trampoline_kernelINS0_14default_configENS1_35radix_sort_onesweep_config_selectorIiNS0_10empty_typeEEEZZNS1_29radix_sort_onesweep_iterationIS3_Lb0EN6thrust23THRUST_200600_302600_NS6detail15normal_iteratorINS9_10device_ptrIiEEEESE_PS5_SF_jNS0_19identity_decomposerENS1_16block_id_wrapperIjLb0EEEEE10hipError_tT1_PNSt15iterator_traitsISK_E10value_typeET2_T3_PNSL_ISQ_E10value_typeET4_T5_PSV_SW_PNS1_23onesweep_lookback_stateEbbT6_jjT7_P12ihipStream_tbENKUlT_T0_SK_SP_E_clISE_PiSF_SF_EEDaS13_S14_SK_SP_EUlS13_E_NS1_11comp_targetILNS1_3genE3ELNS1_11target_archE908ELNS1_3gpuE7ELNS1_3repE0EEENS1_47radix_sort_onesweep_sort_config_static_selectorELNS0_4arch9wavefront6targetE1EEEvSK_
	.p2align	8
	.type	_ZN7rocprim17ROCPRIM_400000_NS6detail17trampoline_kernelINS0_14default_configENS1_35radix_sort_onesweep_config_selectorIiNS0_10empty_typeEEEZZNS1_29radix_sort_onesweep_iterationIS3_Lb0EN6thrust23THRUST_200600_302600_NS6detail15normal_iteratorINS9_10device_ptrIiEEEESE_PS5_SF_jNS0_19identity_decomposerENS1_16block_id_wrapperIjLb0EEEEE10hipError_tT1_PNSt15iterator_traitsISK_E10value_typeET2_T3_PNSL_ISQ_E10value_typeET4_T5_PSV_SW_PNS1_23onesweep_lookback_stateEbbT6_jjT7_P12ihipStream_tbENKUlT_T0_SK_SP_E_clISE_PiSF_SF_EEDaS13_S14_SK_SP_EUlS13_E_NS1_11comp_targetILNS1_3genE3ELNS1_11target_archE908ELNS1_3gpuE7ELNS1_3repE0EEENS1_47radix_sort_onesweep_sort_config_static_selectorELNS0_4arch9wavefront6targetE1EEEvSK_,@function
_ZN7rocprim17ROCPRIM_400000_NS6detail17trampoline_kernelINS0_14default_configENS1_35radix_sort_onesweep_config_selectorIiNS0_10empty_typeEEEZZNS1_29radix_sort_onesweep_iterationIS3_Lb0EN6thrust23THRUST_200600_302600_NS6detail15normal_iteratorINS9_10device_ptrIiEEEESE_PS5_SF_jNS0_19identity_decomposerENS1_16block_id_wrapperIjLb0EEEEE10hipError_tT1_PNSt15iterator_traitsISK_E10value_typeET2_T3_PNSL_ISQ_E10value_typeET4_T5_PSV_SW_PNS1_23onesweep_lookback_stateEbbT6_jjT7_P12ihipStream_tbENKUlT_T0_SK_SP_E_clISE_PiSF_SF_EEDaS13_S14_SK_SP_EUlS13_E_NS1_11comp_targetILNS1_3genE3ELNS1_11target_archE908ELNS1_3gpuE7ELNS1_3repE0EEENS1_47radix_sort_onesweep_sort_config_static_selectorELNS0_4arch9wavefront6targetE1EEEvSK_: ; @_ZN7rocprim17ROCPRIM_400000_NS6detail17trampoline_kernelINS0_14default_configENS1_35radix_sort_onesweep_config_selectorIiNS0_10empty_typeEEEZZNS1_29radix_sort_onesweep_iterationIS3_Lb0EN6thrust23THRUST_200600_302600_NS6detail15normal_iteratorINS9_10device_ptrIiEEEESE_PS5_SF_jNS0_19identity_decomposerENS1_16block_id_wrapperIjLb0EEEEE10hipError_tT1_PNSt15iterator_traitsISK_E10value_typeET2_T3_PNSL_ISQ_E10value_typeET4_T5_PSV_SW_PNS1_23onesweep_lookback_stateEbbT6_jjT7_P12ihipStream_tbENKUlT_T0_SK_SP_E_clISE_PiSF_SF_EEDaS13_S14_SK_SP_EUlS13_E_NS1_11comp_targetILNS1_3genE3ELNS1_11target_archE908ELNS1_3gpuE7ELNS1_3repE0EEENS1_47radix_sort_onesweep_sort_config_static_selectorELNS0_4arch9wavefront6targetE1EEEvSK_
; %bb.0:
	.section	.rodata,"a",@progbits
	.p2align	6, 0x0
	.amdhsa_kernel _ZN7rocprim17ROCPRIM_400000_NS6detail17trampoline_kernelINS0_14default_configENS1_35radix_sort_onesweep_config_selectorIiNS0_10empty_typeEEEZZNS1_29radix_sort_onesweep_iterationIS3_Lb0EN6thrust23THRUST_200600_302600_NS6detail15normal_iteratorINS9_10device_ptrIiEEEESE_PS5_SF_jNS0_19identity_decomposerENS1_16block_id_wrapperIjLb0EEEEE10hipError_tT1_PNSt15iterator_traitsISK_E10value_typeET2_T3_PNSL_ISQ_E10value_typeET4_T5_PSV_SW_PNS1_23onesweep_lookback_stateEbbT6_jjT7_P12ihipStream_tbENKUlT_T0_SK_SP_E_clISE_PiSF_SF_EEDaS13_S14_SK_SP_EUlS13_E_NS1_11comp_targetILNS1_3genE3ELNS1_11target_archE908ELNS1_3gpuE7ELNS1_3repE0EEENS1_47radix_sort_onesweep_sort_config_static_selectorELNS0_4arch9wavefront6targetE1EEEvSK_
		.amdhsa_group_segment_fixed_size 0
		.amdhsa_private_segment_fixed_size 0
		.amdhsa_kernarg_size 88
		.amdhsa_user_sgpr_count 2
		.amdhsa_user_sgpr_dispatch_ptr 0
		.amdhsa_user_sgpr_queue_ptr 0
		.amdhsa_user_sgpr_kernarg_segment_ptr 1
		.amdhsa_user_sgpr_dispatch_id 0
		.amdhsa_user_sgpr_kernarg_preload_length 0
		.amdhsa_user_sgpr_kernarg_preload_offset 0
		.amdhsa_user_sgpr_private_segment_size 0
		.amdhsa_uses_dynamic_stack 0
		.amdhsa_enable_private_segment 0
		.amdhsa_system_sgpr_workgroup_id_x 1
		.amdhsa_system_sgpr_workgroup_id_y 0
		.amdhsa_system_sgpr_workgroup_id_z 0
		.amdhsa_system_sgpr_workgroup_info 0
		.amdhsa_system_vgpr_workitem_id 0
		.amdhsa_next_free_vgpr 1
		.amdhsa_next_free_sgpr 0
		.amdhsa_accum_offset 4
		.amdhsa_reserve_vcc 0
		.amdhsa_float_round_mode_32 0
		.amdhsa_float_round_mode_16_64 0
		.amdhsa_float_denorm_mode_32 3
		.amdhsa_float_denorm_mode_16_64 3
		.amdhsa_dx10_clamp 1
		.amdhsa_ieee_mode 1
		.amdhsa_fp16_overflow 0
		.amdhsa_tg_split 0
		.amdhsa_exception_fp_ieee_invalid_op 0
		.amdhsa_exception_fp_denorm_src 0
		.amdhsa_exception_fp_ieee_div_zero 0
		.amdhsa_exception_fp_ieee_overflow 0
		.amdhsa_exception_fp_ieee_underflow 0
		.amdhsa_exception_fp_ieee_inexact 0
		.amdhsa_exception_int_div_zero 0
	.end_amdhsa_kernel
	.section	.text._ZN7rocprim17ROCPRIM_400000_NS6detail17trampoline_kernelINS0_14default_configENS1_35radix_sort_onesweep_config_selectorIiNS0_10empty_typeEEEZZNS1_29radix_sort_onesweep_iterationIS3_Lb0EN6thrust23THRUST_200600_302600_NS6detail15normal_iteratorINS9_10device_ptrIiEEEESE_PS5_SF_jNS0_19identity_decomposerENS1_16block_id_wrapperIjLb0EEEEE10hipError_tT1_PNSt15iterator_traitsISK_E10value_typeET2_T3_PNSL_ISQ_E10value_typeET4_T5_PSV_SW_PNS1_23onesweep_lookback_stateEbbT6_jjT7_P12ihipStream_tbENKUlT_T0_SK_SP_E_clISE_PiSF_SF_EEDaS13_S14_SK_SP_EUlS13_E_NS1_11comp_targetILNS1_3genE3ELNS1_11target_archE908ELNS1_3gpuE7ELNS1_3repE0EEENS1_47radix_sort_onesweep_sort_config_static_selectorELNS0_4arch9wavefront6targetE1EEEvSK_,"axG",@progbits,_ZN7rocprim17ROCPRIM_400000_NS6detail17trampoline_kernelINS0_14default_configENS1_35radix_sort_onesweep_config_selectorIiNS0_10empty_typeEEEZZNS1_29radix_sort_onesweep_iterationIS3_Lb0EN6thrust23THRUST_200600_302600_NS6detail15normal_iteratorINS9_10device_ptrIiEEEESE_PS5_SF_jNS0_19identity_decomposerENS1_16block_id_wrapperIjLb0EEEEE10hipError_tT1_PNSt15iterator_traitsISK_E10value_typeET2_T3_PNSL_ISQ_E10value_typeET4_T5_PSV_SW_PNS1_23onesweep_lookback_stateEbbT6_jjT7_P12ihipStream_tbENKUlT_T0_SK_SP_E_clISE_PiSF_SF_EEDaS13_S14_SK_SP_EUlS13_E_NS1_11comp_targetILNS1_3genE3ELNS1_11target_archE908ELNS1_3gpuE7ELNS1_3repE0EEENS1_47radix_sort_onesweep_sort_config_static_selectorELNS0_4arch9wavefront6targetE1EEEvSK_,comdat
.Lfunc_end200:
	.size	_ZN7rocprim17ROCPRIM_400000_NS6detail17trampoline_kernelINS0_14default_configENS1_35radix_sort_onesweep_config_selectorIiNS0_10empty_typeEEEZZNS1_29radix_sort_onesweep_iterationIS3_Lb0EN6thrust23THRUST_200600_302600_NS6detail15normal_iteratorINS9_10device_ptrIiEEEESE_PS5_SF_jNS0_19identity_decomposerENS1_16block_id_wrapperIjLb0EEEEE10hipError_tT1_PNSt15iterator_traitsISK_E10value_typeET2_T3_PNSL_ISQ_E10value_typeET4_T5_PSV_SW_PNS1_23onesweep_lookback_stateEbbT6_jjT7_P12ihipStream_tbENKUlT_T0_SK_SP_E_clISE_PiSF_SF_EEDaS13_S14_SK_SP_EUlS13_E_NS1_11comp_targetILNS1_3genE3ELNS1_11target_archE908ELNS1_3gpuE7ELNS1_3repE0EEENS1_47radix_sort_onesweep_sort_config_static_selectorELNS0_4arch9wavefront6targetE1EEEvSK_, .Lfunc_end200-_ZN7rocprim17ROCPRIM_400000_NS6detail17trampoline_kernelINS0_14default_configENS1_35radix_sort_onesweep_config_selectorIiNS0_10empty_typeEEEZZNS1_29radix_sort_onesweep_iterationIS3_Lb0EN6thrust23THRUST_200600_302600_NS6detail15normal_iteratorINS9_10device_ptrIiEEEESE_PS5_SF_jNS0_19identity_decomposerENS1_16block_id_wrapperIjLb0EEEEE10hipError_tT1_PNSt15iterator_traitsISK_E10value_typeET2_T3_PNSL_ISQ_E10value_typeET4_T5_PSV_SW_PNS1_23onesweep_lookback_stateEbbT6_jjT7_P12ihipStream_tbENKUlT_T0_SK_SP_E_clISE_PiSF_SF_EEDaS13_S14_SK_SP_EUlS13_E_NS1_11comp_targetILNS1_3genE3ELNS1_11target_archE908ELNS1_3gpuE7ELNS1_3repE0EEENS1_47radix_sort_onesweep_sort_config_static_selectorELNS0_4arch9wavefront6targetE1EEEvSK_
                                        ; -- End function
	.set _ZN7rocprim17ROCPRIM_400000_NS6detail17trampoline_kernelINS0_14default_configENS1_35radix_sort_onesweep_config_selectorIiNS0_10empty_typeEEEZZNS1_29radix_sort_onesweep_iterationIS3_Lb0EN6thrust23THRUST_200600_302600_NS6detail15normal_iteratorINS9_10device_ptrIiEEEESE_PS5_SF_jNS0_19identity_decomposerENS1_16block_id_wrapperIjLb0EEEEE10hipError_tT1_PNSt15iterator_traitsISK_E10value_typeET2_T3_PNSL_ISQ_E10value_typeET4_T5_PSV_SW_PNS1_23onesweep_lookback_stateEbbT6_jjT7_P12ihipStream_tbENKUlT_T0_SK_SP_E_clISE_PiSF_SF_EEDaS13_S14_SK_SP_EUlS13_E_NS1_11comp_targetILNS1_3genE3ELNS1_11target_archE908ELNS1_3gpuE7ELNS1_3repE0EEENS1_47radix_sort_onesweep_sort_config_static_selectorELNS0_4arch9wavefront6targetE1EEEvSK_.num_vgpr, 0
	.set _ZN7rocprim17ROCPRIM_400000_NS6detail17trampoline_kernelINS0_14default_configENS1_35radix_sort_onesweep_config_selectorIiNS0_10empty_typeEEEZZNS1_29radix_sort_onesweep_iterationIS3_Lb0EN6thrust23THRUST_200600_302600_NS6detail15normal_iteratorINS9_10device_ptrIiEEEESE_PS5_SF_jNS0_19identity_decomposerENS1_16block_id_wrapperIjLb0EEEEE10hipError_tT1_PNSt15iterator_traitsISK_E10value_typeET2_T3_PNSL_ISQ_E10value_typeET4_T5_PSV_SW_PNS1_23onesweep_lookback_stateEbbT6_jjT7_P12ihipStream_tbENKUlT_T0_SK_SP_E_clISE_PiSF_SF_EEDaS13_S14_SK_SP_EUlS13_E_NS1_11comp_targetILNS1_3genE3ELNS1_11target_archE908ELNS1_3gpuE7ELNS1_3repE0EEENS1_47radix_sort_onesweep_sort_config_static_selectorELNS0_4arch9wavefront6targetE1EEEvSK_.num_agpr, 0
	.set _ZN7rocprim17ROCPRIM_400000_NS6detail17trampoline_kernelINS0_14default_configENS1_35radix_sort_onesweep_config_selectorIiNS0_10empty_typeEEEZZNS1_29radix_sort_onesweep_iterationIS3_Lb0EN6thrust23THRUST_200600_302600_NS6detail15normal_iteratorINS9_10device_ptrIiEEEESE_PS5_SF_jNS0_19identity_decomposerENS1_16block_id_wrapperIjLb0EEEEE10hipError_tT1_PNSt15iterator_traitsISK_E10value_typeET2_T3_PNSL_ISQ_E10value_typeET4_T5_PSV_SW_PNS1_23onesweep_lookback_stateEbbT6_jjT7_P12ihipStream_tbENKUlT_T0_SK_SP_E_clISE_PiSF_SF_EEDaS13_S14_SK_SP_EUlS13_E_NS1_11comp_targetILNS1_3genE3ELNS1_11target_archE908ELNS1_3gpuE7ELNS1_3repE0EEENS1_47radix_sort_onesweep_sort_config_static_selectorELNS0_4arch9wavefront6targetE1EEEvSK_.numbered_sgpr, 0
	.set _ZN7rocprim17ROCPRIM_400000_NS6detail17trampoline_kernelINS0_14default_configENS1_35radix_sort_onesweep_config_selectorIiNS0_10empty_typeEEEZZNS1_29radix_sort_onesweep_iterationIS3_Lb0EN6thrust23THRUST_200600_302600_NS6detail15normal_iteratorINS9_10device_ptrIiEEEESE_PS5_SF_jNS0_19identity_decomposerENS1_16block_id_wrapperIjLb0EEEEE10hipError_tT1_PNSt15iterator_traitsISK_E10value_typeET2_T3_PNSL_ISQ_E10value_typeET4_T5_PSV_SW_PNS1_23onesweep_lookback_stateEbbT6_jjT7_P12ihipStream_tbENKUlT_T0_SK_SP_E_clISE_PiSF_SF_EEDaS13_S14_SK_SP_EUlS13_E_NS1_11comp_targetILNS1_3genE3ELNS1_11target_archE908ELNS1_3gpuE7ELNS1_3repE0EEENS1_47radix_sort_onesweep_sort_config_static_selectorELNS0_4arch9wavefront6targetE1EEEvSK_.num_named_barrier, 0
	.set _ZN7rocprim17ROCPRIM_400000_NS6detail17trampoline_kernelINS0_14default_configENS1_35radix_sort_onesweep_config_selectorIiNS0_10empty_typeEEEZZNS1_29radix_sort_onesweep_iterationIS3_Lb0EN6thrust23THRUST_200600_302600_NS6detail15normal_iteratorINS9_10device_ptrIiEEEESE_PS5_SF_jNS0_19identity_decomposerENS1_16block_id_wrapperIjLb0EEEEE10hipError_tT1_PNSt15iterator_traitsISK_E10value_typeET2_T3_PNSL_ISQ_E10value_typeET4_T5_PSV_SW_PNS1_23onesweep_lookback_stateEbbT6_jjT7_P12ihipStream_tbENKUlT_T0_SK_SP_E_clISE_PiSF_SF_EEDaS13_S14_SK_SP_EUlS13_E_NS1_11comp_targetILNS1_3genE3ELNS1_11target_archE908ELNS1_3gpuE7ELNS1_3repE0EEENS1_47radix_sort_onesweep_sort_config_static_selectorELNS0_4arch9wavefront6targetE1EEEvSK_.private_seg_size, 0
	.set _ZN7rocprim17ROCPRIM_400000_NS6detail17trampoline_kernelINS0_14default_configENS1_35radix_sort_onesweep_config_selectorIiNS0_10empty_typeEEEZZNS1_29radix_sort_onesweep_iterationIS3_Lb0EN6thrust23THRUST_200600_302600_NS6detail15normal_iteratorINS9_10device_ptrIiEEEESE_PS5_SF_jNS0_19identity_decomposerENS1_16block_id_wrapperIjLb0EEEEE10hipError_tT1_PNSt15iterator_traitsISK_E10value_typeET2_T3_PNSL_ISQ_E10value_typeET4_T5_PSV_SW_PNS1_23onesweep_lookback_stateEbbT6_jjT7_P12ihipStream_tbENKUlT_T0_SK_SP_E_clISE_PiSF_SF_EEDaS13_S14_SK_SP_EUlS13_E_NS1_11comp_targetILNS1_3genE3ELNS1_11target_archE908ELNS1_3gpuE7ELNS1_3repE0EEENS1_47radix_sort_onesweep_sort_config_static_selectorELNS0_4arch9wavefront6targetE1EEEvSK_.uses_vcc, 0
	.set _ZN7rocprim17ROCPRIM_400000_NS6detail17trampoline_kernelINS0_14default_configENS1_35radix_sort_onesweep_config_selectorIiNS0_10empty_typeEEEZZNS1_29radix_sort_onesweep_iterationIS3_Lb0EN6thrust23THRUST_200600_302600_NS6detail15normal_iteratorINS9_10device_ptrIiEEEESE_PS5_SF_jNS0_19identity_decomposerENS1_16block_id_wrapperIjLb0EEEEE10hipError_tT1_PNSt15iterator_traitsISK_E10value_typeET2_T3_PNSL_ISQ_E10value_typeET4_T5_PSV_SW_PNS1_23onesweep_lookback_stateEbbT6_jjT7_P12ihipStream_tbENKUlT_T0_SK_SP_E_clISE_PiSF_SF_EEDaS13_S14_SK_SP_EUlS13_E_NS1_11comp_targetILNS1_3genE3ELNS1_11target_archE908ELNS1_3gpuE7ELNS1_3repE0EEENS1_47radix_sort_onesweep_sort_config_static_selectorELNS0_4arch9wavefront6targetE1EEEvSK_.uses_flat_scratch, 0
	.set _ZN7rocprim17ROCPRIM_400000_NS6detail17trampoline_kernelINS0_14default_configENS1_35radix_sort_onesweep_config_selectorIiNS0_10empty_typeEEEZZNS1_29radix_sort_onesweep_iterationIS3_Lb0EN6thrust23THRUST_200600_302600_NS6detail15normal_iteratorINS9_10device_ptrIiEEEESE_PS5_SF_jNS0_19identity_decomposerENS1_16block_id_wrapperIjLb0EEEEE10hipError_tT1_PNSt15iterator_traitsISK_E10value_typeET2_T3_PNSL_ISQ_E10value_typeET4_T5_PSV_SW_PNS1_23onesweep_lookback_stateEbbT6_jjT7_P12ihipStream_tbENKUlT_T0_SK_SP_E_clISE_PiSF_SF_EEDaS13_S14_SK_SP_EUlS13_E_NS1_11comp_targetILNS1_3genE3ELNS1_11target_archE908ELNS1_3gpuE7ELNS1_3repE0EEENS1_47radix_sort_onesweep_sort_config_static_selectorELNS0_4arch9wavefront6targetE1EEEvSK_.has_dyn_sized_stack, 0
	.set _ZN7rocprim17ROCPRIM_400000_NS6detail17trampoline_kernelINS0_14default_configENS1_35radix_sort_onesweep_config_selectorIiNS0_10empty_typeEEEZZNS1_29radix_sort_onesweep_iterationIS3_Lb0EN6thrust23THRUST_200600_302600_NS6detail15normal_iteratorINS9_10device_ptrIiEEEESE_PS5_SF_jNS0_19identity_decomposerENS1_16block_id_wrapperIjLb0EEEEE10hipError_tT1_PNSt15iterator_traitsISK_E10value_typeET2_T3_PNSL_ISQ_E10value_typeET4_T5_PSV_SW_PNS1_23onesweep_lookback_stateEbbT6_jjT7_P12ihipStream_tbENKUlT_T0_SK_SP_E_clISE_PiSF_SF_EEDaS13_S14_SK_SP_EUlS13_E_NS1_11comp_targetILNS1_3genE3ELNS1_11target_archE908ELNS1_3gpuE7ELNS1_3repE0EEENS1_47radix_sort_onesweep_sort_config_static_selectorELNS0_4arch9wavefront6targetE1EEEvSK_.has_recursion, 0
	.set _ZN7rocprim17ROCPRIM_400000_NS6detail17trampoline_kernelINS0_14default_configENS1_35radix_sort_onesweep_config_selectorIiNS0_10empty_typeEEEZZNS1_29radix_sort_onesweep_iterationIS3_Lb0EN6thrust23THRUST_200600_302600_NS6detail15normal_iteratorINS9_10device_ptrIiEEEESE_PS5_SF_jNS0_19identity_decomposerENS1_16block_id_wrapperIjLb0EEEEE10hipError_tT1_PNSt15iterator_traitsISK_E10value_typeET2_T3_PNSL_ISQ_E10value_typeET4_T5_PSV_SW_PNS1_23onesweep_lookback_stateEbbT6_jjT7_P12ihipStream_tbENKUlT_T0_SK_SP_E_clISE_PiSF_SF_EEDaS13_S14_SK_SP_EUlS13_E_NS1_11comp_targetILNS1_3genE3ELNS1_11target_archE908ELNS1_3gpuE7ELNS1_3repE0EEENS1_47radix_sort_onesweep_sort_config_static_selectorELNS0_4arch9wavefront6targetE1EEEvSK_.has_indirect_call, 0
	.section	.AMDGPU.csdata,"",@progbits
; Kernel info:
; codeLenInByte = 0
; TotalNumSgprs: 6
; NumVgprs: 0
; NumAgprs: 0
; TotalNumVgprs: 0
; ScratchSize: 0
; MemoryBound: 0
; FloatMode: 240
; IeeeMode: 1
; LDSByteSize: 0 bytes/workgroup (compile time only)
; SGPRBlocks: 0
; VGPRBlocks: 0
; NumSGPRsForWavesPerEU: 6
; NumVGPRsForWavesPerEU: 1
; AccumOffset: 4
; Occupancy: 8
; WaveLimiterHint : 0
; COMPUTE_PGM_RSRC2:SCRATCH_EN: 0
; COMPUTE_PGM_RSRC2:USER_SGPR: 2
; COMPUTE_PGM_RSRC2:TRAP_HANDLER: 0
; COMPUTE_PGM_RSRC2:TGID_X_EN: 1
; COMPUTE_PGM_RSRC2:TGID_Y_EN: 0
; COMPUTE_PGM_RSRC2:TGID_Z_EN: 0
; COMPUTE_PGM_RSRC2:TIDIG_COMP_CNT: 0
; COMPUTE_PGM_RSRC3_GFX90A:ACCUM_OFFSET: 0
; COMPUTE_PGM_RSRC3_GFX90A:TG_SPLIT: 0
	.section	.text._ZN7rocprim17ROCPRIM_400000_NS6detail17trampoline_kernelINS0_14default_configENS1_35radix_sort_onesweep_config_selectorIiNS0_10empty_typeEEEZZNS1_29radix_sort_onesweep_iterationIS3_Lb0EN6thrust23THRUST_200600_302600_NS6detail15normal_iteratorINS9_10device_ptrIiEEEESE_PS5_SF_jNS0_19identity_decomposerENS1_16block_id_wrapperIjLb0EEEEE10hipError_tT1_PNSt15iterator_traitsISK_E10value_typeET2_T3_PNSL_ISQ_E10value_typeET4_T5_PSV_SW_PNS1_23onesweep_lookback_stateEbbT6_jjT7_P12ihipStream_tbENKUlT_T0_SK_SP_E_clISE_PiSF_SF_EEDaS13_S14_SK_SP_EUlS13_E_NS1_11comp_targetILNS1_3genE10ELNS1_11target_archE1201ELNS1_3gpuE5ELNS1_3repE0EEENS1_47radix_sort_onesweep_sort_config_static_selectorELNS0_4arch9wavefront6targetE1EEEvSK_,"axG",@progbits,_ZN7rocprim17ROCPRIM_400000_NS6detail17trampoline_kernelINS0_14default_configENS1_35radix_sort_onesweep_config_selectorIiNS0_10empty_typeEEEZZNS1_29radix_sort_onesweep_iterationIS3_Lb0EN6thrust23THRUST_200600_302600_NS6detail15normal_iteratorINS9_10device_ptrIiEEEESE_PS5_SF_jNS0_19identity_decomposerENS1_16block_id_wrapperIjLb0EEEEE10hipError_tT1_PNSt15iterator_traitsISK_E10value_typeET2_T3_PNSL_ISQ_E10value_typeET4_T5_PSV_SW_PNS1_23onesweep_lookback_stateEbbT6_jjT7_P12ihipStream_tbENKUlT_T0_SK_SP_E_clISE_PiSF_SF_EEDaS13_S14_SK_SP_EUlS13_E_NS1_11comp_targetILNS1_3genE10ELNS1_11target_archE1201ELNS1_3gpuE5ELNS1_3repE0EEENS1_47radix_sort_onesweep_sort_config_static_selectorELNS0_4arch9wavefront6targetE1EEEvSK_,comdat
	.protected	_ZN7rocprim17ROCPRIM_400000_NS6detail17trampoline_kernelINS0_14default_configENS1_35radix_sort_onesweep_config_selectorIiNS0_10empty_typeEEEZZNS1_29radix_sort_onesweep_iterationIS3_Lb0EN6thrust23THRUST_200600_302600_NS6detail15normal_iteratorINS9_10device_ptrIiEEEESE_PS5_SF_jNS0_19identity_decomposerENS1_16block_id_wrapperIjLb0EEEEE10hipError_tT1_PNSt15iterator_traitsISK_E10value_typeET2_T3_PNSL_ISQ_E10value_typeET4_T5_PSV_SW_PNS1_23onesweep_lookback_stateEbbT6_jjT7_P12ihipStream_tbENKUlT_T0_SK_SP_E_clISE_PiSF_SF_EEDaS13_S14_SK_SP_EUlS13_E_NS1_11comp_targetILNS1_3genE10ELNS1_11target_archE1201ELNS1_3gpuE5ELNS1_3repE0EEENS1_47radix_sort_onesweep_sort_config_static_selectorELNS0_4arch9wavefront6targetE1EEEvSK_ ; -- Begin function _ZN7rocprim17ROCPRIM_400000_NS6detail17trampoline_kernelINS0_14default_configENS1_35radix_sort_onesweep_config_selectorIiNS0_10empty_typeEEEZZNS1_29radix_sort_onesweep_iterationIS3_Lb0EN6thrust23THRUST_200600_302600_NS6detail15normal_iteratorINS9_10device_ptrIiEEEESE_PS5_SF_jNS0_19identity_decomposerENS1_16block_id_wrapperIjLb0EEEEE10hipError_tT1_PNSt15iterator_traitsISK_E10value_typeET2_T3_PNSL_ISQ_E10value_typeET4_T5_PSV_SW_PNS1_23onesweep_lookback_stateEbbT6_jjT7_P12ihipStream_tbENKUlT_T0_SK_SP_E_clISE_PiSF_SF_EEDaS13_S14_SK_SP_EUlS13_E_NS1_11comp_targetILNS1_3genE10ELNS1_11target_archE1201ELNS1_3gpuE5ELNS1_3repE0EEENS1_47radix_sort_onesweep_sort_config_static_selectorELNS0_4arch9wavefront6targetE1EEEvSK_
	.globl	_ZN7rocprim17ROCPRIM_400000_NS6detail17trampoline_kernelINS0_14default_configENS1_35radix_sort_onesweep_config_selectorIiNS0_10empty_typeEEEZZNS1_29radix_sort_onesweep_iterationIS3_Lb0EN6thrust23THRUST_200600_302600_NS6detail15normal_iteratorINS9_10device_ptrIiEEEESE_PS5_SF_jNS0_19identity_decomposerENS1_16block_id_wrapperIjLb0EEEEE10hipError_tT1_PNSt15iterator_traitsISK_E10value_typeET2_T3_PNSL_ISQ_E10value_typeET4_T5_PSV_SW_PNS1_23onesweep_lookback_stateEbbT6_jjT7_P12ihipStream_tbENKUlT_T0_SK_SP_E_clISE_PiSF_SF_EEDaS13_S14_SK_SP_EUlS13_E_NS1_11comp_targetILNS1_3genE10ELNS1_11target_archE1201ELNS1_3gpuE5ELNS1_3repE0EEENS1_47radix_sort_onesweep_sort_config_static_selectorELNS0_4arch9wavefront6targetE1EEEvSK_
	.p2align	8
	.type	_ZN7rocprim17ROCPRIM_400000_NS6detail17trampoline_kernelINS0_14default_configENS1_35radix_sort_onesweep_config_selectorIiNS0_10empty_typeEEEZZNS1_29radix_sort_onesweep_iterationIS3_Lb0EN6thrust23THRUST_200600_302600_NS6detail15normal_iteratorINS9_10device_ptrIiEEEESE_PS5_SF_jNS0_19identity_decomposerENS1_16block_id_wrapperIjLb0EEEEE10hipError_tT1_PNSt15iterator_traitsISK_E10value_typeET2_T3_PNSL_ISQ_E10value_typeET4_T5_PSV_SW_PNS1_23onesweep_lookback_stateEbbT6_jjT7_P12ihipStream_tbENKUlT_T0_SK_SP_E_clISE_PiSF_SF_EEDaS13_S14_SK_SP_EUlS13_E_NS1_11comp_targetILNS1_3genE10ELNS1_11target_archE1201ELNS1_3gpuE5ELNS1_3repE0EEENS1_47radix_sort_onesweep_sort_config_static_selectorELNS0_4arch9wavefront6targetE1EEEvSK_,@function
_ZN7rocprim17ROCPRIM_400000_NS6detail17trampoline_kernelINS0_14default_configENS1_35radix_sort_onesweep_config_selectorIiNS0_10empty_typeEEEZZNS1_29radix_sort_onesweep_iterationIS3_Lb0EN6thrust23THRUST_200600_302600_NS6detail15normal_iteratorINS9_10device_ptrIiEEEESE_PS5_SF_jNS0_19identity_decomposerENS1_16block_id_wrapperIjLb0EEEEE10hipError_tT1_PNSt15iterator_traitsISK_E10value_typeET2_T3_PNSL_ISQ_E10value_typeET4_T5_PSV_SW_PNS1_23onesweep_lookback_stateEbbT6_jjT7_P12ihipStream_tbENKUlT_T0_SK_SP_E_clISE_PiSF_SF_EEDaS13_S14_SK_SP_EUlS13_E_NS1_11comp_targetILNS1_3genE10ELNS1_11target_archE1201ELNS1_3gpuE5ELNS1_3repE0EEENS1_47radix_sort_onesweep_sort_config_static_selectorELNS0_4arch9wavefront6targetE1EEEvSK_: ; @_ZN7rocprim17ROCPRIM_400000_NS6detail17trampoline_kernelINS0_14default_configENS1_35radix_sort_onesweep_config_selectorIiNS0_10empty_typeEEEZZNS1_29radix_sort_onesweep_iterationIS3_Lb0EN6thrust23THRUST_200600_302600_NS6detail15normal_iteratorINS9_10device_ptrIiEEEESE_PS5_SF_jNS0_19identity_decomposerENS1_16block_id_wrapperIjLb0EEEEE10hipError_tT1_PNSt15iterator_traitsISK_E10value_typeET2_T3_PNSL_ISQ_E10value_typeET4_T5_PSV_SW_PNS1_23onesweep_lookback_stateEbbT6_jjT7_P12ihipStream_tbENKUlT_T0_SK_SP_E_clISE_PiSF_SF_EEDaS13_S14_SK_SP_EUlS13_E_NS1_11comp_targetILNS1_3genE10ELNS1_11target_archE1201ELNS1_3gpuE5ELNS1_3repE0EEENS1_47radix_sort_onesweep_sort_config_static_selectorELNS0_4arch9wavefront6targetE1EEEvSK_
; %bb.0:
	.section	.rodata,"a",@progbits
	.p2align	6, 0x0
	.amdhsa_kernel _ZN7rocprim17ROCPRIM_400000_NS6detail17trampoline_kernelINS0_14default_configENS1_35radix_sort_onesweep_config_selectorIiNS0_10empty_typeEEEZZNS1_29radix_sort_onesweep_iterationIS3_Lb0EN6thrust23THRUST_200600_302600_NS6detail15normal_iteratorINS9_10device_ptrIiEEEESE_PS5_SF_jNS0_19identity_decomposerENS1_16block_id_wrapperIjLb0EEEEE10hipError_tT1_PNSt15iterator_traitsISK_E10value_typeET2_T3_PNSL_ISQ_E10value_typeET4_T5_PSV_SW_PNS1_23onesweep_lookback_stateEbbT6_jjT7_P12ihipStream_tbENKUlT_T0_SK_SP_E_clISE_PiSF_SF_EEDaS13_S14_SK_SP_EUlS13_E_NS1_11comp_targetILNS1_3genE10ELNS1_11target_archE1201ELNS1_3gpuE5ELNS1_3repE0EEENS1_47radix_sort_onesweep_sort_config_static_selectorELNS0_4arch9wavefront6targetE1EEEvSK_
		.amdhsa_group_segment_fixed_size 0
		.amdhsa_private_segment_fixed_size 0
		.amdhsa_kernarg_size 88
		.amdhsa_user_sgpr_count 2
		.amdhsa_user_sgpr_dispatch_ptr 0
		.amdhsa_user_sgpr_queue_ptr 0
		.amdhsa_user_sgpr_kernarg_segment_ptr 1
		.amdhsa_user_sgpr_dispatch_id 0
		.amdhsa_user_sgpr_kernarg_preload_length 0
		.amdhsa_user_sgpr_kernarg_preload_offset 0
		.amdhsa_user_sgpr_private_segment_size 0
		.amdhsa_uses_dynamic_stack 0
		.amdhsa_enable_private_segment 0
		.amdhsa_system_sgpr_workgroup_id_x 1
		.amdhsa_system_sgpr_workgroup_id_y 0
		.amdhsa_system_sgpr_workgroup_id_z 0
		.amdhsa_system_sgpr_workgroup_info 0
		.amdhsa_system_vgpr_workitem_id 0
		.amdhsa_next_free_vgpr 1
		.amdhsa_next_free_sgpr 0
		.amdhsa_accum_offset 4
		.amdhsa_reserve_vcc 0
		.amdhsa_float_round_mode_32 0
		.amdhsa_float_round_mode_16_64 0
		.amdhsa_float_denorm_mode_32 3
		.amdhsa_float_denorm_mode_16_64 3
		.amdhsa_dx10_clamp 1
		.amdhsa_ieee_mode 1
		.amdhsa_fp16_overflow 0
		.amdhsa_tg_split 0
		.amdhsa_exception_fp_ieee_invalid_op 0
		.amdhsa_exception_fp_denorm_src 0
		.amdhsa_exception_fp_ieee_div_zero 0
		.amdhsa_exception_fp_ieee_overflow 0
		.amdhsa_exception_fp_ieee_underflow 0
		.amdhsa_exception_fp_ieee_inexact 0
		.amdhsa_exception_int_div_zero 0
	.end_amdhsa_kernel
	.section	.text._ZN7rocprim17ROCPRIM_400000_NS6detail17trampoline_kernelINS0_14default_configENS1_35radix_sort_onesweep_config_selectorIiNS0_10empty_typeEEEZZNS1_29radix_sort_onesweep_iterationIS3_Lb0EN6thrust23THRUST_200600_302600_NS6detail15normal_iteratorINS9_10device_ptrIiEEEESE_PS5_SF_jNS0_19identity_decomposerENS1_16block_id_wrapperIjLb0EEEEE10hipError_tT1_PNSt15iterator_traitsISK_E10value_typeET2_T3_PNSL_ISQ_E10value_typeET4_T5_PSV_SW_PNS1_23onesweep_lookback_stateEbbT6_jjT7_P12ihipStream_tbENKUlT_T0_SK_SP_E_clISE_PiSF_SF_EEDaS13_S14_SK_SP_EUlS13_E_NS1_11comp_targetILNS1_3genE10ELNS1_11target_archE1201ELNS1_3gpuE5ELNS1_3repE0EEENS1_47radix_sort_onesweep_sort_config_static_selectorELNS0_4arch9wavefront6targetE1EEEvSK_,"axG",@progbits,_ZN7rocprim17ROCPRIM_400000_NS6detail17trampoline_kernelINS0_14default_configENS1_35radix_sort_onesweep_config_selectorIiNS0_10empty_typeEEEZZNS1_29radix_sort_onesweep_iterationIS3_Lb0EN6thrust23THRUST_200600_302600_NS6detail15normal_iteratorINS9_10device_ptrIiEEEESE_PS5_SF_jNS0_19identity_decomposerENS1_16block_id_wrapperIjLb0EEEEE10hipError_tT1_PNSt15iterator_traitsISK_E10value_typeET2_T3_PNSL_ISQ_E10value_typeET4_T5_PSV_SW_PNS1_23onesweep_lookback_stateEbbT6_jjT7_P12ihipStream_tbENKUlT_T0_SK_SP_E_clISE_PiSF_SF_EEDaS13_S14_SK_SP_EUlS13_E_NS1_11comp_targetILNS1_3genE10ELNS1_11target_archE1201ELNS1_3gpuE5ELNS1_3repE0EEENS1_47radix_sort_onesweep_sort_config_static_selectorELNS0_4arch9wavefront6targetE1EEEvSK_,comdat
.Lfunc_end201:
	.size	_ZN7rocprim17ROCPRIM_400000_NS6detail17trampoline_kernelINS0_14default_configENS1_35radix_sort_onesweep_config_selectorIiNS0_10empty_typeEEEZZNS1_29radix_sort_onesweep_iterationIS3_Lb0EN6thrust23THRUST_200600_302600_NS6detail15normal_iteratorINS9_10device_ptrIiEEEESE_PS5_SF_jNS0_19identity_decomposerENS1_16block_id_wrapperIjLb0EEEEE10hipError_tT1_PNSt15iterator_traitsISK_E10value_typeET2_T3_PNSL_ISQ_E10value_typeET4_T5_PSV_SW_PNS1_23onesweep_lookback_stateEbbT6_jjT7_P12ihipStream_tbENKUlT_T0_SK_SP_E_clISE_PiSF_SF_EEDaS13_S14_SK_SP_EUlS13_E_NS1_11comp_targetILNS1_3genE10ELNS1_11target_archE1201ELNS1_3gpuE5ELNS1_3repE0EEENS1_47radix_sort_onesweep_sort_config_static_selectorELNS0_4arch9wavefront6targetE1EEEvSK_, .Lfunc_end201-_ZN7rocprim17ROCPRIM_400000_NS6detail17trampoline_kernelINS0_14default_configENS1_35radix_sort_onesweep_config_selectorIiNS0_10empty_typeEEEZZNS1_29radix_sort_onesweep_iterationIS3_Lb0EN6thrust23THRUST_200600_302600_NS6detail15normal_iteratorINS9_10device_ptrIiEEEESE_PS5_SF_jNS0_19identity_decomposerENS1_16block_id_wrapperIjLb0EEEEE10hipError_tT1_PNSt15iterator_traitsISK_E10value_typeET2_T3_PNSL_ISQ_E10value_typeET4_T5_PSV_SW_PNS1_23onesweep_lookback_stateEbbT6_jjT7_P12ihipStream_tbENKUlT_T0_SK_SP_E_clISE_PiSF_SF_EEDaS13_S14_SK_SP_EUlS13_E_NS1_11comp_targetILNS1_3genE10ELNS1_11target_archE1201ELNS1_3gpuE5ELNS1_3repE0EEENS1_47radix_sort_onesweep_sort_config_static_selectorELNS0_4arch9wavefront6targetE1EEEvSK_
                                        ; -- End function
	.set _ZN7rocprim17ROCPRIM_400000_NS6detail17trampoline_kernelINS0_14default_configENS1_35radix_sort_onesweep_config_selectorIiNS0_10empty_typeEEEZZNS1_29radix_sort_onesweep_iterationIS3_Lb0EN6thrust23THRUST_200600_302600_NS6detail15normal_iteratorINS9_10device_ptrIiEEEESE_PS5_SF_jNS0_19identity_decomposerENS1_16block_id_wrapperIjLb0EEEEE10hipError_tT1_PNSt15iterator_traitsISK_E10value_typeET2_T3_PNSL_ISQ_E10value_typeET4_T5_PSV_SW_PNS1_23onesweep_lookback_stateEbbT6_jjT7_P12ihipStream_tbENKUlT_T0_SK_SP_E_clISE_PiSF_SF_EEDaS13_S14_SK_SP_EUlS13_E_NS1_11comp_targetILNS1_3genE10ELNS1_11target_archE1201ELNS1_3gpuE5ELNS1_3repE0EEENS1_47radix_sort_onesweep_sort_config_static_selectorELNS0_4arch9wavefront6targetE1EEEvSK_.num_vgpr, 0
	.set _ZN7rocprim17ROCPRIM_400000_NS6detail17trampoline_kernelINS0_14default_configENS1_35radix_sort_onesweep_config_selectorIiNS0_10empty_typeEEEZZNS1_29radix_sort_onesweep_iterationIS3_Lb0EN6thrust23THRUST_200600_302600_NS6detail15normal_iteratorINS9_10device_ptrIiEEEESE_PS5_SF_jNS0_19identity_decomposerENS1_16block_id_wrapperIjLb0EEEEE10hipError_tT1_PNSt15iterator_traitsISK_E10value_typeET2_T3_PNSL_ISQ_E10value_typeET4_T5_PSV_SW_PNS1_23onesweep_lookback_stateEbbT6_jjT7_P12ihipStream_tbENKUlT_T0_SK_SP_E_clISE_PiSF_SF_EEDaS13_S14_SK_SP_EUlS13_E_NS1_11comp_targetILNS1_3genE10ELNS1_11target_archE1201ELNS1_3gpuE5ELNS1_3repE0EEENS1_47radix_sort_onesweep_sort_config_static_selectorELNS0_4arch9wavefront6targetE1EEEvSK_.num_agpr, 0
	.set _ZN7rocprim17ROCPRIM_400000_NS6detail17trampoline_kernelINS0_14default_configENS1_35radix_sort_onesweep_config_selectorIiNS0_10empty_typeEEEZZNS1_29radix_sort_onesweep_iterationIS3_Lb0EN6thrust23THRUST_200600_302600_NS6detail15normal_iteratorINS9_10device_ptrIiEEEESE_PS5_SF_jNS0_19identity_decomposerENS1_16block_id_wrapperIjLb0EEEEE10hipError_tT1_PNSt15iterator_traitsISK_E10value_typeET2_T3_PNSL_ISQ_E10value_typeET4_T5_PSV_SW_PNS1_23onesweep_lookback_stateEbbT6_jjT7_P12ihipStream_tbENKUlT_T0_SK_SP_E_clISE_PiSF_SF_EEDaS13_S14_SK_SP_EUlS13_E_NS1_11comp_targetILNS1_3genE10ELNS1_11target_archE1201ELNS1_3gpuE5ELNS1_3repE0EEENS1_47radix_sort_onesweep_sort_config_static_selectorELNS0_4arch9wavefront6targetE1EEEvSK_.numbered_sgpr, 0
	.set _ZN7rocprim17ROCPRIM_400000_NS6detail17trampoline_kernelINS0_14default_configENS1_35radix_sort_onesweep_config_selectorIiNS0_10empty_typeEEEZZNS1_29radix_sort_onesweep_iterationIS3_Lb0EN6thrust23THRUST_200600_302600_NS6detail15normal_iteratorINS9_10device_ptrIiEEEESE_PS5_SF_jNS0_19identity_decomposerENS1_16block_id_wrapperIjLb0EEEEE10hipError_tT1_PNSt15iterator_traitsISK_E10value_typeET2_T3_PNSL_ISQ_E10value_typeET4_T5_PSV_SW_PNS1_23onesweep_lookback_stateEbbT6_jjT7_P12ihipStream_tbENKUlT_T0_SK_SP_E_clISE_PiSF_SF_EEDaS13_S14_SK_SP_EUlS13_E_NS1_11comp_targetILNS1_3genE10ELNS1_11target_archE1201ELNS1_3gpuE5ELNS1_3repE0EEENS1_47radix_sort_onesweep_sort_config_static_selectorELNS0_4arch9wavefront6targetE1EEEvSK_.num_named_barrier, 0
	.set _ZN7rocprim17ROCPRIM_400000_NS6detail17trampoline_kernelINS0_14default_configENS1_35radix_sort_onesweep_config_selectorIiNS0_10empty_typeEEEZZNS1_29radix_sort_onesweep_iterationIS3_Lb0EN6thrust23THRUST_200600_302600_NS6detail15normal_iteratorINS9_10device_ptrIiEEEESE_PS5_SF_jNS0_19identity_decomposerENS1_16block_id_wrapperIjLb0EEEEE10hipError_tT1_PNSt15iterator_traitsISK_E10value_typeET2_T3_PNSL_ISQ_E10value_typeET4_T5_PSV_SW_PNS1_23onesweep_lookback_stateEbbT6_jjT7_P12ihipStream_tbENKUlT_T0_SK_SP_E_clISE_PiSF_SF_EEDaS13_S14_SK_SP_EUlS13_E_NS1_11comp_targetILNS1_3genE10ELNS1_11target_archE1201ELNS1_3gpuE5ELNS1_3repE0EEENS1_47radix_sort_onesweep_sort_config_static_selectorELNS0_4arch9wavefront6targetE1EEEvSK_.private_seg_size, 0
	.set _ZN7rocprim17ROCPRIM_400000_NS6detail17trampoline_kernelINS0_14default_configENS1_35radix_sort_onesweep_config_selectorIiNS0_10empty_typeEEEZZNS1_29radix_sort_onesweep_iterationIS3_Lb0EN6thrust23THRUST_200600_302600_NS6detail15normal_iteratorINS9_10device_ptrIiEEEESE_PS5_SF_jNS0_19identity_decomposerENS1_16block_id_wrapperIjLb0EEEEE10hipError_tT1_PNSt15iterator_traitsISK_E10value_typeET2_T3_PNSL_ISQ_E10value_typeET4_T5_PSV_SW_PNS1_23onesweep_lookback_stateEbbT6_jjT7_P12ihipStream_tbENKUlT_T0_SK_SP_E_clISE_PiSF_SF_EEDaS13_S14_SK_SP_EUlS13_E_NS1_11comp_targetILNS1_3genE10ELNS1_11target_archE1201ELNS1_3gpuE5ELNS1_3repE0EEENS1_47radix_sort_onesweep_sort_config_static_selectorELNS0_4arch9wavefront6targetE1EEEvSK_.uses_vcc, 0
	.set _ZN7rocprim17ROCPRIM_400000_NS6detail17trampoline_kernelINS0_14default_configENS1_35radix_sort_onesweep_config_selectorIiNS0_10empty_typeEEEZZNS1_29radix_sort_onesweep_iterationIS3_Lb0EN6thrust23THRUST_200600_302600_NS6detail15normal_iteratorINS9_10device_ptrIiEEEESE_PS5_SF_jNS0_19identity_decomposerENS1_16block_id_wrapperIjLb0EEEEE10hipError_tT1_PNSt15iterator_traitsISK_E10value_typeET2_T3_PNSL_ISQ_E10value_typeET4_T5_PSV_SW_PNS1_23onesweep_lookback_stateEbbT6_jjT7_P12ihipStream_tbENKUlT_T0_SK_SP_E_clISE_PiSF_SF_EEDaS13_S14_SK_SP_EUlS13_E_NS1_11comp_targetILNS1_3genE10ELNS1_11target_archE1201ELNS1_3gpuE5ELNS1_3repE0EEENS1_47radix_sort_onesweep_sort_config_static_selectorELNS0_4arch9wavefront6targetE1EEEvSK_.uses_flat_scratch, 0
	.set _ZN7rocprim17ROCPRIM_400000_NS6detail17trampoline_kernelINS0_14default_configENS1_35radix_sort_onesweep_config_selectorIiNS0_10empty_typeEEEZZNS1_29radix_sort_onesweep_iterationIS3_Lb0EN6thrust23THRUST_200600_302600_NS6detail15normal_iteratorINS9_10device_ptrIiEEEESE_PS5_SF_jNS0_19identity_decomposerENS1_16block_id_wrapperIjLb0EEEEE10hipError_tT1_PNSt15iterator_traitsISK_E10value_typeET2_T3_PNSL_ISQ_E10value_typeET4_T5_PSV_SW_PNS1_23onesweep_lookback_stateEbbT6_jjT7_P12ihipStream_tbENKUlT_T0_SK_SP_E_clISE_PiSF_SF_EEDaS13_S14_SK_SP_EUlS13_E_NS1_11comp_targetILNS1_3genE10ELNS1_11target_archE1201ELNS1_3gpuE5ELNS1_3repE0EEENS1_47radix_sort_onesweep_sort_config_static_selectorELNS0_4arch9wavefront6targetE1EEEvSK_.has_dyn_sized_stack, 0
	.set _ZN7rocprim17ROCPRIM_400000_NS6detail17trampoline_kernelINS0_14default_configENS1_35radix_sort_onesweep_config_selectorIiNS0_10empty_typeEEEZZNS1_29radix_sort_onesweep_iterationIS3_Lb0EN6thrust23THRUST_200600_302600_NS6detail15normal_iteratorINS9_10device_ptrIiEEEESE_PS5_SF_jNS0_19identity_decomposerENS1_16block_id_wrapperIjLb0EEEEE10hipError_tT1_PNSt15iterator_traitsISK_E10value_typeET2_T3_PNSL_ISQ_E10value_typeET4_T5_PSV_SW_PNS1_23onesweep_lookback_stateEbbT6_jjT7_P12ihipStream_tbENKUlT_T0_SK_SP_E_clISE_PiSF_SF_EEDaS13_S14_SK_SP_EUlS13_E_NS1_11comp_targetILNS1_3genE10ELNS1_11target_archE1201ELNS1_3gpuE5ELNS1_3repE0EEENS1_47radix_sort_onesweep_sort_config_static_selectorELNS0_4arch9wavefront6targetE1EEEvSK_.has_recursion, 0
	.set _ZN7rocprim17ROCPRIM_400000_NS6detail17trampoline_kernelINS0_14default_configENS1_35radix_sort_onesweep_config_selectorIiNS0_10empty_typeEEEZZNS1_29radix_sort_onesweep_iterationIS3_Lb0EN6thrust23THRUST_200600_302600_NS6detail15normal_iteratorINS9_10device_ptrIiEEEESE_PS5_SF_jNS0_19identity_decomposerENS1_16block_id_wrapperIjLb0EEEEE10hipError_tT1_PNSt15iterator_traitsISK_E10value_typeET2_T3_PNSL_ISQ_E10value_typeET4_T5_PSV_SW_PNS1_23onesweep_lookback_stateEbbT6_jjT7_P12ihipStream_tbENKUlT_T0_SK_SP_E_clISE_PiSF_SF_EEDaS13_S14_SK_SP_EUlS13_E_NS1_11comp_targetILNS1_3genE10ELNS1_11target_archE1201ELNS1_3gpuE5ELNS1_3repE0EEENS1_47radix_sort_onesweep_sort_config_static_selectorELNS0_4arch9wavefront6targetE1EEEvSK_.has_indirect_call, 0
	.section	.AMDGPU.csdata,"",@progbits
; Kernel info:
; codeLenInByte = 0
; TotalNumSgprs: 6
; NumVgprs: 0
; NumAgprs: 0
; TotalNumVgprs: 0
; ScratchSize: 0
; MemoryBound: 0
; FloatMode: 240
; IeeeMode: 1
; LDSByteSize: 0 bytes/workgroup (compile time only)
; SGPRBlocks: 0
; VGPRBlocks: 0
; NumSGPRsForWavesPerEU: 6
; NumVGPRsForWavesPerEU: 1
; AccumOffset: 4
; Occupancy: 8
; WaveLimiterHint : 0
; COMPUTE_PGM_RSRC2:SCRATCH_EN: 0
; COMPUTE_PGM_RSRC2:USER_SGPR: 2
; COMPUTE_PGM_RSRC2:TRAP_HANDLER: 0
; COMPUTE_PGM_RSRC2:TGID_X_EN: 1
; COMPUTE_PGM_RSRC2:TGID_Y_EN: 0
; COMPUTE_PGM_RSRC2:TGID_Z_EN: 0
; COMPUTE_PGM_RSRC2:TIDIG_COMP_CNT: 0
; COMPUTE_PGM_RSRC3_GFX90A:ACCUM_OFFSET: 0
; COMPUTE_PGM_RSRC3_GFX90A:TG_SPLIT: 0
	.section	.text._ZN7rocprim17ROCPRIM_400000_NS6detail17trampoline_kernelINS0_14default_configENS1_35radix_sort_onesweep_config_selectorIiNS0_10empty_typeEEEZZNS1_29radix_sort_onesweep_iterationIS3_Lb0EN6thrust23THRUST_200600_302600_NS6detail15normal_iteratorINS9_10device_ptrIiEEEESE_PS5_SF_jNS0_19identity_decomposerENS1_16block_id_wrapperIjLb0EEEEE10hipError_tT1_PNSt15iterator_traitsISK_E10value_typeET2_T3_PNSL_ISQ_E10value_typeET4_T5_PSV_SW_PNS1_23onesweep_lookback_stateEbbT6_jjT7_P12ihipStream_tbENKUlT_T0_SK_SP_E_clISE_PiSF_SF_EEDaS13_S14_SK_SP_EUlS13_E_NS1_11comp_targetILNS1_3genE9ELNS1_11target_archE1100ELNS1_3gpuE3ELNS1_3repE0EEENS1_47radix_sort_onesweep_sort_config_static_selectorELNS0_4arch9wavefront6targetE1EEEvSK_,"axG",@progbits,_ZN7rocprim17ROCPRIM_400000_NS6detail17trampoline_kernelINS0_14default_configENS1_35radix_sort_onesweep_config_selectorIiNS0_10empty_typeEEEZZNS1_29radix_sort_onesweep_iterationIS3_Lb0EN6thrust23THRUST_200600_302600_NS6detail15normal_iteratorINS9_10device_ptrIiEEEESE_PS5_SF_jNS0_19identity_decomposerENS1_16block_id_wrapperIjLb0EEEEE10hipError_tT1_PNSt15iterator_traitsISK_E10value_typeET2_T3_PNSL_ISQ_E10value_typeET4_T5_PSV_SW_PNS1_23onesweep_lookback_stateEbbT6_jjT7_P12ihipStream_tbENKUlT_T0_SK_SP_E_clISE_PiSF_SF_EEDaS13_S14_SK_SP_EUlS13_E_NS1_11comp_targetILNS1_3genE9ELNS1_11target_archE1100ELNS1_3gpuE3ELNS1_3repE0EEENS1_47radix_sort_onesweep_sort_config_static_selectorELNS0_4arch9wavefront6targetE1EEEvSK_,comdat
	.protected	_ZN7rocprim17ROCPRIM_400000_NS6detail17trampoline_kernelINS0_14default_configENS1_35radix_sort_onesweep_config_selectorIiNS0_10empty_typeEEEZZNS1_29radix_sort_onesweep_iterationIS3_Lb0EN6thrust23THRUST_200600_302600_NS6detail15normal_iteratorINS9_10device_ptrIiEEEESE_PS5_SF_jNS0_19identity_decomposerENS1_16block_id_wrapperIjLb0EEEEE10hipError_tT1_PNSt15iterator_traitsISK_E10value_typeET2_T3_PNSL_ISQ_E10value_typeET4_T5_PSV_SW_PNS1_23onesweep_lookback_stateEbbT6_jjT7_P12ihipStream_tbENKUlT_T0_SK_SP_E_clISE_PiSF_SF_EEDaS13_S14_SK_SP_EUlS13_E_NS1_11comp_targetILNS1_3genE9ELNS1_11target_archE1100ELNS1_3gpuE3ELNS1_3repE0EEENS1_47radix_sort_onesweep_sort_config_static_selectorELNS0_4arch9wavefront6targetE1EEEvSK_ ; -- Begin function _ZN7rocprim17ROCPRIM_400000_NS6detail17trampoline_kernelINS0_14default_configENS1_35radix_sort_onesweep_config_selectorIiNS0_10empty_typeEEEZZNS1_29radix_sort_onesweep_iterationIS3_Lb0EN6thrust23THRUST_200600_302600_NS6detail15normal_iteratorINS9_10device_ptrIiEEEESE_PS5_SF_jNS0_19identity_decomposerENS1_16block_id_wrapperIjLb0EEEEE10hipError_tT1_PNSt15iterator_traitsISK_E10value_typeET2_T3_PNSL_ISQ_E10value_typeET4_T5_PSV_SW_PNS1_23onesweep_lookback_stateEbbT6_jjT7_P12ihipStream_tbENKUlT_T0_SK_SP_E_clISE_PiSF_SF_EEDaS13_S14_SK_SP_EUlS13_E_NS1_11comp_targetILNS1_3genE9ELNS1_11target_archE1100ELNS1_3gpuE3ELNS1_3repE0EEENS1_47radix_sort_onesweep_sort_config_static_selectorELNS0_4arch9wavefront6targetE1EEEvSK_
	.globl	_ZN7rocprim17ROCPRIM_400000_NS6detail17trampoline_kernelINS0_14default_configENS1_35radix_sort_onesweep_config_selectorIiNS0_10empty_typeEEEZZNS1_29radix_sort_onesweep_iterationIS3_Lb0EN6thrust23THRUST_200600_302600_NS6detail15normal_iteratorINS9_10device_ptrIiEEEESE_PS5_SF_jNS0_19identity_decomposerENS1_16block_id_wrapperIjLb0EEEEE10hipError_tT1_PNSt15iterator_traitsISK_E10value_typeET2_T3_PNSL_ISQ_E10value_typeET4_T5_PSV_SW_PNS1_23onesweep_lookback_stateEbbT6_jjT7_P12ihipStream_tbENKUlT_T0_SK_SP_E_clISE_PiSF_SF_EEDaS13_S14_SK_SP_EUlS13_E_NS1_11comp_targetILNS1_3genE9ELNS1_11target_archE1100ELNS1_3gpuE3ELNS1_3repE0EEENS1_47radix_sort_onesweep_sort_config_static_selectorELNS0_4arch9wavefront6targetE1EEEvSK_
	.p2align	8
	.type	_ZN7rocprim17ROCPRIM_400000_NS6detail17trampoline_kernelINS0_14default_configENS1_35radix_sort_onesweep_config_selectorIiNS0_10empty_typeEEEZZNS1_29radix_sort_onesweep_iterationIS3_Lb0EN6thrust23THRUST_200600_302600_NS6detail15normal_iteratorINS9_10device_ptrIiEEEESE_PS5_SF_jNS0_19identity_decomposerENS1_16block_id_wrapperIjLb0EEEEE10hipError_tT1_PNSt15iterator_traitsISK_E10value_typeET2_T3_PNSL_ISQ_E10value_typeET4_T5_PSV_SW_PNS1_23onesweep_lookback_stateEbbT6_jjT7_P12ihipStream_tbENKUlT_T0_SK_SP_E_clISE_PiSF_SF_EEDaS13_S14_SK_SP_EUlS13_E_NS1_11comp_targetILNS1_3genE9ELNS1_11target_archE1100ELNS1_3gpuE3ELNS1_3repE0EEENS1_47radix_sort_onesweep_sort_config_static_selectorELNS0_4arch9wavefront6targetE1EEEvSK_,@function
_ZN7rocprim17ROCPRIM_400000_NS6detail17trampoline_kernelINS0_14default_configENS1_35radix_sort_onesweep_config_selectorIiNS0_10empty_typeEEEZZNS1_29radix_sort_onesweep_iterationIS3_Lb0EN6thrust23THRUST_200600_302600_NS6detail15normal_iteratorINS9_10device_ptrIiEEEESE_PS5_SF_jNS0_19identity_decomposerENS1_16block_id_wrapperIjLb0EEEEE10hipError_tT1_PNSt15iterator_traitsISK_E10value_typeET2_T3_PNSL_ISQ_E10value_typeET4_T5_PSV_SW_PNS1_23onesweep_lookback_stateEbbT6_jjT7_P12ihipStream_tbENKUlT_T0_SK_SP_E_clISE_PiSF_SF_EEDaS13_S14_SK_SP_EUlS13_E_NS1_11comp_targetILNS1_3genE9ELNS1_11target_archE1100ELNS1_3gpuE3ELNS1_3repE0EEENS1_47radix_sort_onesweep_sort_config_static_selectorELNS0_4arch9wavefront6targetE1EEEvSK_: ; @_ZN7rocprim17ROCPRIM_400000_NS6detail17trampoline_kernelINS0_14default_configENS1_35radix_sort_onesweep_config_selectorIiNS0_10empty_typeEEEZZNS1_29radix_sort_onesweep_iterationIS3_Lb0EN6thrust23THRUST_200600_302600_NS6detail15normal_iteratorINS9_10device_ptrIiEEEESE_PS5_SF_jNS0_19identity_decomposerENS1_16block_id_wrapperIjLb0EEEEE10hipError_tT1_PNSt15iterator_traitsISK_E10value_typeET2_T3_PNSL_ISQ_E10value_typeET4_T5_PSV_SW_PNS1_23onesweep_lookback_stateEbbT6_jjT7_P12ihipStream_tbENKUlT_T0_SK_SP_E_clISE_PiSF_SF_EEDaS13_S14_SK_SP_EUlS13_E_NS1_11comp_targetILNS1_3genE9ELNS1_11target_archE1100ELNS1_3gpuE3ELNS1_3repE0EEENS1_47radix_sort_onesweep_sort_config_static_selectorELNS0_4arch9wavefront6targetE1EEEvSK_
; %bb.0:
	.section	.rodata,"a",@progbits
	.p2align	6, 0x0
	.amdhsa_kernel _ZN7rocprim17ROCPRIM_400000_NS6detail17trampoline_kernelINS0_14default_configENS1_35radix_sort_onesweep_config_selectorIiNS0_10empty_typeEEEZZNS1_29radix_sort_onesweep_iterationIS3_Lb0EN6thrust23THRUST_200600_302600_NS6detail15normal_iteratorINS9_10device_ptrIiEEEESE_PS5_SF_jNS0_19identity_decomposerENS1_16block_id_wrapperIjLb0EEEEE10hipError_tT1_PNSt15iterator_traitsISK_E10value_typeET2_T3_PNSL_ISQ_E10value_typeET4_T5_PSV_SW_PNS1_23onesweep_lookback_stateEbbT6_jjT7_P12ihipStream_tbENKUlT_T0_SK_SP_E_clISE_PiSF_SF_EEDaS13_S14_SK_SP_EUlS13_E_NS1_11comp_targetILNS1_3genE9ELNS1_11target_archE1100ELNS1_3gpuE3ELNS1_3repE0EEENS1_47radix_sort_onesweep_sort_config_static_selectorELNS0_4arch9wavefront6targetE1EEEvSK_
		.amdhsa_group_segment_fixed_size 0
		.amdhsa_private_segment_fixed_size 0
		.amdhsa_kernarg_size 88
		.amdhsa_user_sgpr_count 2
		.amdhsa_user_sgpr_dispatch_ptr 0
		.amdhsa_user_sgpr_queue_ptr 0
		.amdhsa_user_sgpr_kernarg_segment_ptr 1
		.amdhsa_user_sgpr_dispatch_id 0
		.amdhsa_user_sgpr_kernarg_preload_length 0
		.amdhsa_user_sgpr_kernarg_preload_offset 0
		.amdhsa_user_sgpr_private_segment_size 0
		.amdhsa_uses_dynamic_stack 0
		.amdhsa_enable_private_segment 0
		.amdhsa_system_sgpr_workgroup_id_x 1
		.amdhsa_system_sgpr_workgroup_id_y 0
		.amdhsa_system_sgpr_workgroup_id_z 0
		.amdhsa_system_sgpr_workgroup_info 0
		.amdhsa_system_vgpr_workitem_id 0
		.amdhsa_next_free_vgpr 1
		.amdhsa_next_free_sgpr 0
		.amdhsa_accum_offset 4
		.amdhsa_reserve_vcc 0
		.amdhsa_float_round_mode_32 0
		.amdhsa_float_round_mode_16_64 0
		.amdhsa_float_denorm_mode_32 3
		.amdhsa_float_denorm_mode_16_64 3
		.amdhsa_dx10_clamp 1
		.amdhsa_ieee_mode 1
		.amdhsa_fp16_overflow 0
		.amdhsa_tg_split 0
		.amdhsa_exception_fp_ieee_invalid_op 0
		.amdhsa_exception_fp_denorm_src 0
		.amdhsa_exception_fp_ieee_div_zero 0
		.amdhsa_exception_fp_ieee_overflow 0
		.amdhsa_exception_fp_ieee_underflow 0
		.amdhsa_exception_fp_ieee_inexact 0
		.amdhsa_exception_int_div_zero 0
	.end_amdhsa_kernel
	.section	.text._ZN7rocprim17ROCPRIM_400000_NS6detail17trampoline_kernelINS0_14default_configENS1_35radix_sort_onesweep_config_selectorIiNS0_10empty_typeEEEZZNS1_29radix_sort_onesweep_iterationIS3_Lb0EN6thrust23THRUST_200600_302600_NS6detail15normal_iteratorINS9_10device_ptrIiEEEESE_PS5_SF_jNS0_19identity_decomposerENS1_16block_id_wrapperIjLb0EEEEE10hipError_tT1_PNSt15iterator_traitsISK_E10value_typeET2_T3_PNSL_ISQ_E10value_typeET4_T5_PSV_SW_PNS1_23onesweep_lookback_stateEbbT6_jjT7_P12ihipStream_tbENKUlT_T0_SK_SP_E_clISE_PiSF_SF_EEDaS13_S14_SK_SP_EUlS13_E_NS1_11comp_targetILNS1_3genE9ELNS1_11target_archE1100ELNS1_3gpuE3ELNS1_3repE0EEENS1_47radix_sort_onesweep_sort_config_static_selectorELNS0_4arch9wavefront6targetE1EEEvSK_,"axG",@progbits,_ZN7rocprim17ROCPRIM_400000_NS6detail17trampoline_kernelINS0_14default_configENS1_35radix_sort_onesweep_config_selectorIiNS0_10empty_typeEEEZZNS1_29radix_sort_onesweep_iterationIS3_Lb0EN6thrust23THRUST_200600_302600_NS6detail15normal_iteratorINS9_10device_ptrIiEEEESE_PS5_SF_jNS0_19identity_decomposerENS1_16block_id_wrapperIjLb0EEEEE10hipError_tT1_PNSt15iterator_traitsISK_E10value_typeET2_T3_PNSL_ISQ_E10value_typeET4_T5_PSV_SW_PNS1_23onesweep_lookback_stateEbbT6_jjT7_P12ihipStream_tbENKUlT_T0_SK_SP_E_clISE_PiSF_SF_EEDaS13_S14_SK_SP_EUlS13_E_NS1_11comp_targetILNS1_3genE9ELNS1_11target_archE1100ELNS1_3gpuE3ELNS1_3repE0EEENS1_47radix_sort_onesweep_sort_config_static_selectorELNS0_4arch9wavefront6targetE1EEEvSK_,comdat
.Lfunc_end202:
	.size	_ZN7rocprim17ROCPRIM_400000_NS6detail17trampoline_kernelINS0_14default_configENS1_35radix_sort_onesweep_config_selectorIiNS0_10empty_typeEEEZZNS1_29radix_sort_onesweep_iterationIS3_Lb0EN6thrust23THRUST_200600_302600_NS6detail15normal_iteratorINS9_10device_ptrIiEEEESE_PS5_SF_jNS0_19identity_decomposerENS1_16block_id_wrapperIjLb0EEEEE10hipError_tT1_PNSt15iterator_traitsISK_E10value_typeET2_T3_PNSL_ISQ_E10value_typeET4_T5_PSV_SW_PNS1_23onesweep_lookback_stateEbbT6_jjT7_P12ihipStream_tbENKUlT_T0_SK_SP_E_clISE_PiSF_SF_EEDaS13_S14_SK_SP_EUlS13_E_NS1_11comp_targetILNS1_3genE9ELNS1_11target_archE1100ELNS1_3gpuE3ELNS1_3repE0EEENS1_47radix_sort_onesweep_sort_config_static_selectorELNS0_4arch9wavefront6targetE1EEEvSK_, .Lfunc_end202-_ZN7rocprim17ROCPRIM_400000_NS6detail17trampoline_kernelINS0_14default_configENS1_35radix_sort_onesweep_config_selectorIiNS0_10empty_typeEEEZZNS1_29radix_sort_onesweep_iterationIS3_Lb0EN6thrust23THRUST_200600_302600_NS6detail15normal_iteratorINS9_10device_ptrIiEEEESE_PS5_SF_jNS0_19identity_decomposerENS1_16block_id_wrapperIjLb0EEEEE10hipError_tT1_PNSt15iterator_traitsISK_E10value_typeET2_T3_PNSL_ISQ_E10value_typeET4_T5_PSV_SW_PNS1_23onesweep_lookback_stateEbbT6_jjT7_P12ihipStream_tbENKUlT_T0_SK_SP_E_clISE_PiSF_SF_EEDaS13_S14_SK_SP_EUlS13_E_NS1_11comp_targetILNS1_3genE9ELNS1_11target_archE1100ELNS1_3gpuE3ELNS1_3repE0EEENS1_47radix_sort_onesweep_sort_config_static_selectorELNS0_4arch9wavefront6targetE1EEEvSK_
                                        ; -- End function
	.set _ZN7rocprim17ROCPRIM_400000_NS6detail17trampoline_kernelINS0_14default_configENS1_35radix_sort_onesweep_config_selectorIiNS0_10empty_typeEEEZZNS1_29radix_sort_onesweep_iterationIS3_Lb0EN6thrust23THRUST_200600_302600_NS6detail15normal_iteratorINS9_10device_ptrIiEEEESE_PS5_SF_jNS0_19identity_decomposerENS1_16block_id_wrapperIjLb0EEEEE10hipError_tT1_PNSt15iterator_traitsISK_E10value_typeET2_T3_PNSL_ISQ_E10value_typeET4_T5_PSV_SW_PNS1_23onesweep_lookback_stateEbbT6_jjT7_P12ihipStream_tbENKUlT_T0_SK_SP_E_clISE_PiSF_SF_EEDaS13_S14_SK_SP_EUlS13_E_NS1_11comp_targetILNS1_3genE9ELNS1_11target_archE1100ELNS1_3gpuE3ELNS1_3repE0EEENS1_47radix_sort_onesweep_sort_config_static_selectorELNS0_4arch9wavefront6targetE1EEEvSK_.num_vgpr, 0
	.set _ZN7rocprim17ROCPRIM_400000_NS6detail17trampoline_kernelINS0_14default_configENS1_35radix_sort_onesweep_config_selectorIiNS0_10empty_typeEEEZZNS1_29radix_sort_onesweep_iterationIS3_Lb0EN6thrust23THRUST_200600_302600_NS6detail15normal_iteratorINS9_10device_ptrIiEEEESE_PS5_SF_jNS0_19identity_decomposerENS1_16block_id_wrapperIjLb0EEEEE10hipError_tT1_PNSt15iterator_traitsISK_E10value_typeET2_T3_PNSL_ISQ_E10value_typeET4_T5_PSV_SW_PNS1_23onesweep_lookback_stateEbbT6_jjT7_P12ihipStream_tbENKUlT_T0_SK_SP_E_clISE_PiSF_SF_EEDaS13_S14_SK_SP_EUlS13_E_NS1_11comp_targetILNS1_3genE9ELNS1_11target_archE1100ELNS1_3gpuE3ELNS1_3repE0EEENS1_47radix_sort_onesweep_sort_config_static_selectorELNS0_4arch9wavefront6targetE1EEEvSK_.num_agpr, 0
	.set _ZN7rocprim17ROCPRIM_400000_NS6detail17trampoline_kernelINS0_14default_configENS1_35radix_sort_onesweep_config_selectorIiNS0_10empty_typeEEEZZNS1_29radix_sort_onesweep_iterationIS3_Lb0EN6thrust23THRUST_200600_302600_NS6detail15normal_iteratorINS9_10device_ptrIiEEEESE_PS5_SF_jNS0_19identity_decomposerENS1_16block_id_wrapperIjLb0EEEEE10hipError_tT1_PNSt15iterator_traitsISK_E10value_typeET2_T3_PNSL_ISQ_E10value_typeET4_T5_PSV_SW_PNS1_23onesweep_lookback_stateEbbT6_jjT7_P12ihipStream_tbENKUlT_T0_SK_SP_E_clISE_PiSF_SF_EEDaS13_S14_SK_SP_EUlS13_E_NS1_11comp_targetILNS1_3genE9ELNS1_11target_archE1100ELNS1_3gpuE3ELNS1_3repE0EEENS1_47radix_sort_onesweep_sort_config_static_selectorELNS0_4arch9wavefront6targetE1EEEvSK_.numbered_sgpr, 0
	.set _ZN7rocprim17ROCPRIM_400000_NS6detail17trampoline_kernelINS0_14default_configENS1_35radix_sort_onesweep_config_selectorIiNS0_10empty_typeEEEZZNS1_29radix_sort_onesweep_iterationIS3_Lb0EN6thrust23THRUST_200600_302600_NS6detail15normal_iteratorINS9_10device_ptrIiEEEESE_PS5_SF_jNS0_19identity_decomposerENS1_16block_id_wrapperIjLb0EEEEE10hipError_tT1_PNSt15iterator_traitsISK_E10value_typeET2_T3_PNSL_ISQ_E10value_typeET4_T5_PSV_SW_PNS1_23onesweep_lookback_stateEbbT6_jjT7_P12ihipStream_tbENKUlT_T0_SK_SP_E_clISE_PiSF_SF_EEDaS13_S14_SK_SP_EUlS13_E_NS1_11comp_targetILNS1_3genE9ELNS1_11target_archE1100ELNS1_3gpuE3ELNS1_3repE0EEENS1_47radix_sort_onesweep_sort_config_static_selectorELNS0_4arch9wavefront6targetE1EEEvSK_.num_named_barrier, 0
	.set _ZN7rocprim17ROCPRIM_400000_NS6detail17trampoline_kernelINS0_14default_configENS1_35radix_sort_onesweep_config_selectorIiNS0_10empty_typeEEEZZNS1_29radix_sort_onesweep_iterationIS3_Lb0EN6thrust23THRUST_200600_302600_NS6detail15normal_iteratorINS9_10device_ptrIiEEEESE_PS5_SF_jNS0_19identity_decomposerENS1_16block_id_wrapperIjLb0EEEEE10hipError_tT1_PNSt15iterator_traitsISK_E10value_typeET2_T3_PNSL_ISQ_E10value_typeET4_T5_PSV_SW_PNS1_23onesweep_lookback_stateEbbT6_jjT7_P12ihipStream_tbENKUlT_T0_SK_SP_E_clISE_PiSF_SF_EEDaS13_S14_SK_SP_EUlS13_E_NS1_11comp_targetILNS1_3genE9ELNS1_11target_archE1100ELNS1_3gpuE3ELNS1_3repE0EEENS1_47radix_sort_onesweep_sort_config_static_selectorELNS0_4arch9wavefront6targetE1EEEvSK_.private_seg_size, 0
	.set _ZN7rocprim17ROCPRIM_400000_NS6detail17trampoline_kernelINS0_14default_configENS1_35radix_sort_onesweep_config_selectorIiNS0_10empty_typeEEEZZNS1_29radix_sort_onesweep_iterationIS3_Lb0EN6thrust23THRUST_200600_302600_NS6detail15normal_iteratorINS9_10device_ptrIiEEEESE_PS5_SF_jNS0_19identity_decomposerENS1_16block_id_wrapperIjLb0EEEEE10hipError_tT1_PNSt15iterator_traitsISK_E10value_typeET2_T3_PNSL_ISQ_E10value_typeET4_T5_PSV_SW_PNS1_23onesweep_lookback_stateEbbT6_jjT7_P12ihipStream_tbENKUlT_T0_SK_SP_E_clISE_PiSF_SF_EEDaS13_S14_SK_SP_EUlS13_E_NS1_11comp_targetILNS1_3genE9ELNS1_11target_archE1100ELNS1_3gpuE3ELNS1_3repE0EEENS1_47radix_sort_onesweep_sort_config_static_selectorELNS0_4arch9wavefront6targetE1EEEvSK_.uses_vcc, 0
	.set _ZN7rocprim17ROCPRIM_400000_NS6detail17trampoline_kernelINS0_14default_configENS1_35radix_sort_onesweep_config_selectorIiNS0_10empty_typeEEEZZNS1_29radix_sort_onesweep_iterationIS3_Lb0EN6thrust23THRUST_200600_302600_NS6detail15normal_iteratorINS9_10device_ptrIiEEEESE_PS5_SF_jNS0_19identity_decomposerENS1_16block_id_wrapperIjLb0EEEEE10hipError_tT1_PNSt15iterator_traitsISK_E10value_typeET2_T3_PNSL_ISQ_E10value_typeET4_T5_PSV_SW_PNS1_23onesweep_lookback_stateEbbT6_jjT7_P12ihipStream_tbENKUlT_T0_SK_SP_E_clISE_PiSF_SF_EEDaS13_S14_SK_SP_EUlS13_E_NS1_11comp_targetILNS1_3genE9ELNS1_11target_archE1100ELNS1_3gpuE3ELNS1_3repE0EEENS1_47radix_sort_onesweep_sort_config_static_selectorELNS0_4arch9wavefront6targetE1EEEvSK_.uses_flat_scratch, 0
	.set _ZN7rocprim17ROCPRIM_400000_NS6detail17trampoline_kernelINS0_14default_configENS1_35radix_sort_onesweep_config_selectorIiNS0_10empty_typeEEEZZNS1_29radix_sort_onesweep_iterationIS3_Lb0EN6thrust23THRUST_200600_302600_NS6detail15normal_iteratorINS9_10device_ptrIiEEEESE_PS5_SF_jNS0_19identity_decomposerENS1_16block_id_wrapperIjLb0EEEEE10hipError_tT1_PNSt15iterator_traitsISK_E10value_typeET2_T3_PNSL_ISQ_E10value_typeET4_T5_PSV_SW_PNS1_23onesweep_lookback_stateEbbT6_jjT7_P12ihipStream_tbENKUlT_T0_SK_SP_E_clISE_PiSF_SF_EEDaS13_S14_SK_SP_EUlS13_E_NS1_11comp_targetILNS1_3genE9ELNS1_11target_archE1100ELNS1_3gpuE3ELNS1_3repE0EEENS1_47radix_sort_onesweep_sort_config_static_selectorELNS0_4arch9wavefront6targetE1EEEvSK_.has_dyn_sized_stack, 0
	.set _ZN7rocprim17ROCPRIM_400000_NS6detail17trampoline_kernelINS0_14default_configENS1_35radix_sort_onesweep_config_selectorIiNS0_10empty_typeEEEZZNS1_29radix_sort_onesweep_iterationIS3_Lb0EN6thrust23THRUST_200600_302600_NS6detail15normal_iteratorINS9_10device_ptrIiEEEESE_PS5_SF_jNS0_19identity_decomposerENS1_16block_id_wrapperIjLb0EEEEE10hipError_tT1_PNSt15iterator_traitsISK_E10value_typeET2_T3_PNSL_ISQ_E10value_typeET4_T5_PSV_SW_PNS1_23onesweep_lookback_stateEbbT6_jjT7_P12ihipStream_tbENKUlT_T0_SK_SP_E_clISE_PiSF_SF_EEDaS13_S14_SK_SP_EUlS13_E_NS1_11comp_targetILNS1_3genE9ELNS1_11target_archE1100ELNS1_3gpuE3ELNS1_3repE0EEENS1_47radix_sort_onesweep_sort_config_static_selectorELNS0_4arch9wavefront6targetE1EEEvSK_.has_recursion, 0
	.set _ZN7rocprim17ROCPRIM_400000_NS6detail17trampoline_kernelINS0_14default_configENS1_35radix_sort_onesweep_config_selectorIiNS0_10empty_typeEEEZZNS1_29radix_sort_onesweep_iterationIS3_Lb0EN6thrust23THRUST_200600_302600_NS6detail15normal_iteratorINS9_10device_ptrIiEEEESE_PS5_SF_jNS0_19identity_decomposerENS1_16block_id_wrapperIjLb0EEEEE10hipError_tT1_PNSt15iterator_traitsISK_E10value_typeET2_T3_PNSL_ISQ_E10value_typeET4_T5_PSV_SW_PNS1_23onesweep_lookback_stateEbbT6_jjT7_P12ihipStream_tbENKUlT_T0_SK_SP_E_clISE_PiSF_SF_EEDaS13_S14_SK_SP_EUlS13_E_NS1_11comp_targetILNS1_3genE9ELNS1_11target_archE1100ELNS1_3gpuE3ELNS1_3repE0EEENS1_47radix_sort_onesweep_sort_config_static_selectorELNS0_4arch9wavefront6targetE1EEEvSK_.has_indirect_call, 0
	.section	.AMDGPU.csdata,"",@progbits
; Kernel info:
; codeLenInByte = 0
; TotalNumSgprs: 6
; NumVgprs: 0
; NumAgprs: 0
; TotalNumVgprs: 0
; ScratchSize: 0
; MemoryBound: 0
; FloatMode: 240
; IeeeMode: 1
; LDSByteSize: 0 bytes/workgroup (compile time only)
; SGPRBlocks: 0
; VGPRBlocks: 0
; NumSGPRsForWavesPerEU: 6
; NumVGPRsForWavesPerEU: 1
; AccumOffset: 4
; Occupancy: 8
; WaveLimiterHint : 0
; COMPUTE_PGM_RSRC2:SCRATCH_EN: 0
; COMPUTE_PGM_RSRC2:USER_SGPR: 2
; COMPUTE_PGM_RSRC2:TRAP_HANDLER: 0
; COMPUTE_PGM_RSRC2:TGID_X_EN: 1
; COMPUTE_PGM_RSRC2:TGID_Y_EN: 0
; COMPUTE_PGM_RSRC2:TGID_Z_EN: 0
; COMPUTE_PGM_RSRC2:TIDIG_COMP_CNT: 0
; COMPUTE_PGM_RSRC3_GFX90A:ACCUM_OFFSET: 0
; COMPUTE_PGM_RSRC3_GFX90A:TG_SPLIT: 0
	.section	.text._ZN7rocprim17ROCPRIM_400000_NS6detail17trampoline_kernelINS0_14default_configENS1_35radix_sort_onesweep_config_selectorIiNS0_10empty_typeEEEZZNS1_29radix_sort_onesweep_iterationIS3_Lb0EN6thrust23THRUST_200600_302600_NS6detail15normal_iteratorINS9_10device_ptrIiEEEESE_PS5_SF_jNS0_19identity_decomposerENS1_16block_id_wrapperIjLb0EEEEE10hipError_tT1_PNSt15iterator_traitsISK_E10value_typeET2_T3_PNSL_ISQ_E10value_typeET4_T5_PSV_SW_PNS1_23onesweep_lookback_stateEbbT6_jjT7_P12ihipStream_tbENKUlT_T0_SK_SP_E_clISE_PiSF_SF_EEDaS13_S14_SK_SP_EUlS13_E_NS1_11comp_targetILNS1_3genE8ELNS1_11target_archE1030ELNS1_3gpuE2ELNS1_3repE0EEENS1_47radix_sort_onesweep_sort_config_static_selectorELNS0_4arch9wavefront6targetE1EEEvSK_,"axG",@progbits,_ZN7rocprim17ROCPRIM_400000_NS6detail17trampoline_kernelINS0_14default_configENS1_35radix_sort_onesweep_config_selectorIiNS0_10empty_typeEEEZZNS1_29radix_sort_onesweep_iterationIS3_Lb0EN6thrust23THRUST_200600_302600_NS6detail15normal_iteratorINS9_10device_ptrIiEEEESE_PS5_SF_jNS0_19identity_decomposerENS1_16block_id_wrapperIjLb0EEEEE10hipError_tT1_PNSt15iterator_traitsISK_E10value_typeET2_T3_PNSL_ISQ_E10value_typeET4_T5_PSV_SW_PNS1_23onesweep_lookback_stateEbbT6_jjT7_P12ihipStream_tbENKUlT_T0_SK_SP_E_clISE_PiSF_SF_EEDaS13_S14_SK_SP_EUlS13_E_NS1_11comp_targetILNS1_3genE8ELNS1_11target_archE1030ELNS1_3gpuE2ELNS1_3repE0EEENS1_47radix_sort_onesweep_sort_config_static_selectorELNS0_4arch9wavefront6targetE1EEEvSK_,comdat
	.protected	_ZN7rocprim17ROCPRIM_400000_NS6detail17trampoline_kernelINS0_14default_configENS1_35radix_sort_onesweep_config_selectorIiNS0_10empty_typeEEEZZNS1_29radix_sort_onesweep_iterationIS3_Lb0EN6thrust23THRUST_200600_302600_NS6detail15normal_iteratorINS9_10device_ptrIiEEEESE_PS5_SF_jNS0_19identity_decomposerENS1_16block_id_wrapperIjLb0EEEEE10hipError_tT1_PNSt15iterator_traitsISK_E10value_typeET2_T3_PNSL_ISQ_E10value_typeET4_T5_PSV_SW_PNS1_23onesweep_lookback_stateEbbT6_jjT7_P12ihipStream_tbENKUlT_T0_SK_SP_E_clISE_PiSF_SF_EEDaS13_S14_SK_SP_EUlS13_E_NS1_11comp_targetILNS1_3genE8ELNS1_11target_archE1030ELNS1_3gpuE2ELNS1_3repE0EEENS1_47radix_sort_onesweep_sort_config_static_selectorELNS0_4arch9wavefront6targetE1EEEvSK_ ; -- Begin function _ZN7rocprim17ROCPRIM_400000_NS6detail17trampoline_kernelINS0_14default_configENS1_35radix_sort_onesweep_config_selectorIiNS0_10empty_typeEEEZZNS1_29radix_sort_onesweep_iterationIS3_Lb0EN6thrust23THRUST_200600_302600_NS6detail15normal_iteratorINS9_10device_ptrIiEEEESE_PS5_SF_jNS0_19identity_decomposerENS1_16block_id_wrapperIjLb0EEEEE10hipError_tT1_PNSt15iterator_traitsISK_E10value_typeET2_T3_PNSL_ISQ_E10value_typeET4_T5_PSV_SW_PNS1_23onesweep_lookback_stateEbbT6_jjT7_P12ihipStream_tbENKUlT_T0_SK_SP_E_clISE_PiSF_SF_EEDaS13_S14_SK_SP_EUlS13_E_NS1_11comp_targetILNS1_3genE8ELNS1_11target_archE1030ELNS1_3gpuE2ELNS1_3repE0EEENS1_47radix_sort_onesweep_sort_config_static_selectorELNS0_4arch9wavefront6targetE1EEEvSK_
	.globl	_ZN7rocprim17ROCPRIM_400000_NS6detail17trampoline_kernelINS0_14default_configENS1_35radix_sort_onesweep_config_selectorIiNS0_10empty_typeEEEZZNS1_29radix_sort_onesweep_iterationIS3_Lb0EN6thrust23THRUST_200600_302600_NS6detail15normal_iteratorINS9_10device_ptrIiEEEESE_PS5_SF_jNS0_19identity_decomposerENS1_16block_id_wrapperIjLb0EEEEE10hipError_tT1_PNSt15iterator_traitsISK_E10value_typeET2_T3_PNSL_ISQ_E10value_typeET4_T5_PSV_SW_PNS1_23onesweep_lookback_stateEbbT6_jjT7_P12ihipStream_tbENKUlT_T0_SK_SP_E_clISE_PiSF_SF_EEDaS13_S14_SK_SP_EUlS13_E_NS1_11comp_targetILNS1_3genE8ELNS1_11target_archE1030ELNS1_3gpuE2ELNS1_3repE0EEENS1_47radix_sort_onesweep_sort_config_static_selectorELNS0_4arch9wavefront6targetE1EEEvSK_
	.p2align	8
	.type	_ZN7rocprim17ROCPRIM_400000_NS6detail17trampoline_kernelINS0_14default_configENS1_35radix_sort_onesweep_config_selectorIiNS0_10empty_typeEEEZZNS1_29radix_sort_onesweep_iterationIS3_Lb0EN6thrust23THRUST_200600_302600_NS6detail15normal_iteratorINS9_10device_ptrIiEEEESE_PS5_SF_jNS0_19identity_decomposerENS1_16block_id_wrapperIjLb0EEEEE10hipError_tT1_PNSt15iterator_traitsISK_E10value_typeET2_T3_PNSL_ISQ_E10value_typeET4_T5_PSV_SW_PNS1_23onesweep_lookback_stateEbbT6_jjT7_P12ihipStream_tbENKUlT_T0_SK_SP_E_clISE_PiSF_SF_EEDaS13_S14_SK_SP_EUlS13_E_NS1_11comp_targetILNS1_3genE8ELNS1_11target_archE1030ELNS1_3gpuE2ELNS1_3repE0EEENS1_47radix_sort_onesweep_sort_config_static_selectorELNS0_4arch9wavefront6targetE1EEEvSK_,@function
_ZN7rocprim17ROCPRIM_400000_NS6detail17trampoline_kernelINS0_14default_configENS1_35radix_sort_onesweep_config_selectorIiNS0_10empty_typeEEEZZNS1_29radix_sort_onesweep_iterationIS3_Lb0EN6thrust23THRUST_200600_302600_NS6detail15normal_iteratorINS9_10device_ptrIiEEEESE_PS5_SF_jNS0_19identity_decomposerENS1_16block_id_wrapperIjLb0EEEEE10hipError_tT1_PNSt15iterator_traitsISK_E10value_typeET2_T3_PNSL_ISQ_E10value_typeET4_T5_PSV_SW_PNS1_23onesweep_lookback_stateEbbT6_jjT7_P12ihipStream_tbENKUlT_T0_SK_SP_E_clISE_PiSF_SF_EEDaS13_S14_SK_SP_EUlS13_E_NS1_11comp_targetILNS1_3genE8ELNS1_11target_archE1030ELNS1_3gpuE2ELNS1_3repE0EEENS1_47radix_sort_onesweep_sort_config_static_selectorELNS0_4arch9wavefront6targetE1EEEvSK_: ; @_ZN7rocprim17ROCPRIM_400000_NS6detail17trampoline_kernelINS0_14default_configENS1_35radix_sort_onesweep_config_selectorIiNS0_10empty_typeEEEZZNS1_29radix_sort_onesweep_iterationIS3_Lb0EN6thrust23THRUST_200600_302600_NS6detail15normal_iteratorINS9_10device_ptrIiEEEESE_PS5_SF_jNS0_19identity_decomposerENS1_16block_id_wrapperIjLb0EEEEE10hipError_tT1_PNSt15iterator_traitsISK_E10value_typeET2_T3_PNSL_ISQ_E10value_typeET4_T5_PSV_SW_PNS1_23onesweep_lookback_stateEbbT6_jjT7_P12ihipStream_tbENKUlT_T0_SK_SP_E_clISE_PiSF_SF_EEDaS13_S14_SK_SP_EUlS13_E_NS1_11comp_targetILNS1_3genE8ELNS1_11target_archE1030ELNS1_3gpuE2ELNS1_3repE0EEENS1_47radix_sort_onesweep_sort_config_static_selectorELNS0_4arch9wavefront6targetE1EEEvSK_
; %bb.0:
	.section	.rodata,"a",@progbits
	.p2align	6, 0x0
	.amdhsa_kernel _ZN7rocprim17ROCPRIM_400000_NS6detail17trampoline_kernelINS0_14default_configENS1_35radix_sort_onesweep_config_selectorIiNS0_10empty_typeEEEZZNS1_29radix_sort_onesweep_iterationIS3_Lb0EN6thrust23THRUST_200600_302600_NS6detail15normal_iteratorINS9_10device_ptrIiEEEESE_PS5_SF_jNS0_19identity_decomposerENS1_16block_id_wrapperIjLb0EEEEE10hipError_tT1_PNSt15iterator_traitsISK_E10value_typeET2_T3_PNSL_ISQ_E10value_typeET4_T5_PSV_SW_PNS1_23onesweep_lookback_stateEbbT6_jjT7_P12ihipStream_tbENKUlT_T0_SK_SP_E_clISE_PiSF_SF_EEDaS13_S14_SK_SP_EUlS13_E_NS1_11comp_targetILNS1_3genE8ELNS1_11target_archE1030ELNS1_3gpuE2ELNS1_3repE0EEENS1_47radix_sort_onesweep_sort_config_static_selectorELNS0_4arch9wavefront6targetE1EEEvSK_
		.amdhsa_group_segment_fixed_size 0
		.amdhsa_private_segment_fixed_size 0
		.amdhsa_kernarg_size 88
		.amdhsa_user_sgpr_count 2
		.amdhsa_user_sgpr_dispatch_ptr 0
		.amdhsa_user_sgpr_queue_ptr 0
		.amdhsa_user_sgpr_kernarg_segment_ptr 1
		.amdhsa_user_sgpr_dispatch_id 0
		.amdhsa_user_sgpr_kernarg_preload_length 0
		.amdhsa_user_sgpr_kernarg_preload_offset 0
		.amdhsa_user_sgpr_private_segment_size 0
		.amdhsa_uses_dynamic_stack 0
		.amdhsa_enable_private_segment 0
		.amdhsa_system_sgpr_workgroup_id_x 1
		.amdhsa_system_sgpr_workgroup_id_y 0
		.amdhsa_system_sgpr_workgroup_id_z 0
		.amdhsa_system_sgpr_workgroup_info 0
		.amdhsa_system_vgpr_workitem_id 0
		.amdhsa_next_free_vgpr 1
		.amdhsa_next_free_sgpr 0
		.amdhsa_accum_offset 4
		.amdhsa_reserve_vcc 0
		.amdhsa_float_round_mode_32 0
		.amdhsa_float_round_mode_16_64 0
		.amdhsa_float_denorm_mode_32 3
		.amdhsa_float_denorm_mode_16_64 3
		.amdhsa_dx10_clamp 1
		.amdhsa_ieee_mode 1
		.amdhsa_fp16_overflow 0
		.amdhsa_tg_split 0
		.amdhsa_exception_fp_ieee_invalid_op 0
		.amdhsa_exception_fp_denorm_src 0
		.amdhsa_exception_fp_ieee_div_zero 0
		.amdhsa_exception_fp_ieee_overflow 0
		.amdhsa_exception_fp_ieee_underflow 0
		.amdhsa_exception_fp_ieee_inexact 0
		.amdhsa_exception_int_div_zero 0
	.end_amdhsa_kernel
	.section	.text._ZN7rocprim17ROCPRIM_400000_NS6detail17trampoline_kernelINS0_14default_configENS1_35radix_sort_onesweep_config_selectorIiNS0_10empty_typeEEEZZNS1_29radix_sort_onesweep_iterationIS3_Lb0EN6thrust23THRUST_200600_302600_NS6detail15normal_iteratorINS9_10device_ptrIiEEEESE_PS5_SF_jNS0_19identity_decomposerENS1_16block_id_wrapperIjLb0EEEEE10hipError_tT1_PNSt15iterator_traitsISK_E10value_typeET2_T3_PNSL_ISQ_E10value_typeET4_T5_PSV_SW_PNS1_23onesweep_lookback_stateEbbT6_jjT7_P12ihipStream_tbENKUlT_T0_SK_SP_E_clISE_PiSF_SF_EEDaS13_S14_SK_SP_EUlS13_E_NS1_11comp_targetILNS1_3genE8ELNS1_11target_archE1030ELNS1_3gpuE2ELNS1_3repE0EEENS1_47radix_sort_onesweep_sort_config_static_selectorELNS0_4arch9wavefront6targetE1EEEvSK_,"axG",@progbits,_ZN7rocprim17ROCPRIM_400000_NS6detail17trampoline_kernelINS0_14default_configENS1_35radix_sort_onesweep_config_selectorIiNS0_10empty_typeEEEZZNS1_29radix_sort_onesweep_iterationIS3_Lb0EN6thrust23THRUST_200600_302600_NS6detail15normal_iteratorINS9_10device_ptrIiEEEESE_PS5_SF_jNS0_19identity_decomposerENS1_16block_id_wrapperIjLb0EEEEE10hipError_tT1_PNSt15iterator_traitsISK_E10value_typeET2_T3_PNSL_ISQ_E10value_typeET4_T5_PSV_SW_PNS1_23onesweep_lookback_stateEbbT6_jjT7_P12ihipStream_tbENKUlT_T0_SK_SP_E_clISE_PiSF_SF_EEDaS13_S14_SK_SP_EUlS13_E_NS1_11comp_targetILNS1_3genE8ELNS1_11target_archE1030ELNS1_3gpuE2ELNS1_3repE0EEENS1_47radix_sort_onesweep_sort_config_static_selectorELNS0_4arch9wavefront6targetE1EEEvSK_,comdat
.Lfunc_end203:
	.size	_ZN7rocprim17ROCPRIM_400000_NS6detail17trampoline_kernelINS0_14default_configENS1_35radix_sort_onesweep_config_selectorIiNS0_10empty_typeEEEZZNS1_29radix_sort_onesweep_iterationIS3_Lb0EN6thrust23THRUST_200600_302600_NS6detail15normal_iteratorINS9_10device_ptrIiEEEESE_PS5_SF_jNS0_19identity_decomposerENS1_16block_id_wrapperIjLb0EEEEE10hipError_tT1_PNSt15iterator_traitsISK_E10value_typeET2_T3_PNSL_ISQ_E10value_typeET4_T5_PSV_SW_PNS1_23onesweep_lookback_stateEbbT6_jjT7_P12ihipStream_tbENKUlT_T0_SK_SP_E_clISE_PiSF_SF_EEDaS13_S14_SK_SP_EUlS13_E_NS1_11comp_targetILNS1_3genE8ELNS1_11target_archE1030ELNS1_3gpuE2ELNS1_3repE0EEENS1_47radix_sort_onesweep_sort_config_static_selectorELNS0_4arch9wavefront6targetE1EEEvSK_, .Lfunc_end203-_ZN7rocprim17ROCPRIM_400000_NS6detail17trampoline_kernelINS0_14default_configENS1_35radix_sort_onesweep_config_selectorIiNS0_10empty_typeEEEZZNS1_29radix_sort_onesweep_iterationIS3_Lb0EN6thrust23THRUST_200600_302600_NS6detail15normal_iteratorINS9_10device_ptrIiEEEESE_PS5_SF_jNS0_19identity_decomposerENS1_16block_id_wrapperIjLb0EEEEE10hipError_tT1_PNSt15iterator_traitsISK_E10value_typeET2_T3_PNSL_ISQ_E10value_typeET4_T5_PSV_SW_PNS1_23onesweep_lookback_stateEbbT6_jjT7_P12ihipStream_tbENKUlT_T0_SK_SP_E_clISE_PiSF_SF_EEDaS13_S14_SK_SP_EUlS13_E_NS1_11comp_targetILNS1_3genE8ELNS1_11target_archE1030ELNS1_3gpuE2ELNS1_3repE0EEENS1_47radix_sort_onesweep_sort_config_static_selectorELNS0_4arch9wavefront6targetE1EEEvSK_
                                        ; -- End function
	.set _ZN7rocprim17ROCPRIM_400000_NS6detail17trampoline_kernelINS0_14default_configENS1_35radix_sort_onesweep_config_selectorIiNS0_10empty_typeEEEZZNS1_29radix_sort_onesweep_iterationIS3_Lb0EN6thrust23THRUST_200600_302600_NS6detail15normal_iteratorINS9_10device_ptrIiEEEESE_PS5_SF_jNS0_19identity_decomposerENS1_16block_id_wrapperIjLb0EEEEE10hipError_tT1_PNSt15iterator_traitsISK_E10value_typeET2_T3_PNSL_ISQ_E10value_typeET4_T5_PSV_SW_PNS1_23onesweep_lookback_stateEbbT6_jjT7_P12ihipStream_tbENKUlT_T0_SK_SP_E_clISE_PiSF_SF_EEDaS13_S14_SK_SP_EUlS13_E_NS1_11comp_targetILNS1_3genE8ELNS1_11target_archE1030ELNS1_3gpuE2ELNS1_3repE0EEENS1_47radix_sort_onesweep_sort_config_static_selectorELNS0_4arch9wavefront6targetE1EEEvSK_.num_vgpr, 0
	.set _ZN7rocprim17ROCPRIM_400000_NS6detail17trampoline_kernelINS0_14default_configENS1_35radix_sort_onesweep_config_selectorIiNS0_10empty_typeEEEZZNS1_29radix_sort_onesweep_iterationIS3_Lb0EN6thrust23THRUST_200600_302600_NS6detail15normal_iteratorINS9_10device_ptrIiEEEESE_PS5_SF_jNS0_19identity_decomposerENS1_16block_id_wrapperIjLb0EEEEE10hipError_tT1_PNSt15iterator_traitsISK_E10value_typeET2_T3_PNSL_ISQ_E10value_typeET4_T5_PSV_SW_PNS1_23onesweep_lookback_stateEbbT6_jjT7_P12ihipStream_tbENKUlT_T0_SK_SP_E_clISE_PiSF_SF_EEDaS13_S14_SK_SP_EUlS13_E_NS1_11comp_targetILNS1_3genE8ELNS1_11target_archE1030ELNS1_3gpuE2ELNS1_3repE0EEENS1_47radix_sort_onesweep_sort_config_static_selectorELNS0_4arch9wavefront6targetE1EEEvSK_.num_agpr, 0
	.set _ZN7rocprim17ROCPRIM_400000_NS6detail17trampoline_kernelINS0_14default_configENS1_35radix_sort_onesweep_config_selectorIiNS0_10empty_typeEEEZZNS1_29radix_sort_onesweep_iterationIS3_Lb0EN6thrust23THRUST_200600_302600_NS6detail15normal_iteratorINS9_10device_ptrIiEEEESE_PS5_SF_jNS0_19identity_decomposerENS1_16block_id_wrapperIjLb0EEEEE10hipError_tT1_PNSt15iterator_traitsISK_E10value_typeET2_T3_PNSL_ISQ_E10value_typeET4_T5_PSV_SW_PNS1_23onesweep_lookback_stateEbbT6_jjT7_P12ihipStream_tbENKUlT_T0_SK_SP_E_clISE_PiSF_SF_EEDaS13_S14_SK_SP_EUlS13_E_NS1_11comp_targetILNS1_3genE8ELNS1_11target_archE1030ELNS1_3gpuE2ELNS1_3repE0EEENS1_47radix_sort_onesweep_sort_config_static_selectorELNS0_4arch9wavefront6targetE1EEEvSK_.numbered_sgpr, 0
	.set _ZN7rocprim17ROCPRIM_400000_NS6detail17trampoline_kernelINS0_14default_configENS1_35radix_sort_onesweep_config_selectorIiNS0_10empty_typeEEEZZNS1_29radix_sort_onesweep_iterationIS3_Lb0EN6thrust23THRUST_200600_302600_NS6detail15normal_iteratorINS9_10device_ptrIiEEEESE_PS5_SF_jNS0_19identity_decomposerENS1_16block_id_wrapperIjLb0EEEEE10hipError_tT1_PNSt15iterator_traitsISK_E10value_typeET2_T3_PNSL_ISQ_E10value_typeET4_T5_PSV_SW_PNS1_23onesweep_lookback_stateEbbT6_jjT7_P12ihipStream_tbENKUlT_T0_SK_SP_E_clISE_PiSF_SF_EEDaS13_S14_SK_SP_EUlS13_E_NS1_11comp_targetILNS1_3genE8ELNS1_11target_archE1030ELNS1_3gpuE2ELNS1_3repE0EEENS1_47radix_sort_onesweep_sort_config_static_selectorELNS0_4arch9wavefront6targetE1EEEvSK_.num_named_barrier, 0
	.set _ZN7rocprim17ROCPRIM_400000_NS6detail17trampoline_kernelINS0_14default_configENS1_35radix_sort_onesweep_config_selectorIiNS0_10empty_typeEEEZZNS1_29radix_sort_onesweep_iterationIS3_Lb0EN6thrust23THRUST_200600_302600_NS6detail15normal_iteratorINS9_10device_ptrIiEEEESE_PS5_SF_jNS0_19identity_decomposerENS1_16block_id_wrapperIjLb0EEEEE10hipError_tT1_PNSt15iterator_traitsISK_E10value_typeET2_T3_PNSL_ISQ_E10value_typeET4_T5_PSV_SW_PNS1_23onesweep_lookback_stateEbbT6_jjT7_P12ihipStream_tbENKUlT_T0_SK_SP_E_clISE_PiSF_SF_EEDaS13_S14_SK_SP_EUlS13_E_NS1_11comp_targetILNS1_3genE8ELNS1_11target_archE1030ELNS1_3gpuE2ELNS1_3repE0EEENS1_47radix_sort_onesweep_sort_config_static_selectorELNS0_4arch9wavefront6targetE1EEEvSK_.private_seg_size, 0
	.set _ZN7rocprim17ROCPRIM_400000_NS6detail17trampoline_kernelINS0_14default_configENS1_35radix_sort_onesweep_config_selectorIiNS0_10empty_typeEEEZZNS1_29radix_sort_onesweep_iterationIS3_Lb0EN6thrust23THRUST_200600_302600_NS6detail15normal_iteratorINS9_10device_ptrIiEEEESE_PS5_SF_jNS0_19identity_decomposerENS1_16block_id_wrapperIjLb0EEEEE10hipError_tT1_PNSt15iterator_traitsISK_E10value_typeET2_T3_PNSL_ISQ_E10value_typeET4_T5_PSV_SW_PNS1_23onesweep_lookback_stateEbbT6_jjT7_P12ihipStream_tbENKUlT_T0_SK_SP_E_clISE_PiSF_SF_EEDaS13_S14_SK_SP_EUlS13_E_NS1_11comp_targetILNS1_3genE8ELNS1_11target_archE1030ELNS1_3gpuE2ELNS1_3repE0EEENS1_47radix_sort_onesweep_sort_config_static_selectorELNS0_4arch9wavefront6targetE1EEEvSK_.uses_vcc, 0
	.set _ZN7rocprim17ROCPRIM_400000_NS6detail17trampoline_kernelINS0_14default_configENS1_35radix_sort_onesweep_config_selectorIiNS0_10empty_typeEEEZZNS1_29radix_sort_onesweep_iterationIS3_Lb0EN6thrust23THRUST_200600_302600_NS6detail15normal_iteratorINS9_10device_ptrIiEEEESE_PS5_SF_jNS0_19identity_decomposerENS1_16block_id_wrapperIjLb0EEEEE10hipError_tT1_PNSt15iterator_traitsISK_E10value_typeET2_T3_PNSL_ISQ_E10value_typeET4_T5_PSV_SW_PNS1_23onesweep_lookback_stateEbbT6_jjT7_P12ihipStream_tbENKUlT_T0_SK_SP_E_clISE_PiSF_SF_EEDaS13_S14_SK_SP_EUlS13_E_NS1_11comp_targetILNS1_3genE8ELNS1_11target_archE1030ELNS1_3gpuE2ELNS1_3repE0EEENS1_47radix_sort_onesweep_sort_config_static_selectorELNS0_4arch9wavefront6targetE1EEEvSK_.uses_flat_scratch, 0
	.set _ZN7rocprim17ROCPRIM_400000_NS6detail17trampoline_kernelINS0_14default_configENS1_35radix_sort_onesweep_config_selectorIiNS0_10empty_typeEEEZZNS1_29radix_sort_onesweep_iterationIS3_Lb0EN6thrust23THRUST_200600_302600_NS6detail15normal_iteratorINS9_10device_ptrIiEEEESE_PS5_SF_jNS0_19identity_decomposerENS1_16block_id_wrapperIjLb0EEEEE10hipError_tT1_PNSt15iterator_traitsISK_E10value_typeET2_T3_PNSL_ISQ_E10value_typeET4_T5_PSV_SW_PNS1_23onesweep_lookback_stateEbbT6_jjT7_P12ihipStream_tbENKUlT_T0_SK_SP_E_clISE_PiSF_SF_EEDaS13_S14_SK_SP_EUlS13_E_NS1_11comp_targetILNS1_3genE8ELNS1_11target_archE1030ELNS1_3gpuE2ELNS1_3repE0EEENS1_47radix_sort_onesweep_sort_config_static_selectorELNS0_4arch9wavefront6targetE1EEEvSK_.has_dyn_sized_stack, 0
	.set _ZN7rocprim17ROCPRIM_400000_NS6detail17trampoline_kernelINS0_14default_configENS1_35radix_sort_onesweep_config_selectorIiNS0_10empty_typeEEEZZNS1_29radix_sort_onesweep_iterationIS3_Lb0EN6thrust23THRUST_200600_302600_NS6detail15normal_iteratorINS9_10device_ptrIiEEEESE_PS5_SF_jNS0_19identity_decomposerENS1_16block_id_wrapperIjLb0EEEEE10hipError_tT1_PNSt15iterator_traitsISK_E10value_typeET2_T3_PNSL_ISQ_E10value_typeET4_T5_PSV_SW_PNS1_23onesweep_lookback_stateEbbT6_jjT7_P12ihipStream_tbENKUlT_T0_SK_SP_E_clISE_PiSF_SF_EEDaS13_S14_SK_SP_EUlS13_E_NS1_11comp_targetILNS1_3genE8ELNS1_11target_archE1030ELNS1_3gpuE2ELNS1_3repE0EEENS1_47radix_sort_onesweep_sort_config_static_selectorELNS0_4arch9wavefront6targetE1EEEvSK_.has_recursion, 0
	.set _ZN7rocprim17ROCPRIM_400000_NS6detail17trampoline_kernelINS0_14default_configENS1_35radix_sort_onesweep_config_selectorIiNS0_10empty_typeEEEZZNS1_29radix_sort_onesweep_iterationIS3_Lb0EN6thrust23THRUST_200600_302600_NS6detail15normal_iteratorINS9_10device_ptrIiEEEESE_PS5_SF_jNS0_19identity_decomposerENS1_16block_id_wrapperIjLb0EEEEE10hipError_tT1_PNSt15iterator_traitsISK_E10value_typeET2_T3_PNSL_ISQ_E10value_typeET4_T5_PSV_SW_PNS1_23onesweep_lookback_stateEbbT6_jjT7_P12ihipStream_tbENKUlT_T0_SK_SP_E_clISE_PiSF_SF_EEDaS13_S14_SK_SP_EUlS13_E_NS1_11comp_targetILNS1_3genE8ELNS1_11target_archE1030ELNS1_3gpuE2ELNS1_3repE0EEENS1_47radix_sort_onesweep_sort_config_static_selectorELNS0_4arch9wavefront6targetE1EEEvSK_.has_indirect_call, 0
	.section	.AMDGPU.csdata,"",@progbits
; Kernel info:
; codeLenInByte = 0
; TotalNumSgprs: 6
; NumVgprs: 0
; NumAgprs: 0
; TotalNumVgprs: 0
; ScratchSize: 0
; MemoryBound: 0
; FloatMode: 240
; IeeeMode: 1
; LDSByteSize: 0 bytes/workgroup (compile time only)
; SGPRBlocks: 0
; VGPRBlocks: 0
; NumSGPRsForWavesPerEU: 6
; NumVGPRsForWavesPerEU: 1
; AccumOffset: 4
; Occupancy: 8
; WaveLimiterHint : 0
; COMPUTE_PGM_RSRC2:SCRATCH_EN: 0
; COMPUTE_PGM_RSRC2:USER_SGPR: 2
; COMPUTE_PGM_RSRC2:TRAP_HANDLER: 0
; COMPUTE_PGM_RSRC2:TGID_X_EN: 1
; COMPUTE_PGM_RSRC2:TGID_Y_EN: 0
; COMPUTE_PGM_RSRC2:TGID_Z_EN: 0
; COMPUTE_PGM_RSRC2:TIDIG_COMP_CNT: 0
; COMPUTE_PGM_RSRC3_GFX90A:ACCUM_OFFSET: 0
; COMPUTE_PGM_RSRC3_GFX90A:TG_SPLIT: 0
	.section	.text._ZN7rocprim17ROCPRIM_400000_NS6detail17trampoline_kernelINS0_14default_configENS1_35radix_sort_onesweep_config_selectorIiNS0_10empty_typeEEEZZNS1_29radix_sort_onesweep_iterationIS3_Lb0EN6thrust23THRUST_200600_302600_NS6detail15normal_iteratorINS9_10device_ptrIiEEEESE_PS5_SF_jNS0_19identity_decomposerENS1_16block_id_wrapperIjLb0EEEEE10hipError_tT1_PNSt15iterator_traitsISK_E10value_typeET2_T3_PNSL_ISQ_E10value_typeET4_T5_PSV_SW_PNS1_23onesweep_lookback_stateEbbT6_jjT7_P12ihipStream_tbENKUlT_T0_SK_SP_E_clIPiSE_SF_SF_EEDaS13_S14_SK_SP_EUlS13_E_NS1_11comp_targetILNS1_3genE0ELNS1_11target_archE4294967295ELNS1_3gpuE0ELNS1_3repE0EEENS1_47radix_sort_onesweep_sort_config_static_selectorELNS0_4arch9wavefront6targetE1EEEvSK_,"axG",@progbits,_ZN7rocprim17ROCPRIM_400000_NS6detail17trampoline_kernelINS0_14default_configENS1_35radix_sort_onesweep_config_selectorIiNS0_10empty_typeEEEZZNS1_29radix_sort_onesweep_iterationIS3_Lb0EN6thrust23THRUST_200600_302600_NS6detail15normal_iteratorINS9_10device_ptrIiEEEESE_PS5_SF_jNS0_19identity_decomposerENS1_16block_id_wrapperIjLb0EEEEE10hipError_tT1_PNSt15iterator_traitsISK_E10value_typeET2_T3_PNSL_ISQ_E10value_typeET4_T5_PSV_SW_PNS1_23onesweep_lookback_stateEbbT6_jjT7_P12ihipStream_tbENKUlT_T0_SK_SP_E_clIPiSE_SF_SF_EEDaS13_S14_SK_SP_EUlS13_E_NS1_11comp_targetILNS1_3genE0ELNS1_11target_archE4294967295ELNS1_3gpuE0ELNS1_3repE0EEENS1_47radix_sort_onesweep_sort_config_static_selectorELNS0_4arch9wavefront6targetE1EEEvSK_,comdat
	.protected	_ZN7rocprim17ROCPRIM_400000_NS6detail17trampoline_kernelINS0_14default_configENS1_35radix_sort_onesweep_config_selectorIiNS0_10empty_typeEEEZZNS1_29radix_sort_onesweep_iterationIS3_Lb0EN6thrust23THRUST_200600_302600_NS6detail15normal_iteratorINS9_10device_ptrIiEEEESE_PS5_SF_jNS0_19identity_decomposerENS1_16block_id_wrapperIjLb0EEEEE10hipError_tT1_PNSt15iterator_traitsISK_E10value_typeET2_T3_PNSL_ISQ_E10value_typeET4_T5_PSV_SW_PNS1_23onesweep_lookback_stateEbbT6_jjT7_P12ihipStream_tbENKUlT_T0_SK_SP_E_clIPiSE_SF_SF_EEDaS13_S14_SK_SP_EUlS13_E_NS1_11comp_targetILNS1_3genE0ELNS1_11target_archE4294967295ELNS1_3gpuE0ELNS1_3repE0EEENS1_47radix_sort_onesweep_sort_config_static_selectorELNS0_4arch9wavefront6targetE1EEEvSK_ ; -- Begin function _ZN7rocprim17ROCPRIM_400000_NS6detail17trampoline_kernelINS0_14default_configENS1_35radix_sort_onesweep_config_selectorIiNS0_10empty_typeEEEZZNS1_29radix_sort_onesweep_iterationIS3_Lb0EN6thrust23THRUST_200600_302600_NS6detail15normal_iteratorINS9_10device_ptrIiEEEESE_PS5_SF_jNS0_19identity_decomposerENS1_16block_id_wrapperIjLb0EEEEE10hipError_tT1_PNSt15iterator_traitsISK_E10value_typeET2_T3_PNSL_ISQ_E10value_typeET4_T5_PSV_SW_PNS1_23onesweep_lookback_stateEbbT6_jjT7_P12ihipStream_tbENKUlT_T0_SK_SP_E_clIPiSE_SF_SF_EEDaS13_S14_SK_SP_EUlS13_E_NS1_11comp_targetILNS1_3genE0ELNS1_11target_archE4294967295ELNS1_3gpuE0ELNS1_3repE0EEENS1_47radix_sort_onesweep_sort_config_static_selectorELNS0_4arch9wavefront6targetE1EEEvSK_
	.globl	_ZN7rocprim17ROCPRIM_400000_NS6detail17trampoline_kernelINS0_14default_configENS1_35radix_sort_onesweep_config_selectorIiNS0_10empty_typeEEEZZNS1_29radix_sort_onesweep_iterationIS3_Lb0EN6thrust23THRUST_200600_302600_NS6detail15normal_iteratorINS9_10device_ptrIiEEEESE_PS5_SF_jNS0_19identity_decomposerENS1_16block_id_wrapperIjLb0EEEEE10hipError_tT1_PNSt15iterator_traitsISK_E10value_typeET2_T3_PNSL_ISQ_E10value_typeET4_T5_PSV_SW_PNS1_23onesweep_lookback_stateEbbT6_jjT7_P12ihipStream_tbENKUlT_T0_SK_SP_E_clIPiSE_SF_SF_EEDaS13_S14_SK_SP_EUlS13_E_NS1_11comp_targetILNS1_3genE0ELNS1_11target_archE4294967295ELNS1_3gpuE0ELNS1_3repE0EEENS1_47radix_sort_onesweep_sort_config_static_selectorELNS0_4arch9wavefront6targetE1EEEvSK_
	.p2align	8
	.type	_ZN7rocprim17ROCPRIM_400000_NS6detail17trampoline_kernelINS0_14default_configENS1_35radix_sort_onesweep_config_selectorIiNS0_10empty_typeEEEZZNS1_29radix_sort_onesweep_iterationIS3_Lb0EN6thrust23THRUST_200600_302600_NS6detail15normal_iteratorINS9_10device_ptrIiEEEESE_PS5_SF_jNS0_19identity_decomposerENS1_16block_id_wrapperIjLb0EEEEE10hipError_tT1_PNSt15iterator_traitsISK_E10value_typeET2_T3_PNSL_ISQ_E10value_typeET4_T5_PSV_SW_PNS1_23onesweep_lookback_stateEbbT6_jjT7_P12ihipStream_tbENKUlT_T0_SK_SP_E_clIPiSE_SF_SF_EEDaS13_S14_SK_SP_EUlS13_E_NS1_11comp_targetILNS1_3genE0ELNS1_11target_archE4294967295ELNS1_3gpuE0ELNS1_3repE0EEENS1_47radix_sort_onesweep_sort_config_static_selectorELNS0_4arch9wavefront6targetE1EEEvSK_,@function
_ZN7rocprim17ROCPRIM_400000_NS6detail17trampoline_kernelINS0_14default_configENS1_35radix_sort_onesweep_config_selectorIiNS0_10empty_typeEEEZZNS1_29radix_sort_onesweep_iterationIS3_Lb0EN6thrust23THRUST_200600_302600_NS6detail15normal_iteratorINS9_10device_ptrIiEEEESE_PS5_SF_jNS0_19identity_decomposerENS1_16block_id_wrapperIjLb0EEEEE10hipError_tT1_PNSt15iterator_traitsISK_E10value_typeET2_T3_PNSL_ISQ_E10value_typeET4_T5_PSV_SW_PNS1_23onesweep_lookback_stateEbbT6_jjT7_P12ihipStream_tbENKUlT_T0_SK_SP_E_clIPiSE_SF_SF_EEDaS13_S14_SK_SP_EUlS13_E_NS1_11comp_targetILNS1_3genE0ELNS1_11target_archE4294967295ELNS1_3gpuE0ELNS1_3repE0EEENS1_47radix_sort_onesweep_sort_config_static_selectorELNS0_4arch9wavefront6targetE1EEEvSK_: ; @_ZN7rocprim17ROCPRIM_400000_NS6detail17trampoline_kernelINS0_14default_configENS1_35radix_sort_onesweep_config_selectorIiNS0_10empty_typeEEEZZNS1_29radix_sort_onesweep_iterationIS3_Lb0EN6thrust23THRUST_200600_302600_NS6detail15normal_iteratorINS9_10device_ptrIiEEEESE_PS5_SF_jNS0_19identity_decomposerENS1_16block_id_wrapperIjLb0EEEEE10hipError_tT1_PNSt15iterator_traitsISK_E10value_typeET2_T3_PNSL_ISQ_E10value_typeET4_T5_PSV_SW_PNS1_23onesweep_lookback_stateEbbT6_jjT7_P12ihipStream_tbENKUlT_T0_SK_SP_E_clIPiSE_SF_SF_EEDaS13_S14_SK_SP_EUlS13_E_NS1_11comp_targetILNS1_3genE0ELNS1_11target_archE4294967295ELNS1_3gpuE0ELNS1_3repE0EEENS1_47radix_sort_onesweep_sort_config_static_selectorELNS0_4arch9wavefront6targetE1EEEvSK_
; %bb.0:
	.section	.rodata,"a",@progbits
	.p2align	6, 0x0
	.amdhsa_kernel _ZN7rocprim17ROCPRIM_400000_NS6detail17trampoline_kernelINS0_14default_configENS1_35radix_sort_onesweep_config_selectorIiNS0_10empty_typeEEEZZNS1_29radix_sort_onesweep_iterationIS3_Lb0EN6thrust23THRUST_200600_302600_NS6detail15normal_iteratorINS9_10device_ptrIiEEEESE_PS5_SF_jNS0_19identity_decomposerENS1_16block_id_wrapperIjLb0EEEEE10hipError_tT1_PNSt15iterator_traitsISK_E10value_typeET2_T3_PNSL_ISQ_E10value_typeET4_T5_PSV_SW_PNS1_23onesweep_lookback_stateEbbT6_jjT7_P12ihipStream_tbENKUlT_T0_SK_SP_E_clIPiSE_SF_SF_EEDaS13_S14_SK_SP_EUlS13_E_NS1_11comp_targetILNS1_3genE0ELNS1_11target_archE4294967295ELNS1_3gpuE0ELNS1_3repE0EEENS1_47radix_sort_onesweep_sort_config_static_selectorELNS0_4arch9wavefront6targetE1EEEvSK_
		.amdhsa_group_segment_fixed_size 0
		.amdhsa_private_segment_fixed_size 0
		.amdhsa_kernarg_size 88
		.amdhsa_user_sgpr_count 2
		.amdhsa_user_sgpr_dispatch_ptr 0
		.amdhsa_user_sgpr_queue_ptr 0
		.amdhsa_user_sgpr_kernarg_segment_ptr 1
		.amdhsa_user_sgpr_dispatch_id 0
		.amdhsa_user_sgpr_kernarg_preload_length 0
		.amdhsa_user_sgpr_kernarg_preload_offset 0
		.amdhsa_user_sgpr_private_segment_size 0
		.amdhsa_uses_dynamic_stack 0
		.amdhsa_enable_private_segment 0
		.amdhsa_system_sgpr_workgroup_id_x 1
		.amdhsa_system_sgpr_workgroup_id_y 0
		.amdhsa_system_sgpr_workgroup_id_z 0
		.amdhsa_system_sgpr_workgroup_info 0
		.amdhsa_system_vgpr_workitem_id 0
		.amdhsa_next_free_vgpr 1
		.amdhsa_next_free_sgpr 0
		.amdhsa_accum_offset 4
		.amdhsa_reserve_vcc 0
		.amdhsa_float_round_mode_32 0
		.amdhsa_float_round_mode_16_64 0
		.amdhsa_float_denorm_mode_32 3
		.amdhsa_float_denorm_mode_16_64 3
		.amdhsa_dx10_clamp 1
		.amdhsa_ieee_mode 1
		.amdhsa_fp16_overflow 0
		.amdhsa_tg_split 0
		.amdhsa_exception_fp_ieee_invalid_op 0
		.amdhsa_exception_fp_denorm_src 0
		.amdhsa_exception_fp_ieee_div_zero 0
		.amdhsa_exception_fp_ieee_overflow 0
		.amdhsa_exception_fp_ieee_underflow 0
		.amdhsa_exception_fp_ieee_inexact 0
		.amdhsa_exception_int_div_zero 0
	.end_amdhsa_kernel
	.section	.text._ZN7rocprim17ROCPRIM_400000_NS6detail17trampoline_kernelINS0_14default_configENS1_35radix_sort_onesweep_config_selectorIiNS0_10empty_typeEEEZZNS1_29radix_sort_onesweep_iterationIS3_Lb0EN6thrust23THRUST_200600_302600_NS6detail15normal_iteratorINS9_10device_ptrIiEEEESE_PS5_SF_jNS0_19identity_decomposerENS1_16block_id_wrapperIjLb0EEEEE10hipError_tT1_PNSt15iterator_traitsISK_E10value_typeET2_T3_PNSL_ISQ_E10value_typeET4_T5_PSV_SW_PNS1_23onesweep_lookback_stateEbbT6_jjT7_P12ihipStream_tbENKUlT_T0_SK_SP_E_clIPiSE_SF_SF_EEDaS13_S14_SK_SP_EUlS13_E_NS1_11comp_targetILNS1_3genE0ELNS1_11target_archE4294967295ELNS1_3gpuE0ELNS1_3repE0EEENS1_47radix_sort_onesweep_sort_config_static_selectorELNS0_4arch9wavefront6targetE1EEEvSK_,"axG",@progbits,_ZN7rocprim17ROCPRIM_400000_NS6detail17trampoline_kernelINS0_14default_configENS1_35radix_sort_onesweep_config_selectorIiNS0_10empty_typeEEEZZNS1_29radix_sort_onesweep_iterationIS3_Lb0EN6thrust23THRUST_200600_302600_NS6detail15normal_iteratorINS9_10device_ptrIiEEEESE_PS5_SF_jNS0_19identity_decomposerENS1_16block_id_wrapperIjLb0EEEEE10hipError_tT1_PNSt15iterator_traitsISK_E10value_typeET2_T3_PNSL_ISQ_E10value_typeET4_T5_PSV_SW_PNS1_23onesweep_lookback_stateEbbT6_jjT7_P12ihipStream_tbENKUlT_T0_SK_SP_E_clIPiSE_SF_SF_EEDaS13_S14_SK_SP_EUlS13_E_NS1_11comp_targetILNS1_3genE0ELNS1_11target_archE4294967295ELNS1_3gpuE0ELNS1_3repE0EEENS1_47radix_sort_onesweep_sort_config_static_selectorELNS0_4arch9wavefront6targetE1EEEvSK_,comdat
.Lfunc_end204:
	.size	_ZN7rocprim17ROCPRIM_400000_NS6detail17trampoline_kernelINS0_14default_configENS1_35radix_sort_onesweep_config_selectorIiNS0_10empty_typeEEEZZNS1_29radix_sort_onesweep_iterationIS3_Lb0EN6thrust23THRUST_200600_302600_NS6detail15normal_iteratorINS9_10device_ptrIiEEEESE_PS5_SF_jNS0_19identity_decomposerENS1_16block_id_wrapperIjLb0EEEEE10hipError_tT1_PNSt15iterator_traitsISK_E10value_typeET2_T3_PNSL_ISQ_E10value_typeET4_T5_PSV_SW_PNS1_23onesweep_lookback_stateEbbT6_jjT7_P12ihipStream_tbENKUlT_T0_SK_SP_E_clIPiSE_SF_SF_EEDaS13_S14_SK_SP_EUlS13_E_NS1_11comp_targetILNS1_3genE0ELNS1_11target_archE4294967295ELNS1_3gpuE0ELNS1_3repE0EEENS1_47radix_sort_onesweep_sort_config_static_selectorELNS0_4arch9wavefront6targetE1EEEvSK_, .Lfunc_end204-_ZN7rocprim17ROCPRIM_400000_NS6detail17trampoline_kernelINS0_14default_configENS1_35radix_sort_onesweep_config_selectorIiNS0_10empty_typeEEEZZNS1_29radix_sort_onesweep_iterationIS3_Lb0EN6thrust23THRUST_200600_302600_NS6detail15normal_iteratorINS9_10device_ptrIiEEEESE_PS5_SF_jNS0_19identity_decomposerENS1_16block_id_wrapperIjLb0EEEEE10hipError_tT1_PNSt15iterator_traitsISK_E10value_typeET2_T3_PNSL_ISQ_E10value_typeET4_T5_PSV_SW_PNS1_23onesweep_lookback_stateEbbT6_jjT7_P12ihipStream_tbENKUlT_T0_SK_SP_E_clIPiSE_SF_SF_EEDaS13_S14_SK_SP_EUlS13_E_NS1_11comp_targetILNS1_3genE0ELNS1_11target_archE4294967295ELNS1_3gpuE0ELNS1_3repE0EEENS1_47radix_sort_onesweep_sort_config_static_selectorELNS0_4arch9wavefront6targetE1EEEvSK_
                                        ; -- End function
	.set _ZN7rocprim17ROCPRIM_400000_NS6detail17trampoline_kernelINS0_14default_configENS1_35radix_sort_onesweep_config_selectorIiNS0_10empty_typeEEEZZNS1_29radix_sort_onesweep_iterationIS3_Lb0EN6thrust23THRUST_200600_302600_NS6detail15normal_iteratorINS9_10device_ptrIiEEEESE_PS5_SF_jNS0_19identity_decomposerENS1_16block_id_wrapperIjLb0EEEEE10hipError_tT1_PNSt15iterator_traitsISK_E10value_typeET2_T3_PNSL_ISQ_E10value_typeET4_T5_PSV_SW_PNS1_23onesweep_lookback_stateEbbT6_jjT7_P12ihipStream_tbENKUlT_T0_SK_SP_E_clIPiSE_SF_SF_EEDaS13_S14_SK_SP_EUlS13_E_NS1_11comp_targetILNS1_3genE0ELNS1_11target_archE4294967295ELNS1_3gpuE0ELNS1_3repE0EEENS1_47radix_sort_onesweep_sort_config_static_selectorELNS0_4arch9wavefront6targetE1EEEvSK_.num_vgpr, 0
	.set _ZN7rocprim17ROCPRIM_400000_NS6detail17trampoline_kernelINS0_14default_configENS1_35radix_sort_onesweep_config_selectorIiNS0_10empty_typeEEEZZNS1_29radix_sort_onesweep_iterationIS3_Lb0EN6thrust23THRUST_200600_302600_NS6detail15normal_iteratorINS9_10device_ptrIiEEEESE_PS5_SF_jNS0_19identity_decomposerENS1_16block_id_wrapperIjLb0EEEEE10hipError_tT1_PNSt15iterator_traitsISK_E10value_typeET2_T3_PNSL_ISQ_E10value_typeET4_T5_PSV_SW_PNS1_23onesweep_lookback_stateEbbT6_jjT7_P12ihipStream_tbENKUlT_T0_SK_SP_E_clIPiSE_SF_SF_EEDaS13_S14_SK_SP_EUlS13_E_NS1_11comp_targetILNS1_3genE0ELNS1_11target_archE4294967295ELNS1_3gpuE0ELNS1_3repE0EEENS1_47radix_sort_onesweep_sort_config_static_selectorELNS0_4arch9wavefront6targetE1EEEvSK_.num_agpr, 0
	.set _ZN7rocprim17ROCPRIM_400000_NS6detail17trampoline_kernelINS0_14default_configENS1_35radix_sort_onesweep_config_selectorIiNS0_10empty_typeEEEZZNS1_29radix_sort_onesweep_iterationIS3_Lb0EN6thrust23THRUST_200600_302600_NS6detail15normal_iteratorINS9_10device_ptrIiEEEESE_PS5_SF_jNS0_19identity_decomposerENS1_16block_id_wrapperIjLb0EEEEE10hipError_tT1_PNSt15iterator_traitsISK_E10value_typeET2_T3_PNSL_ISQ_E10value_typeET4_T5_PSV_SW_PNS1_23onesweep_lookback_stateEbbT6_jjT7_P12ihipStream_tbENKUlT_T0_SK_SP_E_clIPiSE_SF_SF_EEDaS13_S14_SK_SP_EUlS13_E_NS1_11comp_targetILNS1_3genE0ELNS1_11target_archE4294967295ELNS1_3gpuE0ELNS1_3repE0EEENS1_47radix_sort_onesweep_sort_config_static_selectorELNS0_4arch9wavefront6targetE1EEEvSK_.numbered_sgpr, 0
	.set _ZN7rocprim17ROCPRIM_400000_NS6detail17trampoline_kernelINS0_14default_configENS1_35radix_sort_onesweep_config_selectorIiNS0_10empty_typeEEEZZNS1_29radix_sort_onesweep_iterationIS3_Lb0EN6thrust23THRUST_200600_302600_NS6detail15normal_iteratorINS9_10device_ptrIiEEEESE_PS5_SF_jNS0_19identity_decomposerENS1_16block_id_wrapperIjLb0EEEEE10hipError_tT1_PNSt15iterator_traitsISK_E10value_typeET2_T3_PNSL_ISQ_E10value_typeET4_T5_PSV_SW_PNS1_23onesweep_lookback_stateEbbT6_jjT7_P12ihipStream_tbENKUlT_T0_SK_SP_E_clIPiSE_SF_SF_EEDaS13_S14_SK_SP_EUlS13_E_NS1_11comp_targetILNS1_3genE0ELNS1_11target_archE4294967295ELNS1_3gpuE0ELNS1_3repE0EEENS1_47radix_sort_onesweep_sort_config_static_selectorELNS0_4arch9wavefront6targetE1EEEvSK_.num_named_barrier, 0
	.set _ZN7rocprim17ROCPRIM_400000_NS6detail17trampoline_kernelINS0_14default_configENS1_35radix_sort_onesweep_config_selectorIiNS0_10empty_typeEEEZZNS1_29radix_sort_onesweep_iterationIS3_Lb0EN6thrust23THRUST_200600_302600_NS6detail15normal_iteratorINS9_10device_ptrIiEEEESE_PS5_SF_jNS0_19identity_decomposerENS1_16block_id_wrapperIjLb0EEEEE10hipError_tT1_PNSt15iterator_traitsISK_E10value_typeET2_T3_PNSL_ISQ_E10value_typeET4_T5_PSV_SW_PNS1_23onesweep_lookback_stateEbbT6_jjT7_P12ihipStream_tbENKUlT_T0_SK_SP_E_clIPiSE_SF_SF_EEDaS13_S14_SK_SP_EUlS13_E_NS1_11comp_targetILNS1_3genE0ELNS1_11target_archE4294967295ELNS1_3gpuE0ELNS1_3repE0EEENS1_47radix_sort_onesweep_sort_config_static_selectorELNS0_4arch9wavefront6targetE1EEEvSK_.private_seg_size, 0
	.set _ZN7rocprim17ROCPRIM_400000_NS6detail17trampoline_kernelINS0_14default_configENS1_35radix_sort_onesweep_config_selectorIiNS0_10empty_typeEEEZZNS1_29radix_sort_onesweep_iterationIS3_Lb0EN6thrust23THRUST_200600_302600_NS6detail15normal_iteratorINS9_10device_ptrIiEEEESE_PS5_SF_jNS0_19identity_decomposerENS1_16block_id_wrapperIjLb0EEEEE10hipError_tT1_PNSt15iterator_traitsISK_E10value_typeET2_T3_PNSL_ISQ_E10value_typeET4_T5_PSV_SW_PNS1_23onesweep_lookback_stateEbbT6_jjT7_P12ihipStream_tbENKUlT_T0_SK_SP_E_clIPiSE_SF_SF_EEDaS13_S14_SK_SP_EUlS13_E_NS1_11comp_targetILNS1_3genE0ELNS1_11target_archE4294967295ELNS1_3gpuE0ELNS1_3repE0EEENS1_47radix_sort_onesweep_sort_config_static_selectorELNS0_4arch9wavefront6targetE1EEEvSK_.uses_vcc, 0
	.set _ZN7rocprim17ROCPRIM_400000_NS6detail17trampoline_kernelINS0_14default_configENS1_35radix_sort_onesweep_config_selectorIiNS0_10empty_typeEEEZZNS1_29radix_sort_onesweep_iterationIS3_Lb0EN6thrust23THRUST_200600_302600_NS6detail15normal_iteratorINS9_10device_ptrIiEEEESE_PS5_SF_jNS0_19identity_decomposerENS1_16block_id_wrapperIjLb0EEEEE10hipError_tT1_PNSt15iterator_traitsISK_E10value_typeET2_T3_PNSL_ISQ_E10value_typeET4_T5_PSV_SW_PNS1_23onesweep_lookback_stateEbbT6_jjT7_P12ihipStream_tbENKUlT_T0_SK_SP_E_clIPiSE_SF_SF_EEDaS13_S14_SK_SP_EUlS13_E_NS1_11comp_targetILNS1_3genE0ELNS1_11target_archE4294967295ELNS1_3gpuE0ELNS1_3repE0EEENS1_47radix_sort_onesweep_sort_config_static_selectorELNS0_4arch9wavefront6targetE1EEEvSK_.uses_flat_scratch, 0
	.set _ZN7rocprim17ROCPRIM_400000_NS6detail17trampoline_kernelINS0_14default_configENS1_35radix_sort_onesweep_config_selectorIiNS0_10empty_typeEEEZZNS1_29radix_sort_onesweep_iterationIS3_Lb0EN6thrust23THRUST_200600_302600_NS6detail15normal_iteratorINS9_10device_ptrIiEEEESE_PS5_SF_jNS0_19identity_decomposerENS1_16block_id_wrapperIjLb0EEEEE10hipError_tT1_PNSt15iterator_traitsISK_E10value_typeET2_T3_PNSL_ISQ_E10value_typeET4_T5_PSV_SW_PNS1_23onesweep_lookback_stateEbbT6_jjT7_P12ihipStream_tbENKUlT_T0_SK_SP_E_clIPiSE_SF_SF_EEDaS13_S14_SK_SP_EUlS13_E_NS1_11comp_targetILNS1_3genE0ELNS1_11target_archE4294967295ELNS1_3gpuE0ELNS1_3repE0EEENS1_47radix_sort_onesweep_sort_config_static_selectorELNS0_4arch9wavefront6targetE1EEEvSK_.has_dyn_sized_stack, 0
	.set _ZN7rocprim17ROCPRIM_400000_NS6detail17trampoline_kernelINS0_14default_configENS1_35radix_sort_onesweep_config_selectorIiNS0_10empty_typeEEEZZNS1_29radix_sort_onesweep_iterationIS3_Lb0EN6thrust23THRUST_200600_302600_NS6detail15normal_iteratorINS9_10device_ptrIiEEEESE_PS5_SF_jNS0_19identity_decomposerENS1_16block_id_wrapperIjLb0EEEEE10hipError_tT1_PNSt15iterator_traitsISK_E10value_typeET2_T3_PNSL_ISQ_E10value_typeET4_T5_PSV_SW_PNS1_23onesweep_lookback_stateEbbT6_jjT7_P12ihipStream_tbENKUlT_T0_SK_SP_E_clIPiSE_SF_SF_EEDaS13_S14_SK_SP_EUlS13_E_NS1_11comp_targetILNS1_3genE0ELNS1_11target_archE4294967295ELNS1_3gpuE0ELNS1_3repE0EEENS1_47radix_sort_onesweep_sort_config_static_selectorELNS0_4arch9wavefront6targetE1EEEvSK_.has_recursion, 0
	.set _ZN7rocprim17ROCPRIM_400000_NS6detail17trampoline_kernelINS0_14default_configENS1_35radix_sort_onesweep_config_selectorIiNS0_10empty_typeEEEZZNS1_29radix_sort_onesweep_iterationIS3_Lb0EN6thrust23THRUST_200600_302600_NS6detail15normal_iteratorINS9_10device_ptrIiEEEESE_PS5_SF_jNS0_19identity_decomposerENS1_16block_id_wrapperIjLb0EEEEE10hipError_tT1_PNSt15iterator_traitsISK_E10value_typeET2_T3_PNSL_ISQ_E10value_typeET4_T5_PSV_SW_PNS1_23onesweep_lookback_stateEbbT6_jjT7_P12ihipStream_tbENKUlT_T0_SK_SP_E_clIPiSE_SF_SF_EEDaS13_S14_SK_SP_EUlS13_E_NS1_11comp_targetILNS1_3genE0ELNS1_11target_archE4294967295ELNS1_3gpuE0ELNS1_3repE0EEENS1_47radix_sort_onesweep_sort_config_static_selectorELNS0_4arch9wavefront6targetE1EEEvSK_.has_indirect_call, 0
	.section	.AMDGPU.csdata,"",@progbits
; Kernel info:
; codeLenInByte = 0
; TotalNumSgprs: 6
; NumVgprs: 0
; NumAgprs: 0
; TotalNumVgprs: 0
; ScratchSize: 0
; MemoryBound: 0
; FloatMode: 240
; IeeeMode: 1
; LDSByteSize: 0 bytes/workgroup (compile time only)
; SGPRBlocks: 0
; VGPRBlocks: 0
; NumSGPRsForWavesPerEU: 6
; NumVGPRsForWavesPerEU: 1
; AccumOffset: 4
; Occupancy: 8
; WaveLimiterHint : 0
; COMPUTE_PGM_RSRC2:SCRATCH_EN: 0
; COMPUTE_PGM_RSRC2:USER_SGPR: 2
; COMPUTE_PGM_RSRC2:TRAP_HANDLER: 0
; COMPUTE_PGM_RSRC2:TGID_X_EN: 1
; COMPUTE_PGM_RSRC2:TGID_Y_EN: 0
; COMPUTE_PGM_RSRC2:TGID_Z_EN: 0
; COMPUTE_PGM_RSRC2:TIDIG_COMP_CNT: 0
; COMPUTE_PGM_RSRC3_GFX90A:ACCUM_OFFSET: 0
; COMPUTE_PGM_RSRC3_GFX90A:TG_SPLIT: 0
	.section	.text._ZN7rocprim17ROCPRIM_400000_NS6detail17trampoline_kernelINS0_14default_configENS1_35radix_sort_onesweep_config_selectorIiNS0_10empty_typeEEEZZNS1_29radix_sort_onesweep_iterationIS3_Lb0EN6thrust23THRUST_200600_302600_NS6detail15normal_iteratorINS9_10device_ptrIiEEEESE_PS5_SF_jNS0_19identity_decomposerENS1_16block_id_wrapperIjLb0EEEEE10hipError_tT1_PNSt15iterator_traitsISK_E10value_typeET2_T3_PNSL_ISQ_E10value_typeET4_T5_PSV_SW_PNS1_23onesweep_lookback_stateEbbT6_jjT7_P12ihipStream_tbENKUlT_T0_SK_SP_E_clIPiSE_SF_SF_EEDaS13_S14_SK_SP_EUlS13_E_NS1_11comp_targetILNS1_3genE6ELNS1_11target_archE950ELNS1_3gpuE13ELNS1_3repE0EEENS1_47radix_sort_onesweep_sort_config_static_selectorELNS0_4arch9wavefront6targetE1EEEvSK_,"axG",@progbits,_ZN7rocprim17ROCPRIM_400000_NS6detail17trampoline_kernelINS0_14default_configENS1_35radix_sort_onesweep_config_selectorIiNS0_10empty_typeEEEZZNS1_29radix_sort_onesweep_iterationIS3_Lb0EN6thrust23THRUST_200600_302600_NS6detail15normal_iteratorINS9_10device_ptrIiEEEESE_PS5_SF_jNS0_19identity_decomposerENS1_16block_id_wrapperIjLb0EEEEE10hipError_tT1_PNSt15iterator_traitsISK_E10value_typeET2_T3_PNSL_ISQ_E10value_typeET4_T5_PSV_SW_PNS1_23onesweep_lookback_stateEbbT6_jjT7_P12ihipStream_tbENKUlT_T0_SK_SP_E_clIPiSE_SF_SF_EEDaS13_S14_SK_SP_EUlS13_E_NS1_11comp_targetILNS1_3genE6ELNS1_11target_archE950ELNS1_3gpuE13ELNS1_3repE0EEENS1_47radix_sort_onesweep_sort_config_static_selectorELNS0_4arch9wavefront6targetE1EEEvSK_,comdat
	.protected	_ZN7rocprim17ROCPRIM_400000_NS6detail17trampoline_kernelINS0_14default_configENS1_35radix_sort_onesweep_config_selectorIiNS0_10empty_typeEEEZZNS1_29radix_sort_onesweep_iterationIS3_Lb0EN6thrust23THRUST_200600_302600_NS6detail15normal_iteratorINS9_10device_ptrIiEEEESE_PS5_SF_jNS0_19identity_decomposerENS1_16block_id_wrapperIjLb0EEEEE10hipError_tT1_PNSt15iterator_traitsISK_E10value_typeET2_T3_PNSL_ISQ_E10value_typeET4_T5_PSV_SW_PNS1_23onesweep_lookback_stateEbbT6_jjT7_P12ihipStream_tbENKUlT_T0_SK_SP_E_clIPiSE_SF_SF_EEDaS13_S14_SK_SP_EUlS13_E_NS1_11comp_targetILNS1_3genE6ELNS1_11target_archE950ELNS1_3gpuE13ELNS1_3repE0EEENS1_47radix_sort_onesweep_sort_config_static_selectorELNS0_4arch9wavefront6targetE1EEEvSK_ ; -- Begin function _ZN7rocprim17ROCPRIM_400000_NS6detail17trampoline_kernelINS0_14default_configENS1_35radix_sort_onesweep_config_selectorIiNS0_10empty_typeEEEZZNS1_29radix_sort_onesweep_iterationIS3_Lb0EN6thrust23THRUST_200600_302600_NS6detail15normal_iteratorINS9_10device_ptrIiEEEESE_PS5_SF_jNS0_19identity_decomposerENS1_16block_id_wrapperIjLb0EEEEE10hipError_tT1_PNSt15iterator_traitsISK_E10value_typeET2_T3_PNSL_ISQ_E10value_typeET4_T5_PSV_SW_PNS1_23onesweep_lookback_stateEbbT6_jjT7_P12ihipStream_tbENKUlT_T0_SK_SP_E_clIPiSE_SF_SF_EEDaS13_S14_SK_SP_EUlS13_E_NS1_11comp_targetILNS1_3genE6ELNS1_11target_archE950ELNS1_3gpuE13ELNS1_3repE0EEENS1_47radix_sort_onesweep_sort_config_static_selectorELNS0_4arch9wavefront6targetE1EEEvSK_
	.globl	_ZN7rocprim17ROCPRIM_400000_NS6detail17trampoline_kernelINS0_14default_configENS1_35radix_sort_onesweep_config_selectorIiNS0_10empty_typeEEEZZNS1_29radix_sort_onesweep_iterationIS3_Lb0EN6thrust23THRUST_200600_302600_NS6detail15normal_iteratorINS9_10device_ptrIiEEEESE_PS5_SF_jNS0_19identity_decomposerENS1_16block_id_wrapperIjLb0EEEEE10hipError_tT1_PNSt15iterator_traitsISK_E10value_typeET2_T3_PNSL_ISQ_E10value_typeET4_T5_PSV_SW_PNS1_23onesweep_lookback_stateEbbT6_jjT7_P12ihipStream_tbENKUlT_T0_SK_SP_E_clIPiSE_SF_SF_EEDaS13_S14_SK_SP_EUlS13_E_NS1_11comp_targetILNS1_3genE6ELNS1_11target_archE950ELNS1_3gpuE13ELNS1_3repE0EEENS1_47radix_sort_onesweep_sort_config_static_selectorELNS0_4arch9wavefront6targetE1EEEvSK_
	.p2align	8
	.type	_ZN7rocprim17ROCPRIM_400000_NS6detail17trampoline_kernelINS0_14default_configENS1_35radix_sort_onesweep_config_selectorIiNS0_10empty_typeEEEZZNS1_29radix_sort_onesweep_iterationIS3_Lb0EN6thrust23THRUST_200600_302600_NS6detail15normal_iteratorINS9_10device_ptrIiEEEESE_PS5_SF_jNS0_19identity_decomposerENS1_16block_id_wrapperIjLb0EEEEE10hipError_tT1_PNSt15iterator_traitsISK_E10value_typeET2_T3_PNSL_ISQ_E10value_typeET4_T5_PSV_SW_PNS1_23onesweep_lookback_stateEbbT6_jjT7_P12ihipStream_tbENKUlT_T0_SK_SP_E_clIPiSE_SF_SF_EEDaS13_S14_SK_SP_EUlS13_E_NS1_11comp_targetILNS1_3genE6ELNS1_11target_archE950ELNS1_3gpuE13ELNS1_3repE0EEENS1_47radix_sort_onesweep_sort_config_static_selectorELNS0_4arch9wavefront6targetE1EEEvSK_,@function
_ZN7rocprim17ROCPRIM_400000_NS6detail17trampoline_kernelINS0_14default_configENS1_35radix_sort_onesweep_config_selectorIiNS0_10empty_typeEEEZZNS1_29radix_sort_onesweep_iterationIS3_Lb0EN6thrust23THRUST_200600_302600_NS6detail15normal_iteratorINS9_10device_ptrIiEEEESE_PS5_SF_jNS0_19identity_decomposerENS1_16block_id_wrapperIjLb0EEEEE10hipError_tT1_PNSt15iterator_traitsISK_E10value_typeET2_T3_PNSL_ISQ_E10value_typeET4_T5_PSV_SW_PNS1_23onesweep_lookback_stateEbbT6_jjT7_P12ihipStream_tbENKUlT_T0_SK_SP_E_clIPiSE_SF_SF_EEDaS13_S14_SK_SP_EUlS13_E_NS1_11comp_targetILNS1_3genE6ELNS1_11target_archE950ELNS1_3gpuE13ELNS1_3repE0EEENS1_47radix_sort_onesweep_sort_config_static_selectorELNS0_4arch9wavefront6targetE1EEEvSK_: ; @_ZN7rocprim17ROCPRIM_400000_NS6detail17trampoline_kernelINS0_14default_configENS1_35radix_sort_onesweep_config_selectorIiNS0_10empty_typeEEEZZNS1_29radix_sort_onesweep_iterationIS3_Lb0EN6thrust23THRUST_200600_302600_NS6detail15normal_iteratorINS9_10device_ptrIiEEEESE_PS5_SF_jNS0_19identity_decomposerENS1_16block_id_wrapperIjLb0EEEEE10hipError_tT1_PNSt15iterator_traitsISK_E10value_typeET2_T3_PNSL_ISQ_E10value_typeET4_T5_PSV_SW_PNS1_23onesweep_lookback_stateEbbT6_jjT7_P12ihipStream_tbENKUlT_T0_SK_SP_E_clIPiSE_SF_SF_EEDaS13_S14_SK_SP_EUlS13_E_NS1_11comp_targetILNS1_3genE6ELNS1_11target_archE950ELNS1_3gpuE13ELNS1_3repE0EEENS1_47radix_sort_onesweep_sort_config_static_selectorELNS0_4arch9wavefront6targetE1EEEvSK_
; %bb.0:
	s_load_dwordx2 s[28:29], s[0:1], 0x38
	s_load_dwordx4 s[20:23], s[0:1], 0x44
	s_load_dwordx4 s[24:27], s[0:1], 0x0
	;; [unrolled: 1-line block ×3, first 2 shown]
	s_mov_b64 s[4:5], -1
	v_mbcnt_lo_u32_b32 v1, -1, 0
	s_waitcnt lgkmcnt(0)
	s_cmp_ge_u32 s2, s22
	s_cbranch_scc0 .LBB205_82
; %bb.1:
	s_load_dword s3, s[0:1], 0x20
	s_lshl_b32 s6, s22, 13
	s_lshl_b32 s4, s2, 13
	s_mov_b32 s5, 0
	v_and_b32_e32 v10, 0x3ff, v0
	s_waitcnt lgkmcnt(0)
	s_sub_i32 s3, s3, s6
	s_lshl_b64 s[4:5], s[4:5], 2
	v_mbcnt_hi_u32_b32 v16, -1, v1
	s_add_u32 s4, s24, s4
	v_and_b32_e32 v6, 63, v16
	v_lshlrev_b32_e32 v2, 3, v10
	s_addc_u32 s5, s25, s5
	v_and_b32_e32 v7, 0x1e00, v2
	v_lshlrev_b32_e32 v2, 2, v6
	v_mov_b32_e32 v3, 0
	v_lshl_add_u64 v[4:5], s[4:5], 0, v[2:3]
	v_lshlrev_b32_e32 v2, 2, v7
	v_lshl_add_u64 v[12:13], v[4:5], 0, v[2:3]
	v_or_b32_e32 v11, v6, v7
	v_bfrev_b32_e32 v2, -2
	v_cmp_gt_u32_e32 vcc, s3, v11
	v_mov_b32_e32 v3, v2
	v_mov_b32_e32 v4, v2
	;; [unrolled: 1-line block ×7, first 2 shown]
	s_and_saveexec_b64 s[4:5], vcc
	s_cbranch_execz .LBB205_3
; %bb.2:
	global_load_dword v18, v[12:13], off
	v_mov_b32_e32 v19, v2
	v_mov_b32_e32 v20, v2
	v_mov_b32_e32 v21, v2
	v_mov_b32_e32 v22, v2
	v_mov_b32_e32 v23, v2
	v_mov_b32_e32 v24, v2
	v_mov_b32_e32 v25, v2
	s_waitcnt vmcnt(0)
	v_mov_b64_e32 v[2:3], v[18:19]
	v_mov_b64_e32 v[4:5], v[20:21]
	;; [unrolled: 1-line block ×4, first 2 shown]
.LBB205_3:
	s_or_b64 exec, exec, s[4:5]
	v_or_b32_e32 v14, 64, v11
	v_cmp_gt_u32_e32 vcc, s3, v14
	s_and_saveexec_b64 s[4:5], vcc
	s_cbranch_execz .LBB205_5
; %bb.4:
	global_load_dword v3, v[12:13], off offset:256
.LBB205_5:
	s_or_b64 exec, exec, s[4:5]
	v_or_b32_e32 v14, 0x80, v11
	v_cmp_gt_u32_e32 vcc, s3, v14
	s_and_saveexec_b64 s[4:5], vcc
	s_cbranch_execz .LBB205_7
; %bb.6:
	global_load_dword v4, v[12:13], off offset:512
.LBB205_7:
	;; [unrolled: 8-line block ×7, first 2 shown]
	s_or_b64 exec, exec, s[4:5]
	s_load_dword s4, s[0:1], 0x64
	s_load_dword s22, s[0:1], 0x58
	s_add_u32 s5, s0, 0x58
	s_addc_u32 s6, s1, 0
	v_mov_b32_e32 v13, 0
	s_waitcnt lgkmcnt(0)
	s_lshr_b32 s7, s4, 16
	s_cmp_lt_u32 s2, s22
	s_cselect_b32 s4, 12, 18
	s_add_u32 s4, s5, s4
	s_addc_u32 s5, s6, 0
	global_load_ushort v30, v13, s[4:5]
	v_xor_b32_e32 v11, 0x80000000, v2
	v_lshrrev_b32_e32 v15, s20, v11
	s_lshl_b32 s4, -1, s21
	v_bfe_u32 v2, v0, 10, 10
	v_bfe_u32 v12, v0, 20, 10
	v_bitop3_b32 v31, v15, s4, v15 bitop3:0x30
	v_mad_u32_u24 v2, v12, s7, v2
	v_and_b32_e32 v12, 1, v31
	v_lshlrev_b32_e32 v15, 30, v31
	v_mov_b32_e32 v14, v13
	v_mov_b32_e32 v20, v13
	v_lshlrev_b32_e32 v19, 29, v31
	v_lshlrev_b32_e32 v21, 28, v31
	v_lshl_add_u64 v[28:29], v[12:13], 0, -1
	v_cmp_ne_u32_e32 vcc, 0, v12
	v_not_b32_e32 v12, v15
	v_mov_b32_e32 v18, v13
	v_mov_b32_e32 v22, v13
	s_not_b32 s23, s4
	v_lshlrev_b32_e32 v23, 27, v31
	v_cmp_gt_i64_e64 s[4:5], 0, v[14:15]
	v_not_b32_e32 v14, v19
	v_cmp_gt_i64_e64 s[8:9], 0, v[20:21]
	v_not_b32_e32 v15, v21
	v_xor_b32_e32 v21, vcc_hi, v29
	v_ashrrev_i32_e32 v12, 31, v12
	v_mov_b32_e32 v24, v13
	v_lshlrev_b32_e32 v25, 26, v31
	v_cmp_gt_i64_e64 s[6:7], 0, v[18:19]
	v_cmp_gt_i64_e64 s[10:11], 0, v[22:23]
	v_not_b32_e32 v18, v23
	v_xor_b32_e32 v22, vcc_lo, v28
	v_ashrrev_i32_e32 v14, 31, v14
	v_and_b32_e32 v21, exec_hi, v21
	v_xor_b32_e32 v23, s5, v12
	v_cmp_gt_i64_e64 s[12:13], 0, v[24:25]
	v_ashrrev_i32_e32 v15, 31, v15
	v_and_b32_e32 v22, exec_lo, v22
	v_xor_b32_e32 v12, s4, v12
	v_xor_b32_e32 v24, s7, v14
	v_and_b32_e32 v21, v21, v23
	v_mov_b32_e32 v26, v13
	v_lshlrev_b32_e32 v27, 25, v31
	v_not_b32_e32 v19, v25
	v_ashrrev_i32_e32 v18, 31, v18
	v_xor_b32_e32 v14, s6, v14
	v_xor_b32_e32 v25, s9, v15
	v_and_b32_e32 v12, v22, v12
	v_and_b32_e32 v21, v21, v24
	v_cmp_gt_i64_e64 s[14:15], 0, v[26:27]
	v_not_b32_e32 v20, v27
	v_ashrrev_i32_e32 v19, 31, v19
	v_xor_b32_e32 v26, s11, v18
	v_and_b32_e32 v12, v12, v14
	v_and_b32_e32 v14, v21, v25
	v_ashrrev_i32_e32 v20, 31, v20
	v_xor_b32_e32 v15, s8, v15
	v_xor_b32_e32 v27, s13, v19
	v_and_b32_e32 v14, v14, v26
	v_xor_b32_e32 v18, s10, v18
	v_xor_b32_e32 v28, s15, v20
	v_and_b32_e32 v12, v12, v15
	v_and_b32_e32 v14, v14, v27
	;; [unrolled: 1-line block ×4, first 2 shown]
	v_xor_b32_e32 v19, s12, v19
	v_xor_b32_e32 v20, s14, v20
	v_and_b32_e32 v12, v12, v19
	v_and_b32_e32 v12, v12, v20
	s_movk_i32 s30, 0x44
	v_mul_lo_u32 v32, v31, s30
	v_mul_u32_u24_e32 v17, 20, v10
	ds_write2_b32 v17, v13, v13 offset0:16 offset1:17
	ds_write2_b32 v17, v13, v13 offset0:18 offset1:19
	ds_write_b32 v17, v13 offset:80
	s_waitcnt lgkmcnt(0)
	s_barrier
	s_waitcnt vmcnt(0)
	; wave barrier
	v_mad_u64_u32 v[14:15], s[4:5], v2, v30, v[10:11]
	v_lshrrev_b32_e32 v2, 4, v14
	v_lshlrev_b32_e32 v15, 24, v31
	v_and_b32_e32 v30, 0xffffffc, v2
	v_mov_b32_e32 v14, v13
	v_not_b32_e32 v2, v15
	v_cmp_gt_i64_e32 vcc, 0, v[14:15]
	v_ashrrev_i32_e32 v2, 31, v2
	v_add_u32_e32 v22, v30, v32
	v_xor_b32_e32 v14, vcc_hi, v2
	v_xor_b32_e32 v2, vcc_lo, v2
	v_and_b32_e32 v15, v18, v14
	v_and_b32_e32 v14, v12, v2
	v_mbcnt_lo_u32_b32 v2, v14, 0
	v_mbcnt_hi_u32_b32 v18, v15, v2
	v_cmp_eq_u32_e32 vcc, 0, v18
	v_cmp_ne_u64_e64 s[4:5], 0, v[14:15]
	s_and_b64 s[6:7], s[4:5], vcc
	s_and_saveexec_b64 s[4:5], s[6:7]
; %bb.18:
	v_bcnt_u32_b32 v2, v14, 0
	v_bcnt_u32_b32 v2, v15, v2
	ds_write_b32 v22, v2 offset:64
; %bb.19:
	s_or_b64 exec, exec, s[4:5]
	v_xor_b32_e32 v14, 0x80000000, v3
	v_lshrrev_b32_e32 v2, s20, v14
	v_and_b32_e32 v15, s23, v2
	v_mul_lo_u32 v2, v15, s30
	v_and_b32_e32 v12, 1, v15
	v_add_u32_e32 v23, v30, v2
	v_lshl_add_u64 v[2:3], v[12:13], 0, -1
	v_cmp_ne_u32_e32 vcc, 0, v12
	; wave barrier
	s_nop 1
	v_xor_b32_e32 v3, vcc_hi, v3
	v_xor_b32_e32 v2, vcc_lo, v2
	v_and_b32_e32 v12, exec_hi, v3
	v_and_b32_e32 v20, exec_lo, v2
	v_lshlrev_b32_e32 v3, 30, v15
	v_mov_b32_e32 v2, v13
	v_cmp_gt_i64_e32 vcc, 0, v[2:3]
	v_not_b32_e32 v2, v3
	v_ashrrev_i32_e32 v2, 31, v2
	v_xor_b32_e32 v3, vcc_hi, v2
	v_xor_b32_e32 v2, vcc_lo, v2
	v_and_b32_e32 v12, v12, v3
	v_and_b32_e32 v20, v20, v2
	v_lshlrev_b32_e32 v3, 29, v15
	v_mov_b32_e32 v2, v13
	v_cmp_gt_i64_e32 vcc, 0, v[2:3]
	v_not_b32_e32 v2, v3
	v_ashrrev_i32_e32 v2, 31, v2
	v_xor_b32_e32 v3, vcc_hi, v2
	v_xor_b32_e32 v2, vcc_lo, v2
	v_and_b32_e32 v12, v12, v3
	v_and_b32_e32 v20, v20, v2
	;; [unrolled: 9-line block ×6, first 2 shown]
	v_lshlrev_b32_e32 v3, 24, v15
	v_mov_b32_e32 v2, v13
	v_cmp_gt_i64_e32 vcc, 0, v[2:3]
	v_not_b32_e32 v2, v3
	v_ashrrev_i32_e32 v2, 31, v2
	v_xor_b32_e32 v3, vcc_hi, v2
	v_xor_b32_e32 v2, vcc_lo, v2
	ds_read_b32 v19, v23 offset:64
	v_and_b32_e32 v2, v20, v2
	v_and_b32_e32 v3, v12, v3
	v_mbcnt_lo_u32_b32 v12, v2, 0
	v_mbcnt_hi_u32_b32 v20, v3, v12
	v_cmp_eq_u32_e32 vcc, 0, v20
	v_cmp_ne_u64_e64 s[4:5], 0, v[2:3]
	s_and_b64 s[6:7], s[4:5], vcc
	; wave barrier
	s_and_saveexec_b64 s[4:5], s[6:7]
	s_cbranch_execz .LBB205_21
; %bb.20:
	v_bcnt_u32_b32 v2, v2, 0
	v_bcnt_u32_b32 v2, v3, v2
	s_waitcnt lgkmcnt(0)
	v_add_u32_e32 v2, v19, v2
	ds_write_b32 v23, v2 offset:64
.LBB205_21:
	s_or_b64 exec, exec, s[4:5]
	v_xor_b32_e32 v15, 0x80000000, v4
	v_lshrrev_b32_e32 v2, s20, v15
	v_and_b32_e32 v4, s23, v2
	s_movk_i32 s6, 0x44
	v_mul_lo_u32 v2, v4, s6
	v_add_u32_e32 v27, v30, v2
	v_and_b32_e32 v2, 1, v4
	v_mov_b32_e32 v3, 0
	v_lshl_add_u64 v[12:13], v[2:3], 0, -1
	v_cmp_ne_u32_e32 vcc, 0, v2
	; wave barrier
	s_nop 1
	v_xor_b32_e32 v12, vcc_lo, v12
	v_xor_b32_e32 v2, vcc_hi, v13
	v_and_b32_e32 v24, exec_lo, v12
	v_lshlrev_b32_e32 v13, 30, v4
	v_mov_b32_e32 v12, v3
	v_cmp_gt_i64_e32 vcc, 0, v[12:13]
	v_not_b32_e32 v12, v13
	v_ashrrev_i32_e32 v12, 31, v12
	v_and_b32_e32 v2, exec_hi, v2
	v_xor_b32_e32 v13, vcc_hi, v12
	v_xor_b32_e32 v12, vcc_lo, v12
	v_and_b32_e32 v2, v2, v13
	v_and_b32_e32 v24, v24, v12
	v_lshlrev_b32_e32 v13, 29, v4
	v_mov_b32_e32 v12, v3
	v_cmp_gt_i64_e32 vcc, 0, v[12:13]
	v_not_b32_e32 v12, v13
	v_ashrrev_i32_e32 v12, 31, v12
	v_xor_b32_e32 v13, vcc_hi, v12
	v_xor_b32_e32 v12, vcc_lo, v12
	v_and_b32_e32 v2, v2, v13
	v_and_b32_e32 v24, v24, v12
	v_lshlrev_b32_e32 v13, 28, v4
	v_mov_b32_e32 v12, v3
	v_cmp_gt_i64_e32 vcc, 0, v[12:13]
	v_not_b32_e32 v12, v13
	v_ashrrev_i32_e32 v12, 31, v12
	;; [unrolled: 9-line block ×5, first 2 shown]
	v_xor_b32_e32 v13, vcc_hi, v12
	v_xor_b32_e32 v12, vcc_lo, v12
	v_and_b32_e32 v2, v2, v13
	v_lshlrev_b32_e32 v13, 24, v4
	v_and_b32_e32 v24, v24, v12
	v_mov_b32_e32 v12, v3
	v_not_b32_e32 v4, v13
	v_cmp_gt_i64_e32 vcc, 0, v[12:13]
	v_ashrrev_i32_e32 v4, 31, v4
	ds_read_b32 v21, v27 offset:64
	v_xor_b32_e32 v12, vcc_hi, v4
	v_xor_b32_e32 v4, vcc_lo, v4
	v_and_b32_e32 v13, v2, v12
	v_and_b32_e32 v12, v24, v4
	v_mbcnt_lo_u32_b32 v2, v12, 0
	v_mbcnt_hi_u32_b32 v25, v13, v2
	v_cmp_eq_u32_e32 vcc, 0, v25
	v_cmp_ne_u64_e64 s[4:5], 0, v[12:13]
	s_and_b64 s[8:9], s[4:5], vcc
	; wave barrier
	s_and_saveexec_b64 s[4:5], s[8:9]
	s_cbranch_execz .LBB205_23
; %bb.22:
	v_bcnt_u32_b32 v2, v12, 0
	v_bcnt_u32_b32 v2, v13, v2
	s_waitcnt lgkmcnt(0)
	v_add_u32_e32 v2, v21, v2
	ds_write_b32 v27, v2 offset:64
.LBB205_23:
	s_or_b64 exec, exec, s[4:5]
	v_xor_b32_e32 v12, 0x80000000, v5
	v_lshrrev_b32_e32 v2, s20, v12
	v_and_b32_e32 v13, s23, v2
	v_mul_lo_u32 v2, v13, s6
	v_add_u32_e32 v31, v30, v2
	v_and_b32_e32 v2, 1, v13
	v_lshl_add_u64 v[4:5], v[2:3], 0, -1
	v_cmp_ne_u32_e32 vcc, 0, v2
	; wave barrier
	s_nop 1
	v_xor_b32_e32 v4, vcc_lo, v4
	v_xor_b32_e32 v2, vcc_hi, v5
	v_and_b32_e32 v24, exec_lo, v4
	v_lshlrev_b32_e32 v5, 30, v13
	v_mov_b32_e32 v4, v3
	v_cmp_gt_i64_e32 vcc, 0, v[4:5]
	v_not_b32_e32 v4, v5
	v_ashrrev_i32_e32 v4, 31, v4
	v_and_b32_e32 v2, exec_hi, v2
	v_xor_b32_e32 v5, vcc_hi, v4
	v_xor_b32_e32 v4, vcc_lo, v4
	v_and_b32_e32 v2, v2, v5
	v_and_b32_e32 v24, v24, v4
	v_lshlrev_b32_e32 v5, 29, v13
	v_mov_b32_e32 v4, v3
	v_cmp_gt_i64_e32 vcc, 0, v[4:5]
	v_not_b32_e32 v4, v5
	v_ashrrev_i32_e32 v4, 31, v4
	v_xor_b32_e32 v5, vcc_hi, v4
	v_xor_b32_e32 v4, vcc_lo, v4
	v_and_b32_e32 v2, v2, v5
	v_and_b32_e32 v24, v24, v4
	v_lshlrev_b32_e32 v5, 28, v13
	v_mov_b32_e32 v4, v3
	v_cmp_gt_i64_e32 vcc, 0, v[4:5]
	v_not_b32_e32 v4, v5
	v_ashrrev_i32_e32 v4, 31, v4
	;; [unrolled: 9-line block ×5, first 2 shown]
	v_xor_b32_e32 v5, vcc_hi, v4
	v_xor_b32_e32 v4, vcc_lo, v4
	v_and_b32_e32 v2, v2, v5
	v_lshlrev_b32_e32 v5, 24, v13
	v_and_b32_e32 v24, v24, v4
	v_mov_b32_e32 v4, v3
	v_not_b32_e32 v3, v5
	v_cmp_gt_i64_e32 vcc, 0, v[4:5]
	v_ashrrev_i32_e32 v3, 31, v3
	ds_read_b32 v26, v31 offset:64
	v_xor_b32_e32 v4, vcc_hi, v3
	v_xor_b32_e32 v5, vcc_lo, v3
	v_and_b32_e32 v3, v2, v4
	v_and_b32_e32 v2, v24, v5
	v_mbcnt_lo_u32_b32 v4, v2, 0
	v_mbcnt_hi_u32_b32 v28, v3, v4
	v_cmp_eq_u32_e32 vcc, 0, v28
	v_cmp_ne_u64_e64 s[4:5], 0, v[2:3]
	s_and_b64 s[6:7], s[4:5], vcc
	; wave barrier
	s_and_saveexec_b64 s[4:5], s[6:7]
	s_cbranch_execz .LBB205_25
; %bb.24:
	v_bcnt_u32_b32 v2, v2, 0
	v_bcnt_u32_b32 v2, v3, v2
	s_waitcnt lgkmcnt(0)
	v_add_u32_e32 v2, v26, v2
	ds_write_b32 v31, v2 offset:64
.LBB205_25:
	s_or_b64 exec, exec, s[4:5]
	v_xor_b32_e32 v13, 0x80000000, v6
	v_lshrrev_b32_e32 v2, s20, v13
	v_and_b32_e32 v24, s23, v2
	s_movk_i32 s6, 0x44
	v_mul_lo_u32 v2, v24, s6
	v_add_u32_e32 v6, v30, v2
	v_and_b32_e32 v2, 1, v24
	v_mov_b32_e32 v3, 0
	v_lshl_add_u64 v[4:5], v[2:3], 0, -1
	v_cmp_ne_u32_e32 vcc, 0, v2
	; wave barrier
	s_nop 1
	v_xor_b32_e32 v4, vcc_lo, v4
	v_xor_b32_e32 v2, vcc_hi, v5
	v_and_b32_e32 v32, exec_lo, v4
	v_lshlrev_b32_e32 v5, 30, v24
	v_mov_b32_e32 v4, v3
	v_cmp_gt_i64_e32 vcc, 0, v[4:5]
	v_not_b32_e32 v4, v5
	v_ashrrev_i32_e32 v4, 31, v4
	v_and_b32_e32 v2, exec_hi, v2
	v_xor_b32_e32 v5, vcc_hi, v4
	v_xor_b32_e32 v4, vcc_lo, v4
	v_and_b32_e32 v2, v2, v5
	v_and_b32_e32 v32, v32, v4
	v_lshlrev_b32_e32 v5, 29, v24
	v_mov_b32_e32 v4, v3
	v_cmp_gt_i64_e32 vcc, 0, v[4:5]
	v_not_b32_e32 v4, v5
	v_ashrrev_i32_e32 v4, 31, v4
	v_xor_b32_e32 v5, vcc_hi, v4
	v_xor_b32_e32 v4, vcc_lo, v4
	v_and_b32_e32 v2, v2, v5
	v_and_b32_e32 v32, v32, v4
	v_lshlrev_b32_e32 v5, 28, v24
	v_mov_b32_e32 v4, v3
	v_cmp_gt_i64_e32 vcc, 0, v[4:5]
	v_not_b32_e32 v4, v5
	v_ashrrev_i32_e32 v4, 31, v4
	;; [unrolled: 9-line block ×6, first 2 shown]
	v_xor_b32_e32 v5, vcc_hi, v4
	v_xor_b32_e32 v4, vcc_lo, v4
	ds_read_b32 v29, v6 offset:64
	v_and_b32_e32 v4, v32, v4
	v_and_b32_e32 v5, v2, v5
	v_mbcnt_lo_u32_b32 v2, v4, 0
	v_mbcnt_hi_u32_b32 v32, v5, v2
	v_cmp_eq_u32_e32 vcc, 0, v32
	v_cmp_ne_u64_e64 s[4:5], 0, v[4:5]
	s_and_b64 s[8:9], s[4:5], vcc
	; wave barrier
	s_and_saveexec_b64 s[4:5], s[8:9]
	s_cbranch_execz .LBB205_27
; %bb.26:
	v_bcnt_u32_b32 v2, v4, 0
	v_bcnt_u32_b32 v2, v5, v2
	s_waitcnt lgkmcnt(0)
	v_add_u32_e32 v2, v29, v2
	ds_write_b32 v6, v2 offset:64
.LBB205_27:
	s_or_b64 exec, exec, s[4:5]
	v_xor_b32_e32 v24, 0x80000000, v7
	v_lshrrev_b32_e32 v2, s20, v24
	v_and_b32_e32 v34, s23, v2
	v_mul_lo_u32 v2, v34, s6
	v_add_u32_e32 v7, v30, v2
	v_and_b32_e32 v2, 1, v34
	v_lshl_add_u64 v[4:5], v[2:3], 0, -1
	v_cmp_ne_u32_e32 vcc, 0, v2
	; wave barrier
	s_nop 1
	v_xor_b32_e32 v4, vcc_lo, v4
	v_xor_b32_e32 v2, vcc_hi, v5
	v_and_b32_e32 v35, exec_lo, v4
	v_lshlrev_b32_e32 v5, 30, v34
	v_mov_b32_e32 v4, v3
	v_cmp_gt_i64_e32 vcc, 0, v[4:5]
	v_not_b32_e32 v4, v5
	v_ashrrev_i32_e32 v4, 31, v4
	v_and_b32_e32 v2, exec_hi, v2
	v_xor_b32_e32 v5, vcc_hi, v4
	v_xor_b32_e32 v4, vcc_lo, v4
	v_and_b32_e32 v2, v2, v5
	v_and_b32_e32 v35, v35, v4
	v_lshlrev_b32_e32 v5, 29, v34
	v_mov_b32_e32 v4, v3
	v_cmp_gt_i64_e32 vcc, 0, v[4:5]
	v_not_b32_e32 v4, v5
	v_ashrrev_i32_e32 v4, 31, v4
	v_xor_b32_e32 v5, vcc_hi, v4
	v_xor_b32_e32 v4, vcc_lo, v4
	v_and_b32_e32 v2, v2, v5
	v_and_b32_e32 v35, v35, v4
	v_lshlrev_b32_e32 v5, 28, v34
	v_mov_b32_e32 v4, v3
	v_cmp_gt_i64_e32 vcc, 0, v[4:5]
	v_not_b32_e32 v4, v5
	v_ashrrev_i32_e32 v4, 31, v4
	v_xor_b32_e32 v5, vcc_hi, v4
	v_xor_b32_e32 v4, vcc_lo, v4
	v_and_b32_e32 v2, v2, v5
	v_and_b32_e32 v35, v35, v4
	v_lshlrev_b32_e32 v5, 27, v34
	v_mov_b32_e32 v4, v3
	v_cmp_gt_i64_e32 vcc, 0, v[4:5]
	v_not_b32_e32 v4, v5
	v_ashrrev_i32_e32 v4, 31, v4
	v_xor_b32_e32 v5, vcc_hi, v4
	v_xor_b32_e32 v4, vcc_lo, v4
	v_and_b32_e32 v2, v2, v5
	v_and_b32_e32 v35, v35, v4
	v_lshlrev_b32_e32 v5, 26, v34
	v_mov_b32_e32 v4, v3
	v_cmp_gt_i64_e32 vcc, 0, v[4:5]
	v_not_b32_e32 v4, v5
	v_ashrrev_i32_e32 v4, 31, v4
	v_xor_b32_e32 v5, vcc_hi, v4
	v_xor_b32_e32 v4, vcc_lo, v4
	v_and_b32_e32 v2, v2, v5
	v_and_b32_e32 v35, v35, v4
	v_lshlrev_b32_e32 v5, 25, v34
	v_mov_b32_e32 v4, v3
	v_cmp_gt_i64_e32 vcc, 0, v[4:5]
	v_not_b32_e32 v4, v5
	v_ashrrev_i32_e32 v4, 31, v4
	v_xor_b32_e32 v5, vcc_hi, v4
	v_xor_b32_e32 v4, vcc_lo, v4
	v_and_b32_e32 v2, v2, v5
	v_lshlrev_b32_e32 v5, 24, v34
	v_and_b32_e32 v35, v35, v4
	v_mov_b32_e32 v4, v3
	v_not_b32_e32 v3, v5
	v_cmp_gt_i64_e32 vcc, 0, v[4:5]
	v_ashrrev_i32_e32 v3, 31, v3
	ds_read_b32 v33, v7 offset:64
	v_xor_b32_e32 v4, vcc_hi, v3
	v_xor_b32_e32 v5, vcc_lo, v3
	v_and_b32_e32 v3, v2, v4
	v_and_b32_e32 v2, v35, v5
	v_mbcnt_lo_u32_b32 v4, v2, 0
	v_mbcnt_hi_u32_b32 v34, v3, v4
	v_cmp_eq_u32_e32 vcc, 0, v34
	v_cmp_ne_u64_e64 s[4:5], 0, v[2:3]
	s_and_b64 s[6:7], s[4:5], vcc
	; wave barrier
	s_and_saveexec_b64 s[4:5], s[6:7]
	s_cbranch_execz .LBB205_29
; %bb.28:
	v_bcnt_u32_b32 v2, v2, 0
	v_bcnt_u32_b32 v2, v3, v2
	s_waitcnt lgkmcnt(0)
	v_add_u32_e32 v2, v33, v2
	ds_write_b32 v7, v2 offset:64
.LBB205_29:
	s_or_b64 exec, exec, s[4:5]
	v_xor_b32_e32 v8, 0x80000000, v8
	v_lshrrev_b32_e32 v2, s20, v8
	v_and_b32_e32 v36, s23, v2
	s_movk_i32 s6, 0x44
	v_mul_lo_u32 v2, v36, s6
	v_add_u32_e32 v38, v30, v2
	v_and_b32_e32 v2, 1, v36
	v_mov_b32_e32 v3, 0
	v_lshl_add_u64 v[4:5], v[2:3], 0, -1
	v_cmp_ne_u32_e32 vcc, 0, v2
	; wave barrier
	s_nop 1
	v_xor_b32_e32 v4, vcc_lo, v4
	v_xor_b32_e32 v2, vcc_hi, v5
	v_and_b32_e32 v37, exec_lo, v4
	v_lshlrev_b32_e32 v5, 30, v36
	v_mov_b32_e32 v4, v3
	v_cmp_gt_i64_e32 vcc, 0, v[4:5]
	v_not_b32_e32 v4, v5
	v_ashrrev_i32_e32 v4, 31, v4
	v_and_b32_e32 v2, exec_hi, v2
	v_xor_b32_e32 v5, vcc_hi, v4
	v_xor_b32_e32 v4, vcc_lo, v4
	v_and_b32_e32 v2, v2, v5
	v_and_b32_e32 v37, v37, v4
	v_lshlrev_b32_e32 v5, 29, v36
	v_mov_b32_e32 v4, v3
	v_cmp_gt_i64_e32 vcc, 0, v[4:5]
	v_not_b32_e32 v4, v5
	v_ashrrev_i32_e32 v4, 31, v4
	v_xor_b32_e32 v5, vcc_hi, v4
	v_xor_b32_e32 v4, vcc_lo, v4
	v_and_b32_e32 v2, v2, v5
	v_and_b32_e32 v37, v37, v4
	v_lshlrev_b32_e32 v5, 28, v36
	v_mov_b32_e32 v4, v3
	v_cmp_gt_i64_e32 vcc, 0, v[4:5]
	v_not_b32_e32 v4, v5
	v_ashrrev_i32_e32 v4, 31, v4
	;; [unrolled: 9-line block ×6, first 2 shown]
	v_xor_b32_e32 v5, vcc_hi, v4
	v_xor_b32_e32 v4, vcc_lo, v4
	ds_read_b32 v35, v38 offset:64
	v_and_b32_e32 v4, v37, v4
	v_and_b32_e32 v5, v2, v5
	v_mbcnt_lo_u32_b32 v2, v4, 0
	v_mbcnt_hi_u32_b32 v36, v5, v2
	v_cmp_eq_u32_e32 vcc, 0, v36
	v_cmp_ne_u64_e64 s[4:5], 0, v[4:5]
	s_and_b64 s[8:9], s[4:5], vcc
	; wave barrier
	s_and_saveexec_b64 s[4:5], s[8:9]
	s_cbranch_execz .LBB205_31
; %bb.30:
	v_bcnt_u32_b32 v2, v4, 0
	v_bcnt_u32_b32 v2, v5, v2
	s_waitcnt lgkmcnt(0)
	v_add_u32_e32 v2, v35, v2
	ds_write_b32 v38, v2 offset:64
.LBB205_31:
	s_or_b64 exec, exec, s[4:5]
	v_xor_b32_e32 v9, 0x80000000, v9
	v_lshrrev_b32_e32 v2, s20, v9
	v_and_b32_e32 v39, s23, v2
	v_mul_lo_u32 v2, v39, s6
	v_add_u32_e32 v40, v30, v2
	v_and_b32_e32 v2, 1, v39
	v_lshl_add_u64 v[4:5], v[2:3], 0, -1
	v_cmp_ne_u32_e32 vcc, 0, v2
	; wave barrier
	s_nop 1
	v_xor_b32_e32 v4, vcc_lo, v4
	v_xor_b32_e32 v2, vcc_hi, v5
	v_and_b32_e32 v30, exec_lo, v4
	v_lshlrev_b32_e32 v5, 30, v39
	v_mov_b32_e32 v4, v3
	v_cmp_gt_i64_e32 vcc, 0, v[4:5]
	v_not_b32_e32 v4, v5
	v_ashrrev_i32_e32 v4, 31, v4
	v_and_b32_e32 v2, exec_hi, v2
	v_xor_b32_e32 v5, vcc_hi, v4
	v_xor_b32_e32 v4, vcc_lo, v4
	v_and_b32_e32 v2, v2, v5
	v_and_b32_e32 v30, v30, v4
	v_lshlrev_b32_e32 v5, 29, v39
	v_mov_b32_e32 v4, v3
	v_cmp_gt_i64_e32 vcc, 0, v[4:5]
	v_not_b32_e32 v4, v5
	v_ashrrev_i32_e32 v4, 31, v4
	v_xor_b32_e32 v5, vcc_hi, v4
	v_xor_b32_e32 v4, vcc_lo, v4
	v_and_b32_e32 v2, v2, v5
	v_and_b32_e32 v30, v30, v4
	v_lshlrev_b32_e32 v5, 28, v39
	v_mov_b32_e32 v4, v3
	v_cmp_gt_i64_e32 vcc, 0, v[4:5]
	v_not_b32_e32 v4, v5
	v_ashrrev_i32_e32 v4, 31, v4
	;; [unrolled: 9-line block ×5, first 2 shown]
	v_xor_b32_e32 v5, vcc_hi, v4
	v_xor_b32_e32 v4, vcc_lo, v4
	v_and_b32_e32 v2, v2, v5
	v_lshlrev_b32_e32 v5, 24, v39
	v_and_b32_e32 v30, v30, v4
	v_mov_b32_e32 v4, v3
	v_not_b32_e32 v3, v5
	v_cmp_gt_i64_e32 vcc, 0, v[4:5]
	v_ashrrev_i32_e32 v3, 31, v3
	ds_read_b32 v37, v40 offset:64
	v_xor_b32_e32 v4, vcc_hi, v3
	v_xor_b32_e32 v5, vcc_lo, v3
	v_and_b32_e32 v3, v2, v4
	v_and_b32_e32 v2, v30, v5
	v_mbcnt_lo_u32_b32 v4, v2, 0
	v_mbcnt_hi_u32_b32 v39, v3, v4
	v_cmp_eq_u32_e32 vcc, 0, v39
	v_cmp_ne_u64_e64 s[4:5], 0, v[2:3]
	s_and_b64 s[6:7], s[4:5], vcc
	; wave barrier
	s_and_saveexec_b64 s[4:5], s[6:7]
	s_cbranch_execz .LBB205_33
; %bb.32:
	v_bcnt_u32_b32 v2, v2, 0
	v_bcnt_u32_b32 v2, v3, v2
	s_waitcnt lgkmcnt(0)
	v_add_u32_e32 v2, v37, v2
	ds_write_b32 v40, v2 offset:64
.LBB205_33:
	s_or_b64 exec, exec, s[4:5]
	; wave barrier
	s_waitcnt lgkmcnt(0)
	s_barrier
	ds_read2_b32 v[4:5], v17 offset0:16 offset1:17
	ds_read2_b32 v[2:3], v17 offset0:18 offset1:19
	ds_read_b32 v30, v17 offset:80
	v_cmp_lt_u32_e64 s[10:11], 31, v16
	s_waitcnt lgkmcnt(1)
	v_add3_u32 v41, v5, v4, v2
	s_waitcnt lgkmcnt(0)
	v_add3_u32 v30, v41, v3, v30
	v_and_b32_e32 v41, 15, v16
	v_cmp_eq_u32_e32 vcc, 0, v41
	v_mov_b32_dpp v42, v30 row_shr:1 row_mask:0xf bank_mask:0xf
	v_cmp_lt_u32_e64 s[8:9], 1, v41
	v_cndmask_b32_e64 v42, v42, 0, vcc
	v_add_u32_e32 v30, v42, v30
	v_cmp_lt_u32_e64 s[4:5], 3, v41
	v_cmp_lt_u32_e64 s[6:7], 7, v41
	v_mov_b32_dpp v42, v30 row_shr:2 row_mask:0xf bank_mask:0xf
	v_cndmask_b32_e64 v42, 0, v42, s[8:9]
	v_add_u32_e32 v30, v30, v42
	s_nop 1
	v_mov_b32_dpp v42, v30 row_shr:4 row_mask:0xf bank_mask:0xf
	v_cndmask_b32_e64 v42, 0, v42, s[4:5]
	v_add_u32_e32 v30, v30, v42
	s_nop 1
	v_mov_b32_dpp v42, v30 row_shr:8 row_mask:0xf bank_mask:0xf
	v_cndmask_b32_e64 v41, 0, v42, s[6:7]
	v_add_u32_e32 v30, v30, v41
	v_bfe_i32 v42, v16, 4, 1
	s_nop 0
	v_mov_b32_dpp v41, v30 row_bcast:15 row_mask:0xf bank_mask:0xf
	v_and_b32_e32 v41, v42, v41
	v_add_u32_e32 v30, v30, v41
	v_lshrrev_b32_e32 v42, 6, v10
	s_nop 0
	v_mov_b32_dpp v41, v30 row_bcast:31 row_mask:0xf bank_mask:0xf
	v_cndmask_b32_e64 v41, 0, v41, s[10:11]
	v_add_u32_e32 v41, v30, v41
	v_and_b32_e32 v30, 63, v10
	v_cmp_eq_u32_e64 s[10:11], 63, v30
	s_and_saveexec_b64 s[12:13], s[10:11]
; %bb.34:
	v_lshlrev_b32_e32 v30, 2, v42
	ds_write_b32 v30, v41
; %bb.35:
	s_or_b64 exec, exec, s[12:13]
	v_cmp_gt_u32_e64 s[10:11], 16, v10
	v_lshlrev_b32_e32 v30, 2, v10
	s_waitcnt lgkmcnt(0)
	s_barrier
	s_and_saveexec_b64 s[12:13], s[10:11]
	s_cbranch_execz .LBB205_37
; %bb.36:
	ds_read_b32 v43, v30
	s_waitcnt lgkmcnt(0)
	s_nop 0
	v_mov_b32_dpp v44, v43 row_shr:1 row_mask:0xf bank_mask:0xf
	v_cndmask_b32_e64 v44, v44, 0, vcc
	v_add_u32_e32 v43, v44, v43
	s_nop 1
	v_mov_b32_dpp v44, v43 row_shr:2 row_mask:0xf bank_mask:0xf
	v_cndmask_b32_e64 v44, 0, v44, s[8:9]
	v_add_u32_e32 v43, v43, v44
	s_nop 1
	v_mov_b32_dpp v44, v43 row_shr:4 row_mask:0xf bank_mask:0xf
	v_cndmask_b32_e64 v44, 0, v44, s[4:5]
	;; [unrolled: 4-line block ×3, first 2 shown]
	v_add_u32_e32 v43, v43, v44
	ds_write_b32 v30, v43
.LBB205_37:
	s_or_b64 exec, exec, s[12:13]
	v_cmp_lt_u32_e32 vcc, 63, v10
	v_mov_b32_e32 v43, 0
	s_waitcnt lgkmcnt(0)
	s_barrier
	s_and_saveexec_b64 s[4:5], vcc
; %bb.38:
	v_lshl_add_u32 v42, v42, 2, -4
	ds_read_b32 v43, v42
; %bb.39:
	s_or_b64 exec, exec, s[4:5]
	v_subrev_co_u32_e32 v42, vcc, 1, v16
	v_and_b32_e32 v44, 64, v16
	v_cmp_lt_i32_e64 s[4:5], v42, v44
	s_waitcnt lgkmcnt(0)
	v_add_u32_e32 v41, v43, v41
	s_movk_i32 s6, 0x100
	v_cndmask_b32_e64 v16, v42, v16, s[4:5]
	v_lshlrev_b32_e32 v16, 2, v16
	ds_bpermute_b32 v16, v16, v41
	s_movk_i32 s4, 0xff
	v_cmp_lt_u32_e64 s[4:5], s4, v10
	s_waitcnt lgkmcnt(0)
	v_cndmask_b32_e32 v16, v16, v43, vcc
	v_cmp_ne_u32_e32 vcc, 0, v10
	s_nop 1
	v_cndmask_b32_e32 v16, 0, v16, vcc
	v_add_u32_e32 v4, v16, v4
	v_add_u32_e32 v5, v4, v5
	;; [unrolled: 1-line block ×4, first 2 shown]
	ds_write2_b32 v17, v16, v4 offset0:16 offset1:17
	ds_write2_b32 v17, v5, v2 offset0:18 offset1:19
	ds_write_b32 v17, v3 offset:80
	s_waitcnt lgkmcnt(0)
	s_barrier
	ds_read_b32 v22, v22 offset:64
	ds_read_b32 v23, v23 offset:64
	;; [unrolled: 1-line block ×8, first 2 shown]
	v_cmp_gt_u32_e32 vcc, s6, v10
                                        ; implicit-def: $vgpr16
                                        ; implicit-def: $vgpr17
	s_and_saveexec_b64 s[8:9], vcc
	s_cbranch_execz .LBB205_43
; %bb.40:
	v_mul_u32_u24_e32 v2, 0x44, v10
	ds_read_b32 v16, v2 offset:64
	v_add_u32_e32 v3, 1, v10
	v_cmp_ne_u32_e64 s[6:7], s6, v3
	v_mov_b32_e32 v2, 0x2000
	s_and_saveexec_b64 s[10:11], s[6:7]
; %bb.41:
	v_mul_u32_u24_e32 v2, 0x44, v3
	ds_read_b32 v2, v2 offset:64
; %bb.42:
	s_or_b64 exec, exec, s[10:11]
	s_waitcnt lgkmcnt(0)
	v_sub_u32_e32 v17, v2, v16
.LBB205_43:
	s_or_b64 exec, exec, s[8:9]
	v_mov_b32_e32 v3, 0
	s_waitcnt lgkmcnt(0)
	s_barrier
	s_and_saveexec_b64 s[6:7], vcc
	s_cbranch_execz .LBB205_53
; %bb.44:
	v_lshl_add_u32 v2, s2, 8, v10
	v_lshl_add_u64 v[4:5], v[2:3], 2, s[28:29]
	v_or_b32_e32 v2, 2.0, v17
	s_mov_b64 s[8:9], 0
	s_brev_b32 s14, -4
	s_mov_b32 s15, s2
	v_mov_b32_e32 v43, 0
	global_store_dword v[4:5], v2, off sc1
                                        ; implicit-def: $sgpr10_sgpr11
	s_branch .LBB205_47
.LBB205_45:                             ;   in Loop: Header=BB205_47 Depth=1
	s_or_b64 exec, exec, s[12:13]
.LBB205_46:                             ;   in Loop: Header=BB205_47 Depth=1
	s_or_b64 exec, exec, s[10:11]
	v_and_b32_e32 v6, 0x3fffffff, v2
	v_add_u32_e32 v43, v6, v43
	v_cmp_gt_i32_e64 s[10:11], -2.0, v2
	s_and_b64 s[12:13], exec, s[10:11]
	s_or_b64 s[8:9], s[12:13], s[8:9]
	s_andn2_b64 exec, exec, s[8:9]
	s_cbranch_execz .LBB205_52
.LBB205_47:                             ; =>This Loop Header: Depth=1
                                        ;     Child Loop BB205_50 Depth 2
	s_or_b64 s[10:11], s[10:11], exec
	s_cmp_eq_u32 s15, 0
	s_cbranch_scc1 .LBB205_51
; %bb.48:                               ;   in Loop: Header=BB205_47 Depth=1
	s_add_i32 s15, s15, -1
	v_lshl_or_b32 v2, s15, 8, v10
	v_lshl_add_u64 v[6:7], v[2:3], 2, s[28:29]
	global_load_dword v2, v[6:7], off sc1
	s_waitcnt vmcnt(0)
	v_cmp_gt_u32_e32 vcc, 2.0, v2
	s_and_saveexec_b64 s[10:11], vcc
	s_cbranch_execz .LBB205_46
; %bb.49:                               ;   in Loop: Header=BB205_47 Depth=1
	s_mov_b64 s[12:13], 0
.LBB205_50:                             ;   Parent Loop BB205_47 Depth=1
                                        ; =>  This Inner Loop Header: Depth=2
	global_load_dword v2, v[6:7], off sc1
	s_waitcnt vmcnt(0)
	v_cmp_lt_u32_e32 vcc, s14, v2
	s_or_b64 s[12:13], vcc, s[12:13]
	s_andn2_b64 exec, exec, s[12:13]
	s_cbranch_execnz .LBB205_50
	s_branch .LBB205_45
.LBB205_51:                             ;   in Loop: Header=BB205_47 Depth=1
                                        ; implicit-def: $sgpr15
	s_and_b64 s[12:13], exec, s[10:11]
	s_or_b64 s[8:9], s[12:13], s[8:9]
	s_andn2_b64 exec, exec, s[8:9]
	s_cbranch_execnz .LBB205_47
.LBB205_52:
	s_or_b64 exec, exec, s[8:9]
	v_add_u32_e32 v2, v43, v17
	v_or_b32_e32 v2, 0x80000000, v2
	global_store_dword v[4:5], v2, off sc1
	global_load_dword v2, v30, s[16:17]
	v_sub_u32_e32 v3, v43, v16
	s_waitcnt vmcnt(0)
	v_add_u32_e32 v2, v3, v2
	ds_write_b32 v30, v2
.LBB205_53:
	s_or_b64 exec, exec, s[6:7]
	v_add_u32_e32 v4, v22, v18
	v_add3_u32 v5, v20, v19, v23
	v_add3_u32 v6, v25, v21, v27
	;; [unrolled: 1-line block ×7, first 2 shown]
	v_lshlrev_b32_e32 v22, 2, v21
	v_lshlrev_b32_e32 v23, 2, v20
	;; [unrolled: 1-line block ×8, first 2 shown]
	s_mov_b64 s[6:7], -1
	s_mov_b32 s10, 0
	v_mov_b32_e32 v3, 0
	s_movk_i32 s11, 0x400
	s_movk_i32 s12, 0x800
	;; [unrolled: 1-line block ×3, first 2 shown]
	s_branch .LBB205_55
.LBB205_54:                             ;   in Loop: Header=BB205_55 Depth=1
	s_or_b64 exec, exec, s[8:9]
	s_xor_b64 s[8:9], s[6:7], -1
	s_addk_i32 s10, 0xc000
	v_add_u32_e32 v10, 0x1000, v10
	s_mov_b64 s[6:7], 0
	s_and_b64 vcc, exec, s[8:9]
	s_barrier
	s_cbranch_vccnz .LBB205_79
.LBB205_55:                             ; =>This Inner Loop Header: Depth=1
	v_subrev_co_u32_e32 v4, vcc, 0x1000, v4
	s_and_saveexec_b64 s[8:9], vcc
	s_cbranch_execz .LBB205_63
; %bb.56:                               ;   in Loop: Header=BB205_55 Depth=1
	v_add_u32_e32 v2, s10, v31
	ds_write_b32 v2, v11 offset:1024
	s_or_b64 exec, exec, s[8:9]
	v_subrev_co_u32_e32 v5, vcc, 0x1000, v5
	s_and_saveexec_b64 s[8:9], vcc
	s_cbranch_execnz .LBB205_64
.LBB205_57:                             ;   in Loop: Header=BB205_55 Depth=1
	s_or_b64 exec, exec, s[8:9]
	v_subrev_co_u32_e32 v6, vcc, 0x1000, v6
	s_and_saveexec_b64 s[8:9], vcc
	s_cbranch_execz .LBB205_65
.LBB205_58:                             ;   in Loop: Header=BB205_55 Depth=1
	v_add_u32_e32 v2, s10, v28
	ds_write_b32 v2, v15 offset:1024
	s_or_b64 exec, exec, s[8:9]
	v_subrev_co_u32_e32 v7, vcc, 0x1000, v7
	s_and_saveexec_b64 s[8:9], vcc
	s_cbranch_execnz .LBB205_66
.LBB205_59:                             ;   in Loop: Header=BB205_55 Depth=1
	s_or_b64 exec, exec, s[8:9]
	v_subrev_co_u32_e32 v18, vcc, 0x1000, v18
	s_and_saveexec_b64 s[8:9], vcc
	s_cbranch_execz .LBB205_67
.LBB205_60:                             ;   in Loop: Header=BB205_55 Depth=1
	v_add_u32_e32 v2, s10, v26
	ds_write_b32 v2, v13 offset:1024
	s_or_b64 exec, exec, s[8:9]
	v_subrev_co_u32_e32 v19, vcc, 0x1000, v19
	s_and_saveexec_b64 s[8:9], vcc
	s_cbranch_execnz .LBB205_68
.LBB205_61:                             ;   in Loop: Header=BB205_55 Depth=1
	s_or_b64 exec, exec, s[8:9]
	v_subrev_co_u32_e32 v20, vcc, 0x1000, v20
	s_and_saveexec_b64 s[8:9], vcc
	s_cbranch_execz .LBB205_69
.LBB205_62:                             ;   in Loop: Header=BB205_55 Depth=1
	v_add_u32_e32 v2, s10, v23
	ds_write_b32 v2, v8 offset:1024
	s_or_b64 exec, exec, s[8:9]
	v_subrev_co_u32_e32 v21, vcc, 0x1000, v21
	s_and_saveexec_b64 s[8:9], vcc
	s_cbranch_execnz .LBB205_70
	s_branch .LBB205_71
.LBB205_63:                             ;   in Loop: Header=BB205_55 Depth=1
	s_or_b64 exec, exec, s[8:9]
	v_subrev_co_u32_e32 v5, vcc, 0x1000, v5
	s_and_saveexec_b64 s[8:9], vcc
	s_cbranch_execz .LBB205_57
.LBB205_64:                             ;   in Loop: Header=BB205_55 Depth=1
	v_add_u32_e32 v2, s10, v29
	ds_write_b32 v2, v14 offset:1024
	s_or_b64 exec, exec, s[8:9]
	v_subrev_co_u32_e32 v6, vcc, 0x1000, v6
	s_and_saveexec_b64 s[8:9], vcc
	s_cbranch_execnz .LBB205_58
.LBB205_65:                             ;   in Loop: Header=BB205_55 Depth=1
	s_or_b64 exec, exec, s[8:9]
	v_subrev_co_u32_e32 v7, vcc, 0x1000, v7
	s_and_saveexec_b64 s[8:9], vcc
	s_cbranch_execz .LBB205_59
.LBB205_66:                             ;   in Loop: Header=BB205_55 Depth=1
	v_add_u32_e32 v2, s10, v27
	ds_write_b32 v2, v12 offset:1024
	s_or_b64 exec, exec, s[8:9]
	v_subrev_co_u32_e32 v18, vcc, 0x1000, v18
	s_and_saveexec_b64 s[8:9], vcc
	s_cbranch_execnz .LBB205_60
.LBB205_67:                             ;   in Loop: Header=BB205_55 Depth=1
	s_or_b64 exec, exec, s[8:9]
	v_subrev_co_u32_e32 v19, vcc, 0x1000, v19
	s_and_saveexec_b64 s[8:9], vcc
	s_cbranch_execz .LBB205_61
.LBB205_68:                             ;   in Loop: Header=BB205_55 Depth=1
	v_add_u32_e32 v2, s10, v25
	ds_write_b32 v2, v24 offset:1024
	s_or_b64 exec, exec, s[8:9]
	v_subrev_co_u32_e32 v20, vcc, 0x1000, v20
	s_and_saveexec_b64 s[8:9], vcc
	s_cbranch_execnz .LBB205_62
.LBB205_69:                             ;   in Loop: Header=BB205_55 Depth=1
	s_or_b64 exec, exec, s[8:9]
	v_subrev_co_u32_e32 v21, vcc, 0x1000, v21
	s_and_saveexec_b64 s[8:9], vcc
.LBB205_70:                             ;   in Loop: Header=BB205_55 Depth=1
	v_add_u32_e32 v2, s10, v22
	ds_write_b32 v2, v9 offset:1024
.LBB205_71:                             ;   in Loop: Header=BB205_55 Depth=1
	s_or_b64 exec, exec, s[8:9]
	v_cmp_gt_u32_e32 vcc, s3, v10
	s_waitcnt lgkmcnt(0)
	s_barrier
	s_and_saveexec_b64 s[8:9], vcc
	s_cbranch_execz .LBB205_73
; %bb.72:                               ;   in Loop: Header=BB205_55 Depth=1
	ds_read_b32 v2, v30 offset:1024
	s_waitcnt lgkmcnt(0)
	v_lshrrev_b32_e32 v32, s20, v2
	v_and_b32_e32 v32, s23, v32
	v_lshlrev_b32_e32 v32, 2, v32
	ds_read_b32 v32, v32
	v_xor_b32_e32 v34, 0x80000000, v2
	s_waitcnt lgkmcnt(0)
	v_add_u32_e32 v2, v10, v32
	v_lshl_add_u64 v[32:33], v[2:3], 2, s[26:27]
	global_store_dword v[32:33], v34, off
.LBB205_73:                             ;   in Loop: Header=BB205_55 Depth=1
	s_or_b64 exec, exec, s[8:9]
	v_add_u32_e32 v2, 0x400, v10
	v_cmp_gt_u32_e32 vcc, s3, v2
	s_and_saveexec_b64 s[8:9], vcc
	s_cbranch_execz .LBB205_75
; %bb.74:                               ;   in Loop: Header=BB205_55 Depth=1
	ds_read_b32 v2, v30 offset:5120
	s_waitcnt lgkmcnt(0)
	v_lshrrev_b32_e32 v32, s20, v2
	v_and_b32_e32 v32, s23, v32
	v_lshlrev_b32_e32 v32, 2, v32
	ds_read_b32 v32, v32
	v_xor_b32_e32 v34, 0x80000000, v2
	s_waitcnt lgkmcnt(0)
	v_add3_u32 v2, v10, v32, s11
	v_lshl_add_u64 v[32:33], v[2:3], 2, s[26:27]
	global_store_dword v[32:33], v34, off
.LBB205_75:                             ;   in Loop: Header=BB205_55 Depth=1
	s_or_b64 exec, exec, s[8:9]
	v_add_u32_e32 v2, 0x800, v10
	v_cmp_gt_u32_e32 vcc, s3, v2
	s_and_saveexec_b64 s[8:9], vcc
	s_cbranch_execz .LBB205_77
; %bb.76:                               ;   in Loop: Header=BB205_55 Depth=1
	ds_read_b32 v2, v30 offset:9216
	s_waitcnt lgkmcnt(0)
	v_lshrrev_b32_e32 v32, s20, v2
	v_and_b32_e32 v32, s23, v32
	v_lshlrev_b32_e32 v32, 2, v32
	ds_read_b32 v32, v32
	v_xor_b32_e32 v34, 0x80000000, v2
	s_waitcnt lgkmcnt(0)
	v_add3_u32 v2, v10, v32, s12
	v_lshl_add_u64 v[32:33], v[2:3], 2, s[26:27]
	global_store_dword v[32:33], v34, off
.LBB205_77:                             ;   in Loop: Header=BB205_55 Depth=1
	s_or_b64 exec, exec, s[8:9]
	v_add_u32_e32 v2, 0xc00, v10
	v_cmp_gt_u32_e32 vcc, s3, v2
	s_and_saveexec_b64 s[8:9], vcc
	s_cbranch_execz .LBB205_54
; %bb.78:                               ;   in Loop: Header=BB205_55 Depth=1
	ds_read_b32 v2, v30 offset:13312
	s_waitcnt lgkmcnt(0)
	v_lshrrev_b32_e32 v32, s20, v2
	v_and_b32_e32 v32, s23, v32
	v_lshlrev_b32_e32 v32, 2, v32
	ds_read_b32 v32, v32
	v_xor_b32_e32 v34, 0x80000000, v2
	s_waitcnt lgkmcnt(0)
	v_add3_u32 v2, v10, v32, s13
	v_lshl_add_u64 v[32:33], v[2:3], 2, s[26:27]
	global_store_dword v[32:33], v34, off
	s_branch .LBB205_54
.LBB205_79:
	s_add_i32 s22, s22, -1
	s_cmp_eq_u32 s2, s22
	s_cselect_b64 s[6:7], -1, 0
	s_xor_b64 s[4:5], s[4:5], -1
	s_and_b64 s[6:7], s[4:5], s[6:7]
	s_and_saveexec_b64 s[4:5], s[6:7]
	s_cbranch_execz .LBB205_81
; %bb.80:
	ds_read_b32 v2, v30
	s_waitcnt lgkmcnt(0)
	v_add3_u32 v2, v16, v17, v2
	global_store_dword v30, v2, s[18:19]
.LBB205_81:
	s_or_b64 exec, exec, s[4:5]
	s_mov_b64 s[4:5], 0
.LBB205_82:
	s_and_b64 vcc, exec, s[4:5]
	s_cbranch_vccz .LBB205_139
; %bb.83:
	s_lshl_b32 s4, s2, 13
	s_mov_b32 s5, 0
	s_lshl_b64 s[4:5], s[4:5], 2
	v_mbcnt_hi_u32_b32 v6, -1, v1
	v_and_b32_e32 v2, 0x3ff, v0
	s_add_u32 s4, s24, s4
	v_and_b32_e32 v1, 63, v6
	s_addc_u32 s5, s25, s5
	v_lshlrev_b32_e32 v4, 2, v1
	v_mov_b32_e32 v5, 0
	v_lshlrev_b32_e32 v1, 5, v2
	v_lshl_add_u64 v[8:9], s[4:5], 0, v[4:5]
	v_and_b32_e32 v4, 0x7800, v1
	v_lshl_add_u64 v[10:11], v[8:9], 0, v[4:5]
	global_load_dword v1, v[10:11], off
	s_load_dword s4, s[0:1], 0x64
	s_load_dword s3, s[0:1], 0x58
	s_add_u32 s0, s0, 0x58
	s_addc_u32 s1, s1, 0
	v_mul_u32_u24_e32 v7, 20, v2
	s_waitcnt lgkmcnt(0)
	s_lshr_b32 s4, s4, 16
	s_cmp_lt_u32 s2, s3
	s_cselect_b32 s5, 12, 18
	s_add_u32 s0, s0, s5
	s_addc_u32 s1, s1, 0
	global_load_ushort v13, v5, s[0:1]
	ds_write2_b32 v7, v5, v5 offset0:16 offset1:17
	ds_write2_b32 v7, v5, v5 offset0:18 offset1:19
	ds_write_b32 v7, v5 offset:80
	global_load_dword v8, v[10:11], off offset:256
	global_load_dword v9, v[10:11], off offset:512
	;; [unrolled: 1-line block ×7, first 2 shown]
	v_bfe_u32 v3, v0, 10, 10
	v_bfe_u32 v4, v0, 20, 10
	v_mad_u32_u24 v10, v4, s4, v3
	s_lshl_b32 s0, -1, s21
	v_mov_b32_e32 v0, v5
	s_not_b32 s12, s0
	v_mov_b32_e32 v16, v5
	v_mov_b32_e32 v18, v5
	;; [unrolled: 1-line block ×3, first 2 shown]
	s_movk_i32 s10, 0x44
	s_waitcnt lgkmcnt(0)
	s_barrier
	s_waitcnt vmcnt(8)
	; wave barrier
	v_xor_b32_e32 v3, 0x80000000, v1
	v_lshrrev_b32_e32 v1, s20, v3
	v_bitop3_b32 v14, v1, s0, v1 bitop3:0x30
	v_and_b32_e32 v4, 1, v14
	v_lshlrev_b32_e32 v1, 30, v14
	v_lshlrev_b32_e32 v17, 29, v14
	v_lshl_add_u64 v[28:29], v[4:5], 0, -1
	v_cmp_ne_u32_e32 vcc, 0, v4
	v_lshlrev_b32_e32 v19, 28, v14
	v_cmp_gt_i64_e64 s[4:5], 0, v[16:17]
	s_waitcnt vmcnt(7)
	v_mad_u64_u32 v[24:25], s[0:1], v10, v13, v[2:3]
	v_cmp_gt_i64_e64 s[0:1], 0, v[0:1]
	v_not_b32_e32 v0, v1
	v_not_b32_e32 v1, v17
	v_lshrrev_b32_e32 v13, 4, v24
	v_xor_b32_e32 v16, vcc_hi, v29
	v_xor_b32_e32 v17, vcc_lo, v28
	v_ashrrev_i32_e32 v0, 31, v0
	v_lshlrev_b32_e32 v23, 27, v14
	v_not_b32_e32 v4, v19
	v_ashrrev_i32_e32 v1, 31, v1
	v_and_b32_e32 v24, 0xffffffc, v13
	v_and_b32_e32 v13, exec_hi, v16
	v_and_b32_e32 v16, exec_lo, v17
	v_xor_b32_e32 v17, s1, v0
	v_xor_b32_e32 v0, s0, v0
	v_cmp_gt_i64_e64 s[6:7], 0, v[18:19]
	v_not_b32_e32 v10, v23
	v_ashrrev_i32_e32 v4, 31, v4
	v_xor_b32_e32 v18, s5, v1
	v_xor_b32_e32 v1, s4, v1
	v_and_b32_e32 v0, v16, v0
	v_cmp_gt_i64_e64 s[8:9], 0, v[22:23]
	v_ashrrev_i32_e32 v10, 31, v10
	v_xor_b32_e32 v19, s7, v4
	v_xor_b32_e32 v4, s6, v4
	v_and_b32_e32 v0, v0, v1
	v_lshlrev_b32_e32 v11, 26, v14
	v_xor_b32_e32 v22, s9, v10
	v_xor_b32_e32 v10, s8, v10
	v_and_b32_e32 v13, v13, v17
	v_and_b32_e32 v0, v0, v4
	v_and_b32_e32 v13, v13, v18
	v_and_b32_e32 v0, v0, v10
	v_mov_b32_e32 v10, v5
	v_not_b32_e32 v4, v11
	v_and_b32_e32 v1, v13, v19
	v_cmp_gt_i64_e32 vcc, 0, v[10:11]
	v_ashrrev_i32_e32 v4, 31, v4
	v_and_b32_e32 v1, v1, v22
	v_xor_b32_e32 v10, vcc_hi, v4
	v_xor_b32_e32 v4, vcc_lo, v4
	v_and_b32_e32 v10, v1, v10
	v_and_b32_e32 v4, v0, v4
	v_lshlrev_b32_e32 v1, 25, v14
	v_mov_b32_e32 v0, v5
	v_cmp_gt_i64_e32 vcc, 0, v[0:1]
	v_not_b32_e32 v0, v1
	v_ashrrev_i32_e32 v0, 31, v0
	v_xor_b32_e32 v1, vcc_hi, v0
	v_xor_b32_e32 v0, vcc_lo, v0
	v_and_b32_e32 v10, v10, v1
	v_and_b32_e32 v4, v4, v0
	v_lshlrev_b32_e32 v1, 24, v14
	v_mov_b32_e32 v0, v5
	v_cmp_gt_i64_e32 vcc, 0, v[0:1]
	v_not_b32_e32 v0, v1
	v_ashrrev_i32_e32 v0, 31, v0
	v_xor_b32_e32 v1, vcc_hi, v0
	v_xor_b32_e32 v0, vcc_lo, v0
	v_and_b32_e32 v0, v4, v0
	v_and_b32_e32 v1, v10, v1
	v_mbcnt_lo_u32_b32 v4, v0, 0
	v_mbcnt_hi_u32_b32 v10, v1, v4
	v_mul_lo_u32 v27, v14, s10
	v_cmp_eq_u32_e32 vcc, 0, v10
	v_cmp_ne_u64_e64 s[0:1], 0, v[0:1]
	s_and_b64 s[4:5], s[0:1], vcc
	v_add_u32_e32 v16, v24, v27
	s_and_saveexec_b64 s[0:1], s[4:5]
; %bb.84:
	v_bcnt_u32_b32 v0, v0, 0
	v_bcnt_u32_b32 v0, v1, v0
	ds_write_b32 v16, v0 offset:64
; %bb.85:
	s_or_b64 exec, exec, s[0:1]
	s_waitcnt vmcnt(6)
	v_xor_b32_e32 v8, 0x80000000, v8
	v_lshrrev_b32_e32 v0, s20, v8
	v_and_b32_e32 v13, s12, v0
	v_mul_lo_u32 v0, v13, s10
	v_and_b32_e32 v4, 1, v13
	v_add_u32_e32 v17, v24, v0
	v_lshl_add_u64 v[0:1], v[4:5], 0, -1
	v_cmp_ne_u32_e32 vcc, 0, v4
	; wave barrier
	s_nop 1
	v_xor_b32_e32 v1, vcc_hi, v1
	v_xor_b32_e32 v0, vcc_lo, v0
	v_and_b32_e32 v4, exec_hi, v1
	v_and_b32_e32 v14, exec_lo, v0
	v_lshlrev_b32_e32 v1, 30, v13
	v_mov_b32_e32 v0, v5
	v_cmp_gt_i64_e32 vcc, 0, v[0:1]
	v_not_b32_e32 v0, v1
	v_ashrrev_i32_e32 v0, 31, v0
	v_xor_b32_e32 v1, vcc_hi, v0
	v_xor_b32_e32 v0, vcc_lo, v0
	v_and_b32_e32 v4, v4, v1
	v_and_b32_e32 v14, v14, v0
	v_lshlrev_b32_e32 v1, 29, v13
	v_mov_b32_e32 v0, v5
	v_cmp_gt_i64_e32 vcc, 0, v[0:1]
	v_not_b32_e32 v0, v1
	v_ashrrev_i32_e32 v0, 31, v0
	v_xor_b32_e32 v1, vcc_hi, v0
	v_xor_b32_e32 v0, vcc_lo, v0
	v_and_b32_e32 v4, v4, v1
	v_and_b32_e32 v14, v14, v0
	;; [unrolled: 9-line block ×6, first 2 shown]
	v_lshlrev_b32_e32 v1, 24, v13
	v_mov_b32_e32 v0, v5
	v_cmp_gt_i64_e32 vcc, 0, v[0:1]
	v_not_b32_e32 v0, v1
	v_ashrrev_i32_e32 v0, 31, v0
	v_xor_b32_e32 v1, vcc_hi, v0
	v_xor_b32_e32 v0, vcc_lo, v0
	ds_read_b32 v11, v17 offset:64
	v_and_b32_e32 v0, v14, v0
	v_and_b32_e32 v1, v4, v1
	v_mbcnt_lo_u32_b32 v4, v0, 0
	v_mbcnt_hi_u32_b32 v13, v1, v4
	v_cmp_eq_u32_e32 vcc, 0, v13
	v_cmp_ne_u64_e64 s[0:1], 0, v[0:1]
	s_and_b64 s[4:5], s[0:1], vcc
	; wave barrier
	s_and_saveexec_b64 s[0:1], s[4:5]
	s_cbranch_execz .LBB205_87
; %bb.86:
	v_bcnt_u32_b32 v0, v0, 0
	v_bcnt_u32_b32 v0, v1, v0
	s_waitcnt lgkmcnt(0)
	v_add_u32_e32 v0, v11, v0
	ds_write_b32 v17, v0 offset:64
.LBB205_87:
	s_or_b64 exec, exec, s[0:1]
	s_waitcnt vmcnt(5)
	v_xor_b32_e32 v9, 0x80000000, v9
	v_lshrrev_b32_e32 v0, s20, v9
	v_and_b32_e32 v18, s12, v0
	s_movk_i32 s4, 0x44
	v_mul_lo_u32 v0, v18, s4
	v_add_u32_e32 v22, v24, v0
	v_and_b32_e32 v0, 1, v18
	v_mov_b32_e32 v1, 0
	v_lshl_add_u64 v[4:5], v[0:1], 0, -1
	v_cmp_ne_u32_e32 vcc, 0, v0
	; wave barrier
	s_nop 1
	v_xor_b32_e32 v4, vcc_lo, v4
	v_xor_b32_e32 v0, vcc_hi, v5
	v_and_b32_e32 v19, exec_lo, v4
	v_lshlrev_b32_e32 v5, 30, v18
	v_mov_b32_e32 v4, v1
	v_cmp_gt_i64_e32 vcc, 0, v[4:5]
	v_not_b32_e32 v4, v5
	v_ashrrev_i32_e32 v4, 31, v4
	v_and_b32_e32 v0, exec_hi, v0
	v_xor_b32_e32 v5, vcc_hi, v4
	v_xor_b32_e32 v4, vcc_lo, v4
	v_and_b32_e32 v0, v0, v5
	v_and_b32_e32 v19, v19, v4
	v_lshlrev_b32_e32 v5, 29, v18
	v_mov_b32_e32 v4, v1
	v_cmp_gt_i64_e32 vcc, 0, v[4:5]
	v_not_b32_e32 v4, v5
	v_ashrrev_i32_e32 v4, 31, v4
	v_xor_b32_e32 v5, vcc_hi, v4
	v_xor_b32_e32 v4, vcc_lo, v4
	v_and_b32_e32 v0, v0, v5
	v_and_b32_e32 v19, v19, v4
	v_lshlrev_b32_e32 v5, 28, v18
	v_mov_b32_e32 v4, v1
	v_cmp_gt_i64_e32 vcc, 0, v[4:5]
	v_not_b32_e32 v4, v5
	v_ashrrev_i32_e32 v4, 31, v4
	;; [unrolled: 9-line block ×6, first 2 shown]
	v_xor_b32_e32 v5, vcc_hi, v4
	v_xor_b32_e32 v4, vcc_lo, v4
	ds_read_b32 v14, v22 offset:64
	v_and_b32_e32 v4, v19, v4
	v_and_b32_e32 v5, v0, v5
	v_mbcnt_lo_u32_b32 v0, v4, 0
	v_mbcnt_hi_u32_b32 v18, v5, v0
	v_cmp_eq_u32_e32 vcc, 0, v18
	v_cmp_ne_u64_e64 s[0:1], 0, v[4:5]
	s_and_b64 s[6:7], s[0:1], vcc
	; wave barrier
	s_and_saveexec_b64 s[0:1], s[6:7]
	s_cbranch_execz .LBB205_89
; %bb.88:
	v_bcnt_u32_b32 v0, v4, 0
	v_bcnt_u32_b32 v0, v5, v0
	s_waitcnt lgkmcnt(0)
	v_add_u32_e32 v0, v14, v0
	ds_write_b32 v22, v0 offset:64
.LBB205_89:
	s_or_b64 exec, exec, s[0:1]
	s_waitcnt vmcnt(4)
	v_xor_b32_e32 v12, 0x80000000, v12
	v_lshrrev_b32_e32 v0, s20, v12
	v_and_b32_e32 v23, s12, v0
	v_mul_lo_u32 v0, v23, s4
	v_add_u32_e32 v27, v24, v0
	v_and_b32_e32 v0, 1, v23
	v_lshl_add_u64 v[4:5], v[0:1], 0, -1
	v_cmp_ne_u32_e32 vcc, 0, v0
	; wave barrier
	s_nop 1
	v_xor_b32_e32 v4, vcc_lo, v4
	v_xor_b32_e32 v0, vcc_hi, v5
	v_and_b32_e32 v25, exec_lo, v4
	v_lshlrev_b32_e32 v5, 30, v23
	v_mov_b32_e32 v4, v1
	v_cmp_gt_i64_e32 vcc, 0, v[4:5]
	v_not_b32_e32 v4, v5
	v_ashrrev_i32_e32 v4, 31, v4
	v_and_b32_e32 v0, exec_hi, v0
	v_xor_b32_e32 v5, vcc_hi, v4
	v_xor_b32_e32 v4, vcc_lo, v4
	v_and_b32_e32 v0, v0, v5
	v_and_b32_e32 v25, v25, v4
	v_lshlrev_b32_e32 v5, 29, v23
	v_mov_b32_e32 v4, v1
	v_cmp_gt_i64_e32 vcc, 0, v[4:5]
	v_not_b32_e32 v4, v5
	v_ashrrev_i32_e32 v4, 31, v4
	v_xor_b32_e32 v5, vcc_hi, v4
	v_xor_b32_e32 v4, vcc_lo, v4
	v_and_b32_e32 v0, v0, v5
	v_and_b32_e32 v25, v25, v4
	v_lshlrev_b32_e32 v5, 28, v23
	v_mov_b32_e32 v4, v1
	v_cmp_gt_i64_e32 vcc, 0, v[4:5]
	v_not_b32_e32 v4, v5
	v_ashrrev_i32_e32 v4, 31, v4
	;; [unrolled: 9-line block ×5, first 2 shown]
	v_xor_b32_e32 v5, vcc_hi, v4
	v_xor_b32_e32 v4, vcc_lo, v4
	v_and_b32_e32 v0, v0, v5
	v_lshlrev_b32_e32 v5, 24, v23
	v_and_b32_e32 v25, v25, v4
	v_mov_b32_e32 v4, v1
	v_not_b32_e32 v1, v5
	v_cmp_gt_i64_e32 vcc, 0, v[4:5]
	v_ashrrev_i32_e32 v1, 31, v1
	ds_read_b32 v19, v27 offset:64
	v_xor_b32_e32 v4, vcc_hi, v1
	v_xor_b32_e32 v5, vcc_lo, v1
	v_and_b32_e32 v1, v0, v4
	v_and_b32_e32 v0, v25, v5
	v_mbcnt_lo_u32_b32 v4, v0, 0
	v_mbcnt_hi_u32_b32 v23, v1, v4
	v_cmp_eq_u32_e32 vcc, 0, v23
	v_cmp_ne_u64_e64 s[0:1], 0, v[0:1]
	s_and_b64 s[4:5], s[0:1], vcc
	; wave barrier
	s_and_saveexec_b64 s[0:1], s[4:5]
	s_cbranch_execz .LBB205_91
; %bb.90:
	v_bcnt_u32_b32 v0, v0, 0
	v_bcnt_u32_b32 v0, v1, v0
	s_waitcnt lgkmcnt(0)
	v_add_u32_e32 v0, v19, v0
	ds_write_b32 v27, v0 offset:64
.LBB205_91:
	s_or_b64 exec, exec, s[0:1]
	s_waitcnt vmcnt(3)
	v_xor_b32_e32 v15, 0x80000000, v15
	v_lshrrev_b32_e32 v0, s20, v15
	v_and_b32_e32 v28, s12, v0
	s_movk_i32 s4, 0x44
	v_mul_lo_u32 v0, v28, s4
	v_add_u32_e32 v30, v24, v0
	v_and_b32_e32 v0, 1, v28
	v_mov_b32_e32 v1, 0
	v_lshl_add_u64 v[4:5], v[0:1], 0, -1
	v_cmp_ne_u32_e32 vcc, 0, v0
	; wave barrier
	s_nop 1
	v_xor_b32_e32 v4, vcc_lo, v4
	v_xor_b32_e32 v0, vcc_hi, v5
	v_and_b32_e32 v29, exec_lo, v4
	v_lshlrev_b32_e32 v5, 30, v28
	v_mov_b32_e32 v4, v1
	v_cmp_gt_i64_e32 vcc, 0, v[4:5]
	v_not_b32_e32 v4, v5
	v_ashrrev_i32_e32 v4, 31, v4
	v_and_b32_e32 v0, exec_hi, v0
	v_xor_b32_e32 v5, vcc_hi, v4
	v_xor_b32_e32 v4, vcc_lo, v4
	v_and_b32_e32 v0, v0, v5
	v_and_b32_e32 v29, v29, v4
	v_lshlrev_b32_e32 v5, 29, v28
	v_mov_b32_e32 v4, v1
	v_cmp_gt_i64_e32 vcc, 0, v[4:5]
	v_not_b32_e32 v4, v5
	v_ashrrev_i32_e32 v4, 31, v4
	v_xor_b32_e32 v5, vcc_hi, v4
	v_xor_b32_e32 v4, vcc_lo, v4
	v_and_b32_e32 v0, v0, v5
	v_and_b32_e32 v29, v29, v4
	v_lshlrev_b32_e32 v5, 28, v28
	v_mov_b32_e32 v4, v1
	v_cmp_gt_i64_e32 vcc, 0, v[4:5]
	v_not_b32_e32 v4, v5
	v_ashrrev_i32_e32 v4, 31, v4
	;; [unrolled: 9-line block ×6, first 2 shown]
	v_xor_b32_e32 v5, vcc_hi, v4
	v_xor_b32_e32 v4, vcc_lo, v4
	ds_read_b32 v25, v30 offset:64
	v_and_b32_e32 v4, v29, v4
	v_and_b32_e32 v5, v0, v5
	v_mbcnt_lo_u32_b32 v0, v4, 0
	v_mbcnt_hi_u32_b32 v28, v5, v0
	v_cmp_eq_u32_e32 vcc, 0, v28
	v_cmp_ne_u64_e64 s[0:1], 0, v[4:5]
	s_and_b64 s[6:7], s[0:1], vcc
	; wave barrier
	s_and_saveexec_b64 s[0:1], s[6:7]
	s_cbranch_execz .LBB205_93
; %bb.92:
	v_bcnt_u32_b32 v0, v4, 0
	v_bcnt_u32_b32 v0, v5, v0
	s_waitcnt lgkmcnt(0)
	v_add_u32_e32 v0, v25, v0
	ds_write_b32 v30, v0 offset:64
.LBB205_93:
	s_or_b64 exec, exec, s[0:1]
	s_waitcnt vmcnt(2)
	v_xor_b32_e32 v20, 0x80000000, v20
	v_lshrrev_b32_e32 v0, s20, v20
	v_and_b32_e32 v31, s12, v0
	v_mul_lo_u32 v0, v31, s4
	v_add_u32_e32 v33, v24, v0
	v_and_b32_e32 v0, 1, v31
	v_lshl_add_u64 v[4:5], v[0:1], 0, -1
	v_cmp_ne_u32_e32 vcc, 0, v0
	; wave barrier
	s_nop 1
	v_xor_b32_e32 v4, vcc_lo, v4
	v_xor_b32_e32 v0, vcc_hi, v5
	v_and_b32_e32 v32, exec_lo, v4
	v_lshlrev_b32_e32 v5, 30, v31
	v_mov_b32_e32 v4, v1
	v_cmp_gt_i64_e32 vcc, 0, v[4:5]
	v_not_b32_e32 v4, v5
	v_ashrrev_i32_e32 v4, 31, v4
	v_and_b32_e32 v0, exec_hi, v0
	v_xor_b32_e32 v5, vcc_hi, v4
	v_xor_b32_e32 v4, vcc_lo, v4
	v_and_b32_e32 v0, v0, v5
	v_and_b32_e32 v32, v32, v4
	v_lshlrev_b32_e32 v5, 29, v31
	v_mov_b32_e32 v4, v1
	v_cmp_gt_i64_e32 vcc, 0, v[4:5]
	v_not_b32_e32 v4, v5
	v_ashrrev_i32_e32 v4, 31, v4
	v_xor_b32_e32 v5, vcc_hi, v4
	v_xor_b32_e32 v4, vcc_lo, v4
	v_and_b32_e32 v0, v0, v5
	v_and_b32_e32 v32, v32, v4
	v_lshlrev_b32_e32 v5, 28, v31
	v_mov_b32_e32 v4, v1
	v_cmp_gt_i64_e32 vcc, 0, v[4:5]
	v_not_b32_e32 v4, v5
	v_ashrrev_i32_e32 v4, 31, v4
	;; [unrolled: 9-line block ×5, first 2 shown]
	v_xor_b32_e32 v5, vcc_hi, v4
	v_xor_b32_e32 v4, vcc_lo, v4
	v_and_b32_e32 v0, v0, v5
	v_lshlrev_b32_e32 v5, 24, v31
	v_and_b32_e32 v32, v32, v4
	v_mov_b32_e32 v4, v1
	v_not_b32_e32 v1, v5
	v_cmp_gt_i64_e32 vcc, 0, v[4:5]
	v_ashrrev_i32_e32 v1, 31, v1
	ds_read_b32 v29, v33 offset:64
	v_xor_b32_e32 v4, vcc_hi, v1
	v_xor_b32_e32 v5, vcc_lo, v1
	v_and_b32_e32 v1, v0, v4
	v_and_b32_e32 v0, v32, v5
	v_mbcnt_lo_u32_b32 v4, v0, 0
	v_mbcnt_hi_u32_b32 v31, v1, v4
	v_cmp_eq_u32_e32 vcc, 0, v31
	v_cmp_ne_u64_e64 s[0:1], 0, v[0:1]
	s_and_b64 s[4:5], s[0:1], vcc
	; wave barrier
	s_and_saveexec_b64 s[0:1], s[4:5]
	s_cbranch_execz .LBB205_95
; %bb.94:
	v_bcnt_u32_b32 v0, v0, 0
	v_bcnt_u32_b32 v0, v1, v0
	s_waitcnt lgkmcnt(0)
	v_add_u32_e32 v0, v29, v0
	ds_write_b32 v33, v0 offset:64
.LBB205_95:
	s_or_b64 exec, exec, s[0:1]
	s_waitcnt vmcnt(1)
	v_xor_b32_e32 v26, 0x80000000, v26
	v_lshrrev_b32_e32 v0, s20, v26
	v_and_b32_e32 v34, s12, v0
	s_movk_i32 s4, 0x44
	v_mul_lo_u32 v0, v34, s4
	v_add_u32_e32 v36, v24, v0
	v_and_b32_e32 v0, 1, v34
	v_mov_b32_e32 v1, 0
	v_lshl_add_u64 v[4:5], v[0:1], 0, -1
	v_cmp_ne_u32_e32 vcc, 0, v0
	; wave barrier
	s_nop 1
	v_xor_b32_e32 v4, vcc_lo, v4
	v_xor_b32_e32 v0, vcc_hi, v5
	v_and_b32_e32 v35, exec_lo, v4
	v_lshlrev_b32_e32 v5, 30, v34
	v_mov_b32_e32 v4, v1
	v_cmp_gt_i64_e32 vcc, 0, v[4:5]
	v_not_b32_e32 v4, v5
	v_ashrrev_i32_e32 v4, 31, v4
	v_and_b32_e32 v0, exec_hi, v0
	v_xor_b32_e32 v5, vcc_hi, v4
	v_xor_b32_e32 v4, vcc_lo, v4
	v_and_b32_e32 v0, v0, v5
	v_and_b32_e32 v35, v35, v4
	v_lshlrev_b32_e32 v5, 29, v34
	v_mov_b32_e32 v4, v1
	v_cmp_gt_i64_e32 vcc, 0, v[4:5]
	v_not_b32_e32 v4, v5
	v_ashrrev_i32_e32 v4, 31, v4
	v_xor_b32_e32 v5, vcc_hi, v4
	v_xor_b32_e32 v4, vcc_lo, v4
	v_and_b32_e32 v0, v0, v5
	v_and_b32_e32 v35, v35, v4
	v_lshlrev_b32_e32 v5, 28, v34
	v_mov_b32_e32 v4, v1
	v_cmp_gt_i64_e32 vcc, 0, v[4:5]
	v_not_b32_e32 v4, v5
	v_ashrrev_i32_e32 v4, 31, v4
	;; [unrolled: 9-line block ×6, first 2 shown]
	v_xor_b32_e32 v5, vcc_hi, v4
	v_xor_b32_e32 v4, vcc_lo, v4
	ds_read_b32 v32, v36 offset:64
	v_and_b32_e32 v4, v35, v4
	v_and_b32_e32 v5, v0, v5
	v_mbcnt_lo_u32_b32 v0, v4, 0
	v_mbcnt_hi_u32_b32 v34, v5, v0
	v_cmp_eq_u32_e32 vcc, 0, v34
	v_cmp_ne_u64_e64 s[0:1], 0, v[4:5]
	s_and_b64 s[6:7], s[0:1], vcc
	; wave barrier
	s_and_saveexec_b64 s[0:1], s[6:7]
	s_cbranch_execz .LBB205_97
; %bb.96:
	v_bcnt_u32_b32 v0, v4, 0
	v_bcnt_u32_b32 v0, v5, v0
	s_waitcnt lgkmcnt(0)
	v_add_u32_e32 v0, v32, v0
	ds_write_b32 v36, v0 offset:64
.LBB205_97:
	s_or_b64 exec, exec, s[0:1]
	s_waitcnt vmcnt(0)
	v_xor_b32_e32 v21, 0x80000000, v21
	v_lshrrev_b32_e32 v0, s20, v21
	v_and_b32_e32 v37, s12, v0
	v_mul_lo_u32 v0, v37, s4
	v_add_u32_e32 v38, v24, v0
	v_and_b32_e32 v0, 1, v37
	v_lshl_add_u64 v[4:5], v[0:1], 0, -1
	v_cmp_ne_u32_e32 vcc, 0, v0
	; wave barrier
	s_nop 1
	v_xor_b32_e32 v4, vcc_lo, v4
	v_xor_b32_e32 v0, vcc_hi, v5
	v_and_b32_e32 v24, exec_lo, v4
	v_lshlrev_b32_e32 v5, 30, v37
	v_mov_b32_e32 v4, v1
	v_cmp_gt_i64_e32 vcc, 0, v[4:5]
	v_not_b32_e32 v4, v5
	v_ashrrev_i32_e32 v4, 31, v4
	v_and_b32_e32 v0, exec_hi, v0
	v_xor_b32_e32 v5, vcc_hi, v4
	v_xor_b32_e32 v4, vcc_lo, v4
	v_and_b32_e32 v0, v0, v5
	v_and_b32_e32 v24, v24, v4
	v_lshlrev_b32_e32 v5, 29, v37
	v_mov_b32_e32 v4, v1
	v_cmp_gt_i64_e32 vcc, 0, v[4:5]
	v_not_b32_e32 v4, v5
	v_ashrrev_i32_e32 v4, 31, v4
	v_xor_b32_e32 v5, vcc_hi, v4
	v_xor_b32_e32 v4, vcc_lo, v4
	v_and_b32_e32 v0, v0, v5
	v_and_b32_e32 v24, v24, v4
	v_lshlrev_b32_e32 v5, 28, v37
	v_mov_b32_e32 v4, v1
	v_cmp_gt_i64_e32 vcc, 0, v[4:5]
	v_not_b32_e32 v4, v5
	v_ashrrev_i32_e32 v4, 31, v4
	;; [unrolled: 9-line block ×5, first 2 shown]
	v_xor_b32_e32 v5, vcc_hi, v4
	v_xor_b32_e32 v4, vcc_lo, v4
	v_and_b32_e32 v0, v0, v5
	v_lshlrev_b32_e32 v5, 24, v37
	v_and_b32_e32 v24, v24, v4
	v_mov_b32_e32 v4, v1
	v_not_b32_e32 v1, v5
	v_cmp_gt_i64_e32 vcc, 0, v[4:5]
	v_ashrrev_i32_e32 v1, 31, v1
	ds_read_b32 v35, v38 offset:64
	v_xor_b32_e32 v4, vcc_hi, v1
	v_xor_b32_e32 v5, vcc_lo, v1
	v_and_b32_e32 v1, v0, v4
	v_and_b32_e32 v0, v24, v5
	v_mbcnt_lo_u32_b32 v4, v0, 0
	v_mbcnt_hi_u32_b32 v37, v1, v4
	v_cmp_eq_u32_e32 vcc, 0, v37
	v_cmp_ne_u64_e64 s[0:1], 0, v[0:1]
	s_and_b64 s[4:5], s[0:1], vcc
	; wave barrier
	s_and_saveexec_b64 s[0:1], s[4:5]
	s_cbranch_execz .LBB205_99
; %bb.98:
	v_bcnt_u32_b32 v0, v0, 0
	v_bcnt_u32_b32 v0, v1, v0
	s_waitcnt lgkmcnt(0)
	v_add_u32_e32 v0, v35, v0
	ds_write_b32 v38, v0 offset:64
.LBB205_99:
	s_or_b64 exec, exec, s[0:1]
	; wave barrier
	s_waitcnt lgkmcnt(0)
	s_barrier
	ds_read2_b32 v[4:5], v7 offset0:16 offset1:17
	ds_read2_b32 v[0:1], v7 offset0:18 offset1:19
	ds_read_b32 v24, v7 offset:80
	v_cmp_lt_u32_e64 s[8:9], 31, v6
	s_waitcnt lgkmcnt(1)
	v_add3_u32 v39, v5, v4, v0
	s_waitcnt lgkmcnt(0)
	v_add3_u32 v24, v39, v1, v24
	v_and_b32_e32 v39, 15, v6
	v_cmp_eq_u32_e32 vcc, 0, v39
	v_mov_b32_dpp v40, v24 row_shr:1 row_mask:0xf bank_mask:0xf
	v_cmp_lt_u32_e64 s[0:1], 1, v39
	v_cndmask_b32_e64 v40, v40, 0, vcc
	v_add_u32_e32 v24, v40, v24
	v_cmp_lt_u32_e64 s[6:7], 3, v39
	v_cmp_lt_u32_e64 s[4:5], 7, v39
	v_mov_b32_dpp v40, v24 row_shr:2 row_mask:0xf bank_mask:0xf
	v_cndmask_b32_e64 v40, 0, v40, s[0:1]
	v_add_u32_e32 v24, v24, v40
	s_nop 1
	v_mov_b32_dpp v40, v24 row_shr:4 row_mask:0xf bank_mask:0xf
	v_cndmask_b32_e64 v40, 0, v40, s[6:7]
	v_add_u32_e32 v24, v24, v40
	s_nop 1
	v_mov_b32_dpp v40, v24 row_shr:8 row_mask:0xf bank_mask:0xf
	v_cndmask_b32_e64 v39, 0, v40, s[4:5]
	v_add_u32_e32 v24, v24, v39
	v_bfe_i32 v40, v6, 4, 1
	s_nop 0
	v_mov_b32_dpp v39, v24 row_bcast:15 row_mask:0xf bank_mask:0xf
	v_and_b32_e32 v39, v40, v39
	v_add_u32_e32 v24, v24, v39
	v_lshrrev_b32_e32 v40, 6, v2
	s_nop 0
	v_mov_b32_dpp v39, v24 row_bcast:31 row_mask:0xf bank_mask:0xf
	v_cndmask_b32_e64 v39, 0, v39, s[8:9]
	v_add_u32_e32 v39, v24, v39
	v_and_b32_e32 v24, 63, v2
	v_cmp_eq_u32_e64 s[8:9], 63, v24
	s_and_saveexec_b64 s[10:11], s[8:9]
; %bb.100:
	v_lshlrev_b32_e32 v24, 2, v40
	ds_write_b32 v24, v39
; %bb.101:
	s_or_b64 exec, exec, s[10:11]
	v_cmp_gt_u32_e64 s[8:9], 16, v2
	v_lshlrev_b32_e32 v24, 2, v2
	s_waitcnt lgkmcnt(0)
	s_barrier
	s_and_saveexec_b64 s[10:11], s[8:9]
	s_cbranch_execz .LBB205_103
; %bb.102:
	ds_read_b32 v41, v24
	s_waitcnt lgkmcnt(0)
	s_nop 0
	v_mov_b32_dpp v42, v41 row_shr:1 row_mask:0xf bank_mask:0xf
	v_cndmask_b32_e64 v42, v42, 0, vcc
	v_add_u32_e32 v41, v42, v41
	s_nop 1
	v_mov_b32_dpp v42, v41 row_shr:2 row_mask:0xf bank_mask:0xf
	v_cndmask_b32_e64 v42, 0, v42, s[0:1]
	v_add_u32_e32 v41, v41, v42
	s_nop 1
	v_mov_b32_dpp v42, v41 row_shr:4 row_mask:0xf bank_mask:0xf
	v_cndmask_b32_e64 v42, 0, v42, s[6:7]
	;; [unrolled: 4-line block ×3, first 2 shown]
	v_add_u32_e32 v41, v41, v42
	ds_write_b32 v24, v41
.LBB205_103:
	s_or_b64 exec, exec, s[10:11]
	v_cmp_lt_u32_e32 vcc, 63, v2
	v_mov_b32_e32 v41, 0
	s_waitcnt lgkmcnt(0)
	s_barrier
	s_and_saveexec_b64 s[0:1], vcc
; %bb.104:
	v_lshl_add_u32 v40, v40, 2, -4
	ds_read_b32 v41, v40
; %bb.105:
	s_or_b64 exec, exec, s[0:1]
	v_subrev_co_u32_e32 v40, vcc, 1, v6
	v_and_b32_e32 v42, 64, v6
	v_cmp_lt_i32_e64 s[0:1], v40, v42
	s_waitcnt lgkmcnt(0)
	v_add_u32_e32 v39, v41, v39
	s_movk_i32 s4, 0x100
	v_cndmask_b32_e64 v6, v40, v6, s[0:1]
	v_lshlrev_b32_e32 v6, 2, v6
	ds_bpermute_b32 v6, v6, v39
	s_movk_i32 s0, 0xff
	v_cmp_lt_u32_e64 s[0:1], s0, v2
	s_waitcnt lgkmcnt(0)
	v_cndmask_b32_e32 v6, v6, v41, vcc
	v_cmp_ne_u32_e32 vcc, 0, v2
	s_nop 1
	v_cndmask_b32_e32 v6, 0, v6, vcc
	v_add_u32_e32 v4, v6, v4
	v_add_u32_e32 v5, v4, v5
	;; [unrolled: 1-line block ×4, first 2 shown]
	ds_write2_b32 v7, v6, v4 offset0:16 offset1:17
	ds_write2_b32 v7, v5, v0 offset0:18 offset1:19
	ds_write_b32 v7, v1 offset:80
	s_waitcnt lgkmcnt(0)
	s_barrier
	ds_read_b32 v42, v16 offset:64
	ds_read_b32 v39, v17 offset:64
	;; [unrolled: 1-line block ×8, first 2 shown]
	v_cmp_gt_u32_e32 vcc, s4, v2
                                        ; implicit-def: $vgpr16
                                        ; implicit-def: $vgpr17
	s_and_saveexec_b64 s[6:7], vcc
	s_cbranch_execz .LBB205_109
; %bb.106:
	v_mul_u32_u24_e32 v0, 0x44, v2
	ds_read_b32 v16, v0 offset:64
	v_add_u32_e32 v1, 1, v2
	v_cmp_ne_u32_e64 s[4:5], s4, v1
	v_mov_b32_e32 v0, 0x2000
	s_and_saveexec_b64 s[8:9], s[4:5]
; %bb.107:
	v_mul_u32_u24_e32 v0, 0x44, v1
	ds_read_b32 v0, v0 offset:64
; %bb.108:
	s_or_b64 exec, exec, s[8:9]
	s_waitcnt lgkmcnt(0)
	v_sub_u32_e32 v17, v0, v16
.LBB205_109:
	s_or_b64 exec, exec, s[6:7]
	v_mov_b32_e32 v1, 0
	s_waitcnt lgkmcnt(0)
	s_barrier
	s_and_saveexec_b64 s[4:5], vcc
	s_cbranch_execz .LBB205_119
; %bb.110:
	v_lshl_add_u32 v0, s2, 8, v2
	v_lshl_add_u64 v[4:5], v[0:1], 2, s[28:29]
	v_or_b32_e32 v0, 2.0, v17
	s_mov_b64 s[6:7], 0
	s_brev_b32 s13, -4
	s_mov_b32 s14, s2
	v_mov_b32_e32 v36, 0
	global_store_dword v[4:5], v0, off sc1
                                        ; implicit-def: $sgpr8_sgpr9
	s_branch .LBB205_113
.LBB205_111:                            ;   in Loop: Header=BB205_113 Depth=1
	s_or_b64 exec, exec, s[10:11]
.LBB205_112:                            ;   in Loop: Header=BB205_113 Depth=1
	s_or_b64 exec, exec, s[8:9]
	v_and_b32_e32 v6, 0x3fffffff, v0
	v_add_u32_e32 v36, v6, v36
	v_cmp_gt_i32_e64 s[8:9], -2.0, v0
	s_and_b64 s[10:11], exec, s[8:9]
	s_or_b64 s[6:7], s[10:11], s[6:7]
	s_andn2_b64 exec, exec, s[6:7]
	s_cbranch_execz .LBB205_118
.LBB205_113:                            ; =>This Loop Header: Depth=1
                                        ;     Child Loop BB205_116 Depth 2
	s_or_b64 s[8:9], s[8:9], exec
	s_cmp_eq_u32 s14, 0
	s_cbranch_scc1 .LBB205_117
; %bb.114:                              ;   in Loop: Header=BB205_113 Depth=1
	s_add_i32 s14, s14, -1
	v_lshl_or_b32 v0, s14, 8, v2
	v_lshl_add_u64 v[6:7], v[0:1], 2, s[28:29]
	global_load_dword v0, v[6:7], off sc1
	s_waitcnt vmcnt(0)
	v_cmp_gt_u32_e32 vcc, 2.0, v0
	s_and_saveexec_b64 s[8:9], vcc
	s_cbranch_execz .LBB205_112
; %bb.115:                              ;   in Loop: Header=BB205_113 Depth=1
	s_mov_b64 s[10:11], 0
.LBB205_116:                            ;   Parent Loop BB205_113 Depth=1
                                        ; =>  This Inner Loop Header: Depth=2
	global_load_dword v0, v[6:7], off sc1
	s_waitcnt vmcnt(0)
	v_cmp_lt_u32_e32 vcc, s13, v0
	s_or_b64 s[10:11], vcc, s[10:11]
	s_andn2_b64 exec, exec, s[10:11]
	s_cbranch_execnz .LBB205_116
	s_branch .LBB205_111
.LBB205_117:                            ;   in Loop: Header=BB205_113 Depth=1
                                        ; implicit-def: $sgpr14
	s_and_b64 s[10:11], exec, s[8:9]
	s_or_b64 s[6:7], s[10:11], s[6:7]
	s_andn2_b64 exec, exec, s[6:7]
	s_cbranch_execnz .LBB205_113
.LBB205_118:
	s_or_b64 exec, exec, s[6:7]
	v_add_u32_e32 v0, v36, v17
	v_or_b32_e32 v0, 0x80000000, v0
	global_store_dword v[4:5], v0, off sc1
	global_load_dword v0, v24, s[16:17]
	v_sub_u32_e32 v1, v36, v16
	s_waitcnt vmcnt(0)
	v_add_u32_e32 v0, v1, v0
	ds_write_b32 v24, v0
.LBB205_119:
	s_or_b64 exec, exec, s[4:5]
	v_add_u32_e32 v0, v37, v35
	v_add_u32_e32 v1, v34, v32
	;; [unrolled: 1-line block ×8, first 2 shown]
	v_add_lshl_u32 v5, v0, v33, 2
	v_add3_u32 v6, v37, v33, v35
	v_add_lshl_u32 v7, v1, v22, 2
	v_add3_u32 v10, v34, v22, v32
	;; [unrolled: 2-line block ×7, first 2 shown]
	v_lshlrev_b32_e32 v13, 2, v4
	s_mov_b64 s[4:5], -1
	s_mov_b32 s8, 0
	s_movk_i32 s9, 0x1000
	v_mov_b32_e32 v1, 0
	s_movk_i32 s10, 0x400
	s_movk_i32 s11, 0x800
	;; [unrolled: 1-line block ×3, first 2 shown]
	s_mov_b32 s14, 0
	s_branch .LBB205_121
.LBB205_120:                            ;   in Loop: Header=BB205_121 Depth=1
	s_or_b64 exec, exec, s[6:7]
	s_waitcnt lgkmcnt(0)
	s_barrier
	ds_read2st64_b32 v[30:31], v24 offset0:4 offset1:20
	s_xor_b64 s[6:7], s[4:5], -1
	s_addk_i32 s14, 0xc000
	s_addk_i32 s8, 0xf000
	s_mov_b64 s[4:5], 0
	s_waitcnt lgkmcnt(0)
	v_lshrrev_b32_e32 v0, s20, v30
	v_and_b32_e32 v0, s12, v0
	v_lshlrev_b32_e32 v0, 2, v0
	ds_read2st64_b32 v[32:33], v24 offset0:36 offset1:52
	ds_read_b32 v0, v0
	v_lshrrev_b32_e32 v34, s20, v31
	v_and_b32_e32 v34, s12, v34
	v_lshlrev_b32_e32 v34, 2, v34
	s_waitcnt lgkmcnt(1)
	v_lshrrev_b32_e32 v36, s20, v33
	v_lshrrev_b32_e32 v35, s20, v32
	v_and_b32_e32 v36, s12, v36
	v_and_b32_e32 v35, s12, v35
	v_lshlrev_b32_e32 v36, 2, v36
	v_lshlrev_b32_e32 v35, 2, v35
	ds_read_b32 v37, v34
	ds_read_b32 v38, v35
	;; [unrolled: 1-line block ×3, first 2 shown]
	s_waitcnt lgkmcnt(3)
	v_add_u32_e32 v0, v2, v0
	v_xor_b32_e32 v30, 0x80000000, v30
	v_lshl_add_u64 v[34:35], v[0:1], 2, s[26:27]
	s_waitcnt lgkmcnt(2)
	v_add3_u32 v0, v2, v37, s10
	global_store_dword v[34:35], v30, off
	v_xor_b32_e32 v34, 0x80000000, v31
	v_lshl_add_u64 v[30:31], v[0:1], 2, s[26:27]
	s_waitcnt lgkmcnt(1)
	v_add3_u32 v0, v2, v38, s11
	global_store_dword v[30:31], v34, off
	;; [unrolled: 5-line block ×3, first 2 shown]
	v_xor_b32_e32 v32, 0x80000000, v33
	v_lshl_add_u64 v[30:31], v[0:1], 2, s[26:27]
	v_add_u32_e32 v2, 0x1000, v2
	s_and_b64 vcc, exec, s[6:7]
	global_store_dword v[30:31], v32, off
	s_barrier
	s_cbranch_vccnz .LBB205_137
.LBB205_121:                            ; =>This Inner Loop Header: Depth=1
	v_add_u32_e32 v0, s8, v4
	v_cmp_gt_u32_e32 vcc, s9, v0
	s_and_saveexec_b64 s[6:7], vcc
; %bb.122:                              ;   in Loop: Header=BB205_121 Depth=1
	v_add_u32_e32 v0, s14, v13
	ds_write_b32 v0, v3 offset:1024
; %bb.123:                              ;   in Loop: Header=BB205_121 Depth=1
	s_or_b64 exec, exec, s[6:7]
	v_add_u32_e32 v0, s8, v11
	v_cmp_gt_u32_e32 vcc, s9, v0
	s_and_saveexec_b64 s[6:7], vcc
; %bb.124:                              ;   in Loop: Header=BB205_121 Depth=1
	v_add_u32_e32 v0, s14, v18
	ds_write_b32 v0, v8 offset:1024
; %bb.125:                              ;   in Loop: Header=BB205_121 Depth=1
	s_or_b64 exec, exec, s[6:7]
	;; [unrolled: 8-line block ×7, first 2 shown]
	v_add_u32_e32 v0, s8, v6
	v_cmp_gt_u32_e32 vcc, s9, v0
	s_and_saveexec_b64 s[6:7], vcc
	s_cbranch_execz .LBB205_120
; %bb.136:                              ;   in Loop: Header=BB205_121 Depth=1
	v_add_u32_e32 v0, s14, v5
	ds_write_b32 v0, v21 offset:1024
	s_branch .LBB205_120
.LBB205_137:
	s_add_i32 s3, s3, -1
	s_cmp_eq_u32 s2, s3
	s_cselect_b64 s[2:3], -1, 0
	s_xor_b64 s[0:1], s[0:1], -1
	s_and_b64 s[0:1], s[0:1], s[2:3]
	s_and_saveexec_b64 s[2:3], s[0:1]
	s_cbranch_execz .LBB205_139
; %bb.138:
	ds_read_b32 v0, v24
	s_waitcnt lgkmcnt(0)
	v_add3_u32 v0, v16, v17, v0
	global_store_dword v24, v0, s[18:19]
.LBB205_139:
	s_endpgm
	.section	.rodata,"a",@progbits
	.p2align	6, 0x0
	.amdhsa_kernel _ZN7rocprim17ROCPRIM_400000_NS6detail17trampoline_kernelINS0_14default_configENS1_35radix_sort_onesweep_config_selectorIiNS0_10empty_typeEEEZZNS1_29radix_sort_onesweep_iterationIS3_Lb0EN6thrust23THRUST_200600_302600_NS6detail15normal_iteratorINS9_10device_ptrIiEEEESE_PS5_SF_jNS0_19identity_decomposerENS1_16block_id_wrapperIjLb0EEEEE10hipError_tT1_PNSt15iterator_traitsISK_E10value_typeET2_T3_PNSL_ISQ_E10value_typeET4_T5_PSV_SW_PNS1_23onesweep_lookback_stateEbbT6_jjT7_P12ihipStream_tbENKUlT_T0_SK_SP_E_clIPiSE_SF_SF_EEDaS13_S14_SK_SP_EUlS13_E_NS1_11comp_targetILNS1_3genE6ELNS1_11target_archE950ELNS1_3gpuE13ELNS1_3repE0EEENS1_47radix_sort_onesweep_sort_config_static_selectorELNS0_4arch9wavefront6targetE1EEEvSK_
		.amdhsa_group_segment_fixed_size 20552
		.amdhsa_private_segment_fixed_size 0
		.amdhsa_kernarg_size 344
		.amdhsa_user_sgpr_count 2
		.amdhsa_user_sgpr_dispatch_ptr 0
		.amdhsa_user_sgpr_queue_ptr 0
		.amdhsa_user_sgpr_kernarg_segment_ptr 1
		.amdhsa_user_sgpr_dispatch_id 0
		.amdhsa_user_sgpr_kernarg_preload_length 0
		.amdhsa_user_sgpr_kernarg_preload_offset 0
		.amdhsa_user_sgpr_private_segment_size 0
		.amdhsa_uses_dynamic_stack 0
		.amdhsa_enable_private_segment 0
		.amdhsa_system_sgpr_workgroup_id_x 1
		.amdhsa_system_sgpr_workgroup_id_y 0
		.amdhsa_system_sgpr_workgroup_id_z 0
		.amdhsa_system_sgpr_workgroup_info 0
		.amdhsa_system_vgpr_workitem_id 2
		.amdhsa_next_free_vgpr 46
		.amdhsa_next_free_sgpr 31
		.amdhsa_accum_offset 48
		.amdhsa_reserve_vcc 1
		.amdhsa_float_round_mode_32 0
		.amdhsa_float_round_mode_16_64 0
		.amdhsa_float_denorm_mode_32 3
		.amdhsa_float_denorm_mode_16_64 3
		.amdhsa_dx10_clamp 1
		.amdhsa_ieee_mode 1
		.amdhsa_fp16_overflow 0
		.amdhsa_tg_split 0
		.amdhsa_exception_fp_ieee_invalid_op 0
		.amdhsa_exception_fp_denorm_src 0
		.amdhsa_exception_fp_ieee_div_zero 0
		.amdhsa_exception_fp_ieee_overflow 0
		.amdhsa_exception_fp_ieee_underflow 0
		.amdhsa_exception_fp_ieee_inexact 0
		.amdhsa_exception_int_div_zero 0
	.end_amdhsa_kernel
	.section	.text._ZN7rocprim17ROCPRIM_400000_NS6detail17trampoline_kernelINS0_14default_configENS1_35radix_sort_onesweep_config_selectorIiNS0_10empty_typeEEEZZNS1_29radix_sort_onesweep_iterationIS3_Lb0EN6thrust23THRUST_200600_302600_NS6detail15normal_iteratorINS9_10device_ptrIiEEEESE_PS5_SF_jNS0_19identity_decomposerENS1_16block_id_wrapperIjLb0EEEEE10hipError_tT1_PNSt15iterator_traitsISK_E10value_typeET2_T3_PNSL_ISQ_E10value_typeET4_T5_PSV_SW_PNS1_23onesweep_lookback_stateEbbT6_jjT7_P12ihipStream_tbENKUlT_T0_SK_SP_E_clIPiSE_SF_SF_EEDaS13_S14_SK_SP_EUlS13_E_NS1_11comp_targetILNS1_3genE6ELNS1_11target_archE950ELNS1_3gpuE13ELNS1_3repE0EEENS1_47radix_sort_onesweep_sort_config_static_selectorELNS0_4arch9wavefront6targetE1EEEvSK_,"axG",@progbits,_ZN7rocprim17ROCPRIM_400000_NS6detail17trampoline_kernelINS0_14default_configENS1_35radix_sort_onesweep_config_selectorIiNS0_10empty_typeEEEZZNS1_29radix_sort_onesweep_iterationIS3_Lb0EN6thrust23THRUST_200600_302600_NS6detail15normal_iteratorINS9_10device_ptrIiEEEESE_PS5_SF_jNS0_19identity_decomposerENS1_16block_id_wrapperIjLb0EEEEE10hipError_tT1_PNSt15iterator_traitsISK_E10value_typeET2_T3_PNSL_ISQ_E10value_typeET4_T5_PSV_SW_PNS1_23onesweep_lookback_stateEbbT6_jjT7_P12ihipStream_tbENKUlT_T0_SK_SP_E_clIPiSE_SF_SF_EEDaS13_S14_SK_SP_EUlS13_E_NS1_11comp_targetILNS1_3genE6ELNS1_11target_archE950ELNS1_3gpuE13ELNS1_3repE0EEENS1_47radix_sort_onesweep_sort_config_static_selectorELNS0_4arch9wavefront6targetE1EEEvSK_,comdat
.Lfunc_end205:
	.size	_ZN7rocprim17ROCPRIM_400000_NS6detail17trampoline_kernelINS0_14default_configENS1_35radix_sort_onesweep_config_selectorIiNS0_10empty_typeEEEZZNS1_29radix_sort_onesweep_iterationIS3_Lb0EN6thrust23THRUST_200600_302600_NS6detail15normal_iteratorINS9_10device_ptrIiEEEESE_PS5_SF_jNS0_19identity_decomposerENS1_16block_id_wrapperIjLb0EEEEE10hipError_tT1_PNSt15iterator_traitsISK_E10value_typeET2_T3_PNSL_ISQ_E10value_typeET4_T5_PSV_SW_PNS1_23onesweep_lookback_stateEbbT6_jjT7_P12ihipStream_tbENKUlT_T0_SK_SP_E_clIPiSE_SF_SF_EEDaS13_S14_SK_SP_EUlS13_E_NS1_11comp_targetILNS1_3genE6ELNS1_11target_archE950ELNS1_3gpuE13ELNS1_3repE0EEENS1_47radix_sort_onesweep_sort_config_static_selectorELNS0_4arch9wavefront6targetE1EEEvSK_, .Lfunc_end205-_ZN7rocprim17ROCPRIM_400000_NS6detail17trampoline_kernelINS0_14default_configENS1_35radix_sort_onesweep_config_selectorIiNS0_10empty_typeEEEZZNS1_29radix_sort_onesweep_iterationIS3_Lb0EN6thrust23THRUST_200600_302600_NS6detail15normal_iteratorINS9_10device_ptrIiEEEESE_PS5_SF_jNS0_19identity_decomposerENS1_16block_id_wrapperIjLb0EEEEE10hipError_tT1_PNSt15iterator_traitsISK_E10value_typeET2_T3_PNSL_ISQ_E10value_typeET4_T5_PSV_SW_PNS1_23onesweep_lookback_stateEbbT6_jjT7_P12ihipStream_tbENKUlT_T0_SK_SP_E_clIPiSE_SF_SF_EEDaS13_S14_SK_SP_EUlS13_E_NS1_11comp_targetILNS1_3genE6ELNS1_11target_archE950ELNS1_3gpuE13ELNS1_3repE0EEENS1_47radix_sort_onesweep_sort_config_static_selectorELNS0_4arch9wavefront6targetE1EEEvSK_
                                        ; -- End function
	.set _ZN7rocprim17ROCPRIM_400000_NS6detail17trampoline_kernelINS0_14default_configENS1_35radix_sort_onesweep_config_selectorIiNS0_10empty_typeEEEZZNS1_29radix_sort_onesweep_iterationIS3_Lb0EN6thrust23THRUST_200600_302600_NS6detail15normal_iteratorINS9_10device_ptrIiEEEESE_PS5_SF_jNS0_19identity_decomposerENS1_16block_id_wrapperIjLb0EEEEE10hipError_tT1_PNSt15iterator_traitsISK_E10value_typeET2_T3_PNSL_ISQ_E10value_typeET4_T5_PSV_SW_PNS1_23onesweep_lookback_stateEbbT6_jjT7_P12ihipStream_tbENKUlT_T0_SK_SP_E_clIPiSE_SF_SF_EEDaS13_S14_SK_SP_EUlS13_E_NS1_11comp_targetILNS1_3genE6ELNS1_11target_archE950ELNS1_3gpuE13ELNS1_3repE0EEENS1_47radix_sort_onesweep_sort_config_static_selectorELNS0_4arch9wavefront6targetE1EEEvSK_.num_vgpr, 46
	.set _ZN7rocprim17ROCPRIM_400000_NS6detail17trampoline_kernelINS0_14default_configENS1_35radix_sort_onesweep_config_selectorIiNS0_10empty_typeEEEZZNS1_29radix_sort_onesweep_iterationIS3_Lb0EN6thrust23THRUST_200600_302600_NS6detail15normal_iteratorINS9_10device_ptrIiEEEESE_PS5_SF_jNS0_19identity_decomposerENS1_16block_id_wrapperIjLb0EEEEE10hipError_tT1_PNSt15iterator_traitsISK_E10value_typeET2_T3_PNSL_ISQ_E10value_typeET4_T5_PSV_SW_PNS1_23onesweep_lookback_stateEbbT6_jjT7_P12ihipStream_tbENKUlT_T0_SK_SP_E_clIPiSE_SF_SF_EEDaS13_S14_SK_SP_EUlS13_E_NS1_11comp_targetILNS1_3genE6ELNS1_11target_archE950ELNS1_3gpuE13ELNS1_3repE0EEENS1_47radix_sort_onesweep_sort_config_static_selectorELNS0_4arch9wavefront6targetE1EEEvSK_.num_agpr, 0
	.set _ZN7rocprim17ROCPRIM_400000_NS6detail17trampoline_kernelINS0_14default_configENS1_35radix_sort_onesweep_config_selectorIiNS0_10empty_typeEEEZZNS1_29radix_sort_onesweep_iterationIS3_Lb0EN6thrust23THRUST_200600_302600_NS6detail15normal_iteratorINS9_10device_ptrIiEEEESE_PS5_SF_jNS0_19identity_decomposerENS1_16block_id_wrapperIjLb0EEEEE10hipError_tT1_PNSt15iterator_traitsISK_E10value_typeET2_T3_PNSL_ISQ_E10value_typeET4_T5_PSV_SW_PNS1_23onesweep_lookback_stateEbbT6_jjT7_P12ihipStream_tbENKUlT_T0_SK_SP_E_clIPiSE_SF_SF_EEDaS13_S14_SK_SP_EUlS13_E_NS1_11comp_targetILNS1_3genE6ELNS1_11target_archE950ELNS1_3gpuE13ELNS1_3repE0EEENS1_47radix_sort_onesweep_sort_config_static_selectorELNS0_4arch9wavefront6targetE1EEEvSK_.numbered_sgpr, 31
	.set _ZN7rocprim17ROCPRIM_400000_NS6detail17trampoline_kernelINS0_14default_configENS1_35radix_sort_onesweep_config_selectorIiNS0_10empty_typeEEEZZNS1_29radix_sort_onesweep_iterationIS3_Lb0EN6thrust23THRUST_200600_302600_NS6detail15normal_iteratorINS9_10device_ptrIiEEEESE_PS5_SF_jNS0_19identity_decomposerENS1_16block_id_wrapperIjLb0EEEEE10hipError_tT1_PNSt15iterator_traitsISK_E10value_typeET2_T3_PNSL_ISQ_E10value_typeET4_T5_PSV_SW_PNS1_23onesweep_lookback_stateEbbT6_jjT7_P12ihipStream_tbENKUlT_T0_SK_SP_E_clIPiSE_SF_SF_EEDaS13_S14_SK_SP_EUlS13_E_NS1_11comp_targetILNS1_3genE6ELNS1_11target_archE950ELNS1_3gpuE13ELNS1_3repE0EEENS1_47radix_sort_onesweep_sort_config_static_selectorELNS0_4arch9wavefront6targetE1EEEvSK_.num_named_barrier, 0
	.set _ZN7rocprim17ROCPRIM_400000_NS6detail17trampoline_kernelINS0_14default_configENS1_35radix_sort_onesweep_config_selectorIiNS0_10empty_typeEEEZZNS1_29radix_sort_onesweep_iterationIS3_Lb0EN6thrust23THRUST_200600_302600_NS6detail15normal_iteratorINS9_10device_ptrIiEEEESE_PS5_SF_jNS0_19identity_decomposerENS1_16block_id_wrapperIjLb0EEEEE10hipError_tT1_PNSt15iterator_traitsISK_E10value_typeET2_T3_PNSL_ISQ_E10value_typeET4_T5_PSV_SW_PNS1_23onesweep_lookback_stateEbbT6_jjT7_P12ihipStream_tbENKUlT_T0_SK_SP_E_clIPiSE_SF_SF_EEDaS13_S14_SK_SP_EUlS13_E_NS1_11comp_targetILNS1_3genE6ELNS1_11target_archE950ELNS1_3gpuE13ELNS1_3repE0EEENS1_47radix_sort_onesweep_sort_config_static_selectorELNS0_4arch9wavefront6targetE1EEEvSK_.private_seg_size, 0
	.set _ZN7rocprim17ROCPRIM_400000_NS6detail17trampoline_kernelINS0_14default_configENS1_35radix_sort_onesweep_config_selectorIiNS0_10empty_typeEEEZZNS1_29radix_sort_onesweep_iterationIS3_Lb0EN6thrust23THRUST_200600_302600_NS6detail15normal_iteratorINS9_10device_ptrIiEEEESE_PS5_SF_jNS0_19identity_decomposerENS1_16block_id_wrapperIjLb0EEEEE10hipError_tT1_PNSt15iterator_traitsISK_E10value_typeET2_T3_PNSL_ISQ_E10value_typeET4_T5_PSV_SW_PNS1_23onesweep_lookback_stateEbbT6_jjT7_P12ihipStream_tbENKUlT_T0_SK_SP_E_clIPiSE_SF_SF_EEDaS13_S14_SK_SP_EUlS13_E_NS1_11comp_targetILNS1_3genE6ELNS1_11target_archE950ELNS1_3gpuE13ELNS1_3repE0EEENS1_47radix_sort_onesweep_sort_config_static_selectorELNS0_4arch9wavefront6targetE1EEEvSK_.uses_vcc, 1
	.set _ZN7rocprim17ROCPRIM_400000_NS6detail17trampoline_kernelINS0_14default_configENS1_35radix_sort_onesweep_config_selectorIiNS0_10empty_typeEEEZZNS1_29radix_sort_onesweep_iterationIS3_Lb0EN6thrust23THRUST_200600_302600_NS6detail15normal_iteratorINS9_10device_ptrIiEEEESE_PS5_SF_jNS0_19identity_decomposerENS1_16block_id_wrapperIjLb0EEEEE10hipError_tT1_PNSt15iterator_traitsISK_E10value_typeET2_T3_PNSL_ISQ_E10value_typeET4_T5_PSV_SW_PNS1_23onesweep_lookback_stateEbbT6_jjT7_P12ihipStream_tbENKUlT_T0_SK_SP_E_clIPiSE_SF_SF_EEDaS13_S14_SK_SP_EUlS13_E_NS1_11comp_targetILNS1_3genE6ELNS1_11target_archE950ELNS1_3gpuE13ELNS1_3repE0EEENS1_47radix_sort_onesweep_sort_config_static_selectorELNS0_4arch9wavefront6targetE1EEEvSK_.uses_flat_scratch, 0
	.set _ZN7rocprim17ROCPRIM_400000_NS6detail17trampoline_kernelINS0_14default_configENS1_35radix_sort_onesweep_config_selectorIiNS0_10empty_typeEEEZZNS1_29radix_sort_onesweep_iterationIS3_Lb0EN6thrust23THRUST_200600_302600_NS6detail15normal_iteratorINS9_10device_ptrIiEEEESE_PS5_SF_jNS0_19identity_decomposerENS1_16block_id_wrapperIjLb0EEEEE10hipError_tT1_PNSt15iterator_traitsISK_E10value_typeET2_T3_PNSL_ISQ_E10value_typeET4_T5_PSV_SW_PNS1_23onesweep_lookback_stateEbbT6_jjT7_P12ihipStream_tbENKUlT_T0_SK_SP_E_clIPiSE_SF_SF_EEDaS13_S14_SK_SP_EUlS13_E_NS1_11comp_targetILNS1_3genE6ELNS1_11target_archE950ELNS1_3gpuE13ELNS1_3repE0EEENS1_47radix_sort_onesweep_sort_config_static_selectorELNS0_4arch9wavefront6targetE1EEEvSK_.has_dyn_sized_stack, 0
	.set _ZN7rocprim17ROCPRIM_400000_NS6detail17trampoline_kernelINS0_14default_configENS1_35radix_sort_onesweep_config_selectorIiNS0_10empty_typeEEEZZNS1_29radix_sort_onesweep_iterationIS3_Lb0EN6thrust23THRUST_200600_302600_NS6detail15normal_iteratorINS9_10device_ptrIiEEEESE_PS5_SF_jNS0_19identity_decomposerENS1_16block_id_wrapperIjLb0EEEEE10hipError_tT1_PNSt15iterator_traitsISK_E10value_typeET2_T3_PNSL_ISQ_E10value_typeET4_T5_PSV_SW_PNS1_23onesweep_lookback_stateEbbT6_jjT7_P12ihipStream_tbENKUlT_T0_SK_SP_E_clIPiSE_SF_SF_EEDaS13_S14_SK_SP_EUlS13_E_NS1_11comp_targetILNS1_3genE6ELNS1_11target_archE950ELNS1_3gpuE13ELNS1_3repE0EEENS1_47radix_sort_onesweep_sort_config_static_selectorELNS0_4arch9wavefront6targetE1EEEvSK_.has_recursion, 0
	.set _ZN7rocprim17ROCPRIM_400000_NS6detail17trampoline_kernelINS0_14default_configENS1_35radix_sort_onesweep_config_selectorIiNS0_10empty_typeEEEZZNS1_29radix_sort_onesweep_iterationIS3_Lb0EN6thrust23THRUST_200600_302600_NS6detail15normal_iteratorINS9_10device_ptrIiEEEESE_PS5_SF_jNS0_19identity_decomposerENS1_16block_id_wrapperIjLb0EEEEE10hipError_tT1_PNSt15iterator_traitsISK_E10value_typeET2_T3_PNSL_ISQ_E10value_typeET4_T5_PSV_SW_PNS1_23onesweep_lookback_stateEbbT6_jjT7_P12ihipStream_tbENKUlT_T0_SK_SP_E_clIPiSE_SF_SF_EEDaS13_S14_SK_SP_EUlS13_E_NS1_11comp_targetILNS1_3genE6ELNS1_11target_archE950ELNS1_3gpuE13ELNS1_3repE0EEENS1_47radix_sort_onesweep_sort_config_static_selectorELNS0_4arch9wavefront6targetE1EEEvSK_.has_indirect_call, 0
	.section	.AMDGPU.csdata,"",@progbits
; Kernel info:
; codeLenInByte = 11196
; TotalNumSgprs: 37
; NumVgprs: 46
; NumAgprs: 0
; TotalNumVgprs: 46
; ScratchSize: 0
; MemoryBound: 0
; FloatMode: 240
; IeeeMode: 1
; LDSByteSize: 20552 bytes/workgroup (compile time only)
; SGPRBlocks: 4
; VGPRBlocks: 5
; NumSGPRsForWavesPerEU: 37
; NumVGPRsForWavesPerEU: 46
; AccumOffset: 48
; Occupancy: 8
; WaveLimiterHint : 1
; COMPUTE_PGM_RSRC2:SCRATCH_EN: 0
; COMPUTE_PGM_RSRC2:USER_SGPR: 2
; COMPUTE_PGM_RSRC2:TRAP_HANDLER: 0
; COMPUTE_PGM_RSRC2:TGID_X_EN: 1
; COMPUTE_PGM_RSRC2:TGID_Y_EN: 0
; COMPUTE_PGM_RSRC2:TGID_Z_EN: 0
; COMPUTE_PGM_RSRC2:TIDIG_COMP_CNT: 2
; COMPUTE_PGM_RSRC3_GFX90A:ACCUM_OFFSET: 11
; COMPUTE_PGM_RSRC3_GFX90A:TG_SPLIT: 0
	.section	.text._ZN7rocprim17ROCPRIM_400000_NS6detail17trampoline_kernelINS0_14default_configENS1_35radix_sort_onesweep_config_selectorIiNS0_10empty_typeEEEZZNS1_29radix_sort_onesweep_iterationIS3_Lb0EN6thrust23THRUST_200600_302600_NS6detail15normal_iteratorINS9_10device_ptrIiEEEESE_PS5_SF_jNS0_19identity_decomposerENS1_16block_id_wrapperIjLb0EEEEE10hipError_tT1_PNSt15iterator_traitsISK_E10value_typeET2_T3_PNSL_ISQ_E10value_typeET4_T5_PSV_SW_PNS1_23onesweep_lookback_stateEbbT6_jjT7_P12ihipStream_tbENKUlT_T0_SK_SP_E_clIPiSE_SF_SF_EEDaS13_S14_SK_SP_EUlS13_E_NS1_11comp_targetILNS1_3genE5ELNS1_11target_archE942ELNS1_3gpuE9ELNS1_3repE0EEENS1_47radix_sort_onesweep_sort_config_static_selectorELNS0_4arch9wavefront6targetE1EEEvSK_,"axG",@progbits,_ZN7rocprim17ROCPRIM_400000_NS6detail17trampoline_kernelINS0_14default_configENS1_35radix_sort_onesweep_config_selectorIiNS0_10empty_typeEEEZZNS1_29radix_sort_onesweep_iterationIS3_Lb0EN6thrust23THRUST_200600_302600_NS6detail15normal_iteratorINS9_10device_ptrIiEEEESE_PS5_SF_jNS0_19identity_decomposerENS1_16block_id_wrapperIjLb0EEEEE10hipError_tT1_PNSt15iterator_traitsISK_E10value_typeET2_T3_PNSL_ISQ_E10value_typeET4_T5_PSV_SW_PNS1_23onesweep_lookback_stateEbbT6_jjT7_P12ihipStream_tbENKUlT_T0_SK_SP_E_clIPiSE_SF_SF_EEDaS13_S14_SK_SP_EUlS13_E_NS1_11comp_targetILNS1_3genE5ELNS1_11target_archE942ELNS1_3gpuE9ELNS1_3repE0EEENS1_47radix_sort_onesweep_sort_config_static_selectorELNS0_4arch9wavefront6targetE1EEEvSK_,comdat
	.protected	_ZN7rocprim17ROCPRIM_400000_NS6detail17trampoline_kernelINS0_14default_configENS1_35radix_sort_onesweep_config_selectorIiNS0_10empty_typeEEEZZNS1_29radix_sort_onesweep_iterationIS3_Lb0EN6thrust23THRUST_200600_302600_NS6detail15normal_iteratorINS9_10device_ptrIiEEEESE_PS5_SF_jNS0_19identity_decomposerENS1_16block_id_wrapperIjLb0EEEEE10hipError_tT1_PNSt15iterator_traitsISK_E10value_typeET2_T3_PNSL_ISQ_E10value_typeET4_T5_PSV_SW_PNS1_23onesweep_lookback_stateEbbT6_jjT7_P12ihipStream_tbENKUlT_T0_SK_SP_E_clIPiSE_SF_SF_EEDaS13_S14_SK_SP_EUlS13_E_NS1_11comp_targetILNS1_3genE5ELNS1_11target_archE942ELNS1_3gpuE9ELNS1_3repE0EEENS1_47radix_sort_onesweep_sort_config_static_selectorELNS0_4arch9wavefront6targetE1EEEvSK_ ; -- Begin function _ZN7rocprim17ROCPRIM_400000_NS6detail17trampoline_kernelINS0_14default_configENS1_35radix_sort_onesweep_config_selectorIiNS0_10empty_typeEEEZZNS1_29radix_sort_onesweep_iterationIS3_Lb0EN6thrust23THRUST_200600_302600_NS6detail15normal_iteratorINS9_10device_ptrIiEEEESE_PS5_SF_jNS0_19identity_decomposerENS1_16block_id_wrapperIjLb0EEEEE10hipError_tT1_PNSt15iterator_traitsISK_E10value_typeET2_T3_PNSL_ISQ_E10value_typeET4_T5_PSV_SW_PNS1_23onesweep_lookback_stateEbbT6_jjT7_P12ihipStream_tbENKUlT_T0_SK_SP_E_clIPiSE_SF_SF_EEDaS13_S14_SK_SP_EUlS13_E_NS1_11comp_targetILNS1_3genE5ELNS1_11target_archE942ELNS1_3gpuE9ELNS1_3repE0EEENS1_47radix_sort_onesweep_sort_config_static_selectorELNS0_4arch9wavefront6targetE1EEEvSK_
	.globl	_ZN7rocprim17ROCPRIM_400000_NS6detail17trampoline_kernelINS0_14default_configENS1_35radix_sort_onesweep_config_selectorIiNS0_10empty_typeEEEZZNS1_29radix_sort_onesweep_iterationIS3_Lb0EN6thrust23THRUST_200600_302600_NS6detail15normal_iteratorINS9_10device_ptrIiEEEESE_PS5_SF_jNS0_19identity_decomposerENS1_16block_id_wrapperIjLb0EEEEE10hipError_tT1_PNSt15iterator_traitsISK_E10value_typeET2_T3_PNSL_ISQ_E10value_typeET4_T5_PSV_SW_PNS1_23onesweep_lookback_stateEbbT6_jjT7_P12ihipStream_tbENKUlT_T0_SK_SP_E_clIPiSE_SF_SF_EEDaS13_S14_SK_SP_EUlS13_E_NS1_11comp_targetILNS1_3genE5ELNS1_11target_archE942ELNS1_3gpuE9ELNS1_3repE0EEENS1_47radix_sort_onesweep_sort_config_static_selectorELNS0_4arch9wavefront6targetE1EEEvSK_
	.p2align	8
	.type	_ZN7rocprim17ROCPRIM_400000_NS6detail17trampoline_kernelINS0_14default_configENS1_35radix_sort_onesweep_config_selectorIiNS0_10empty_typeEEEZZNS1_29radix_sort_onesweep_iterationIS3_Lb0EN6thrust23THRUST_200600_302600_NS6detail15normal_iteratorINS9_10device_ptrIiEEEESE_PS5_SF_jNS0_19identity_decomposerENS1_16block_id_wrapperIjLb0EEEEE10hipError_tT1_PNSt15iterator_traitsISK_E10value_typeET2_T3_PNSL_ISQ_E10value_typeET4_T5_PSV_SW_PNS1_23onesweep_lookback_stateEbbT6_jjT7_P12ihipStream_tbENKUlT_T0_SK_SP_E_clIPiSE_SF_SF_EEDaS13_S14_SK_SP_EUlS13_E_NS1_11comp_targetILNS1_3genE5ELNS1_11target_archE942ELNS1_3gpuE9ELNS1_3repE0EEENS1_47radix_sort_onesweep_sort_config_static_selectorELNS0_4arch9wavefront6targetE1EEEvSK_,@function
_ZN7rocprim17ROCPRIM_400000_NS6detail17trampoline_kernelINS0_14default_configENS1_35radix_sort_onesweep_config_selectorIiNS0_10empty_typeEEEZZNS1_29radix_sort_onesweep_iterationIS3_Lb0EN6thrust23THRUST_200600_302600_NS6detail15normal_iteratorINS9_10device_ptrIiEEEESE_PS5_SF_jNS0_19identity_decomposerENS1_16block_id_wrapperIjLb0EEEEE10hipError_tT1_PNSt15iterator_traitsISK_E10value_typeET2_T3_PNSL_ISQ_E10value_typeET4_T5_PSV_SW_PNS1_23onesweep_lookback_stateEbbT6_jjT7_P12ihipStream_tbENKUlT_T0_SK_SP_E_clIPiSE_SF_SF_EEDaS13_S14_SK_SP_EUlS13_E_NS1_11comp_targetILNS1_3genE5ELNS1_11target_archE942ELNS1_3gpuE9ELNS1_3repE0EEENS1_47radix_sort_onesweep_sort_config_static_selectorELNS0_4arch9wavefront6targetE1EEEvSK_: ; @_ZN7rocprim17ROCPRIM_400000_NS6detail17trampoline_kernelINS0_14default_configENS1_35radix_sort_onesweep_config_selectorIiNS0_10empty_typeEEEZZNS1_29radix_sort_onesweep_iterationIS3_Lb0EN6thrust23THRUST_200600_302600_NS6detail15normal_iteratorINS9_10device_ptrIiEEEESE_PS5_SF_jNS0_19identity_decomposerENS1_16block_id_wrapperIjLb0EEEEE10hipError_tT1_PNSt15iterator_traitsISK_E10value_typeET2_T3_PNSL_ISQ_E10value_typeET4_T5_PSV_SW_PNS1_23onesweep_lookback_stateEbbT6_jjT7_P12ihipStream_tbENKUlT_T0_SK_SP_E_clIPiSE_SF_SF_EEDaS13_S14_SK_SP_EUlS13_E_NS1_11comp_targetILNS1_3genE5ELNS1_11target_archE942ELNS1_3gpuE9ELNS1_3repE0EEENS1_47radix_sort_onesweep_sort_config_static_selectorELNS0_4arch9wavefront6targetE1EEEvSK_
; %bb.0:
	.section	.rodata,"a",@progbits
	.p2align	6, 0x0
	.amdhsa_kernel _ZN7rocprim17ROCPRIM_400000_NS6detail17trampoline_kernelINS0_14default_configENS1_35radix_sort_onesweep_config_selectorIiNS0_10empty_typeEEEZZNS1_29radix_sort_onesweep_iterationIS3_Lb0EN6thrust23THRUST_200600_302600_NS6detail15normal_iteratorINS9_10device_ptrIiEEEESE_PS5_SF_jNS0_19identity_decomposerENS1_16block_id_wrapperIjLb0EEEEE10hipError_tT1_PNSt15iterator_traitsISK_E10value_typeET2_T3_PNSL_ISQ_E10value_typeET4_T5_PSV_SW_PNS1_23onesweep_lookback_stateEbbT6_jjT7_P12ihipStream_tbENKUlT_T0_SK_SP_E_clIPiSE_SF_SF_EEDaS13_S14_SK_SP_EUlS13_E_NS1_11comp_targetILNS1_3genE5ELNS1_11target_archE942ELNS1_3gpuE9ELNS1_3repE0EEENS1_47radix_sort_onesweep_sort_config_static_selectorELNS0_4arch9wavefront6targetE1EEEvSK_
		.amdhsa_group_segment_fixed_size 0
		.amdhsa_private_segment_fixed_size 0
		.amdhsa_kernarg_size 88
		.amdhsa_user_sgpr_count 2
		.amdhsa_user_sgpr_dispatch_ptr 0
		.amdhsa_user_sgpr_queue_ptr 0
		.amdhsa_user_sgpr_kernarg_segment_ptr 1
		.amdhsa_user_sgpr_dispatch_id 0
		.amdhsa_user_sgpr_kernarg_preload_length 0
		.amdhsa_user_sgpr_kernarg_preload_offset 0
		.amdhsa_user_sgpr_private_segment_size 0
		.amdhsa_uses_dynamic_stack 0
		.amdhsa_enable_private_segment 0
		.amdhsa_system_sgpr_workgroup_id_x 1
		.amdhsa_system_sgpr_workgroup_id_y 0
		.amdhsa_system_sgpr_workgroup_id_z 0
		.amdhsa_system_sgpr_workgroup_info 0
		.amdhsa_system_vgpr_workitem_id 0
		.amdhsa_next_free_vgpr 1
		.amdhsa_next_free_sgpr 0
		.amdhsa_accum_offset 4
		.amdhsa_reserve_vcc 0
		.amdhsa_float_round_mode_32 0
		.amdhsa_float_round_mode_16_64 0
		.amdhsa_float_denorm_mode_32 3
		.amdhsa_float_denorm_mode_16_64 3
		.amdhsa_dx10_clamp 1
		.amdhsa_ieee_mode 1
		.amdhsa_fp16_overflow 0
		.amdhsa_tg_split 0
		.amdhsa_exception_fp_ieee_invalid_op 0
		.amdhsa_exception_fp_denorm_src 0
		.amdhsa_exception_fp_ieee_div_zero 0
		.amdhsa_exception_fp_ieee_overflow 0
		.amdhsa_exception_fp_ieee_underflow 0
		.amdhsa_exception_fp_ieee_inexact 0
		.amdhsa_exception_int_div_zero 0
	.end_amdhsa_kernel
	.section	.text._ZN7rocprim17ROCPRIM_400000_NS6detail17trampoline_kernelINS0_14default_configENS1_35radix_sort_onesweep_config_selectorIiNS0_10empty_typeEEEZZNS1_29radix_sort_onesweep_iterationIS3_Lb0EN6thrust23THRUST_200600_302600_NS6detail15normal_iteratorINS9_10device_ptrIiEEEESE_PS5_SF_jNS0_19identity_decomposerENS1_16block_id_wrapperIjLb0EEEEE10hipError_tT1_PNSt15iterator_traitsISK_E10value_typeET2_T3_PNSL_ISQ_E10value_typeET4_T5_PSV_SW_PNS1_23onesweep_lookback_stateEbbT6_jjT7_P12ihipStream_tbENKUlT_T0_SK_SP_E_clIPiSE_SF_SF_EEDaS13_S14_SK_SP_EUlS13_E_NS1_11comp_targetILNS1_3genE5ELNS1_11target_archE942ELNS1_3gpuE9ELNS1_3repE0EEENS1_47radix_sort_onesweep_sort_config_static_selectorELNS0_4arch9wavefront6targetE1EEEvSK_,"axG",@progbits,_ZN7rocprim17ROCPRIM_400000_NS6detail17trampoline_kernelINS0_14default_configENS1_35radix_sort_onesweep_config_selectorIiNS0_10empty_typeEEEZZNS1_29radix_sort_onesweep_iterationIS3_Lb0EN6thrust23THRUST_200600_302600_NS6detail15normal_iteratorINS9_10device_ptrIiEEEESE_PS5_SF_jNS0_19identity_decomposerENS1_16block_id_wrapperIjLb0EEEEE10hipError_tT1_PNSt15iterator_traitsISK_E10value_typeET2_T3_PNSL_ISQ_E10value_typeET4_T5_PSV_SW_PNS1_23onesweep_lookback_stateEbbT6_jjT7_P12ihipStream_tbENKUlT_T0_SK_SP_E_clIPiSE_SF_SF_EEDaS13_S14_SK_SP_EUlS13_E_NS1_11comp_targetILNS1_3genE5ELNS1_11target_archE942ELNS1_3gpuE9ELNS1_3repE0EEENS1_47radix_sort_onesweep_sort_config_static_selectorELNS0_4arch9wavefront6targetE1EEEvSK_,comdat
.Lfunc_end206:
	.size	_ZN7rocprim17ROCPRIM_400000_NS6detail17trampoline_kernelINS0_14default_configENS1_35radix_sort_onesweep_config_selectorIiNS0_10empty_typeEEEZZNS1_29radix_sort_onesweep_iterationIS3_Lb0EN6thrust23THRUST_200600_302600_NS6detail15normal_iteratorINS9_10device_ptrIiEEEESE_PS5_SF_jNS0_19identity_decomposerENS1_16block_id_wrapperIjLb0EEEEE10hipError_tT1_PNSt15iterator_traitsISK_E10value_typeET2_T3_PNSL_ISQ_E10value_typeET4_T5_PSV_SW_PNS1_23onesweep_lookback_stateEbbT6_jjT7_P12ihipStream_tbENKUlT_T0_SK_SP_E_clIPiSE_SF_SF_EEDaS13_S14_SK_SP_EUlS13_E_NS1_11comp_targetILNS1_3genE5ELNS1_11target_archE942ELNS1_3gpuE9ELNS1_3repE0EEENS1_47radix_sort_onesweep_sort_config_static_selectorELNS0_4arch9wavefront6targetE1EEEvSK_, .Lfunc_end206-_ZN7rocprim17ROCPRIM_400000_NS6detail17trampoline_kernelINS0_14default_configENS1_35radix_sort_onesweep_config_selectorIiNS0_10empty_typeEEEZZNS1_29radix_sort_onesweep_iterationIS3_Lb0EN6thrust23THRUST_200600_302600_NS6detail15normal_iteratorINS9_10device_ptrIiEEEESE_PS5_SF_jNS0_19identity_decomposerENS1_16block_id_wrapperIjLb0EEEEE10hipError_tT1_PNSt15iterator_traitsISK_E10value_typeET2_T3_PNSL_ISQ_E10value_typeET4_T5_PSV_SW_PNS1_23onesweep_lookback_stateEbbT6_jjT7_P12ihipStream_tbENKUlT_T0_SK_SP_E_clIPiSE_SF_SF_EEDaS13_S14_SK_SP_EUlS13_E_NS1_11comp_targetILNS1_3genE5ELNS1_11target_archE942ELNS1_3gpuE9ELNS1_3repE0EEENS1_47radix_sort_onesweep_sort_config_static_selectorELNS0_4arch9wavefront6targetE1EEEvSK_
                                        ; -- End function
	.set _ZN7rocprim17ROCPRIM_400000_NS6detail17trampoline_kernelINS0_14default_configENS1_35radix_sort_onesweep_config_selectorIiNS0_10empty_typeEEEZZNS1_29radix_sort_onesweep_iterationIS3_Lb0EN6thrust23THRUST_200600_302600_NS6detail15normal_iteratorINS9_10device_ptrIiEEEESE_PS5_SF_jNS0_19identity_decomposerENS1_16block_id_wrapperIjLb0EEEEE10hipError_tT1_PNSt15iterator_traitsISK_E10value_typeET2_T3_PNSL_ISQ_E10value_typeET4_T5_PSV_SW_PNS1_23onesweep_lookback_stateEbbT6_jjT7_P12ihipStream_tbENKUlT_T0_SK_SP_E_clIPiSE_SF_SF_EEDaS13_S14_SK_SP_EUlS13_E_NS1_11comp_targetILNS1_3genE5ELNS1_11target_archE942ELNS1_3gpuE9ELNS1_3repE0EEENS1_47radix_sort_onesweep_sort_config_static_selectorELNS0_4arch9wavefront6targetE1EEEvSK_.num_vgpr, 0
	.set _ZN7rocprim17ROCPRIM_400000_NS6detail17trampoline_kernelINS0_14default_configENS1_35radix_sort_onesweep_config_selectorIiNS0_10empty_typeEEEZZNS1_29radix_sort_onesweep_iterationIS3_Lb0EN6thrust23THRUST_200600_302600_NS6detail15normal_iteratorINS9_10device_ptrIiEEEESE_PS5_SF_jNS0_19identity_decomposerENS1_16block_id_wrapperIjLb0EEEEE10hipError_tT1_PNSt15iterator_traitsISK_E10value_typeET2_T3_PNSL_ISQ_E10value_typeET4_T5_PSV_SW_PNS1_23onesweep_lookback_stateEbbT6_jjT7_P12ihipStream_tbENKUlT_T0_SK_SP_E_clIPiSE_SF_SF_EEDaS13_S14_SK_SP_EUlS13_E_NS1_11comp_targetILNS1_3genE5ELNS1_11target_archE942ELNS1_3gpuE9ELNS1_3repE0EEENS1_47radix_sort_onesweep_sort_config_static_selectorELNS0_4arch9wavefront6targetE1EEEvSK_.num_agpr, 0
	.set _ZN7rocprim17ROCPRIM_400000_NS6detail17trampoline_kernelINS0_14default_configENS1_35radix_sort_onesweep_config_selectorIiNS0_10empty_typeEEEZZNS1_29radix_sort_onesweep_iterationIS3_Lb0EN6thrust23THRUST_200600_302600_NS6detail15normal_iteratorINS9_10device_ptrIiEEEESE_PS5_SF_jNS0_19identity_decomposerENS1_16block_id_wrapperIjLb0EEEEE10hipError_tT1_PNSt15iterator_traitsISK_E10value_typeET2_T3_PNSL_ISQ_E10value_typeET4_T5_PSV_SW_PNS1_23onesweep_lookback_stateEbbT6_jjT7_P12ihipStream_tbENKUlT_T0_SK_SP_E_clIPiSE_SF_SF_EEDaS13_S14_SK_SP_EUlS13_E_NS1_11comp_targetILNS1_3genE5ELNS1_11target_archE942ELNS1_3gpuE9ELNS1_3repE0EEENS1_47radix_sort_onesweep_sort_config_static_selectorELNS0_4arch9wavefront6targetE1EEEvSK_.numbered_sgpr, 0
	.set _ZN7rocprim17ROCPRIM_400000_NS6detail17trampoline_kernelINS0_14default_configENS1_35radix_sort_onesweep_config_selectorIiNS0_10empty_typeEEEZZNS1_29radix_sort_onesweep_iterationIS3_Lb0EN6thrust23THRUST_200600_302600_NS6detail15normal_iteratorINS9_10device_ptrIiEEEESE_PS5_SF_jNS0_19identity_decomposerENS1_16block_id_wrapperIjLb0EEEEE10hipError_tT1_PNSt15iterator_traitsISK_E10value_typeET2_T3_PNSL_ISQ_E10value_typeET4_T5_PSV_SW_PNS1_23onesweep_lookback_stateEbbT6_jjT7_P12ihipStream_tbENKUlT_T0_SK_SP_E_clIPiSE_SF_SF_EEDaS13_S14_SK_SP_EUlS13_E_NS1_11comp_targetILNS1_3genE5ELNS1_11target_archE942ELNS1_3gpuE9ELNS1_3repE0EEENS1_47radix_sort_onesweep_sort_config_static_selectorELNS0_4arch9wavefront6targetE1EEEvSK_.num_named_barrier, 0
	.set _ZN7rocprim17ROCPRIM_400000_NS6detail17trampoline_kernelINS0_14default_configENS1_35radix_sort_onesweep_config_selectorIiNS0_10empty_typeEEEZZNS1_29radix_sort_onesweep_iterationIS3_Lb0EN6thrust23THRUST_200600_302600_NS6detail15normal_iteratorINS9_10device_ptrIiEEEESE_PS5_SF_jNS0_19identity_decomposerENS1_16block_id_wrapperIjLb0EEEEE10hipError_tT1_PNSt15iterator_traitsISK_E10value_typeET2_T3_PNSL_ISQ_E10value_typeET4_T5_PSV_SW_PNS1_23onesweep_lookback_stateEbbT6_jjT7_P12ihipStream_tbENKUlT_T0_SK_SP_E_clIPiSE_SF_SF_EEDaS13_S14_SK_SP_EUlS13_E_NS1_11comp_targetILNS1_3genE5ELNS1_11target_archE942ELNS1_3gpuE9ELNS1_3repE0EEENS1_47radix_sort_onesweep_sort_config_static_selectorELNS0_4arch9wavefront6targetE1EEEvSK_.private_seg_size, 0
	.set _ZN7rocprim17ROCPRIM_400000_NS6detail17trampoline_kernelINS0_14default_configENS1_35radix_sort_onesweep_config_selectorIiNS0_10empty_typeEEEZZNS1_29radix_sort_onesweep_iterationIS3_Lb0EN6thrust23THRUST_200600_302600_NS6detail15normal_iteratorINS9_10device_ptrIiEEEESE_PS5_SF_jNS0_19identity_decomposerENS1_16block_id_wrapperIjLb0EEEEE10hipError_tT1_PNSt15iterator_traitsISK_E10value_typeET2_T3_PNSL_ISQ_E10value_typeET4_T5_PSV_SW_PNS1_23onesweep_lookback_stateEbbT6_jjT7_P12ihipStream_tbENKUlT_T0_SK_SP_E_clIPiSE_SF_SF_EEDaS13_S14_SK_SP_EUlS13_E_NS1_11comp_targetILNS1_3genE5ELNS1_11target_archE942ELNS1_3gpuE9ELNS1_3repE0EEENS1_47radix_sort_onesweep_sort_config_static_selectorELNS0_4arch9wavefront6targetE1EEEvSK_.uses_vcc, 0
	.set _ZN7rocprim17ROCPRIM_400000_NS6detail17trampoline_kernelINS0_14default_configENS1_35radix_sort_onesweep_config_selectorIiNS0_10empty_typeEEEZZNS1_29radix_sort_onesweep_iterationIS3_Lb0EN6thrust23THRUST_200600_302600_NS6detail15normal_iteratorINS9_10device_ptrIiEEEESE_PS5_SF_jNS0_19identity_decomposerENS1_16block_id_wrapperIjLb0EEEEE10hipError_tT1_PNSt15iterator_traitsISK_E10value_typeET2_T3_PNSL_ISQ_E10value_typeET4_T5_PSV_SW_PNS1_23onesweep_lookback_stateEbbT6_jjT7_P12ihipStream_tbENKUlT_T0_SK_SP_E_clIPiSE_SF_SF_EEDaS13_S14_SK_SP_EUlS13_E_NS1_11comp_targetILNS1_3genE5ELNS1_11target_archE942ELNS1_3gpuE9ELNS1_3repE0EEENS1_47radix_sort_onesweep_sort_config_static_selectorELNS0_4arch9wavefront6targetE1EEEvSK_.uses_flat_scratch, 0
	.set _ZN7rocprim17ROCPRIM_400000_NS6detail17trampoline_kernelINS0_14default_configENS1_35radix_sort_onesweep_config_selectorIiNS0_10empty_typeEEEZZNS1_29radix_sort_onesweep_iterationIS3_Lb0EN6thrust23THRUST_200600_302600_NS6detail15normal_iteratorINS9_10device_ptrIiEEEESE_PS5_SF_jNS0_19identity_decomposerENS1_16block_id_wrapperIjLb0EEEEE10hipError_tT1_PNSt15iterator_traitsISK_E10value_typeET2_T3_PNSL_ISQ_E10value_typeET4_T5_PSV_SW_PNS1_23onesweep_lookback_stateEbbT6_jjT7_P12ihipStream_tbENKUlT_T0_SK_SP_E_clIPiSE_SF_SF_EEDaS13_S14_SK_SP_EUlS13_E_NS1_11comp_targetILNS1_3genE5ELNS1_11target_archE942ELNS1_3gpuE9ELNS1_3repE0EEENS1_47radix_sort_onesweep_sort_config_static_selectorELNS0_4arch9wavefront6targetE1EEEvSK_.has_dyn_sized_stack, 0
	.set _ZN7rocprim17ROCPRIM_400000_NS6detail17trampoline_kernelINS0_14default_configENS1_35radix_sort_onesweep_config_selectorIiNS0_10empty_typeEEEZZNS1_29radix_sort_onesweep_iterationIS3_Lb0EN6thrust23THRUST_200600_302600_NS6detail15normal_iteratorINS9_10device_ptrIiEEEESE_PS5_SF_jNS0_19identity_decomposerENS1_16block_id_wrapperIjLb0EEEEE10hipError_tT1_PNSt15iterator_traitsISK_E10value_typeET2_T3_PNSL_ISQ_E10value_typeET4_T5_PSV_SW_PNS1_23onesweep_lookback_stateEbbT6_jjT7_P12ihipStream_tbENKUlT_T0_SK_SP_E_clIPiSE_SF_SF_EEDaS13_S14_SK_SP_EUlS13_E_NS1_11comp_targetILNS1_3genE5ELNS1_11target_archE942ELNS1_3gpuE9ELNS1_3repE0EEENS1_47radix_sort_onesweep_sort_config_static_selectorELNS0_4arch9wavefront6targetE1EEEvSK_.has_recursion, 0
	.set _ZN7rocprim17ROCPRIM_400000_NS6detail17trampoline_kernelINS0_14default_configENS1_35radix_sort_onesweep_config_selectorIiNS0_10empty_typeEEEZZNS1_29radix_sort_onesweep_iterationIS3_Lb0EN6thrust23THRUST_200600_302600_NS6detail15normal_iteratorINS9_10device_ptrIiEEEESE_PS5_SF_jNS0_19identity_decomposerENS1_16block_id_wrapperIjLb0EEEEE10hipError_tT1_PNSt15iterator_traitsISK_E10value_typeET2_T3_PNSL_ISQ_E10value_typeET4_T5_PSV_SW_PNS1_23onesweep_lookback_stateEbbT6_jjT7_P12ihipStream_tbENKUlT_T0_SK_SP_E_clIPiSE_SF_SF_EEDaS13_S14_SK_SP_EUlS13_E_NS1_11comp_targetILNS1_3genE5ELNS1_11target_archE942ELNS1_3gpuE9ELNS1_3repE0EEENS1_47radix_sort_onesweep_sort_config_static_selectorELNS0_4arch9wavefront6targetE1EEEvSK_.has_indirect_call, 0
	.section	.AMDGPU.csdata,"",@progbits
; Kernel info:
; codeLenInByte = 0
; TotalNumSgprs: 6
; NumVgprs: 0
; NumAgprs: 0
; TotalNumVgprs: 0
; ScratchSize: 0
; MemoryBound: 0
; FloatMode: 240
; IeeeMode: 1
; LDSByteSize: 0 bytes/workgroup (compile time only)
; SGPRBlocks: 0
; VGPRBlocks: 0
; NumSGPRsForWavesPerEU: 6
; NumVGPRsForWavesPerEU: 1
; AccumOffset: 4
; Occupancy: 8
; WaveLimiterHint : 0
; COMPUTE_PGM_RSRC2:SCRATCH_EN: 0
; COMPUTE_PGM_RSRC2:USER_SGPR: 2
; COMPUTE_PGM_RSRC2:TRAP_HANDLER: 0
; COMPUTE_PGM_RSRC2:TGID_X_EN: 1
; COMPUTE_PGM_RSRC2:TGID_Y_EN: 0
; COMPUTE_PGM_RSRC2:TGID_Z_EN: 0
; COMPUTE_PGM_RSRC2:TIDIG_COMP_CNT: 0
; COMPUTE_PGM_RSRC3_GFX90A:ACCUM_OFFSET: 0
; COMPUTE_PGM_RSRC3_GFX90A:TG_SPLIT: 0
	.section	.text._ZN7rocprim17ROCPRIM_400000_NS6detail17trampoline_kernelINS0_14default_configENS1_35radix_sort_onesweep_config_selectorIiNS0_10empty_typeEEEZZNS1_29radix_sort_onesweep_iterationIS3_Lb0EN6thrust23THRUST_200600_302600_NS6detail15normal_iteratorINS9_10device_ptrIiEEEESE_PS5_SF_jNS0_19identity_decomposerENS1_16block_id_wrapperIjLb0EEEEE10hipError_tT1_PNSt15iterator_traitsISK_E10value_typeET2_T3_PNSL_ISQ_E10value_typeET4_T5_PSV_SW_PNS1_23onesweep_lookback_stateEbbT6_jjT7_P12ihipStream_tbENKUlT_T0_SK_SP_E_clIPiSE_SF_SF_EEDaS13_S14_SK_SP_EUlS13_E_NS1_11comp_targetILNS1_3genE2ELNS1_11target_archE906ELNS1_3gpuE6ELNS1_3repE0EEENS1_47radix_sort_onesweep_sort_config_static_selectorELNS0_4arch9wavefront6targetE1EEEvSK_,"axG",@progbits,_ZN7rocprim17ROCPRIM_400000_NS6detail17trampoline_kernelINS0_14default_configENS1_35radix_sort_onesweep_config_selectorIiNS0_10empty_typeEEEZZNS1_29radix_sort_onesweep_iterationIS3_Lb0EN6thrust23THRUST_200600_302600_NS6detail15normal_iteratorINS9_10device_ptrIiEEEESE_PS5_SF_jNS0_19identity_decomposerENS1_16block_id_wrapperIjLb0EEEEE10hipError_tT1_PNSt15iterator_traitsISK_E10value_typeET2_T3_PNSL_ISQ_E10value_typeET4_T5_PSV_SW_PNS1_23onesweep_lookback_stateEbbT6_jjT7_P12ihipStream_tbENKUlT_T0_SK_SP_E_clIPiSE_SF_SF_EEDaS13_S14_SK_SP_EUlS13_E_NS1_11comp_targetILNS1_3genE2ELNS1_11target_archE906ELNS1_3gpuE6ELNS1_3repE0EEENS1_47radix_sort_onesweep_sort_config_static_selectorELNS0_4arch9wavefront6targetE1EEEvSK_,comdat
	.protected	_ZN7rocprim17ROCPRIM_400000_NS6detail17trampoline_kernelINS0_14default_configENS1_35radix_sort_onesweep_config_selectorIiNS0_10empty_typeEEEZZNS1_29radix_sort_onesweep_iterationIS3_Lb0EN6thrust23THRUST_200600_302600_NS6detail15normal_iteratorINS9_10device_ptrIiEEEESE_PS5_SF_jNS0_19identity_decomposerENS1_16block_id_wrapperIjLb0EEEEE10hipError_tT1_PNSt15iterator_traitsISK_E10value_typeET2_T3_PNSL_ISQ_E10value_typeET4_T5_PSV_SW_PNS1_23onesweep_lookback_stateEbbT6_jjT7_P12ihipStream_tbENKUlT_T0_SK_SP_E_clIPiSE_SF_SF_EEDaS13_S14_SK_SP_EUlS13_E_NS1_11comp_targetILNS1_3genE2ELNS1_11target_archE906ELNS1_3gpuE6ELNS1_3repE0EEENS1_47radix_sort_onesweep_sort_config_static_selectorELNS0_4arch9wavefront6targetE1EEEvSK_ ; -- Begin function _ZN7rocprim17ROCPRIM_400000_NS6detail17trampoline_kernelINS0_14default_configENS1_35radix_sort_onesweep_config_selectorIiNS0_10empty_typeEEEZZNS1_29radix_sort_onesweep_iterationIS3_Lb0EN6thrust23THRUST_200600_302600_NS6detail15normal_iteratorINS9_10device_ptrIiEEEESE_PS5_SF_jNS0_19identity_decomposerENS1_16block_id_wrapperIjLb0EEEEE10hipError_tT1_PNSt15iterator_traitsISK_E10value_typeET2_T3_PNSL_ISQ_E10value_typeET4_T5_PSV_SW_PNS1_23onesweep_lookback_stateEbbT6_jjT7_P12ihipStream_tbENKUlT_T0_SK_SP_E_clIPiSE_SF_SF_EEDaS13_S14_SK_SP_EUlS13_E_NS1_11comp_targetILNS1_3genE2ELNS1_11target_archE906ELNS1_3gpuE6ELNS1_3repE0EEENS1_47radix_sort_onesweep_sort_config_static_selectorELNS0_4arch9wavefront6targetE1EEEvSK_
	.globl	_ZN7rocprim17ROCPRIM_400000_NS6detail17trampoline_kernelINS0_14default_configENS1_35radix_sort_onesweep_config_selectorIiNS0_10empty_typeEEEZZNS1_29radix_sort_onesweep_iterationIS3_Lb0EN6thrust23THRUST_200600_302600_NS6detail15normal_iteratorINS9_10device_ptrIiEEEESE_PS5_SF_jNS0_19identity_decomposerENS1_16block_id_wrapperIjLb0EEEEE10hipError_tT1_PNSt15iterator_traitsISK_E10value_typeET2_T3_PNSL_ISQ_E10value_typeET4_T5_PSV_SW_PNS1_23onesweep_lookback_stateEbbT6_jjT7_P12ihipStream_tbENKUlT_T0_SK_SP_E_clIPiSE_SF_SF_EEDaS13_S14_SK_SP_EUlS13_E_NS1_11comp_targetILNS1_3genE2ELNS1_11target_archE906ELNS1_3gpuE6ELNS1_3repE0EEENS1_47radix_sort_onesweep_sort_config_static_selectorELNS0_4arch9wavefront6targetE1EEEvSK_
	.p2align	8
	.type	_ZN7rocprim17ROCPRIM_400000_NS6detail17trampoline_kernelINS0_14default_configENS1_35radix_sort_onesweep_config_selectorIiNS0_10empty_typeEEEZZNS1_29radix_sort_onesweep_iterationIS3_Lb0EN6thrust23THRUST_200600_302600_NS6detail15normal_iteratorINS9_10device_ptrIiEEEESE_PS5_SF_jNS0_19identity_decomposerENS1_16block_id_wrapperIjLb0EEEEE10hipError_tT1_PNSt15iterator_traitsISK_E10value_typeET2_T3_PNSL_ISQ_E10value_typeET4_T5_PSV_SW_PNS1_23onesweep_lookback_stateEbbT6_jjT7_P12ihipStream_tbENKUlT_T0_SK_SP_E_clIPiSE_SF_SF_EEDaS13_S14_SK_SP_EUlS13_E_NS1_11comp_targetILNS1_3genE2ELNS1_11target_archE906ELNS1_3gpuE6ELNS1_3repE0EEENS1_47radix_sort_onesweep_sort_config_static_selectorELNS0_4arch9wavefront6targetE1EEEvSK_,@function
_ZN7rocprim17ROCPRIM_400000_NS6detail17trampoline_kernelINS0_14default_configENS1_35radix_sort_onesweep_config_selectorIiNS0_10empty_typeEEEZZNS1_29radix_sort_onesweep_iterationIS3_Lb0EN6thrust23THRUST_200600_302600_NS6detail15normal_iteratorINS9_10device_ptrIiEEEESE_PS5_SF_jNS0_19identity_decomposerENS1_16block_id_wrapperIjLb0EEEEE10hipError_tT1_PNSt15iterator_traitsISK_E10value_typeET2_T3_PNSL_ISQ_E10value_typeET4_T5_PSV_SW_PNS1_23onesweep_lookback_stateEbbT6_jjT7_P12ihipStream_tbENKUlT_T0_SK_SP_E_clIPiSE_SF_SF_EEDaS13_S14_SK_SP_EUlS13_E_NS1_11comp_targetILNS1_3genE2ELNS1_11target_archE906ELNS1_3gpuE6ELNS1_3repE0EEENS1_47radix_sort_onesweep_sort_config_static_selectorELNS0_4arch9wavefront6targetE1EEEvSK_: ; @_ZN7rocprim17ROCPRIM_400000_NS6detail17trampoline_kernelINS0_14default_configENS1_35radix_sort_onesweep_config_selectorIiNS0_10empty_typeEEEZZNS1_29radix_sort_onesweep_iterationIS3_Lb0EN6thrust23THRUST_200600_302600_NS6detail15normal_iteratorINS9_10device_ptrIiEEEESE_PS5_SF_jNS0_19identity_decomposerENS1_16block_id_wrapperIjLb0EEEEE10hipError_tT1_PNSt15iterator_traitsISK_E10value_typeET2_T3_PNSL_ISQ_E10value_typeET4_T5_PSV_SW_PNS1_23onesweep_lookback_stateEbbT6_jjT7_P12ihipStream_tbENKUlT_T0_SK_SP_E_clIPiSE_SF_SF_EEDaS13_S14_SK_SP_EUlS13_E_NS1_11comp_targetILNS1_3genE2ELNS1_11target_archE906ELNS1_3gpuE6ELNS1_3repE0EEENS1_47radix_sort_onesweep_sort_config_static_selectorELNS0_4arch9wavefront6targetE1EEEvSK_
; %bb.0:
	.section	.rodata,"a",@progbits
	.p2align	6, 0x0
	.amdhsa_kernel _ZN7rocprim17ROCPRIM_400000_NS6detail17trampoline_kernelINS0_14default_configENS1_35radix_sort_onesweep_config_selectorIiNS0_10empty_typeEEEZZNS1_29radix_sort_onesweep_iterationIS3_Lb0EN6thrust23THRUST_200600_302600_NS6detail15normal_iteratorINS9_10device_ptrIiEEEESE_PS5_SF_jNS0_19identity_decomposerENS1_16block_id_wrapperIjLb0EEEEE10hipError_tT1_PNSt15iterator_traitsISK_E10value_typeET2_T3_PNSL_ISQ_E10value_typeET4_T5_PSV_SW_PNS1_23onesweep_lookback_stateEbbT6_jjT7_P12ihipStream_tbENKUlT_T0_SK_SP_E_clIPiSE_SF_SF_EEDaS13_S14_SK_SP_EUlS13_E_NS1_11comp_targetILNS1_3genE2ELNS1_11target_archE906ELNS1_3gpuE6ELNS1_3repE0EEENS1_47radix_sort_onesweep_sort_config_static_selectorELNS0_4arch9wavefront6targetE1EEEvSK_
		.amdhsa_group_segment_fixed_size 0
		.amdhsa_private_segment_fixed_size 0
		.amdhsa_kernarg_size 88
		.amdhsa_user_sgpr_count 2
		.amdhsa_user_sgpr_dispatch_ptr 0
		.amdhsa_user_sgpr_queue_ptr 0
		.amdhsa_user_sgpr_kernarg_segment_ptr 1
		.amdhsa_user_sgpr_dispatch_id 0
		.amdhsa_user_sgpr_kernarg_preload_length 0
		.amdhsa_user_sgpr_kernarg_preload_offset 0
		.amdhsa_user_sgpr_private_segment_size 0
		.amdhsa_uses_dynamic_stack 0
		.amdhsa_enable_private_segment 0
		.amdhsa_system_sgpr_workgroup_id_x 1
		.amdhsa_system_sgpr_workgroup_id_y 0
		.amdhsa_system_sgpr_workgroup_id_z 0
		.amdhsa_system_sgpr_workgroup_info 0
		.amdhsa_system_vgpr_workitem_id 0
		.amdhsa_next_free_vgpr 1
		.amdhsa_next_free_sgpr 0
		.amdhsa_accum_offset 4
		.amdhsa_reserve_vcc 0
		.amdhsa_float_round_mode_32 0
		.amdhsa_float_round_mode_16_64 0
		.amdhsa_float_denorm_mode_32 3
		.amdhsa_float_denorm_mode_16_64 3
		.amdhsa_dx10_clamp 1
		.amdhsa_ieee_mode 1
		.amdhsa_fp16_overflow 0
		.amdhsa_tg_split 0
		.amdhsa_exception_fp_ieee_invalid_op 0
		.amdhsa_exception_fp_denorm_src 0
		.amdhsa_exception_fp_ieee_div_zero 0
		.amdhsa_exception_fp_ieee_overflow 0
		.amdhsa_exception_fp_ieee_underflow 0
		.amdhsa_exception_fp_ieee_inexact 0
		.amdhsa_exception_int_div_zero 0
	.end_amdhsa_kernel
	.section	.text._ZN7rocprim17ROCPRIM_400000_NS6detail17trampoline_kernelINS0_14default_configENS1_35radix_sort_onesweep_config_selectorIiNS0_10empty_typeEEEZZNS1_29radix_sort_onesweep_iterationIS3_Lb0EN6thrust23THRUST_200600_302600_NS6detail15normal_iteratorINS9_10device_ptrIiEEEESE_PS5_SF_jNS0_19identity_decomposerENS1_16block_id_wrapperIjLb0EEEEE10hipError_tT1_PNSt15iterator_traitsISK_E10value_typeET2_T3_PNSL_ISQ_E10value_typeET4_T5_PSV_SW_PNS1_23onesweep_lookback_stateEbbT6_jjT7_P12ihipStream_tbENKUlT_T0_SK_SP_E_clIPiSE_SF_SF_EEDaS13_S14_SK_SP_EUlS13_E_NS1_11comp_targetILNS1_3genE2ELNS1_11target_archE906ELNS1_3gpuE6ELNS1_3repE0EEENS1_47radix_sort_onesweep_sort_config_static_selectorELNS0_4arch9wavefront6targetE1EEEvSK_,"axG",@progbits,_ZN7rocprim17ROCPRIM_400000_NS6detail17trampoline_kernelINS0_14default_configENS1_35radix_sort_onesweep_config_selectorIiNS0_10empty_typeEEEZZNS1_29radix_sort_onesweep_iterationIS3_Lb0EN6thrust23THRUST_200600_302600_NS6detail15normal_iteratorINS9_10device_ptrIiEEEESE_PS5_SF_jNS0_19identity_decomposerENS1_16block_id_wrapperIjLb0EEEEE10hipError_tT1_PNSt15iterator_traitsISK_E10value_typeET2_T3_PNSL_ISQ_E10value_typeET4_T5_PSV_SW_PNS1_23onesweep_lookback_stateEbbT6_jjT7_P12ihipStream_tbENKUlT_T0_SK_SP_E_clIPiSE_SF_SF_EEDaS13_S14_SK_SP_EUlS13_E_NS1_11comp_targetILNS1_3genE2ELNS1_11target_archE906ELNS1_3gpuE6ELNS1_3repE0EEENS1_47radix_sort_onesweep_sort_config_static_selectorELNS0_4arch9wavefront6targetE1EEEvSK_,comdat
.Lfunc_end207:
	.size	_ZN7rocprim17ROCPRIM_400000_NS6detail17trampoline_kernelINS0_14default_configENS1_35radix_sort_onesweep_config_selectorIiNS0_10empty_typeEEEZZNS1_29radix_sort_onesweep_iterationIS3_Lb0EN6thrust23THRUST_200600_302600_NS6detail15normal_iteratorINS9_10device_ptrIiEEEESE_PS5_SF_jNS0_19identity_decomposerENS1_16block_id_wrapperIjLb0EEEEE10hipError_tT1_PNSt15iterator_traitsISK_E10value_typeET2_T3_PNSL_ISQ_E10value_typeET4_T5_PSV_SW_PNS1_23onesweep_lookback_stateEbbT6_jjT7_P12ihipStream_tbENKUlT_T0_SK_SP_E_clIPiSE_SF_SF_EEDaS13_S14_SK_SP_EUlS13_E_NS1_11comp_targetILNS1_3genE2ELNS1_11target_archE906ELNS1_3gpuE6ELNS1_3repE0EEENS1_47radix_sort_onesweep_sort_config_static_selectorELNS0_4arch9wavefront6targetE1EEEvSK_, .Lfunc_end207-_ZN7rocprim17ROCPRIM_400000_NS6detail17trampoline_kernelINS0_14default_configENS1_35radix_sort_onesweep_config_selectorIiNS0_10empty_typeEEEZZNS1_29radix_sort_onesweep_iterationIS3_Lb0EN6thrust23THRUST_200600_302600_NS6detail15normal_iteratorINS9_10device_ptrIiEEEESE_PS5_SF_jNS0_19identity_decomposerENS1_16block_id_wrapperIjLb0EEEEE10hipError_tT1_PNSt15iterator_traitsISK_E10value_typeET2_T3_PNSL_ISQ_E10value_typeET4_T5_PSV_SW_PNS1_23onesweep_lookback_stateEbbT6_jjT7_P12ihipStream_tbENKUlT_T0_SK_SP_E_clIPiSE_SF_SF_EEDaS13_S14_SK_SP_EUlS13_E_NS1_11comp_targetILNS1_3genE2ELNS1_11target_archE906ELNS1_3gpuE6ELNS1_3repE0EEENS1_47radix_sort_onesweep_sort_config_static_selectorELNS0_4arch9wavefront6targetE1EEEvSK_
                                        ; -- End function
	.set _ZN7rocprim17ROCPRIM_400000_NS6detail17trampoline_kernelINS0_14default_configENS1_35radix_sort_onesweep_config_selectorIiNS0_10empty_typeEEEZZNS1_29radix_sort_onesweep_iterationIS3_Lb0EN6thrust23THRUST_200600_302600_NS6detail15normal_iteratorINS9_10device_ptrIiEEEESE_PS5_SF_jNS0_19identity_decomposerENS1_16block_id_wrapperIjLb0EEEEE10hipError_tT1_PNSt15iterator_traitsISK_E10value_typeET2_T3_PNSL_ISQ_E10value_typeET4_T5_PSV_SW_PNS1_23onesweep_lookback_stateEbbT6_jjT7_P12ihipStream_tbENKUlT_T0_SK_SP_E_clIPiSE_SF_SF_EEDaS13_S14_SK_SP_EUlS13_E_NS1_11comp_targetILNS1_3genE2ELNS1_11target_archE906ELNS1_3gpuE6ELNS1_3repE0EEENS1_47radix_sort_onesweep_sort_config_static_selectorELNS0_4arch9wavefront6targetE1EEEvSK_.num_vgpr, 0
	.set _ZN7rocprim17ROCPRIM_400000_NS6detail17trampoline_kernelINS0_14default_configENS1_35radix_sort_onesweep_config_selectorIiNS0_10empty_typeEEEZZNS1_29radix_sort_onesweep_iterationIS3_Lb0EN6thrust23THRUST_200600_302600_NS6detail15normal_iteratorINS9_10device_ptrIiEEEESE_PS5_SF_jNS0_19identity_decomposerENS1_16block_id_wrapperIjLb0EEEEE10hipError_tT1_PNSt15iterator_traitsISK_E10value_typeET2_T3_PNSL_ISQ_E10value_typeET4_T5_PSV_SW_PNS1_23onesweep_lookback_stateEbbT6_jjT7_P12ihipStream_tbENKUlT_T0_SK_SP_E_clIPiSE_SF_SF_EEDaS13_S14_SK_SP_EUlS13_E_NS1_11comp_targetILNS1_3genE2ELNS1_11target_archE906ELNS1_3gpuE6ELNS1_3repE0EEENS1_47radix_sort_onesweep_sort_config_static_selectorELNS0_4arch9wavefront6targetE1EEEvSK_.num_agpr, 0
	.set _ZN7rocprim17ROCPRIM_400000_NS6detail17trampoline_kernelINS0_14default_configENS1_35radix_sort_onesweep_config_selectorIiNS0_10empty_typeEEEZZNS1_29radix_sort_onesweep_iterationIS3_Lb0EN6thrust23THRUST_200600_302600_NS6detail15normal_iteratorINS9_10device_ptrIiEEEESE_PS5_SF_jNS0_19identity_decomposerENS1_16block_id_wrapperIjLb0EEEEE10hipError_tT1_PNSt15iterator_traitsISK_E10value_typeET2_T3_PNSL_ISQ_E10value_typeET4_T5_PSV_SW_PNS1_23onesweep_lookback_stateEbbT6_jjT7_P12ihipStream_tbENKUlT_T0_SK_SP_E_clIPiSE_SF_SF_EEDaS13_S14_SK_SP_EUlS13_E_NS1_11comp_targetILNS1_3genE2ELNS1_11target_archE906ELNS1_3gpuE6ELNS1_3repE0EEENS1_47radix_sort_onesweep_sort_config_static_selectorELNS0_4arch9wavefront6targetE1EEEvSK_.numbered_sgpr, 0
	.set _ZN7rocprim17ROCPRIM_400000_NS6detail17trampoline_kernelINS0_14default_configENS1_35radix_sort_onesweep_config_selectorIiNS0_10empty_typeEEEZZNS1_29radix_sort_onesweep_iterationIS3_Lb0EN6thrust23THRUST_200600_302600_NS6detail15normal_iteratorINS9_10device_ptrIiEEEESE_PS5_SF_jNS0_19identity_decomposerENS1_16block_id_wrapperIjLb0EEEEE10hipError_tT1_PNSt15iterator_traitsISK_E10value_typeET2_T3_PNSL_ISQ_E10value_typeET4_T5_PSV_SW_PNS1_23onesweep_lookback_stateEbbT6_jjT7_P12ihipStream_tbENKUlT_T0_SK_SP_E_clIPiSE_SF_SF_EEDaS13_S14_SK_SP_EUlS13_E_NS1_11comp_targetILNS1_3genE2ELNS1_11target_archE906ELNS1_3gpuE6ELNS1_3repE0EEENS1_47radix_sort_onesweep_sort_config_static_selectorELNS0_4arch9wavefront6targetE1EEEvSK_.num_named_barrier, 0
	.set _ZN7rocprim17ROCPRIM_400000_NS6detail17trampoline_kernelINS0_14default_configENS1_35radix_sort_onesweep_config_selectorIiNS0_10empty_typeEEEZZNS1_29radix_sort_onesweep_iterationIS3_Lb0EN6thrust23THRUST_200600_302600_NS6detail15normal_iteratorINS9_10device_ptrIiEEEESE_PS5_SF_jNS0_19identity_decomposerENS1_16block_id_wrapperIjLb0EEEEE10hipError_tT1_PNSt15iterator_traitsISK_E10value_typeET2_T3_PNSL_ISQ_E10value_typeET4_T5_PSV_SW_PNS1_23onesweep_lookback_stateEbbT6_jjT7_P12ihipStream_tbENKUlT_T0_SK_SP_E_clIPiSE_SF_SF_EEDaS13_S14_SK_SP_EUlS13_E_NS1_11comp_targetILNS1_3genE2ELNS1_11target_archE906ELNS1_3gpuE6ELNS1_3repE0EEENS1_47radix_sort_onesweep_sort_config_static_selectorELNS0_4arch9wavefront6targetE1EEEvSK_.private_seg_size, 0
	.set _ZN7rocprim17ROCPRIM_400000_NS6detail17trampoline_kernelINS0_14default_configENS1_35radix_sort_onesweep_config_selectorIiNS0_10empty_typeEEEZZNS1_29radix_sort_onesweep_iterationIS3_Lb0EN6thrust23THRUST_200600_302600_NS6detail15normal_iteratorINS9_10device_ptrIiEEEESE_PS5_SF_jNS0_19identity_decomposerENS1_16block_id_wrapperIjLb0EEEEE10hipError_tT1_PNSt15iterator_traitsISK_E10value_typeET2_T3_PNSL_ISQ_E10value_typeET4_T5_PSV_SW_PNS1_23onesweep_lookback_stateEbbT6_jjT7_P12ihipStream_tbENKUlT_T0_SK_SP_E_clIPiSE_SF_SF_EEDaS13_S14_SK_SP_EUlS13_E_NS1_11comp_targetILNS1_3genE2ELNS1_11target_archE906ELNS1_3gpuE6ELNS1_3repE0EEENS1_47radix_sort_onesweep_sort_config_static_selectorELNS0_4arch9wavefront6targetE1EEEvSK_.uses_vcc, 0
	.set _ZN7rocprim17ROCPRIM_400000_NS6detail17trampoline_kernelINS0_14default_configENS1_35radix_sort_onesweep_config_selectorIiNS0_10empty_typeEEEZZNS1_29radix_sort_onesweep_iterationIS3_Lb0EN6thrust23THRUST_200600_302600_NS6detail15normal_iteratorINS9_10device_ptrIiEEEESE_PS5_SF_jNS0_19identity_decomposerENS1_16block_id_wrapperIjLb0EEEEE10hipError_tT1_PNSt15iterator_traitsISK_E10value_typeET2_T3_PNSL_ISQ_E10value_typeET4_T5_PSV_SW_PNS1_23onesweep_lookback_stateEbbT6_jjT7_P12ihipStream_tbENKUlT_T0_SK_SP_E_clIPiSE_SF_SF_EEDaS13_S14_SK_SP_EUlS13_E_NS1_11comp_targetILNS1_3genE2ELNS1_11target_archE906ELNS1_3gpuE6ELNS1_3repE0EEENS1_47radix_sort_onesweep_sort_config_static_selectorELNS0_4arch9wavefront6targetE1EEEvSK_.uses_flat_scratch, 0
	.set _ZN7rocprim17ROCPRIM_400000_NS6detail17trampoline_kernelINS0_14default_configENS1_35radix_sort_onesweep_config_selectorIiNS0_10empty_typeEEEZZNS1_29radix_sort_onesweep_iterationIS3_Lb0EN6thrust23THRUST_200600_302600_NS6detail15normal_iteratorINS9_10device_ptrIiEEEESE_PS5_SF_jNS0_19identity_decomposerENS1_16block_id_wrapperIjLb0EEEEE10hipError_tT1_PNSt15iterator_traitsISK_E10value_typeET2_T3_PNSL_ISQ_E10value_typeET4_T5_PSV_SW_PNS1_23onesweep_lookback_stateEbbT6_jjT7_P12ihipStream_tbENKUlT_T0_SK_SP_E_clIPiSE_SF_SF_EEDaS13_S14_SK_SP_EUlS13_E_NS1_11comp_targetILNS1_3genE2ELNS1_11target_archE906ELNS1_3gpuE6ELNS1_3repE0EEENS1_47radix_sort_onesweep_sort_config_static_selectorELNS0_4arch9wavefront6targetE1EEEvSK_.has_dyn_sized_stack, 0
	.set _ZN7rocprim17ROCPRIM_400000_NS6detail17trampoline_kernelINS0_14default_configENS1_35radix_sort_onesweep_config_selectorIiNS0_10empty_typeEEEZZNS1_29radix_sort_onesweep_iterationIS3_Lb0EN6thrust23THRUST_200600_302600_NS6detail15normal_iteratorINS9_10device_ptrIiEEEESE_PS5_SF_jNS0_19identity_decomposerENS1_16block_id_wrapperIjLb0EEEEE10hipError_tT1_PNSt15iterator_traitsISK_E10value_typeET2_T3_PNSL_ISQ_E10value_typeET4_T5_PSV_SW_PNS1_23onesweep_lookback_stateEbbT6_jjT7_P12ihipStream_tbENKUlT_T0_SK_SP_E_clIPiSE_SF_SF_EEDaS13_S14_SK_SP_EUlS13_E_NS1_11comp_targetILNS1_3genE2ELNS1_11target_archE906ELNS1_3gpuE6ELNS1_3repE0EEENS1_47radix_sort_onesweep_sort_config_static_selectorELNS0_4arch9wavefront6targetE1EEEvSK_.has_recursion, 0
	.set _ZN7rocprim17ROCPRIM_400000_NS6detail17trampoline_kernelINS0_14default_configENS1_35radix_sort_onesweep_config_selectorIiNS0_10empty_typeEEEZZNS1_29radix_sort_onesweep_iterationIS3_Lb0EN6thrust23THRUST_200600_302600_NS6detail15normal_iteratorINS9_10device_ptrIiEEEESE_PS5_SF_jNS0_19identity_decomposerENS1_16block_id_wrapperIjLb0EEEEE10hipError_tT1_PNSt15iterator_traitsISK_E10value_typeET2_T3_PNSL_ISQ_E10value_typeET4_T5_PSV_SW_PNS1_23onesweep_lookback_stateEbbT6_jjT7_P12ihipStream_tbENKUlT_T0_SK_SP_E_clIPiSE_SF_SF_EEDaS13_S14_SK_SP_EUlS13_E_NS1_11comp_targetILNS1_3genE2ELNS1_11target_archE906ELNS1_3gpuE6ELNS1_3repE0EEENS1_47radix_sort_onesweep_sort_config_static_selectorELNS0_4arch9wavefront6targetE1EEEvSK_.has_indirect_call, 0
	.section	.AMDGPU.csdata,"",@progbits
; Kernel info:
; codeLenInByte = 0
; TotalNumSgprs: 6
; NumVgprs: 0
; NumAgprs: 0
; TotalNumVgprs: 0
; ScratchSize: 0
; MemoryBound: 0
; FloatMode: 240
; IeeeMode: 1
; LDSByteSize: 0 bytes/workgroup (compile time only)
; SGPRBlocks: 0
; VGPRBlocks: 0
; NumSGPRsForWavesPerEU: 6
; NumVGPRsForWavesPerEU: 1
; AccumOffset: 4
; Occupancy: 8
; WaveLimiterHint : 0
; COMPUTE_PGM_RSRC2:SCRATCH_EN: 0
; COMPUTE_PGM_RSRC2:USER_SGPR: 2
; COMPUTE_PGM_RSRC2:TRAP_HANDLER: 0
; COMPUTE_PGM_RSRC2:TGID_X_EN: 1
; COMPUTE_PGM_RSRC2:TGID_Y_EN: 0
; COMPUTE_PGM_RSRC2:TGID_Z_EN: 0
; COMPUTE_PGM_RSRC2:TIDIG_COMP_CNT: 0
; COMPUTE_PGM_RSRC3_GFX90A:ACCUM_OFFSET: 0
; COMPUTE_PGM_RSRC3_GFX90A:TG_SPLIT: 0
	.section	.text._ZN7rocprim17ROCPRIM_400000_NS6detail17trampoline_kernelINS0_14default_configENS1_35radix_sort_onesweep_config_selectorIiNS0_10empty_typeEEEZZNS1_29radix_sort_onesweep_iterationIS3_Lb0EN6thrust23THRUST_200600_302600_NS6detail15normal_iteratorINS9_10device_ptrIiEEEESE_PS5_SF_jNS0_19identity_decomposerENS1_16block_id_wrapperIjLb0EEEEE10hipError_tT1_PNSt15iterator_traitsISK_E10value_typeET2_T3_PNSL_ISQ_E10value_typeET4_T5_PSV_SW_PNS1_23onesweep_lookback_stateEbbT6_jjT7_P12ihipStream_tbENKUlT_T0_SK_SP_E_clIPiSE_SF_SF_EEDaS13_S14_SK_SP_EUlS13_E_NS1_11comp_targetILNS1_3genE4ELNS1_11target_archE910ELNS1_3gpuE8ELNS1_3repE0EEENS1_47radix_sort_onesweep_sort_config_static_selectorELNS0_4arch9wavefront6targetE1EEEvSK_,"axG",@progbits,_ZN7rocprim17ROCPRIM_400000_NS6detail17trampoline_kernelINS0_14default_configENS1_35radix_sort_onesweep_config_selectorIiNS0_10empty_typeEEEZZNS1_29radix_sort_onesweep_iterationIS3_Lb0EN6thrust23THRUST_200600_302600_NS6detail15normal_iteratorINS9_10device_ptrIiEEEESE_PS5_SF_jNS0_19identity_decomposerENS1_16block_id_wrapperIjLb0EEEEE10hipError_tT1_PNSt15iterator_traitsISK_E10value_typeET2_T3_PNSL_ISQ_E10value_typeET4_T5_PSV_SW_PNS1_23onesweep_lookback_stateEbbT6_jjT7_P12ihipStream_tbENKUlT_T0_SK_SP_E_clIPiSE_SF_SF_EEDaS13_S14_SK_SP_EUlS13_E_NS1_11comp_targetILNS1_3genE4ELNS1_11target_archE910ELNS1_3gpuE8ELNS1_3repE0EEENS1_47radix_sort_onesweep_sort_config_static_selectorELNS0_4arch9wavefront6targetE1EEEvSK_,comdat
	.protected	_ZN7rocprim17ROCPRIM_400000_NS6detail17trampoline_kernelINS0_14default_configENS1_35radix_sort_onesweep_config_selectorIiNS0_10empty_typeEEEZZNS1_29radix_sort_onesweep_iterationIS3_Lb0EN6thrust23THRUST_200600_302600_NS6detail15normal_iteratorINS9_10device_ptrIiEEEESE_PS5_SF_jNS0_19identity_decomposerENS1_16block_id_wrapperIjLb0EEEEE10hipError_tT1_PNSt15iterator_traitsISK_E10value_typeET2_T3_PNSL_ISQ_E10value_typeET4_T5_PSV_SW_PNS1_23onesweep_lookback_stateEbbT6_jjT7_P12ihipStream_tbENKUlT_T0_SK_SP_E_clIPiSE_SF_SF_EEDaS13_S14_SK_SP_EUlS13_E_NS1_11comp_targetILNS1_3genE4ELNS1_11target_archE910ELNS1_3gpuE8ELNS1_3repE0EEENS1_47radix_sort_onesweep_sort_config_static_selectorELNS0_4arch9wavefront6targetE1EEEvSK_ ; -- Begin function _ZN7rocprim17ROCPRIM_400000_NS6detail17trampoline_kernelINS0_14default_configENS1_35radix_sort_onesweep_config_selectorIiNS0_10empty_typeEEEZZNS1_29radix_sort_onesweep_iterationIS3_Lb0EN6thrust23THRUST_200600_302600_NS6detail15normal_iteratorINS9_10device_ptrIiEEEESE_PS5_SF_jNS0_19identity_decomposerENS1_16block_id_wrapperIjLb0EEEEE10hipError_tT1_PNSt15iterator_traitsISK_E10value_typeET2_T3_PNSL_ISQ_E10value_typeET4_T5_PSV_SW_PNS1_23onesweep_lookback_stateEbbT6_jjT7_P12ihipStream_tbENKUlT_T0_SK_SP_E_clIPiSE_SF_SF_EEDaS13_S14_SK_SP_EUlS13_E_NS1_11comp_targetILNS1_3genE4ELNS1_11target_archE910ELNS1_3gpuE8ELNS1_3repE0EEENS1_47radix_sort_onesweep_sort_config_static_selectorELNS0_4arch9wavefront6targetE1EEEvSK_
	.globl	_ZN7rocprim17ROCPRIM_400000_NS6detail17trampoline_kernelINS0_14default_configENS1_35radix_sort_onesweep_config_selectorIiNS0_10empty_typeEEEZZNS1_29radix_sort_onesweep_iterationIS3_Lb0EN6thrust23THRUST_200600_302600_NS6detail15normal_iteratorINS9_10device_ptrIiEEEESE_PS5_SF_jNS0_19identity_decomposerENS1_16block_id_wrapperIjLb0EEEEE10hipError_tT1_PNSt15iterator_traitsISK_E10value_typeET2_T3_PNSL_ISQ_E10value_typeET4_T5_PSV_SW_PNS1_23onesweep_lookback_stateEbbT6_jjT7_P12ihipStream_tbENKUlT_T0_SK_SP_E_clIPiSE_SF_SF_EEDaS13_S14_SK_SP_EUlS13_E_NS1_11comp_targetILNS1_3genE4ELNS1_11target_archE910ELNS1_3gpuE8ELNS1_3repE0EEENS1_47radix_sort_onesweep_sort_config_static_selectorELNS0_4arch9wavefront6targetE1EEEvSK_
	.p2align	8
	.type	_ZN7rocprim17ROCPRIM_400000_NS6detail17trampoline_kernelINS0_14default_configENS1_35radix_sort_onesweep_config_selectorIiNS0_10empty_typeEEEZZNS1_29radix_sort_onesweep_iterationIS3_Lb0EN6thrust23THRUST_200600_302600_NS6detail15normal_iteratorINS9_10device_ptrIiEEEESE_PS5_SF_jNS0_19identity_decomposerENS1_16block_id_wrapperIjLb0EEEEE10hipError_tT1_PNSt15iterator_traitsISK_E10value_typeET2_T3_PNSL_ISQ_E10value_typeET4_T5_PSV_SW_PNS1_23onesweep_lookback_stateEbbT6_jjT7_P12ihipStream_tbENKUlT_T0_SK_SP_E_clIPiSE_SF_SF_EEDaS13_S14_SK_SP_EUlS13_E_NS1_11comp_targetILNS1_3genE4ELNS1_11target_archE910ELNS1_3gpuE8ELNS1_3repE0EEENS1_47radix_sort_onesweep_sort_config_static_selectorELNS0_4arch9wavefront6targetE1EEEvSK_,@function
_ZN7rocprim17ROCPRIM_400000_NS6detail17trampoline_kernelINS0_14default_configENS1_35radix_sort_onesweep_config_selectorIiNS0_10empty_typeEEEZZNS1_29radix_sort_onesweep_iterationIS3_Lb0EN6thrust23THRUST_200600_302600_NS6detail15normal_iteratorINS9_10device_ptrIiEEEESE_PS5_SF_jNS0_19identity_decomposerENS1_16block_id_wrapperIjLb0EEEEE10hipError_tT1_PNSt15iterator_traitsISK_E10value_typeET2_T3_PNSL_ISQ_E10value_typeET4_T5_PSV_SW_PNS1_23onesweep_lookback_stateEbbT6_jjT7_P12ihipStream_tbENKUlT_T0_SK_SP_E_clIPiSE_SF_SF_EEDaS13_S14_SK_SP_EUlS13_E_NS1_11comp_targetILNS1_3genE4ELNS1_11target_archE910ELNS1_3gpuE8ELNS1_3repE0EEENS1_47radix_sort_onesweep_sort_config_static_selectorELNS0_4arch9wavefront6targetE1EEEvSK_: ; @_ZN7rocprim17ROCPRIM_400000_NS6detail17trampoline_kernelINS0_14default_configENS1_35radix_sort_onesweep_config_selectorIiNS0_10empty_typeEEEZZNS1_29radix_sort_onesweep_iterationIS3_Lb0EN6thrust23THRUST_200600_302600_NS6detail15normal_iteratorINS9_10device_ptrIiEEEESE_PS5_SF_jNS0_19identity_decomposerENS1_16block_id_wrapperIjLb0EEEEE10hipError_tT1_PNSt15iterator_traitsISK_E10value_typeET2_T3_PNSL_ISQ_E10value_typeET4_T5_PSV_SW_PNS1_23onesweep_lookback_stateEbbT6_jjT7_P12ihipStream_tbENKUlT_T0_SK_SP_E_clIPiSE_SF_SF_EEDaS13_S14_SK_SP_EUlS13_E_NS1_11comp_targetILNS1_3genE4ELNS1_11target_archE910ELNS1_3gpuE8ELNS1_3repE0EEENS1_47radix_sort_onesweep_sort_config_static_selectorELNS0_4arch9wavefront6targetE1EEEvSK_
; %bb.0:
	.section	.rodata,"a",@progbits
	.p2align	6, 0x0
	.amdhsa_kernel _ZN7rocprim17ROCPRIM_400000_NS6detail17trampoline_kernelINS0_14default_configENS1_35radix_sort_onesweep_config_selectorIiNS0_10empty_typeEEEZZNS1_29radix_sort_onesweep_iterationIS3_Lb0EN6thrust23THRUST_200600_302600_NS6detail15normal_iteratorINS9_10device_ptrIiEEEESE_PS5_SF_jNS0_19identity_decomposerENS1_16block_id_wrapperIjLb0EEEEE10hipError_tT1_PNSt15iterator_traitsISK_E10value_typeET2_T3_PNSL_ISQ_E10value_typeET4_T5_PSV_SW_PNS1_23onesweep_lookback_stateEbbT6_jjT7_P12ihipStream_tbENKUlT_T0_SK_SP_E_clIPiSE_SF_SF_EEDaS13_S14_SK_SP_EUlS13_E_NS1_11comp_targetILNS1_3genE4ELNS1_11target_archE910ELNS1_3gpuE8ELNS1_3repE0EEENS1_47radix_sort_onesweep_sort_config_static_selectorELNS0_4arch9wavefront6targetE1EEEvSK_
		.amdhsa_group_segment_fixed_size 0
		.amdhsa_private_segment_fixed_size 0
		.amdhsa_kernarg_size 88
		.amdhsa_user_sgpr_count 2
		.amdhsa_user_sgpr_dispatch_ptr 0
		.amdhsa_user_sgpr_queue_ptr 0
		.amdhsa_user_sgpr_kernarg_segment_ptr 1
		.amdhsa_user_sgpr_dispatch_id 0
		.amdhsa_user_sgpr_kernarg_preload_length 0
		.amdhsa_user_sgpr_kernarg_preload_offset 0
		.amdhsa_user_sgpr_private_segment_size 0
		.amdhsa_uses_dynamic_stack 0
		.amdhsa_enable_private_segment 0
		.amdhsa_system_sgpr_workgroup_id_x 1
		.amdhsa_system_sgpr_workgroup_id_y 0
		.amdhsa_system_sgpr_workgroup_id_z 0
		.amdhsa_system_sgpr_workgroup_info 0
		.amdhsa_system_vgpr_workitem_id 0
		.amdhsa_next_free_vgpr 1
		.amdhsa_next_free_sgpr 0
		.amdhsa_accum_offset 4
		.amdhsa_reserve_vcc 0
		.amdhsa_float_round_mode_32 0
		.amdhsa_float_round_mode_16_64 0
		.amdhsa_float_denorm_mode_32 3
		.amdhsa_float_denorm_mode_16_64 3
		.amdhsa_dx10_clamp 1
		.amdhsa_ieee_mode 1
		.amdhsa_fp16_overflow 0
		.amdhsa_tg_split 0
		.amdhsa_exception_fp_ieee_invalid_op 0
		.amdhsa_exception_fp_denorm_src 0
		.amdhsa_exception_fp_ieee_div_zero 0
		.amdhsa_exception_fp_ieee_overflow 0
		.amdhsa_exception_fp_ieee_underflow 0
		.amdhsa_exception_fp_ieee_inexact 0
		.amdhsa_exception_int_div_zero 0
	.end_amdhsa_kernel
	.section	.text._ZN7rocprim17ROCPRIM_400000_NS6detail17trampoline_kernelINS0_14default_configENS1_35radix_sort_onesweep_config_selectorIiNS0_10empty_typeEEEZZNS1_29radix_sort_onesweep_iterationIS3_Lb0EN6thrust23THRUST_200600_302600_NS6detail15normal_iteratorINS9_10device_ptrIiEEEESE_PS5_SF_jNS0_19identity_decomposerENS1_16block_id_wrapperIjLb0EEEEE10hipError_tT1_PNSt15iterator_traitsISK_E10value_typeET2_T3_PNSL_ISQ_E10value_typeET4_T5_PSV_SW_PNS1_23onesweep_lookback_stateEbbT6_jjT7_P12ihipStream_tbENKUlT_T0_SK_SP_E_clIPiSE_SF_SF_EEDaS13_S14_SK_SP_EUlS13_E_NS1_11comp_targetILNS1_3genE4ELNS1_11target_archE910ELNS1_3gpuE8ELNS1_3repE0EEENS1_47radix_sort_onesweep_sort_config_static_selectorELNS0_4arch9wavefront6targetE1EEEvSK_,"axG",@progbits,_ZN7rocprim17ROCPRIM_400000_NS6detail17trampoline_kernelINS0_14default_configENS1_35radix_sort_onesweep_config_selectorIiNS0_10empty_typeEEEZZNS1_29radix_sort_onesweep_iterationIS3_Lb0EN6thrust23THRUST_200600_302600_NS6detail15normal_iteratorINS9_10device_ptrIiEEEESE_PS5_SF_jNS0_19identity_decomposerENS1_16block_id_wrapperIjLb0EEEEE10hipError_tT1_PNSt15iterator_traitsISK_E10value_typeET2_T3_PNSL_ISQ_E10value_typeET4_T5_PSV_SW_PNS1_23onesweep_lookback_stateEbbT6_jjT7_P12ihipStream_tbENKUlT_T0_SK_SP_E_clIPiSE_SF_SF_EEDaS13_S14_SK_SP_EUlS13_E_NS1_11comp_targetILNS1_3genE4ELNS1_11target_archE910ELNS1_3gpuE8ELNS1_3repE0EEENS1_47radix_sort_onesweep_sort_config_static_selectorELNS0_4arch9wavefront6targetE1EEEvSK_,comdat
.Lfunc_end208:
	.size	_ZN7rocprim17ROCPRIM_400000_NS6detail17trampoline_kernelINS0_14default_configENS1_35radix_sort_onesweep_config_selectorIiNS0_10empty_typeEEEZZNS1_29radix_sort_onesweep_iterationIS3_Lb0EN6thrust23THRUST_200600_302600_NS6detail15normal_iteratorINS9_10device_ptrIiEEEESE_PS5_SF_jNS0_19identity_decomposerENS1_16block_id_wrapperIjLb0EEEEE10hipError_tT1_PNSt15iterator_traitsISK_E10value_typeET2_T3_PNSL_ISQ_E10value_typeET4_T5_PSV_SW_PNS1_23onesweep_lookback_stateEbbT6_jjT7_P12ihipStream_tbENKUlT_T0_SK_SP_E_clIPiSE_SF_SF_EEDaS13_S14_SK_SP_EUlS13_E_NS1_11comp_targetILNS1_3genE4ELNS1_11target_archE910ELNS1_3gpuE8ELNS1_3repE0EEENS1_47radix_sort_onesweep_sort_config_static_selectorELNS0_4arch9wavefront6targetE1EEEvSK_, .Lfunc_end208-_ZN7rocprim17ROCPRIM_400000_NS6detail17trampoline_kernelINS0_14default_configENS1_35radix_sort_onesweep_config_selectorIiNS0_10empty_typeEEEZZNS1_29radix_sort_onesweep_iterationIS3_Lb0EN6thrust23THRUST_200600_302600_NS6detail15normal_iteratorINS9_10device_ptrIiEEEESE_PS5_SF_jNS0_19identity_decomposerENS1_16block_id_wrapperIjLb0EEEEE10hipError_tT1_PNSt15iterator_traitsISK_E10value_typeET2_T3_PNSL_ISQ_E10value_typeET4_T5_PSV_SW_PNS1_23onesweep_lookback_stateEbbT6_jjT7_P12ihipStream_tbENKUlT_T0_SK_SP_E_clIPiSE_SF_SF_EEDaS13_S14_SK_SP_EUlS13_E_NS1_11comp_targetILNS1_3genE4ELNS1_11target_archE910ELNS1_3gpuE8ELNS1_3repE0EEENS1_47radix_sort_onesweep_sort_config_static_selectorELNS0_4arch9wavefront6targetE1EEEvSK_
                                        ; -- End function
	.set _ZN7rocprim17ROCPRIM_400000_NS6detail17trampoline_kernelINS0_14default_configENS1_35radix_sort_onesweep_config_selectorIiNS0_10empty_typeEEEZZNS1_29radix_sort_onesweep_iterationIS3_Lb0EN6thrust23THRUST_200600_302600_NS6detail15normal_iteratorINS9_10device_ptrIiEEEESE_PS5_SF_jNS0_19identity_decomposerENS1_16block_id_wrapperIjLb0EEEEE10hipError_tT1_PNSt15iterator_traitsISK_E10value_typeET2_T3_PNSL_ISQ_E10value_typeET4_T5_PSV_SW_PNS1_23onesweep_lookback_stateEbbT6_jjT7_P12ihipStream_tbENKUlT_T0_SK_SP_E_clIPiSE_SF_SF_EEDaS13_S14_SK_SP_EUlS13_E_NS1_11comp_targetILNS1_3genE4ELNS1_11target_archE910ELNS1_3gpuE8ELNS1_3repE0EEENS1_47radix_sort_onesweep_sort_config_static_selectorELNS0_4arch9wavefront6targetE1EEEvSK_.num_vgpr, 0
	.set _ZN7rocprim17ROCPRIM_400000_NS6detail17trampoline_kernelINS0_14default_configENS1_35radix_sort_onesweep_config_selectorIiNS0_10empty_typeEEEZZNS1_29radix_sort_onesweep_iterationIS3_Lb0EN6thrust23THRUST_200600_302600_NS6detail15normal_iteratorINS9_10device_ptrIiEEEESE_PS5_SF_jNS0_19identity_decomposerENS1_16block_id_wrapperIjLb0EEEEE10hipError_tT1_PNSt15iterator_traitsISK_E10value_typeET2_T3_PNSL_ISQ_E10value_typeET4_T5_PSV_SW_PNS1_23onesweep_lookback_stateEbbT6_jjT7_P12ihipStream_tbENKUlT_T0_SK_SP_E_clIPiSE_SF_SF_EEDaS13_S14_SK_SP_EUlS13_E_NS1_11comp_targetILNS1_3genE4ELNS1_11target_archE910ELNS1_3gpuE8ELNS1_3repE0EEENS1_47radix_sort_onesweep_sort_config_static_selectorELNS0_4arch9wavefront6targetE1EEEvSK_.num_agpr, 0
	.set _ZN7rocprim17ROCPRIM_400000_NS6detail17trampoline_kernelINS0_14default_configENS1_35radix_sort_onesweep_config_selectorIiNS0_10empty_typeEEEZZNS1_29radix_sort_onesweep_iterationIS3_Lb0EN6thrust23THRUST_200600_302600_NS6detail15normal_iteratorINS9_10device_ptrIiEEEESE_PS5_SF_jNS0_19identity_decomposerENS1_16block_id_wrapperIjLb0EEEEE10hipError_tT1_PNSt15iterator_traitsISK_E10value_typeET2_T3_PNSL_ISQ_E10value_typeET4_T5_PSV_SW_PNS1_23onesweep_lookback_stateEbbT6_jjT7_P12ihipStream_tbENKUlT_T0_SK_SP_E_clIPiSE_SF_SF_EEDaS13_S14_SK_SP_EUlS13_E_NS1_11comp_targetILNS1_3genE4ELNS1_11target_archE910ELNS1_3gpuE8ELNS1_3repE0EEENS1_47radix_sort_onesweep_sort_config_static_selectorELNS0_4arch9wavefront6targetE1EEEvSK_.numbered_sgpr, 0
	.set _ZN7rocprim17ROCPRIM_400000_NS6detail17trampoline_kernelINS0_14default_configENS1_35radix_sort_onesweep_config_selectorIiNS0_10empty_typeEEEZZNS1_29radix_sort_onesweep_iterationIS3_Lb0EN6thrust23THRUST_200600_302600_NS6detail15normal_iteratorINS9_10device_ptrIiEEEESE_PS5_SF_jNS0_19identity_decomposerENS1_16block_id_wrapperIjLb0EEEEE10hipError_tT1_PNSt15iterator_traitsISK_E10value_typeET2_T3_PNSL_ISQ_E10value_typeET4_T5_PSV_SW_PNS1_23onesweep_lookback_stateEbbT6_jjT7_P12ihipStream_tbENKUlT_T0_SK_SP_E_clIPiSE_SF_SF_EEDaS13_S14_SK_SP_EUlS13_E_NS1_11comp_targetILNS1_3genE4ELNS1_11target_archE910ELNS1_3gpuE8ELNS1_3repE0EEENS1_47radix_sort_onesweep_sort_config_static_selectorELNS0_4arch9wavefront6targetE1EEEvSK_.num_named_barrier, 0
	.set _ZN7rocprim17ROCPRIM_400000_NS6detail17trampoline_kernelINS0_14default_configENS1_35radix_sort_onesweep_config_selectorIiNS0_10empty_typeEEEZZNS1_29radix_sort_onesweep_iterationIS3_Lb0EN6thrust23THRUST_200600_302600_NS6detail15normal_iteratorINS9_10device_ptrIiEEEESE_PS5_SF_jNS0_19identity_decomposerENS1_16block_id_wrapperIjLb0EEEEE10hipError_tT1_PNSt15iterator_traitsISK_E10value_typeET2_T3_PNSL_ISQ_E10value_typeET4_T5_PSV_SW_PNS1_23onesweep_lookback_stateEbbT6_jjT7_P12ihipStream_tbENKUlT_T0_SK_SP_E_clIPiSE_SF_SF_EEDaS13_S14_SK_SP_EUlS13_E_NS1_11comp_targetILNS1_3genE4ELNS1_11target_archE910ELNS1_3gpuE8ELNS1_3repE0EEENS1_47radix_sort_onesweep_sort_config_static_selectorELNS0_4arch9wavefront6targetE1EEEvSK_.private_seg_size, 0
	.set _ZN7rocprim17ROCPRIM_400000_NS6detail17trampoline_kernelINS0_14default_configENS1_35radix_sort_onesweep_config_selectorIiNS0_10empty_typeEEEZZNS1_29radix_sort_onesweep_iterationIS3_Lb0EN6thrust23THRUST_200600_302600_NS6detail15normal_iteratorINS9_10device_ptrIiEEEESE_PS5_SF_jNS0_19identity_decomposerENS1_16block_id_wrapperIjLb0EEEEE10hipError_tT1_PNSt15iterator_traitsISK_E10value_typeET2_T3_PNSL_ISQ_E10value_typeET4_T5_PSV_SW_PNS1_23onesweep_lookback_stateEbbT6_jjT7_P12ihipStream_tbENKUlT_T0_SK_SP_E_clIPiSE_SF_SF_EEDaS13_S14_SK_SP_EUlS13_E_NS1_11comp_targetILNS1_3genE4ELNS1_11target_archE910ELNS1_3gpuE8ELNS1_3repE0EEENS1_47radix_sort_onesweep_sort_config_static_selectorELNS0_4arch9wavefront6targetE1EEEvSK_.uses_vcc, 0
	.set _ZN7rocprim17ROCPRIM_400000_NS6detail17trampoline_kernelINS0_14default_configENS1_35radix_sort_onesweep_config_selectorIiNS0_10empty_typeEEEZZNS1_29radix_sort_onesweep_iterationIS3_Lb0EN6thrust23THRUST_200600_302600_NS6detail15normal_iteratorINS9_10device_ptrIiEEEESE_PS5_SF_jNS0_19identity_decomposerENS1_16block_id_wrapperIjLb0EEEEE10hipError_tT1_PNSt15iterator_traitsISK_E10value_typeET2_T3_PNSL_ISQ_E10value_typeET4_T5_PSV_SW_PNS1_23onesweep_lookback_stateEbbT6_jjT7_P12ihipStream_tbENKUlT_T0_SK_SP_E_clIPiSE_SF_SF_EEDaS13_S14_SK_SP_EUlS13_E_NS1_11comp_targetILNS1_3genE4ELNS1_11target_archE910ELNS1_3gpuE8ELNS1_3repE0EEENS1_47radix_sort_onesweep_sort_config_static_selectorELNS0_4arch9wavefront6targetE1EEEvSK_.uses_flat_scratch, 0
	.set _ZN7rocprim17ROCPRIM_400000_NS6detail17trampoline_kernelINS0_14default_configENS1_35radix_sort_onesweep_config_selectorIiNS0_10empty_typeEEEZZNS1_29radix_sort_onesweep_iterationIS3_Lb0EN6thrust23THRUST_200600_302600_NS6detail15normal_iteratorINS9_10device_ptrIiEEEESE_PS5_SF_jNS0_19identity_decomposerENS1_16block_id_wrapperIjLb0EEEEE10hipError_tT1_PNSt15iterator_traitsISK_E10value_typeET2_T3_PNSL_ISQ_E10value_typeET4_T5_PSV_SW_PNS1_23onesweep_lookback_stateEbbT6_jjT7_P12ihipStream_tbENKUlT_T0_SK_SP_E_clIPiSE_SF_SF_EEDaS13_S14_SK_SP_EUlS13_E_NS1_11comp_targetILNS1_3genE4ELNS1_11target_archE910ELNS1_3gpuE8ELNS1_3repE0EEENS1_47radix_sort_onesweep_sort_config_static_selectorELNS0_4arch9wavefront6targetE1EEEvSK_.has_dyn_sized_stack, 0
	.set _ZN7rocprim17ROCPRIM_400000_NS6detail17trampoline_kernelINS0_14default_configENS1_35radix_sort_onesweep_config_selectorIiNS0_10empty_typeEEEZZNS1_29radix_sort_onesweep_iterationIS3_Lb0EN6thrust23THRUST_200600_302600_NS6detail15normal_iteratorINS9_10device_ptrIiEEEESE_PS5_SF_jNS0_19identity_decomposerENS1_16block_id_wrapperIjLb0EEEEE10hipError_tT1_PNSt15iterator_traitsISK_E10value_typeET2_T3_PNSL_ISQ_E10value_typeET4_T5_PSV_SW_PNS1_23onesweep_lookback_stateEbbT6_jjT7_P12ihipStream_tbENKUlT_T0_SK_SP_E_clIPiSE_SF_SF_EEDaS13_S14_SK_SP_EUlS13_E_NS1_11comp_targetILNS1_3genE4ELNS1_11target_archE910ELNS1_3gpuE8ELNS1_3repE0EEENS1_47radix_sort_onesweep_sort_config_static_selectorELNS0_4arch9wavefront6targetE1EEEvSK_.has_recursion, 0
	.set _ZN7rocprim17ROCPRIM_400000_NS6detail17trampoline_kernelINS0_14default_configENS1_35radix_sort_onesweep_config_selectorIiNS0_10empty_typeEEEZZNS1_29radix_sort_onesweep_iterationIS3_Lb0EN6thrust23THRUST_200600_302600_NS6detail15normal_iteratorINS9_10device_ptrIiEEEESE_PS5_SF_jNS0_19identity_decomposerENS1_16block_id_wrapperIjLb0EEEEE10hipError_tT1_PNSt15iterator_traitsISK_E10value_typeET2_T3_PNSL_ISQ_E10value_typeET4_T5_PSV_SW_PNS1_23onesweep_lookback_stateEbbT6_jjT7_P12ihipStream_tbENKUlT_T0_SK_SP_E_clIPiSE_SF_SF_EEDaS13_S14_SK_SP_EUlS13_E_NS1_11comp_targetILNS1_3genE4ELNS1_11target_archE910ELNS1_3gpuE8ELNS1_3repE0EEENS1_47radix_sort_onesweep_sort_config_static_selectorELNS0_4arch9wavefront6targetE1EEEvSK_.has_indirect_call, 0
	.section	.AMDGPU.csdata,"",@progbits
; Kernel info:
; codeLenInByte = 0
; TotalNumSgprs: 6
; NumVgprs: 0
; NumAgprs: 0
; TotalNumVgprs: 0
; ScratchSize: 0
; MemoryBound: 0
; FloatMode: 240
; IeeeMode: 1
; LDSByteSize: 0 bytes/workgroup (compile time only)
; SGPRBlocks: 0
; VGPRBlocks: 0
; NumSGPRsForWavesPerEU: 6
; NumVGPRsForWavesPerEU: 1
; AccumOffset: 4
; Occupancy: 8
; WaveLimiterHint : 0
; COMPUTE_PGM_RSRC2:SCRATCH_EN: 0
; COMPUTE_PGM_RSRC2:USER_SGPR: 2
; COMPUTE_PGM_RSRC2:TRAP_HANDLER: 0
; COMPUTE_PGM_RSRC2:TGID_X_EN: 1
; COMPUTE_PGM_RSRC2:TGID_Y_EN: 0
; COMPUTE_PGM_RSRC2:TGID_Z_EN: 0
; COMPUTE_PGM_RSRC2:TIDIG_COMP_CNT: 0
; COMPUTE_PGM_RSRC3_GFX90A:ACCUM_OFFSET: 0
; COMPUTE_PGM_RSRC3_GFX90A:TG_SPLIT: 0
	.section	.text._ZN7rocprim17ROCPRIM_400000_NS6detail17trampoline_kernelINS0_14default_configENS1_35radix_sort_onesweep_config_selectorIiNS0_10empty_typeEEEZZNS1_29radix_sort_onesweep_iterationIS3_Lb0EN6thrust23THRUST_200600_302600_NS6detail15normal_iteratorINS9_10device_ptrIiEEEESE_PS5_SF_jNS0_19identity_decomposerENS1_16block_id_wrapperIjLb0EEEEE10hipError_tT1_PNSt15iterator_traitsISK_E10value_typeET2_T3_PNSL_ISQ_E10value_typeET4_T5_PSV_SW_PNS1_23onesweep_lookback_stateEbbT6_jjT7_P12ihipStream_tbENKUlT_T0_SK_SP_E_clIPiSE_SF_SF_EEDaS13_S14_SK_SP_EUlS13_E_NS1_11comp_targetILNS1_3genE3ELNS1_11target_archE908ELNS1_3gpuE7ELNS1_3repE0EEENS1_47radix_sort_onesweep_sort_config_static_selectorELNS0_4arch9wavefront6targetE1EEEvSK_,"axG",@progbits,_ZN7rocprim17ROCPRIM_400000_NS6detail17trampoline_kernelINS0_14default_configENS1_35radix_sort_onesweep_config_selectorIiNS0_10empty_typeEEEZZNS1_29radix_sort_onesweep_iterationIS3_Lb0EN6thrust23THRUST_200600_302600_NS6detail15normal_iteratorINS9_10device_ptrIiEEEESE_PS5_SF_jNS0_19identity_decomposerENS1_16block_id_wrapperIjLb0EEEEE10hipError_tT1_PNSt15iterator_traitsISK_E10value_typeET2_T3_PNSL_ISQ_E10value_typeET4_T5_PSV_SW_PNS1_23onesweep_lookback_stateEbbT6_jjT7_P12ihipStream_tbENKUlT_T0_SK_SP_E_clIPiSE_SF_SF_EEDaS13_S14_SK_SP_EUlS13_E_NS1_11comp_targetILNS1_3genE3ELNS1_11target_archE908ELNS1_3gpuE7ELNS1_3repE0EEENS1_47radix_sort_onesweep_sort_config_static_selectorELNS0_4arch9wavefront6targetE1EEEvSK_,comdat
	.protected	_ZN7rocprim17ROCPRIM_400000_NS6detail17trampoline_kernelINS0_14default_configENS1_35radix_sort_onesweep_config_selectorIiNS0_10empty_typeEEEZZNS1_29radix_sort_onesweep_iterationIS3_Lb0EN6thrust23THRUST_200600_302600_NS6detail15normal_iteratorINS9_10device_ptrIiEEEESE_PS5_SF_jNS0_19identity_decomposerENS1_16block_id_wrapperIjLb0EEEEE10hipError_tT1_PNSt15iterator_traitsISK_E10value_typeET2_T3_PNSL_ISQ_E10value_typeET4_T5_PSV_SW_PNS1_23onesweep_lookback_stateEbbT6_jjT7_P12ihipStream_tbENKUlT_T0_SK_SP_E_clIPiSE_SF_SF_EEDaS13_S14_SK_SP_EUlS13_E_NS1_11comp_targetILNS1_3genE3ELNS1_11target_archE908ELNS1_3gpuE7ELNS1_3repE0EEENS1_47radix_sort_onesweep_sort_config_static_selectorELNS0_4arch9wavefront6targetE1EEEvSK_ ; -- Begin function _ZN7rocprim17ROCPRIM_400000_NS6detail17trampoline_kernelINS0_14default_configENS1_35radix_sort_onesweep_config_selectorIiNS0_10empty_typeEEEZZNS1_29radix_sort_onesweep_iterationIS3_Lb0EN6thrust23THRUST_200600_302600_NS6detail15normal_iteratorINS9_10device_ptrIiEEEESE_PS5_SF_jNS0_19identity_decomposerENS1_16block_id_wrapperIjLb0EEEEE10hipError_tT1_PNSt15iterator_traitsISK_E10value_typeET2_T3_PNSL_ISQ_E10value_typeET4_T5_PSV_SW_PNS1_23onesweep_lookback_stateEbbT6_jjT7_P12ihipStream_tbENKUlT_T0_SK_SP_E_clIPiSE_SF_SF_EEDaS13_S14_SK_SP_EUlS13_E_NS1_11comp_targetILNS1_3genE3ELNS1_11target_archE908ELNS1_3gpuE7ELNS1_3repE0EEENS1_47radix_sort_onesweep_sort_config_static_selectorELNS0_4arch9wavefront6targetE1EEEvSK_
	.globl	_ZN7rocprim17ROCPRIM_400000_NS6detail17trampoline_kernelINS0_14default_configENS1_35radix_sort_onesweep_config_selectorIiNS0_10empty_typeEEEZZNS1_29radix_sort_onesweep_iterationIS3_Lb0EN6thrust23THRUST_200600_302600_NS6detail15normal_iteratorINS9_10device_ptrIiEEEESE_PS5_SF_jNS0_19identity_decomposerENS1_16block_id_wrapperIjLb0EEEEE10hipError_tT1_PNSt15iterator_traitsISK_E10value_typeET2_T3_PNSL_ISQ_E10value_typeET4_T5_PSV_SW_PNS1_23onesweep_lookback_stateEbbT6_jjT7_P12ihipStream_tbENKUlT_T0_SK_SP_E_clIPiSE_SF_SF_EEDaS13_S14_SK_SP_EUlS13_E_NS1_11comp_targetILNS1_3genE3ELNS1_11target_archE908ELNS1_3gpuE7ELNS1_3repE0EEENS1_47radix_sort_onesweep_sort_config_static_selectorELNS0_4arch9wavefront6targetE1EEEvSK_
	.p2align	8
	.type	_ZN7rocprim17ROCPRIM_400000_NS6detail17trampoline_kernelINS0_14default_configENS1_35radix_sort_onesweep_config_selectorIiNS0_10empty_typeEEEZZNS1_29radix_sort_onesweep_iterationIS3_Lb0EN6thrust23THRUST_200600_302600_NS6detail15normal_iteratorINS9_10device_ptrIiEEEESE_PS5_SF_jNS0_19identity_decomposerENS1_16block_id_wrapperIjLb0EEEEE10hipError_tT1_PNSt15iterator_traitsISK_E10value_typeET2_T3_PNSL_ISQ_E10value_typeET4_T5_PSV_SW_PNS1_23onesweep_lookback_stateEbbT6_jjT7_P12ihipStream_tbENKUlT_T0_SK_SP_E_clIPiSE_SF_SF_EEDaS13_S14_SK_SP_EUlS13_E_NS1_11comp_targetILNS1_3genE3ELNS1_11target_archE908ELNS1_3gpuE7ELNS1_3repE0EEENS1_47radix_sort_onesweep_sort_config_static_selectorELNS0_4arch9wavefront6targetE1EEEvSK_,@function
_ZN7rocprim17ROCPRIM_400000_NS6detail17trampoline_kernelINS0_14default_configENS1_35radix_sort_onesweep_config_selectorIiNS0_10empty_typeEEEZZNS1_29radix_sort_onesweep_iterationIS3_Lb0EN6thrust23THRUST_200600_302600_NS6detail15normal_iteratorINS9_10device_ptrIiEEEESE_PS5_SF_jNS0_19identity_decomposerENS1_16block_id_wrapperIjLb0EEEEE10hipError_tT1_PNSt15iterator_traitsISK_E10value_typeET2_T3_PNSL_ISQ_E10value_typeET4_T5_PSV_SW_PNS1_23onesweep_lookback_stateEbbT6_jjT7_P12ihipStream_tbENKUlT_T0_SK_SP_E_clIPiSE_SF_SF_EEDaS13_S14_SK_SP_EUlS13_E_NS1_11comp_targetILNS1_3genE3ELNS1_11target_archE908ELNS1_3gpuE7ELNS1_3repE0EEENS1_47radix_sort_onesweep_sort_config_static_selectorELNS0_4arch9wavefront6targetE1EEEvSK_: ; @_ZN7rocprim17ROCPRIM_400000_NS6detail17trampoline_kernelINS0_14default_configENS1_35radix_sort_onesweep_config_selectorIiNS0_10empty_typeEEEZZNS1_29radix_sort_onesweep_iterationIS3_Lb0EN6thrust23THRUST_200600_302600_NS6detail15normal_iteratorINS9_10device_ptrIiEEEESE_PS5_SF_jNS0_19identity_decomposerENS1_16block_id_wrapperIjLb0EEEEE10hipError_tT1_PNSt15iterator_traitsISK_E10value_typeET2_T3_PNSL_ISQ_E10value_typeET4_T5_PSV_SW_PNS1_23onesweep_lookback_stateEbbT6_jjT7_P12ihipStream_tbENKUlT_T0_SK_SP_E_clIPiSE_SF_SF_EEDaS13_S14_SK_SP_EUlS13_E_NS1_11comp_targetILNS1_3genE3ELNS1_11target_archE908ELNS1_3gpuE7ELNS1_3repE0EEENS1_47radix_sort_onesweep_sort_config_static_selectorELNS0_4arch9wavefront6targetE1EEEvSK_
; %bb.0:
	.section	.rodata,"a",@progbits
	.p2align	6, 0x0
	.amdhsa_kernel _ZN7rocprim17ROCPRIM_400000_NS6detail17trampoline_kernelINS0_14default_configENS1_35radix_sort_onesweep_config_selectorIiNS0_10empty_typeEEEZZNS1_29radix_sort_onesweep_iterationIS3_Lb0EN6thrust23THRUST_200600_302600_NS6detail15normal_iteratorINS9_10device_ptrIiEEEESE_PS5_SF_jNS0_19identity_decomposerENS1_16block_id_wrapperIjLb0EEEEE10hipError_tT1_PNSt15iterator_traitsISK_E10value_typeET2_T3_PNSL_ISQ_E10value_typeET4_T5_PSV_SW_PNS1_23onesweep_lookback_stateEbbT6_jjT7_P12ihipStream_tbENKUlT_T0_SK_SP_E_clIPiSE_SF_SF_EEDaS13_S14_SK_SP_EUlS13_E_NS1_11comp_targetILNS1_3genE3ELNS1_11target_archE908ELNS1_3gpuE7ELNS1_3repE0EEENS1_47radix_sort_onesweep_sort_config_static_selectorELNS0_4arch9wavefront6targetE1EEEvSK_
		.amdhsa_group_segment_fixed_size 0
		.amdhsa_private_segment_fixed_size 0
		.amdhsa_kernarg_size 88
		.amdhsa_user_sgpr_count 2
		.amdhsa_user_sgpr_dispatch_ptr 0
		.amdhsa_user_sgpr_queue_ptr 0
		.amdhsa_user_sgpr_kernarg_segment_ptr 1
		.amdhsa_user_sgpr_dispatch_id 0
		.amdhsa_user_sgpr_kernarg_preload_length 0
		.amdhsa_user_sgpr_kernarg_preload_offset 0
		.amdhsa_user_sgpr_private_segment_size 0
		.amdhsa_uses_dynamic_stack 0
		.amdhsa_enable_private_segment 0
		.amdhsa_system_sgpr_workgroup_id_x 1
		.amdhsa_system_sgpr_workgroup_id_y 0
		.amdhsa_system_sgpr_workgroup_id_z 0
		.amdhsa_system_sgpr_workgroup_info 0
		.amdhsa_system_vgpr_workitem_id 0
		.amdhsa_next_free_vgpr 1
		.amdhsa_next_free_sgpr 0
		.amdhsa_accum_offset 4
		.amdhsa_reserve_vcc 0
		.amdhsa_float_round_mode_32 0
		.amdhsa_float_round_mode_16_64 0
		.amdhsa_float_denorm_mode_32 3
		.amdhsa_float_denorm_mode_16_64 3
		.amdhsa_dx10_clamp 1
		.amdhsa_ieee_mode 1
		.amdhsa_fp16_overflow 0
		.amdhsa_tg_split 0
		.amdhsa_exception_fp_ieee_invalid_op 0
		.amdhsa_exception_fp_denorm_src 0
		.amdhsa_exception_fp_ieee_div_zero 0
		.amdhsa_exception_fp_ieee_overflow 0
		.amdhsa_exception_fp_ieee_underflow 0
		.amdhsa_exception_fp_ieee_inexact 0
		.amdhsa_exception_int_div_zero 0
	.end_amdhsa_kernel
	.section	.text._ZN7rocprim17ROCPRIM_400000_NS6detail17trampoline_kernelINS0_14default_configENS1_35radix_sort_onesweep_config_selectorIiNS0_10empty_typeEEEZZNS1_29radix_sort_onesweep_iterationIS3_Lb0EN6thrust23THRUST_200600_302600_NS6detail15normal_iteratorINS9_10device_ptrIiEEEESE_PS5_SF_jNS0_19identity_decomposerENS1_16block_id_wrapperIjLb0EEEEE10hipError_tT1_PNSt15iterator_traitsISK_E10value_typeET2_T3_PNSL_ISQ_E10value_typeET4_T5_PSV_SW_PNS1_23onesweep_lookback_stateEbbT6_jjT7_P12ihipStream_tbENKUlT_T0_SK_SP_E_clIPiSE_SF_SF_EEDaS13_S14_SK_SP_EUlS13_E_NS1_11comp_targetILNS1_3genE3ELNS1_11target_archE908ELNS1_3gpuE7ELNS1_3repE0EEENS1_47radix_sort_onesweep_sort_config_static_selectorELNS0_4arch9wavefront6targetE1EEEvSK_,"axG",@progbits,_ZN7rocprim17ROCPRIM_400000_NS6detail17trampoline_kernelINS0_14default_configENS1_35radix_sort_onesweep_config_selectorIiNS0_10empty_typeEEEZZNS1_29radix_sort_onesweep_iterationIS3_Lb0EN6thrust23THRUST_200600_302600_NS6detail15normal_iteratorINS9_10device_ptrIiEEEESE_PS5_SF_jNS0_19identity_decomposerENS1_16block_id_wrapperIjLb0EEEEE10hipError_tT1_PNSt15iterator_traitsISK_E10value_typeET2_T3_PNSL_ISQ_E10value_typeET4_T5_PSV_SW_PNS1_23onesweep_lookback_stateEbbT6_jjT7_P12ihipStream_tbENKUlT_T0_SK_SP_E_clIPiSE_SF_SF_EEDaS13_S14_SK_SP_EUlS13_E_NS1_11comp_targetILNS1_3genE3ELNS1_11target_archE908ELNS1_3gpuE7ELNS1_3repE0EEENS1_47radix_sort_onesweep_sort_config_static_selectorELNS0_4arch9wavefront6targetE1EEEvSK_,comdat
.Lfunc_end209:
	.size	_ZN7rocprim17ROCPRIM_400000_NS6detail17trampoline_kernelINS0_14default_configENS1_35radix_sort_onesweep_config_selectorIiNS0_10empty_typeEEEZZNS1_29radix_sort_onesweep_iterationIS3_Lb0EN6thrust23THRUST_200600_302600_NS6detail15normal_iteratorINS9_10device_ptrIiEEEESE_PS5_SF_jNS0_19identity_decomposerENS1_16block_id_wrapperIjLb0EEEEE10hipError_tT1_PNSt15iterator_traitsISK_E10value_typeET2_T3_PNSL_ISQ_E10value_typeET4_T5_PSV_SW_PNS1_23onesweep_lookback_stateEbbT6_jjT7_P12ihipStream_tbENKUlT_T0_SK_SP_E_clIPiSE_SF_SF_EEDaS13_S14_SK_SP_EUlS13_E_NS1_11comp_targetILNS1_3genE3ELNS1_11target_archE908ELNS1_3gpuE7ELNS1_3repE0EEENS1_47radix_sort_onesweep_sort_config_static_selectorELNS0_4arch9wavefront6targetE1EEEvSK_, .Lfunc_end209-_ZN7rocprim17ROCPRIM_400000_NS6detail17trampoline_kernelINS0_14default_configENS1_35radix_sort_onesweep_config_selectorIiNS0_10empty_typeEEEZZNS1_29radix_sort_onesweep_iterationIS3_Lb0EN6thrust23THRUST_200600_302600_NS6detail15normal_iteratorINS9_10device_ptrIiEEEESE_PS5_SF_jNS0_19identity_decomposerENS1_16block_id_wrapperIjLb0EEEEE10hipError_tT1_PNSt15iterator_traitsISK_E10value_typeET2_T3_PNSL_ISQ_E10value_typeET4_T5_PSV_SW_PNS1_23onesweep_lookback_stateEbbT6_jjT7_P12ihipStream_tbENKUlT_T0_SK_SP_E_clIPiSE_SF_SF_EEDaS13_S14_SK_SP_EUlS13_E_NS1_11comp_targetILNS1_3genE3ELNS1_11target_archE908ELNS1_3gpuE7ELNS1_3repE0EEENS1_47radix_sort_onesweep_sort_config_static_selectorELNS0_4arch9wavefront6targetE1EEEvSK_
                                        ; -- End function
	.set _ZN7rocprim17ROCPRIM_400000_NS6detail17trampoline_kernelINS0_14default_configENS1_35radix_sort_onesweep_config_selectorIiNS0_10empty_typeEEEZZNS1_29radix_sort_onesweep_iterationIS3_Lb0EN6thrust23THRUST_200600_302600_NS6detail15normal_iteratorINS9_10device_ptrIiEEEESE_PS5_SF_jNS0_19identity_decomposerENS1_16block_id_wrapperIjLb0EEEEE10hipError_tT1_PNSt15iterator_traitsISK_E10value_typeET2_T3_PNSL_ISQ_E10value_typeET4_T5_PSV_SW_PNS1_23onesweep_lookback_stateEbbT6_jjT7_P12ihipStream_tbENKUlT_T0_SK_SP_E_clIPiSE_SF_SF_EEDaS13_S14_SK_SP_EUlS13_E_NS1_11comp_targetILNS1_3genE3ELNS1_11target_archE908ELNS1_3gpuE7ELNS1_3repE0EEENS1_47radix_sort_onesweep_sort_config_static_selectorELNS0_4arch9wavefront6targetE1EEEvSK_.num_vgpr, 0
	.set _ZN7rocprim17ROCPRIM_400000_NS6detail17trampoline_kernelINS0_14default_configENS1_35radix_sort_onesweep_config_selectorIiNS0_10empty_typeEEEZZNS1_29radix_sort_onesweep_iterationIS3_Lb0EN6thrust23THRUST_200600_302600_NS6detail15normal_iteratorINS9_10device_ptrIiEEEESE_PS5_SF_jNS0_19identity_decomposerENS1_16block_id_wrapperIjLb0EEEEE10hipError_tT1_PNSt15iterator_traitsISK_E10value_typeET2_T3_PNSL_ISQ_E10value_typeET4_T5_PSV_SW_PNS1_23onesweep_lookback_stateEbbT6_jjT7_P12ihipStream_tbENKUlT_T0_SK_SP_E_clIPiSE_SF_SF_EEDaS13_S14_SK_SP_EUlS13_E_NS1_11comp_targetILNS1_3genE3ELNS1_11target_archE908ELNS1_3gpuE7ELNS1_3repE0EEENS1_47radix_sort_onesweep_sort_config_static_selectorELNS0_4arch9wavefront6targetE1EEEvSK_.num_agpr, 0
	.set _ZN7rocprim17ROCPRIM_400000_NS6detail17trampoline_kernelINS0_14default_configENS1_35radix_sort_onesweep_config_selectorIiNS0_10empty_typeEEEZZNS1_29radix_sort_onesweep_iterationIS3_Lb0EN6thrust23THRUST_200600_302600_NS6detail15normal_iteratorINS9_10device_ptrIiEEEESE_PS5_SF_jNS0_19identity_decomposerENS1_16block_id_wrapperIjLb0EEEEE10hipError_tT1_PNSt15iterator_traitsISK_E10value_typeET2_T3_PNSL_ISQ_E10value_typeET4_T5_PSV_SW_PNS1_23onesweep_lookback_stateEbbT6_jjT7_P12ihipStream_tbENKUlT_T0_SK_SP_E_clIPiSE_SF_SF_EEDaS13_S14_SK_SP_EUlS13_E_NS1_11comp_targetILNS1_3genE3ELNS1_11target_archE908ELNS1_3gpuE7ELNS1_3repE0EEENS1_47radix_sort_onesweep_sort_config_static_selectorELNS0_4arch9wavefront6targetE1EEEvSK_.numbered_sgpr, 0
	.set _ZN7rocprim17ROCPRIM_400000_NS6detail17trampoline_kernelINS0_14default_configENS1_35radix_sort_onesweep_config_selectorIiNS0_10empty_typeEEEZZNS1_29radix_sort_onesweep_iterationIS3_Lb0EN6thrust23THRUST_200600_302600_NS6detail15normal_iteratorINS9_10device_ptrIiEEEESE_PS5_SF_jNS0_19identity_decomposerENS1_16block_id_wrapperIjLb0EEEEE10hipError_tT1_PNSt15iterator_traitsISK_E10value_typeET2_T3_PNSL_ISQ_E10value_typeET4_T5_PSV_SW_PNS1_23onesweep_lookback_stateEbbT6_jjT7_P12ihipStream_tbENKUlT_T0_SK_SP_E_clIPiSE_SF_SF_EEDaS13_S14_SK_SP_EUlS13_E_NS1_11comp_targetILNS1_3genE3ELNS1_11target_archE908ELNS1_3gpuE7ELNS1_3repE0EEENS1_47radix_sort_onesweep_sort_config_static_selectorELNS0_4arch9wavefront6targetE1EEEvSK_.num_named_barrier, 0
	.set _ZN7rocprim17ROCPRIM_400000_NS6detail17trampoline_kernelINS0_14default_configENS1_35radix_sort_onesweep_config_selectorIiNS0_10empty_typeEEEZZNS1_29radix_sort_onesweep_iterationIS3_Lb0EN6thrust23THRUST_200600_302600_NS6detail15normal_iteratorINS9_10device_ptrIiEEEESE_PS5_SF_jNS0_19identity_decomposerENS1_16block_id_wrapperIjLb0EEEEE10hipError_tT1_PNSt15iterator_traitsISK_E10value_typeET2_T3_PNSL_ISQ_E10value_typeET4_T5_PSV_SW_PNS1_23onesweep_lookback_stateEbbT6_jjT7_P12ihipStream_tbENKUlT_T0_SK_SP_E_clIPiSE_SF_SF_EEDaS13_S14_SK_SP_EUlS13_E_NS1_11comp_targetILNS1_3genE3ELNS1_11target_archE908ELNS1_3gpuE7ELNS1_3repE0EEENS1_47radix_sort_onesweep_sort_config_static_selectorELNS0_4arch9wavefront6targetE1EEEvSK_.private_seg_size, 0
	.set _ZN7rocprim17ROCPRIM_400000_NS6detail17trampoline_kernelINS0_14default_configENS1_35radix_sort_onesweep_config_selectorIiNS0_10empty_typeEEEZZNS1_29radix_sort_onesweep_iterationIS3_Lb0EN6thrust23THRUST_200600_302600_NS6detail15normal_iteratorINS9_10device_ptrIiEEEESE_PS5_SF_jNS0_19identity_decomposerENS1_16block_id_wrapperIjLb0EEEEE10hipError_tT1_PNSt15iterator_traitsISK_E10value_typeET2_T3_PNSL_ISQ_E10value_typeET4_T5_PSV_SW_PNS1_23onesweep_lookback_stateEbbT6_jjT7_P12ihipStream_tbENKUlT_T0_SK_SP_E_clIPiSE_SF_SF_EEDaS13_S14_SK_SP_EUlS13_E_NS1_11comp_targetILNS1_3genE3ELNS1_11target_archE908ELNS1_3gpuE7ELNS1_3repE0EEENS1_47radix_sort_onesweep_sort_config_static_selectorELNS0_4arch9wavefront6targetE1EEEvSK_.uses_vcc, 0
	.set _ZN7rocprim17ROCPRIM_400000_NS6detail17trampoline_kernelINS0_14default_configENS1_35radix_sort_onesweep_config_selectorIiNS0_10empty_typeEEEZZNS1_29radix_sort_onesweep_iterationIS3_Lb0EN6thrust23THRUST_200600_302600_NS6detail15normal_iteratorINS9_10device_ptrIiEEEESE_PS5_SF_jNS0_19identity_decomposerENS1_16block_id_wrapperIjLb0EEEEE10hipError_tT1_PNSt15iterator_traitsISK_E10value_typeET2_T3_PNSL_ISQ_E10value_typeET4_T5_PSV_SW_PNS1_23onesweep_lookback_stateEbbT6_jjT7_P12ihipStream_tbENKUlT_T0_SK_SP_E_clIPiSE_SF_SF_EEDaS13_S14_SK_SP_EUlS13_E_NS1_11comp_targetILNS1_3genE3ELNS1_11target_archE908ELNS1_3gpuE7ELNS1_3repE0EEENS1_47radix_sort_onesweep_sort_config_static_selectorELNS0_4arch9wavefront6targetE1EEEvSK_.uses_flat_scratch, 0
	.set _ZN7rocprim17ROCPRIM_400000_NS6detail17trampoline_kernelINS0_14default_configENS1_35radix_sort_onesweep_config_selectorIiNS0_10empty_typeEEEZZNS1_29radix_sort_onesweep_iterationIS3_Lb0EN6thrust23THRUST_200600_302600_NS6detail15normal_iteratorINS9_10device_ptrIiEEEESE_PS5_SF_jNS0_19identity_decomposerENS1_16block_id_wrapperIjLb0EEEEE10hipError_tT1_PNSt15iterator_traitsISK_E10value_typeET2_T3_PNSL_ISQ_E10value_typeET4_T5_PSV_SW_PNS1_23onesweep_lookback_stateEbbT6_jjT7_P12ihipStream_tbENKUlT_T0_SK_SP_E_clIPiSE_SF_SF_EEDaS13_S14_SK_SP_EUlS13_E_NS1_11comp_targetILNS1_3genE3ELNS1_11target_archE908ELNS1_3gpuE7ELNS1_3repE0EEENS1_47radix_sort_onesweep_sort_config_static_selectorELNS0_4arch9wavefront6targetE1EEEvSK_.has_dyn_sized_stack, 0
	.set _ZN7rocprim17ROCPRIM_400000_NS6detail17trampoline_kernelINS0_14default_configENS1_35radix_sort_onesweep_config_selectorIiNS0_10empty_typeEEEZZNS1_29radix_sort_onesweep_iterationIS3_Lb0EN6thrust23THRUST_200600_302600_NS6detail15normal_iteratorINS9_10device_ptrIiEEEESE_PS5_SF_jNS0_19identity_decomposerENS1_16block_id_wrapperIjLb0EEEEE10hipError_tT1_PNSt15iterator_traitsISK_E10value_typeET2_T3_PNSL_ISQ_E10value_typeET4_T5_PSV_SW_PNS1_23onesweep_lookback_stateEbbT6_jjT7_P12ihipStream_tbENKUlT_T0_SK_SP_E_clIPiSE_SF_SF_EEDaS13_S14_SK_SP_EUlS13_E_NS1_11comp_targetILNS1_3genE3ELNS1_11target_archE908ELNS1_3gpuE7ELNS1_3repE0EEENS1_47radix_sort_onesweep_sort_config_static_selectorELNS0_4arch9wavefront6targetE1EEEvSK_.has_recursion, 0
	.set _ZN7rocprim17ROCPRIM_400000_NS6detail17trampoline_kernelINS0_14default_configENS1_35radix_sort_onesweep_config_selectorIiNS0_10empty_typeEEEZZNS1_29radix_sort_onesweep_iterationIS3_Lb0EN6thrust23THRUST_200600_302600_NS6detail15normal_iteratorINS9_10device_ptrIiEEEESE_PS5_SF_jNS0_19identity_decomposerENS1_16block_id_wrapperIjLb0EEEEE10hipError_tT1_PNSt15iterator_traitsISK_E10value_typeET2_T3_PNSL_ISQ_E10value_typeET4_T5_PSV_SW_PNS1_23onesweep_lookback_stateEbbT6_jjT7_P12ihipStream_tbENKUlT_T0_SK_SP_E_clIPiSE_SF_SF_EEDaS13_S14_SK_SP_EUlS13_E_NS1_11comp_targetILNS1_3genE3ELNS1_11target_archE908ELNS1_3gpuE7ELNS1_3repE0EEENS1_47radix_sort_onesweep_sort_config_static_selectorELNS0_4arch9wavefront6targetE1EEEvSK_.has_indirect_call, 0
	.section	.AMDGPU.csdata,"",@progbits
; Kernel info:
; codeLenInByte = 0
; TotalNumSgprs: 6
; NumVgprs: 0
; NumAgprs: 0
; TotalNumVgprs: 0
; ScratchSize: 0
; MemoryBound: 0
; FloatMode: 240
; IeeeMode: 1
; LDSByteSize: 0 bytes/workgroup (compile time only)
; SGPRBlocks: 0
; VGPRBlocks: 0
; NumSGPRsForWavesPerEU: 6
; NumVGPRsForWavesPerEU: 1
; AccumOffset: 4
; Occupancy: 8
; WaveLimiterHint : 0
; COMPUTE_PGM_RSRC2:SCRATCH_EN: 0
; COMPUTE_PGM_RSRC2:USER_SGPR: 2
; COMPUTE_PGM_RSRC2:TRAP_HANDLER: 0
; COMPUTE_PGM_RSRC2:TGID_X_EN: 1
; COMPUTE_PGM_RSRC2:TGID_Y_EN: 0
; COMPUTE_PGM_RSRC2:TGID_Z_EN: 0
; COMPUTE_PGM_RSRC2:TIDIG_COMP_CNT: 0
; COMPUTE_PGM_RSRC3_GFX90A:ACCUM_OFFSET: 0
; COMPUTE_PGM_RSRC3_GFX90A:TG_SPLIT: 0
	.section	.text._ZN7rocprim17ROCPRIM_400000_NS6detail17trampoline_kernelINS0_14default_configENS1_35radix_sort_onesweep_config_selectorIiNS0_10empty_typeEEEZZNS1_29radix_sort_onesweep_iterationIS3_Lb0EN6thrust23THRUST_200600_302600_NS6detail15normal_iteratorINS9_10device_ptrIiEEEESE_PS5_SF_jNS0_19identity_decomposerENS1_16block_id_wrapperIjLb0EEEEE10hipError_tT1_PNSt15iterator_traitsISK_E10value_typeET2_T3_PNSL_ISQ_E10value_typeET4_T5_PSV_SW_PNS1_23onesweep_lookback_stateEbbT6_jjT7_P12ihipStream_tbENKUlT_T0_SK_SP_E_clIPiSE_SF_SF_EEDaS13_S14_SK_SP_EUlS13_E_NS1_11comp_targetILNS1_3genE10ELNS1_11target_archE1201ELNS1_3gpuE5ELNS1_3repE0EEENS1_47radix_sort_onesweep_sort_config_static_selectorELNS0_4arch9wavefront6targetE1EEEvSK_,"axG",@progbits,_ZN7rocprim17ROCPRIM_400000_NS6detail17trampoline_kernelINS0_14default_configENS1_35radix_sort_onesweep_config_selectorIiNS0_10empty_typeEEEZZNS1_29radix_sort_onesweep_iterationIS3_Lb0EN6thrust23THRUST_200600_302600_NS6detail15normal_iteratorINS9_10device_ptrIiEEEESE_PS5_SF_jNS0_19identity_decomposerENS1_16block_id_wrapperIjLb0EEEEE10hipError_tT1_PNSt15iterator_traitsISK_E10value_typeET2_T3_PNSL_ISQ_E10value_typeET4_T5_PSV_SW_PNS1_23onesweep_lookback_stateEbbT6_jjT7_P12ihipStream_tbENKUlT_T0_SK_SP_E_clIPiSE_SF_SF_EEDaS13_S14_SK_SP_EUlS13_E_NS1_11comp_targetILNS1_3genE10ELNS1_11target_archE1201ELNS1_3gpuE5ELNS1_3repE0EEENS1_47radix_sort_onesweep_sort_config_static_selectorELNS0_4arch9wavefront6targetE1EEEvSK_,comdat
	.protected	_ZN7rocprim17ROCPRIM_400000_NS6detail17trampoline_kernelINS0_14default_configENS1_35radix_sort_onesweep_config_selectorIiNS0_10empty_typeEEEZZNS1_29radix_sort_onesweep_iterationIS3_Lb0EN6thrust23THRUST_200600_302600_NS6detail15normal_iteratorINS9_10device_ptrIiEEEESE_PS5_SF_jNS0_19identity_decomposerENS1_16block_id_wrapperIjLb0EEEEE10hipError_tT1_PNSt15iterator_traitsISK_E10value_typeET2_T3_PNSL_ISQ_E10value_typeET4_T5_PSV_SW_PNS1_23onesweep_lookback_stateEbbT6_jjT7_P12ihipStream_tbENKUlT_T0_SK_SP_E_clIPiSE_SF_SF_EEDaS13_S14_SK_SP_EUlS13_E_NS1_11comp_targetILNS1_3genE10ELNS1_11target_archE1201ELNS1_3gpuE5ELNS1_3repE0EEENS1_47radix_sort_onesweep_sort_config_static_selectorELNS0_4arch9wavefront6targetE1EEEvSK_ ; -- Begin function _ZN7rocprim17ROCPRIM_400000_NS6detail17trampoline_kernelINS0_14default_configENS1_35radix_sort_onesweep_config_selectorIiNS0_10empty_typeEEEZZNS1_29radix_sort_onesweep_iterationIS3_Lb0EN6thrust23THRUST_200600_302600_NS6detail15normal_iteratorINS9_10device_ptrIiEEEESE_PS5_SF_jNS0_19identity_decomposerENS1_16block_id_wrapperIjLb0EEEEE10hipError_tT1_PNSt15iterator_traitsISK_E10value_typeET2_T3_PNSL_ISQ_E10value_typeET4_T5_PSV_SW_PNS1_23onesweep_lookback_stateEbbT6_jjT7_P12ihipStream_tbENKUlT_T0_SK_SP_E_clIPiSE_SF_SF_EEDaS13_S14_SK_SP_EUlS13_E_NS1_11comp_targetILNS1_3genE10ELNS1_11target_archE1201ELNS1_3gpuE5ELNS1_3repE0EEENS1_47radix_sort_onesweep_sort_config_static_selectorELNS0_4arch9wavefront6targetE1EEEvSK_
	.globl	_ZN7rocprim17ROCPRIM_400000_NS6detail17trampoline_kernelINS0_14default_configENS1_35radix_sort_onesweep_config_selectorIiNS0_10empty_typeEEEZZNS1_29radix_sort_onesweep_iterationIS3_Lb0EN6thrust23THRUST_200600_302600_NS6detail15normal_iteratorINS9_10device_ptrIiEEEESE_PS5_SF_jNS0_19identity_decomposerENS1_16block_id_wrapperIjLb0EEEEE10hipError_tT1_PNSt15iterator_traitsISK_E10value_typeET2_T3_PNSL_ISQ_E10value_typeET4_T5_PSV_SW_PNS1_23onesweep_lookback_stateEbbT6_jjT7_P12ihipStream_tbENKUlT_T0_SK_SP_E_clIPiSE_SF_SF_EEDaS13_S14_SK_SP_EUlS13_E_NS1_11comp_targetILNS1_3genE10ELNS1_11target_archE1201ELNS1_3gpuE5ELNS1_3repE0EEENS1_47radix_sort_onesweep_sort_config_static_selectorELNS0_4arch9wavefront6targetE1EEEvSK_
	.p2align	8
	.type	_ZN7rocprim17ROCPRIM_400000_NS6detail17trampoline_kernelINS0_14default_configENS1_35radix_sort_onesweep_config_selectorIiNS0_10empty_typeEEEZZNS1_29radix_sort_onesweep_iterationIS3_Lb0EN6thrust23THRUST_200600_302600_NS6detail15normal_iteratorINS9_10device_ptrIiEEEESE_PS5_SF_jNS0_19identity_decomposerENS1_16block_id_wrapperIjLb0EEEEE10hipError_tT1_PNSt15iterator_traitsISK_E10value_typeET2_T3_PNSL_ISQ_E10value_typeET4_T5_PSV_SW_PNS1_23onesweep_lookback_stateEbbT6_jjT7_P12ihipStream_tbENKUlT_T0_SK_SP_E_clIPiSE_SF_SF_EEDaS13_S14_SK_SP_EUlS13_E_NS1_11comp_targetILNS1_3genE10ELNS1_11target_archE1201ELNS1_3gpuE5ELNS1_3repE0EEENS1_47radix_sort_onesweep_sort_config_static_selectorELNS0_4arch9wavefront6targetE1EEEvSK_,@function
_ZN7rocprim17ROCPRIM_400000_NS6detail17trampoline_kernelINS0_14default_configENS1_35radix_sort_onesweep_config_selectorIiNS0_10empty_typeEEEZZNS1_29radix_sort_onesweep_iterationIS3_Lb0EN6thrust23THRUST_200600_302600_NS6detail15normal_iteratorINS9_10device_ptrIiEEEESE_PS5_SF_jNS0_19identity_decomposerENS1_16block_id_wrapperIjLb0EEEEE10hipError_tT1_PNSt15iterator_traitsISK_E10value_typeET2_T3_PNSL_ISQ_E10value_typeET4_T5_PSV_SW_PNS1_23onesweep_lookback_stateEbbT6_jjT7_P12ihipStream_tbENKUlT_T0_SK_SP_E_clIPiSE_SF_SF_EEDaS13_S14_SK_SP_EUlS13_E_NS1_11comp_targetILNS1_3genE10ELNS1_11target_archE1201ELNS1_3gpuE5ELNS1_3repE0EEENS1_47radix_sort_onesweep_sort_config_static_selectorELNS0_4arch9wavefront6targetE1EEEvSK_: ; @_ZN7rocprim17ROCPRIM_400000_NS6detail17trampoline_kernelINS0_14default_configENS1_35radix_sort_onesweep_config_selectorIiNS0_10empty_typeEEEZZNS1_29radix_sort_onesweep_iterationIS3_Lb0EN6thrust23THRUST_200600_302600_NS6detail15normal_iteratorINS9_10device_ptrIiEEEESE_PS5_SF_jNS0_19identity_decomposerENS1_16block_id_wrapperIjLb0EEEEE10hipError_tT1_PNSt15iterator_traitsISK_E10value_typeET2_T3_PNSL_ISQ_E10value_typeET4_T5_PSV_SW_PNS1_23onesweep_lookback_stateEbbT6_jjT7_P12ihipStream_tbENKUlT_T0_SK_SP_E_clIPiSE_SF_SF_EEDaS13_S14_SK_SP_EUlS13_E_NS1_11comp_targetILNS1_3genE10ELNS1_11target_archE1201ELNS1_3gpuE5ELNS1_3repE0EEENS1_47radix_sort_onesweep_sort_config_static_selectorELNS0_4arch9wavefront6targetE1EEEvSK_
; %bb.0:
	.section	.rodata,"a",@progbits
	.p2align	6, 0x0
	.amdhsa_kernel _ZN7rocprim17ROCPRIM_400000_NS6detail17trampoline_kernelINS0_14default_configENS1_35radix_sort_onesweep_config_selectorIiNS0_10empty_typeEEEZZNS1_29radix_sort_onesweep_iterationIS3_Lb0EN6thrust23THRUST_200600_302600_NS6detail15normal_iteratorINS9_10device_ptrIiEEEESE_PS5_SF_jNS0_19identity_decomposerENS1_16block_id_wrapperIjLb0EEEEE10hipError_tT1_PNSt15iterator_traitsISK_E10value_typeET2_T3_PNSL_ISQ_E10value_typeET4_T5_PSV_SW_PNS1_23onesweep_lookback_stateEbbT6_jjT7_P12ihipStream_tbENKUlT_T0_SK_SP_E_clIPiSE_SF_SF_EEDaS13_S14_SK_SP_EUlS13_E_NS1_11comp_targetILNS1_3genE10ELNS1_11target_archE1201ELNS1_3gpuE5ELNS1_3repE0EEENS1_47radix_sort_onesweep_sort_config_static_selectorELNS0_4arch9wavefront6targetE1EEEvSK_
		.amdhsa_group_segment_fixed_size 0
		.amdhsa_private_segment_fixed_size 0
		.amdhsa_kernarg_size 88
		.amdhsa_user_sgpr_count 2
		.amdhsa_user_sgpr_dispatch_ptr 0
		.amdhsa_user_sgpr_queue_ptr 0
		.amdhsa_user_sgpr_kernarg_segment_ptr 1
		.amdhsa_user_sgpr_dispatch_id 0
		.amdhsa_user_sgpr_kernarg_preload_length 0
		.amdhsa_user_sgpr_kernarg_preload_offset 0
		.amdhsa_user_sgpr_private_segment_size 0
		.amdhsa_uses_dynamic_stack 0
		.amdhsa_enable_private_segment 0
		.amdhsa_system_sgpr_workgroup_id_x 1
		.amdhsa_system_sgpr_workgroup_id_y 0
		.amdhsa_system_sgpr_workgroup_id_z 0
		.amdhsa_system_sgpr_workgroup_info 0
		.amdhsa_system_vgpr_workitem_id 0
		.amdhsa_next_free_vgpr 1
		.amdhsa_next_free_sgpr 0
		.amdhsa_accum_offset 4
		.amdhsa_reserve_vcc 0
		.amdhsa_float_round_mode_32 0
		.amdhsa_float_round_mode_16_64 0
		.amdhsa_float_denorm_mode_32 3
		.amdhsa_float_denorm_mode_16_64 3
		.amdhsa_dx10_clamp 1
		.amdhsa_ieee_mode 1
		.amdhsa_fp16_overflow 0
		.amdhsa_tg_split 0
		.amdhsa_exception_fp_ieee_invalid_op 0
		.amdhsa_exception_fp_denorm_src 0
		.amdhsa_exception_fp_ieee_div_zero 0
		.amdhsa_exception_fp_ieee_overflow 0
		.amdhsa_exception_fp_ieee_underflow 0
		.amdhsa_exception_fp_ieee_inexact 0
		.amdhsa_exception_int_div_zero 0
	.end_amdhsa_kernel
	.section	.text._ZN7rocprim17ROCPRIM_400000_NS6detail17trampoline_kernelINS0_14default_configENS1_35radix_sort_onesweep_config_selectorIiNS0_10empty_typeEEEZZNS1_29radix_sort_onesweep_iterationIS3_Lb0EN6thrust23THRUST_200600_302600_NS6detail15normal_iteratorINS9_10device_ptrIiEEEESE_PS5_SF_jNS0_19identity_decomposerENS1_16block_id_wrapperIjLb0EEEEE10hipError_tT1_PNSt15iterator_traitsISK_E10value_typeET2_T3_PNSL_ISQ_E10value_typeET4_T5_PSV_SW_PNS1_23onesweep_lookback_stateEbbT6_jjT7_P12ihipStream_tbENKUlT_T0_SK_SP_E_clIPiSE_SF_SF_EEDaS13_S14_SK_SP_EUlS13_E_NS1_11comp_targetILNS1_3genE10ELNS1_11target_archE1201ELNS1_3gpuE5ELNS1_3repE0EEENS1_47radix_sort_onesweep_sort_config_static_selectorELNS0_4arch9wavefront6targetE1EEEvSK_,"axG",@progbits,_ZN7rocprim17ROCPRIM_400000_NS6detail17trampoline_kernelINS0_14default_configENS1_35radix_sort_onesweep_config_selectorIiNS0_10empty_typeEEEZZNS1_29radix_sort_onesweep_iterationIS3_Lb0EN6thrust23THRUST_200600_302600_NS6detail15normal_iteratorINS9_10device_ptrIiEEEESE_PS5_SF_jNS0_19identity_decomposerENS1_16block_id_wrapperIjLb0EEEEE10hipError_tT1_PNSt15iterator_traitsISK_E10value_typeET2_T3_PNSL_ISQ_E10value_typeET4_T5_PSV_SW_PNS1_23onesweep_lookback_stateEbbT6_jjT7_P12ihipStream_tbENKUlT_T0_SK_SP_E_clIPiSE_SF_SF_EEDaS13_S14_SK_SP_EUlS13_E_NS1_11comp_targetILNS1_3genE10ELNS1_11target_archE1201ELNS1_3gpuE5ELNS1_3repE0EEENS1_47radix_sort_onesweep_sort_config_static_selectorELNS0_4arch9wavefront6targetE1EEEvSK_,comdat
.Lfunc_end210:
	.size	_ZN7rocprim17ROCPRIM_400000_NS6detail17trampoline_kernelINS0_14default_configENS1_35radix_sort_onesweep_config_selectorIiNS0_10empty_typeEEEZZNS1_29radix_sort_onesweep_iterationIS3_Lb0EN6thrust23THRUST_200600_302600_NS6detail15normal_iteratorINS9_10device_ptrIiEEEESE_PS5_SF_jNS0_19identity_decomposerENS1_16block_id_wrapperIjLb0EEEEE10hipError_tT1_PNSt15iterator_traitsISK_E10value_typeET2_T3_PNSL_ISQ_E10value_typeET4_T5_PSV_SW_PNS1_23onesweep_lookback_stateEbbT6_jjT7_P12ihipStream_tbENKUlT_T0_SK_SP_E_clIPiSE_SF_SF_EEDaS13_S14_SK_SP_EUlS13_E_NS1_11comp_targetILNS1_3genE10ELNS1_11target_archE1201ELNS1_3gpuE5ELNS1_3repE0EEENS1_47radix_sort_onesweep_sort_config_static_selectorELNS0_4arch9wavefront6targetE1EEEvSK_, .Lfunc_end210-_ZN7rocprim17ROCPRIM_400000_NS6detail17trampoline_kernelINS0_14default_configENS1_35radix_sort_onesweep_config_selectorIiNS0_10empty_typeEEEZZNS1_29radix_sort_onesweep_iterationIS3_Lb0EN6thrust23THRUST_200600_302600_NS6detail15normal_iteratorINS9_10device_ptrIiEEEESE_PS5_SF_jNS0_19identity_decomposerENS1_16block_id_wrapperIjLb0EEEEE10hipError_tT1_PNSt15iterator_traitsISK_E10value_typeET2_T3_PNSL_ISQ_E10value_typeET4_T5_PSV_SW_PNS1_23onesweep_lookback_stateEbbT6_jjT7_P12ihipStream_tbENKUlT_T0_SK_SP_E_clIPiSE_SF_SF_EEDaS13_S14_SK_SP_EUlS13_E_NS1_11comp_targetILNS1_3genE10ELNS1_11target_archE1201ELNS1_3gpuE5ELNS1_3repE0EEENS1_47radix_sort_onesweep_sort_config_static_selectorELNS0_4arch9wavefront6targetE1EEEvSK_
                                        ; -- End function
	.set _ZN7rocprim17ROCPRIM_400000_NS6detail17trampoline_kernelINS0_14default_configENS1_35radix_sort_onesweep_config_selectorIiNS0_10empty_typeEEEZZNS1_29radix_sort_onesweep_iterationIS3_Lb0EN6thrust23THRUST_200600_302600_NS6detail15normal_iteratorINS9_10device_ptrIiEEEESE_PS5_SF_jNS0_19identity_decomposerENS1_16block_id_wrapperIjLb0EEEEE10hipError_tT1_PNSt15iterator_traitsISK_E10value_typeET2_T3_PNSL_ISQ_E10value_typeET4_T5_PSV_SW_PNS1_23onesweep_lookback_stateEbbT6_jjT7_P12ihipStream_tbENKUlT_T0_SK_SP_E_clIPiSE_SF_SF_EEDaS13_S14_SK_SP_EUlS13_E_NS1_11comp_targetILNS1_3genE10ELNS1_11target_archE1201ELNS1_3gpuE5ELNS1_3repE0EEENS1_47radix_sort_onesweep_sort_config_static_selectorELNS0_4arch9wavefront6targetE1EEEvSK_.num_vgpr, 0
	.set _ZN7rocprim17ROCPRIM_400000_NS6detail17trampoline_kernelINS0_14default_configENS1_35radix_sort_onesweep_config_selectorIiNS0_10empty_typeEEEZZNS1_29radix_sort_onesweep_iterationIS3_Lb0EN6thrust23THRUST_200600_302600_NS6detail15normal_iteratorINS9_10device_ptrIiEEEESE_PS5_SF_jNS0_19identity_decomposerENS1_16block_id_wrapperIjLb0EEEEE10hipError_tT1_PNSt15iterator_traitsISK_E10value_typeET2_T3_PNSL_ISQ_E10value_typeET4_T5_PSV_SW_PNS1_23onesweep_lookback_stateEbbT6_jjT7_P12ihipStream_tbENKUlT_T0_SK_SP_E_clIPiSE_SF_SF_EEDaS13_S14_SK_SP_EUlS13_E_NS1_11comp_targetILNS1_3genE10ELNS1_11target_archE1201ELNS1_3gpuE5ELNS1_3repE0EEENS1_47radix_sort_onesweep_sort_config_static_selectorELNS0_4arch9wavefront6targetE1EEEvSK_.num_agpr, 0
	.set _ZN7rocprim17ROCPRIM_400000_NS6detail17trampoline_kernelINS0_14default_configENS1_35radix_sort_onesweep_config_selectorIiNS0_10empty_typeEEEZZNS1_29radix_sort_onesweep_iterationIS3_Lb0EN6thrust23THRUST_200600_302600_NS6detail15normal_iteratorINS9_10device_ptrIiEEEESE_PS5_SF_jNS0_19identity_decomposerENS1_16block_id_wrapperIjLb0EEEEE10hipError_tT1_PNSt15iterator_traitsISK_E10value_typeET2_T3_PNSL_ISQ_E10value_typeET4_T5_PSV_SW_PNS1_23onesweep_lookback_stateEbbT6_jjT7_P12ihipStream_tbENKUlT_T0_SK_SP_E_clIPiSE_SF_SF_EEDaS13_S14_SK_SP_EUlS13_E_NS1_11comp_targetILNS1_3genE10ELNS1_11target_archE1201ELNS1_3gpuE5ELNS1_3repE0EEENS1_47radix_sort_onesweep_sort_config_static_selectorELNS0_4arch9wavefront6targetE1EEEvSK_.numbered_sgpr, 0
	.set _ZN7rocprim17ROCPRIM_400000_NS6detail17trampoline_kernelINS0_14default_configENS1_35radix_sort_onesweep_config_selectorIiNS0_10empty_typeEEEZZNS1_29radix_sort_onesweep_iterationIS3_Lb0EN6thrust23THRUST_200600_302600_NS6detail15normal_iteratorINS9_10device_ptrIiEEEESE_PS5_SF_jNS0_19identity_decomposerENS1_16block_id_wrapperIjLb0EEEEE10hipError_tT1_PNSt15iterator_traitsISK_E10value_typeET2_T3_PNSL_ISQ_E10value_typeET4_T5_PSV_SW_PNS1_23onesweep_lookback_stateEbbT6_jjT7_P12ihipStream_tbENKUlT_T0_SK_SP_E_clIPiSE_SF_SF_EEDaS13_S14_SK_SP_EUlS13_E_NS1_11comp_targetILNS1_3genE10ELNS1_11target_archE1201ELNS1_3gpuE5ELNS1_3repE0EEENS1_47radix_sort_onesweep_sort_config_static_selectorELNS0_4arch9wavefront6targetE1EEEvSK_.num_named_barrier, 0
	.set _ZN7rocprim17ROCPRIM_400000_NS6detail17trampoline_kernelINS0_14default_configENS1_35radix_sort_onesweep_config_selectorIiNS0_10empty_typeEEEZZNS1_29radix_sort_onesweep_iterationIS3_Lb0EN6thrust23THRUST_200600_302600_NS6detail15normal_iteratorINS9_10device_ptrIiEEEESE_PS5_SF_jNS0_19identity_decomposerENS1_16block_id_wrapperIjLb0EEEEE10hipError_tT1_PNSt15iterator_traitsISK_E10value_typeET2_T3_PNSL_ISQ_E10value_typeET4_T5_PSV_SW_PNS1_23onesweep_lookback_stateEbbT6_jjT7_P12ihipStream_tbENKUlT_T0_SK_SP_E_clIPiSE_SF_SF_EEDaS13_S14_SK_SP_EUlS13_E_NS1_11comp_targetILNS1_3genE10ELNS1_11target_archE1201ELNS1_3gpuE5ELNS1_3repE0EEENS1_47radix_sort_onesweep_sort_config_static_selectorELNS0_4arch9wavefront6targetE1EEEvSK_.private_seg_size, 0
	.set _ZN7rocprim17ROCPRIM_400000_NS6detail17trampoline_kernelINS0_14default_configENS1_35radix_sort_onesweep_config_selectorIiNS0_10empty_typeEEEZZNS1_29radix_sort_onesweep_iterationIS3_Lb0EN6thrust23THRUST_200600_302600_NS6detail15normal_iteratorINS9_10device_ptrIiEEEESE_PS5_SF_jNS0_19identity_decomposerENS1_16block_id_wrapperIjLb0EEEEE10hipError_tT1_PNSt15iterator_traitsISK_E10value_typeET2_T3_PNSL_ISQ_E10value_typeET4_T5_PSV_SW_PNS1_23onesweep_lookback_stateEbbT6_jjT7_P12ihipStream_tbENKUlT_T0_SK_SP_E_clIPiSE_SF_SF_EEDaS13_S14_SK_SP_EUlS13_E_NS1_11comp_targetILNS1_3genE10ELNS1_11target_archE1201ELNS1_3gpuE5ELNS1_3repE0EEENS1_47radix_sort_onesweep_sort_config_static_selectorELNS0_4arch9wavefront6targetE1EEEvSK_.uses_vcc, 0
	.set _ZN7rocprim17ROCPRIM_400000_NS6detail17trampoline_kernelINS0_14default_configENS1_35radix_sort_onesweep_config_selectorIiNS0_10empty_typeEEEZZNS1_29radix_sort_onesweep_iterationIS3_Lb0EN6thrust23THRUST_200600_302600_NS6detail15normal_iteratorINS9_10device_ptrIiEEEESE_PS5_SF_jNS0_19identity_decomposerENS1_16block_id_wrapperIjLb0EEEEE10hipError_tT1_PNSt15iterator_traitsISK_E10value_typeET2_T3_PNSL_ISQ_E10value_typeET4_T5_PSV_SW_PNS1_23onesweep_lookback_stateEbbT6_jjT7_P12ihipStream_tbENKUlT_T0_SK_SP_E_clIPiSE_SF_SF_EEDaS13_S14_SK_SP_EUlS13_E_NS1_11comp_targetILNS1_3genE10ELNS1_11target_archE1201ELNS1_3gpuE5ELNS1_3repE0EEENS1_47radix_sort_onesweep_sort_config_static_selectorELNS0_4arch9wavefront6targetE1EEEvSK_.uses_flat_scratch, 0
	.set _ZN7rocprim17ROCPRIM_400000_NS6detail17trampoline_kernelINS0_14default_configENS1_35radix_sort_onesweep_config_selectorIiNS0_10empty_typeEEEZZNS1_29radix_sort_onesweep_iterationIS3_Lb0EN6thrust23THRUST_200600_302600_NS6detail15normal_iteratorINS9_10device_ptrIiEEEESE_PS5_SF_jNS0_19identity_decomposerENS1_16block_id_wrapperIjLb0EEEEE10hipError_tT1_PNSt15iterator_traitsISK_E10value_typeET2_T3_PNSL_ISQ_E10value_typeET4_T5_PSV_SW_PNS1_23onesweep_lookback_stateEbbT6_jjT7_P12ihipStream_tbENKUlT_T0_SK_SP_E_clIPiSE_SF_SF_EEDaS13_S14_SK_SP_EUlS13_E_NS1_11comp_targetILNS1_3genE10ELNS1_11target_archE1201ELNS1_3gpuE5ELNS1_3repE0EEENS1_47radix_sort_onesweep_sort_config_static_selectorELNS0_4arch9wavefront6targetE1EEEvSK_.has_dyn_sized_stack, 0
	.set _ZN7rocprim17ROCPRIM_400000_NS6detail17trampoline_kernelINS0_14default_configENS1_35radix_sort_onesweep_config_selectorIiNS0_10empty_typeEEEZZNS1_29radix_sort_onesweep_iterationIS3_Lb0EN6thrust23THRUST_200600_302600_NS6detail15normal_iteratorINS9_10device_ptrIiEEEESE_PS5_SF_jNS0_19identity_decomposerENS1_16block_id_wrapperIjLb0EEEEE10hipError_tT1_PNSt15iterator_traitsISK_E10value_typeET2_T3_PNSL_ISQ_E10value_typeET4_T5_PSV_SW_PNS1_23onesweep_lookback_stateEbbT6_jjT7_P12ihipStream_tbENKUlT_T0_SK_SP_E_clIPiSE_SF_SF_EEDaS13_S14_SK_SP_EUlS13_E_NS1_11comp_targetILNS1_3genE10ELNS1_11target_archE1201ELNS1_3gpuE5ELNS1_3repE0EEENS1_47radix_sort_onesweep_sort_config_static_selectorELNS0_4arch9wavefront6targetE1EEEvSK_.has_recursion, 0
	.set _ZN7rocprim17ROCPRIM_400000_NS6detail17trampoline_kernelINS0_14default_configENS1_35radix_sort_onesweep_config_selectorIiNS0_10empty_typeEEEZZNS1_29radix_sort_onesweep_iterationIS3_Lb0EN6thrust23THRUST_200600_302600_NS6detail15normal_iteratorINS9_10device_ptrIiEEEESE_PS5_SF_jNS0_19identity_decomposerENS1_16block_id_wrapperIjLb0EEEEE10hipError_tT1_PNSt15iterator_traitsISK_E10value_typeET2_T3_PNSL_ISQ_E10value_typeET4_T5_PSV_SW_PNS1_23onesweep_lookback_stateEbbT6_jjT7_P12ihipStream_tbENKUlT_T0_SK_SP_E_clIPiSE_SF_SF_EEDaS13_S14_SK_SP_EUlS13_E_NS1_11comp_targetILNS1_3genE10ELNS1_11target_archE1201ELNS1_3gpuE5ELNS1_3repE0EEENS1_47radix_sort_onesweep_sort_config_static_selectorELNS0_4arch9wavefront6targetE1EEEvSK_.has_indirect_call, 0
	.section	.AMDGPU.csdata,"",@progbits
; Kernel info:
; codeLenInByte = 0
; TotalNumSgprs: 6
; NumVgprs: 0
; NumAgprs: 0
; TotalNumVgprs: 0
; ScratchSize: 0
; MemoryBound: 0
; FloatMode: 240
; IeeeMode: 1
; LDSByteSize: 0 bytes/workgroup (compile time only)
; SGPRBlocks: 0
; VGPRBlocks: 0
; NumSGPRsForWavesPerEU: 6
; NumVGPRsForWavesPerEU: 1
; AccumOffset: 4
; Occupancy: 8
; WaveLimiterHint : 0
; COMPUTE_PGM_RSRC2:SCRATCH_EN: 0
; COMPUTE_PGM_RSRC2:USER_SGPR: 2
; COMPUTE_PGM_RSRC2:TRAP_HANDLER: 0
; COMPUTE_PGM_RSRC2:TGID_X_EN: 1
; COMPUTE_PGM_RSRC2:TGID_Y_EN: 0
; COMPUTE_PGM_RSRC2:TGID_Z_EN: 0
; COMPUTE_PGM_RSRC2:TIDIG_COMP_CNT: 0
; COMPUTE_PGM_RSRC3_GFX90A:ACCUM_OFFSET: 0
; COMPUTE_PGM_RSRC3_GFX90A:TG_SPLIT: 0
	.section	.text._ZN7rocprim17ROCPRIM_400000_NS6detail17trampoline_kernelINS0_14default_configENS1_35radix_sort_onesweep_config_selectorIiNS0_10empty_typeEEEZZNS1_29radix_sort_onesweep_iterationIS3_Lb0EN6thrust23THRUST_200600_302600_NS6detail15normal_iteratorINS9_10device_ptrIiEEEESE_PS5_SF_jNS0_19identity_decomposerENS1_16block_id_wrapperIjLb0EEEEE10hipError_tT1_PNSt15iterator_traitsISK_E10value_typeET2_T3_PNSL_ISQ_E10value_typeET4_T5_PSV_SW_PNS1_23onesweep_lookback_stateEbbT6_jjT7_P12ihipStream_tbENKUlT_T0_SK_SP_E_clIPiSE_SF_SF_EEDaS13_S14_SK_SP_EUlS13_E_NS1_11comp_targetILNS1_3genE9ELNS1_11target_archE1100ELNS1_3gpuE3ELNS1_3repE0EEENS1_47radix_sort_onesweep_sort_config_static_selectorELNS0_4arch9wavefront6targetE1EEEvSK_,"axG",@progbits,_ZN7rocprim17ROCPRIM_400000_NS6detail17trampoline_kernelINS0_14default_configENS1_35radix_sort_onesweep_config_selectorIiNS0_10empty_typeEEEZZNS1_29radix_sort_onesweep_iterationIS3_Lb0EN6thrust23THRUST_200600_302600_NS6detail15normal_iteratorINS9_10device_ptrIiEEEESE_PS5_SF_jNS0_19identity_decomposerENS1_16block_id_wrapperIjLb0EEEEE10hipError_tT1_PNSt15iterator_traitsISK_E10value_typeET2_T3_PNSL_ISQ_E10value_typeET4_T5_PSV_SW_PNS1_23onesweep_lookback_stateEbbT6_jjT7_P12ihipStream_tbENKUlT_T0_SK_SP_E_clIPiSE_SF_SF_EEDaS13_S14_SK_SP_EUlS13_E_NS1_11comp_targetILNS1_3genE9ELNS1_11target_archE1100ELNS1_3gpuE3ELNS1_3repE0EEENS1_47radix_sort_onesweep_sort_config_static_selectorELNS0_4arch9wavefront6targetE1EEEvSK_,comdat
	.protected	_ZN7rocprim17ROCPRIM_400000_NS6detail17trampoline_kernelINS0_14default_configENS1_35radix_sort_onesweep_config_selectorIiNS0_10empty_typeEEEZZNS1_29radix_sort_onesweep_iterationIS3_Lb0EN6thrust23THRUST_200600_302600_NS6detail15normal_iteratorINS9_10device_ptrIiEEEESE_PS5_SF_jNS0_19identity_decomposerENS1_16block_id_wrapperIjLb0EEEEE10hipError_tT1_PNSt15iterator_traitsISK_E10value_typeET2_T3_PNSL_ISQ_E10value_typeET4_T5_PSV_SW_PNS1_23onesweep_lookback_stateEbbT6_jjT7_P12ihipStream_tbENKUlT_T0_SK_SP_E_clIPiSE_SF_SF_EEDaS13_S14_SK_SP_EUlS13_E_NS1_11comp_targetILNS1_3genE9ELNS1_11target_archE1100ELNS1_3gpuE3ELNS1_3repE0EEENS1_47radix_sort_onesweep_sort_config_static_selectorELNS0_4arch9wavefront6targetE1EEEvSK_ ; -- Begin function _ZN7rocprim17ROCPRIM_400000_NS6detail17trampoline_kernelINS0_14default_configENS1_35radix_sort_onesweep_config_selectorIiNS0_10empty_typeEEEZZNS1_29radix_sort_onesweep_iterationIS3_Lb0EN6thrust23THRUST_200600_302600_NS6detail15normal_iteratorINS9_10device_ptrIiEEEESE_PS5_SF_jNS0_19identity_decomposerENS1_16block_id_wrapperIjLb0EEEEE10hipError_tT1_PNSt15iterator_traitsISK_E10value_typeET2_T3_PNSL_ISQ_E10value_typeET4_T5_PSV_SW_PNS1_23onesweep_lookback_stateEbbT6_jjT7_P12ihipStream_tbENKUlT_T0_SK_SP_E_clIPiSE_SF_SF_EEDaS13_S14_SK_SP_EUlS13_E_NS1_11comp_targetILNS1_3genE9ELNS1_11target_archE1100ELNS1_3gpuE3ELNS1_3repE0EEENS1_47radix_sort_onesweep_sort_config_static_selectorELNS0_4arch9wavefront6targetE1EEEvSK_
	.globl	_ZN7rocprim17ROCPRIM_400000_NS6detail17trampoline_kernelINS0_14default_configENS1_35radix_sort_onesweep_config_selectorIiNS0_10empty_typeEEEZZNS1_29radix_sort_onesweep_iterationIS3_Lb0EN6thrust23THRUST_200600_302600_NS6detail15normal_iteratorINS9_10device_ptrIiEEEESE_PS5_SF_jNS0_19identity_decomposerENS1_16block_id_wrapperIjLb0EEEEE10hipError_tT1_PNSt15iterator_traitsISK_E10value_typeET2_T3_PNSL_ISQ_E10value_typeET4_T5_PSV_SW_PNS1_23onesweep_lookback_stateEbbT6_jjT7_P12ihipStream_tbENKUlT_T0_SK_SP_E_clIPiSE_SF_SF_EEDaS13_S14_SK_SP_EUlS13_E_NS1_11comp_targetILNS1_3genE9ELNS1_11target_archE1100ELNS1_3gpuE3ELNS1_3repE0EEENS1_47radix_sort_onesweep_sort_config_static_selectorELNS0_4arch9wavefront6targetE1EEEvSK_
	.p2align	8
	.type	_ZN7rocprim17ROCPRIM_400000_NS6detail17trampoline_kernelINS0_14default_configENS1_35radix_sort_onesweep_config_selectorIiNS0_10empty_typeEEEZZNS1_29radix_sort_onesweep_iterationIS3_Lb0EN6thrust23THRUST_200600_302600_NS6detail15normal_iteratorINS9_10device_ptrIiEEEESE_PS5_SF_jNS0_19identity_decomposerENS1_16block_id_wrapperIjLb0EEEEE10hipError_tT1_PNSt15iterator_traitsISK_E10value_typeET2_T3_PNSL_ISQ_E10value_typeET4_T5_PSV_SW_PNS1_23onesweep_lookback_stateEbbT6_jjT7_P12ihipStream_tbENKUlT_T0_SK_SP_E_clIPiSE_SF_SF_EEDaS13_S14_SK_SP_EUlS13_E_NS1_11comp_targetILNS1_3genE9ELNS1_11target_archE1100ELNS1_3gpuE3ELNS1_3repE0EEENS1_47radix_sort_onesweep_sort_config_static_selectorELNS0_4arch9wavefront6targetE1EEEvSK_,@function
_ZN7rocprim17ROCPRIM_400000_NS6detail17trampoline_kernelINS0_14default_configENS1_35radix_sort_onesweep_config_selectorIiNS0_10empty_typeEEEZZNS1_29radix_sort_onesweep_iterationIS3_Lb0EN6thrust23THRUST_200600_302600_NS6detail15normal_iteratorINS9_10device_ptrIiEEEESE_PS5_SF_jNS0_19identity_decomposerENS1_16block_id_wrapperIjLb0EEEEE10hipError_tT1_PNSt15iterator_traitsISK_E10value_typeET2_T3_PNSL_ISQ_E10value_typeET4_T5_PSV_SW_PNS1_23onesweep_lookback_stateEbbT6_jjT7_P12ihipStream_tbENKUlT_T0_SK_SP_E_clIPiSE_SF_SF_EEDaS13_S14_SK_SP_EUlS13_E_NS1_11comp_targetILNS1_3genE9ELNS1_11target_archE1100ELNS1_3gpuE3ELNS1_3repE0EEENS1_47radix_sort_onesweep_sort_config_static_selectorELNS0_4arch9wavefront6targetE1EEEvSK_: ; @_ZN7rocprim17ROCPRIM_400000_NS6detail17trampoline_kernelINS0_14default_configENS1_35radix_sort_onesweep_config_selectorIiNS0_10empty_typeEEEZZNS1_29radix_sort_onesweep_iterationIS3_Lb0EN6thrust23THRUST_200600_302600_NS6detail15normal_iteratorINS9_10device_ptrIiEEEESE_PS5_SF_jNS0_19identity_decomposerENS1_16block_id_wrapperIjLb0EEEEE10hipError_tT1_PNSt15iterator_traitsISK_E10value_typeET2_T3_PNSL_ISQ_E10value_typeET4_T5_PSV_SW_PNS1_23onesweep_lookback_stateEbbT6_jjT7_P12ihipStream_tbENKUlT_T0_SK_SP_E_clIPiSE_SF_SF_EEDaS13_S14_SK_SP_EUlS13_E_NS1_11comp_targetILNS1_3genE9ELNS1_11target_archE1100ELNS1_3gpuE3ELNS1_3repE0EEENS1_47radix_sort_onesweep_sort_config_static_selectorELNS0_4arch9wavefront6targetE1EEEvSK_
; %bb.0:
	.section	.rodata,"a",@progbits
	.p2align	6, 0x0
	.amdhsa_kernel _ZN7rocprim17ROCPRIM_400000_NS6detail17trampoline_kernelINS0_14default_configENS1_35radix_sort_onesweep_config_selectorIiNS0_10empty_typeEEEZZNS1_29radix_sort_onesweep_iterationIS3_Lb0EN6thrust23THRUST_200600_302600_NS6detail15normal_iteratorINS9_10device_ptrIiEEEESE_PS5_SF_jNS0_19identity_decomposerENS1_16block_id_wrapperIjLb0EEEEE10hipError_tT1_PNSt15iterator_traitsISK_E10value_typeET2_T3_PNSL_ISQ_E10value_typeET4_T5_PSV_SW_PNS1_23onesweep_lookback_stateEbbT6_jjT7_P12ihipStream_tbENKUlT_T0_SK_SP_E_clIPiSE_SF_SF_EEDaS13_S14_SK_SP_EUlS13_E_NS1_11comp_targetILNS1_3genE9ELNS1_11target_archE1100ELNS1_3gpuE3ELNS1_3repE0EEENS1_47radix_sort_onesweep_sort_config_static_selectorELNS0_4arch9wavefront6targetE1EEEvSK_
		.amdhsa_group_segment_fixed_size 0
		.amdhsa_private_segment_fixed_size 0
		.amdhsa_kernarg_size 88
		.amdhsa_user_sgpr_count 2
		.amdhsa_user_sgpr_dispatch_ptr 0
		.amdhsa_user_sgpr_queue_ptr 0
		.amdhsa_user_sgpr_kernarg_segment_ptr 1
		.amdhsa_user_sgpr_dispatch_id 0
		.amdhsa_user_sgpr_kernarg_preload_length 0
		.amdhsa_user_sgpr_kernarg_preload_offset 0
		.amdhsa_user_sgpr_private_segment_size 0
		.amdhsa_uses_dynamic_stack 0
		.amdhsa_enable_private_segment 0
		.amdhsa_system_sgpr_workgroup_id_x 1
		.amdhsa_system_sgpr_workgroup_id_y 0
		.amdhsa_system_sgpr_workgroup_id_z 0
		.amdhsa_system_sgpr_workgroup_info 0
		.amdhsa_system_vgpr_workitem_id 0
		.amdhsa_next_free_vgpr 1
		.amdhsa_next_free_sgpr 0
		.amdhsa_accum_offset 4
		.amdhsa_reserve_vcc 0
		.amdhsa_float_round_mode_32 0
		.amdhsa_float_round_mode_16_64 0
		.amdhsa_float_denorm_mode_32 3
		.amdhsa_float_denorm_mode_16_64 3
		.amdhsa_dx10_clamp 1
		.amdhsa_ieee_mode 1
		.amdhsa_fp16_overflow 0
		.amdhsa_tg_split 0
		.amdhsa_exception_fp_ieee_invalid_op 0
		.amdhsa_exception_fp_denorm_src 0
		.amdhsa_exception_fp_ieee_div_zero 0
		.amdhsa_exception_fp_ieee_overflow 0
		.amdhsa_exception_fp_ieee_underflow 0
		.amdhsa_exception_fp_ieee_inexact 0
		.amdhsa_exception_int_div_zero 0
	.end_amdhsa_kernel
	.section	.text._ZN7rocprim17ROCPRIM_400000_NS6detail17trampoline_kernelINS0_14default_configENS1_35radix_sort_onesweep_config_selectorIiNS0_10empty_typeEEEZZNS1_29radix_sort_onesweep_iterationIS3_Lb0EN6thrust23THRUST_200600_302600_NS6detail15normal_iteratorINS9_10device_ptrIiEEEESE_PS5_SF_jNS0_19identity_decomposerENS1_16block_id_wrapperIjLb0EEEEE10hipError_tT1_PNSt15iterator_traitsISK_E10value_typeET2_T3_PNSL_ISQ_E10value_typeET4_T5_PSV_SW_PNS1_23onesweep_lookback_stateEbbT6_jjT7_P12ihipStream_tbENKUlT_T0_SK_SP_E_clIPiSE_SF_SF_EEDaS13_S14_SK_SP_EUlS13_E_NS1_11comp_targetILNS1_3genE9ELNS1_11target_archE1100ELNS1_3gpuE3ELNS1_3repE0EEENS1_47radix_sort_onesweep_sort_config_static_selectorELNS0_4arch9wavefront6targetE1EEEvSK_,"axG",@progbits,_ZN7rocprim17ROCPRIM_400000_NS6detail17trampoline_kernelINS0_14default_configENS1_35radix_sort_onesweep_config_selectorIiNS0_10empty_typeEEEZZNS1_29radix_sort_onesweep_iterationIS3_Lb0EN6thrust23THRUST_200600_302600_NS6detail15normal_iteratorINS9_10device_ptrIiEEEESE_PS5_SF_jNS0_19identity_decomposerENS1_16block_id_wrapperIjLb0EEEEE10hipError_tT1_PNSt15iterator_traitsISK_E10value_typeET2_T3_PNSL_ISQ_E10value_typeET4_T5_PSV_SW_PNS1_23onesweep_lookback_stateEbbT6_jjT7_P12ihipStream_tbENKUlT_T0_SK_SP_E_clIPiSE_SF_SF_EEDaS13_S14_SK_SP_EUlS13_E_NS1_11comp_targetILNS1_3genE9ELNS1_11target_archE1100ELNS1_3gpuE3ELNS1_3repE0EEENS1_47radix_sort_onesweep_sort_config_static_selectorELNS0_4arch9wavefront6targetE1EEEvSK_,comdat
.Lfunc_end211:
	.size	_ZN7rocprim17ROCPRIM_400000_NS6detail17trampoline_kernelINS0_14default_configENS1_35radix_sort_onesweep_config_selectorIiNS0_10empty_typeEEEZZNS1_29radix_sort_onesweep_iterationIS3_Lb0EN6thrust23THRUST_200600_302600_NS6detail15normal_iteratorINS9_10device_ptrIiEEEESE_PS5_SF_jNS0_19identity_decomposerENS1_16block_id_wrapperIjLb0EEEEE10hipError_tT1_PNSt15iterator_traitsISK_E10value_typeET2_T3_PNSL_ISQ_E10value_typeET4_T5_PSV_SW_PNS1_23onesweep_lookback_stateEbbT6_jjT7_P12ihipStream_tbENKUlT_T0_SK_SP_E_clIPiSE_SF_SF_EEDaS13_S14_SK_SP_EUlS13_E_NS1_11comp_targetILNS1_3genE9ELNS1_11target_archE1100ELNS1_3gpuE3ELNS1_3repE0EEENS1_47radix_sort_onesweep_sort_config_static_selectorELNS0_4arch9wavefront6targetE1EEEvSK_, .Lfunc_end211-_ZN7rocprim17ROCPRIM_400000_NS6detail17trampoline_kernelINS0_14default_configENS1_35radix_sort_onesweep_config_selectorIiNS0_10empty_typeEEEZZNS1_29radix_sort_onesweep_iterationIS3_Lb0EN6thrust23THRUST_200600_302600_NS6detail15normal_iteratorINS9_10device_ptrIiEEEESE_PS5_SF_jNS0_19identity_decomposerENS1_16block_id_wrapperIjLb0EEEEE10hipError_tT1_PNSt15iterator_traitsISK_E10value_typeET2_T3_PNSL_ISQ_E10value_typeET4_T5_PSV_SW_PNS1_23onesweep_lookback_stateEbbT6_jjT7_P12ihipStream_tbENKUlT_T0_SK_SP_E_clIPiSE_SF_SF_EEDaS13_S14_SK_SP_EUlS13_E_NS1_11comp_targetILNS1_3genE9ELNS1_11target_archE1100ELNS1_3gpuE3ELNS1_3repE0EEENS1_47radix_sort_onesweep_sort_config_static_selectorELNS0_4arch9wavefront6targetE1EEEvSK_
                                        ; -- End function
	.set _ZN7rocprim17ROCPRIM_400000_NS6detail17trampoline_kernelINS0_14default_configENS1_35radix_sort_onesweep_config_selectorIiNS0_10empty_typeEEEZZNS1_29radix_sort_onesweep_iterationIS3_Lb0EN6thrust23THRUST_200600_302600_NS6detail15normal_iteratorINS9_10device_ptrIiEEEESE_PS5_SF_jNS0_19identity_decomposerENS1_16block_id_wrapperIjLb0EEEEE10hipError_tT1_PNSt15iterator_traitsISK_E10value_typeET2_T3_PNSL_ISQ_E10value_typeET4_T5_PSV_SW_PNS1_23onesweep_lookback_stateEbbT6_jjT7_P12ihipStream_tbENKUlT_T0_SK_SP_E_clIPiSE_SF_SF_EEDaS13_S14_SK_SP_EUlS13_E_NS1_11comp_targetILNS1_3genE9ELNS1_11target_archE1100ELNS1_3gpuE3ELNS1_3repE0EEENS1_47radix_sort_onesweep_sort_config_static_selectorELNS0_4arch9wavefront6targetE1EEEvSK_.num_vgpr, 0
	.set _ZN7rocprim17ROCPRIM_400000_NS6detail17trampoline_kernelINS0_14default_configENS1_35radix_sort_onesweep_config_selectorIiNS0_10empty_typeEEEZZNS1_29radix_sort_onesweep_iterationIS3_Lb0EN6thrust23THRUST_200600_302600_NS6detail15normal_iteratorINS9_10device_ptrIiEEEESE_PS5_SF_jNS0_19identity_decomposerENS1_16block_id_wrapperIjLb0EEEEE10hipError_tT1_PNSt15iterator_traitsISK_E10value_typeET2_T3_PNSL_ISQ_E10value_typeET4_T5_PSV_SW_PNS1_23onesweep_lookback_stateEbbT6_jjT7_P12ihipStream_tbENKUlT_T0_SK_SP_E_clIPiSE_SF_SF_EEDaS13_S14_SK_SP_EUlS13_E_NS1_11comp_targetILNS1_3genE9ELNS1_11target_archE1100ELNS1_3gpuE3ELNS1_3repE0EEENS1_47radix_sort_onesweep_sort_config_static_selectorELNS0_4arch9wavefront6targetE1EEEvSK_.num_agpr, 0
	.set _ZN7rocprim17ROCPRIM_400000_NS6detail17trampoline_kernelINS0_14default_configENS1_35radix_sort_onesweep_config_selectorIiNS0_10empty_typeEEEZZNS1_29radix_sort_onesweep_iterationIS3_Lb0EN6thrust23THRUST_200600_302600_NS6detail15normal_iteratorINS9_10device_ptrIiEEEESE_PS5_SF_jNS0_19identity_decomposerENS1_16block_id_wrapperIjLb0EEEEE10hipError_tT1_PNSt15iterator_traitsISK_E10value_typeET2_T3_PNSL_ISQ_E10value_typeET4_T5_PSV_SW_PNS1_23onesweep_lookback_stateEbbT6_jjT7_P12ihipStream_tbENKUlT_T0_SK_SP_E_clIPiSE_SF_SF_EEDaS13_S14_SK_SP_EUlS13_E_NS1_11comp_targetILNS1_3genE9ELNS1_11target_archE1100ELNS1_3gpuE3ELNS1_3repE0EEENS1_47radix_sort_onesweep_sort_config_static_selectorELNS0_4arch9wavefront6targetE1EEEvSK_.numbered_sgpr, 0
	.set _ZN7rocprim17ROCPRIM_400000_NS6detail17trampoline_kernelINS0_14default_configENS1_35radix_sort_onesweep_config_selectorIiNS0_10empty_typeEEEZZNS1_29radix_sort_onesweep_iterationIS3_Lb0EN6thrust23THRUST_200600_302600_NS6detail15normal_iteratorINS9_10device_ptrIiEEEESE_PS5_SF_jNS0_19identity_decomposerENS1_16block_id_wrapperIjLb0EEEEE10hipError_tT1_PNSt15iterator_traitsISK_E10value_typeET2_T3_PNSL_ISQ_E10value_typeET4_T5_PSV_SW_PNS1_23onesweep_lookback_stateEbbT6_jjT7_P12ihipStream_tbENKUlT_T0_SK_SP_E_clIPiSE_SF_SF_EEDaS13_S14_SK_SP_EUlS13_E_NS1_11comp_targetILNS1_3genE9ELNS1_11target_archE1100ELNS1_3gpuE3ELNS1_3repE0EEENS1_47radix_sort_onesweep_sort_config_static_selectorELNS0_4arch9wavefront6targetE1EEEvSK_.num_named_barrier, 0
	.set _ZN7rocprim17ROCPRIM_400000_NS6detail17trampoline_kernelINS0_14default_configENS1_35radix_sort_onesweep_config_selectorIiNS0_10empty_typeEEEZZNS1_29radix_sort_onesweep_iterationIS3_Lb0EN6thrust23THRUST_200600_302600_NS6detail15normal_iteratorINS9_10device_ptrIiEEEESE_PS5_SF_jNS0_19identity_decomposerENS1_16block_id_wrapperIjLb0EEEEE10hipError_tT1_PNSt15iterator_traitsISK_E10value_typeET2_T3_PNSL_ISQ_E10value_typeET4_T5_PSV_SW_PNS1_23onesweep_lookback_stateEbbT6_jjT7_P12ihipStream_tbENKUlT_T0_SK_SP_E_clIPiSE_SF_SF_EEDaS13_S14_SK_SP_EUlS13_E_NS1_11comp_targetILNS1_3genE9ELNS1_11target_archE1100ELNS1_3gpuE3ELNS1_3repE0EEENS1_47radix_sort_onesweep_sort_config_static_selectorELNS0_4arch9wavefront6targetE1EEEvSK_.private_seg_size, 0
	.set _ZN7rocprim17ROCPRIM_400000_NS6detail17trampoline_kernelINS0_14default_configENS1_35radix_sort_onesweep_config_selectorIiNS0_10empty_typeEEEZZNS1_29radix_sort_onesweep_iterationIS3_Lb0EN6thrust23THRUST_200600_302600_NS6detail15normal_iteratorINS9_10device_ptrIiEEEESE_PS5_SF_jNS0_19identity_decomposerENS1_16block_id_wrapperIjLb0EEEEE10hipError_tT1_PNSt15iterator_traitsISK_E10value_typeET2_T3_PNSL_ISQ_E10value_typeET4_T5_PSV_SW_PNS1_23onesweep_lookback_stateEbbT6_jjT7_P12ihipStream_tbENKUlT_T0_SK_SP_E_clIPiSE_SF_SF_EEDaS13_S14_SK_SP_EUlS13_E_NS1_11comp_targetILNS1_3genE9ELNS1_11target_archE1100ELNS1_3gpuE3ELNS1_3repE0EEENS1_47radix_sort_onesweep_sort_config_static_selectorELNS0_4arch9wavefront6targetE1EEEvSK_.uses_vcc, 0
	.set _ZN7rocprim17ROCPRIM_400000_NS6detail17trampoline_kernelINS0_14default_configENS1_35radix_sort_onesweep_config_selectorIiNS0_10empty_typeEEEZZNS1_29radix_sort_onesweep_iterationIS3_Lb0EN6thrust23THRUST_200600_302600_NS6detail15normal_iteratorINS9_10device_ptrIiEEEESE_PS5_SF_jNS0_19identity_decomposerENS1_16block_id_wrapperIjLb0EEEEE10hipError_tT1_PNSt15iterator_traitsISK_E10value_typeET2_T3_PNSL_ISQ_E10value_typeET4_T5_PSV_SW_PNS1_23onesweep_lookback_stateEbbT6_jjT7_P12ihipStream_tbENKUlT_T0_SK_SP_E_clIPiSE_SF_SF_EEDaS13_S14_SK_SP_EUlS13_E_NS1_11comp_targetILNS1_3genE9ELNS1_11target_archE1100ELNS1_3gpuE3ELNS1_3repE0EEENS1_47radix_sort_onesweep_sort_config_static_selectorELNS0_4arch9wavefront6targetE1EEEvSK_.uses_flat_scratch, 0
	.set _ZN7rocprim17ROCPRIM_400000_NS6detail17trampoline_kernelINS0_14default_configENS1_35radix_sort_onesweep_config_selectorIiNS0_10empty_typeEEEZZNS1_29radix_sort_onesweep_iterationIS3_Lb0EN6thrust23THRUST_200600_302600_NS6detail15normal_iteratorINS9_10device_ptrIiEEEESE_PS5_SF_jNS0_19identity_decomposerENS1_16block_id_wrapperIjLb0EEEEE10hipError_tT1_PNSt15iterator_traitsISK_E10value_typeET2_T3_PNSL_ISQ_E10value_typeET4_T5_PSV_SW_PNS1_23onesweep_lookback_stateEbbT6_jjT7_P12ihipStream_tbENKUlT_T0_SK_SP_E_clIPiSE_SF_SF_EEDaS13_S14_SK_SP_EUlS13_E_NS1_11comp_targetILNS1_3genE9ELNS1_11target_archE1100ELNS1_3gpuE3ELNS1_3repE0EEENS1_47radix_sort_onesweep_sort_config_static_selectorELNS0_4arch9wavefront6targetE1EEEvSK_.has_dyn_sized_stack, 0
	.set _ZN7rocprim17ROCPRIM_400000_NS6detail17trampoline_kernelINS0_14default_configENS1_35radix_sort_onesweep_config_selectorIiNS0_10empty_typeEEEZZNS1_29radix_sort_onesweep_iterationIS3_Lb0EN6thrust23THRUST_200600_302600_NS6detail15normal_iteratorINS9_10device_ptrIiEEEESE_PS5_SF_jNS0_19identity_decomposerENS1_16block_id_wrapperIjLb0EEEEE10hipError_tT1_PNSt15iterator_traitsISK_E10value_typeET2_T3_PNSL_ISQ_E10value_typeET4_T5_PSV_SW_PNS1_23onesweep_lookback_stateEbbT6_jjT7_P12ihipStream_tbENKUlT_T0_SK_SP_E_clIPiSE_SF_SF_EEDaS13_S14_SK_SP_EUlS13_E_NS1_11comp_targetILNS1_3genE9ELNS1_11target_archE1100ELNS1_3gpuE3ELNS1_3repE0EEENS1_47radix_sort_onesweep_sort_config_static_selectorELNS0_4arch9wavefront6targetE1EEEvSK_.has_recursion, 0
	.set _ZN7rocprim17ROCPRIM_400000_NS6detail17trampoline_kernelINS0_14default_configENS1_35radix_sort_onesweep_config_selectorIiNS0_10empty_typeEEEZZNS1_29radix_sort_onesweep_iterationIS3_Lb0EN6thrust23THRUST_200600_302600_NS6detail15normal_iteratorINS9_10device_ptrIiEEEESE_PS5_SF_jNS0_19identity_decomposerENS1_16block_id_wrapperIjLb0EEEEE10hipError_tT1_PNSt15iterator_traitsISK_E10value_typeET2_T3_PNSL_ISQ_E10value_typeET4_T5_PSV_SW_PNS1_23onesweep_lookback_stateEbbT6_jjT7_P12ihipStream_tbENKUlT_T0_SK_SP_E_clIPiSE_SF_SF_EEDaS13_S14_SK_SP_EUlS13_E_NS1_11comp_targetILNS1_3genE9ELNS1_11target_archE1100ELNS1_3gpuE3ELNS1_3repE0EEENS1_47radix_sort_onesweep_sort_config_static_selectorELNS0_4arch9wavefront6targetE1EEEvSK_.has_indirect_call, 0
	.section	.AMDGPU.csdata,"",@progbits
; Kernel info:
; codeLenInByte = 0
; TotalNumSgprs: 6
; NumVgprs: 0
; NumAgprs: 0
; TotalNumVgprs: 0
; ScratchSize: 0
; MemoryBound: 0
; FloatMode: 240
; IeeeMode: 1
; LDSByteSize: 0 bytes/workgroup (compile time only)
; SGPRBlocks: 0
; VGPRBlocks: 0
; NumSGPRsForWavesPerEU: 6
; NumVGPRsForWavesPerEU: 1
; AccumOffset: 4
; Occupancy: 8
; WaveLimiterHint : 0
; COMPUTE_PGM_RSRC2:SCRATCH_EN: 0
; COMPUTE_PGM_RSRC2:USER_SGPR: 2
; COMPUTE_PGM_RSRC2:TRAP_HANDLER: 0
; COMPUTE_PGM_RSRC2:TGID_X_EN: 1
; COMPUTE_PGM_RSRC2:TGID_Y_EN: 0
; COMPUTE_PGM_RSRC2:TGID_Z_EN: 0
; COMPUTE_PGM_RSRC2:TIDIG_COMP_CNT: 0
; COMPUTE_PGM_RSRC3_GFX90A:ACCUM_OFFSET: 0
; COMPUTE_PGM_RSRC3_GFX90A:TG_SPLIT: 0
	.section	.text._ZN7rocprim17ROCPRIM_400000_NS6detail17trampoline_kernelINS0_14default_configENS1_35radix_sort_onesweep_config_selectorIiNS0_10empty_typeEEEZZNS1_29radix_sort_onesweep_iterationIS3_Lb0EN6thrust23THRUST_200600_302600_NS6detail15normal_iteratorINS9_10device_ptrIiEEEESE_PS5_SF_jNS0_19identity_decomposerENS1_16block_id_wrapperIjLb0EEEEE10hipError_tT1_PNSt15iterator_traitsISK_E10value_typeET2_T3_PNSL_ISQ_E10value_typeET4_T5_PSV_SW_PNS1_23onesweep_lookback_stateEbbT6_jjT7_P12ihipStream_tbENKUlT_T0_SK_SP_E_clIPiSE_SF_SF_EEDaS13_S14_SK_SP_EUlS13_E_NS1_11comp_targetILNS1_3genE8ELNS1_11target_archE1030ELNS1_3gpuE2ELNS1_3repE0EEENS1_47radix_sort_onesweep_sort_config_static_selectorELNS0_4arch9wavefront6targetE1EEEvSK_,"axG",@progbits,_ZN7rocprim17ROCPRIM_400000_NS6detail17trampoline_kernelINS0_14default_configENS1_35radix_sort_onesweep_config_selectorIiNS0_10empty_typeEEEZZNS1_29radix_sort_onesweep_iterationIS3_Lb0EN6thrust23THRUST_200600_302600_NS6detail15normal_iteratorINS9_10device_ptrIiEEEESE_PS5_SF_jNS0_19identity_decomposerENS1_16block_id_wrapperIjLb0EEEEE10hipError_tT1_PNSt15iterator_traitsISK_E10value_typeET2_T3_PNSL_ISQ_E10value_typeET4_T5_PSV_SW_PNS1_23onesweep_lookback_stateEbbT6_jjT7_P12ihipStream_tbENKUlT_T0_SK_SP_E_clIPiSE_SF_SF_EEDaS13_S14_SK_SP_EUlS13_E_NS1_11comp_targetILNS1_3genE8ELNS1_11target_archE1030ELNS1_3gpuE2ELNS1_3repE0EEENS1_47radix_sort_onesweep_sort_config_static_selectorELNS0_4arch9wavefront6targetE1EEEvSK_,comdat
	.protected	_ZN7rocprim17ROCPRIM_400000_NS6detail17trampoline_kernelINS0_14default_configENS1_35radix_sort_onesweep_config_selectorIiNS0_10empty_typeEEEZZNS1_29radix_sort_onesweep_iterationIS3_Lb0EN6thrust23THRUST_200600_302600_NS6detail15normal_iteratorINS9_10device_ptrIiEEEESE_PS5_SF_jNS0_19identity_decomposerENS1_16block_id_wrapperIjLb0EEEEE10hipError_tT1_PNSt15iterator_traitsISK_E10value_typeET2_T3_PNSL_ISQ_E10value_typeET4_T5_PSV_SW_PNS1_23onesweep_lookback_stateEbbT6_jjT7_P12ihipStream_tbENKUlT_T0_SK_SP_E_clIPiSE_SF_SF_EEDaS13_S14_SK_SP_EUlS13_E_NS1_11comp_targetILNS1_3genE8ELNS1_11target_archE1030ELNS1_3gpuE2ELNS1_3repE0EEENS1_47radix_sort_onesweep_sort_config_static_selectorELNS0_4arch9wavefront6targetE1EEEvSK_ ; -- Begin function _ZN7rocprim17ROCPRIM_400000_NS6detail17trampoline_kernelINS0_14default_configENS1_35radix_sort_onesweep_config_selectorIiNS0_10empty_typeEEEZZNS1_29radix_sort_onesweep_iterationIS3_Lb0EN6thrust23THRUST_200600_302600_NS6detail15normal_iteratorINS9_10device_ptrIiEEEESE_PS5_SF_jNS0_19identity_decomposerENS1_16block_id_wrapperIjLb0EEEEE10hipError_tT1_PNSt15iterator_traitsISK_E10value_typeET2_T3_PNSL_ISQ_E10value_typeET4_T5_PSV_SW_PNS1_23onesweep_lookback_stateEbbT6_jjT7_P12ihipStream_tbENKUlT_T0_SK_SP_E_clIPiSE_SF_SF_EEDaS13_S14_SK_SP_EUlS13_E_NS1_11comp_targetILNS1_3genE8ELNS1_11target_archE1030ELNS1_3gpuE2ELNS1_3repE0EEENS1_47radix_sort_onesweep_sort_config_static_selectorELNS0_4arch9wavefront6targetE1EEEvSK_
	.globl	_ZN7rocprim17ROCPRIM_400000_NS6detail17trampoline_kernelINS0_14default_configENS1_35radix_sort_onesweep_config_selectorIiNS0_10empty_typeEEEZZNS1_29radix_sort_onesweep_iterationIS3_Lb0EN6thrust23THRUST_200600_302600_NS6detail15normal_iteratorINS9_10device_ptrIiEEEESE_PS5_SF_jNS0_19identity_decomposerENS1_16block_id_wrapperIjLb0EEEEE10hipError_tT1_PNSt15iterator_traitsISK_E10value_typeET2_T3_PNSL_ISQ_E10value_typeET4_T5_PSV_SW_PNS1_23onesweep_lookback_stateEbbT6_jjT7_P12ihipStream_tbENKUlT_T0_SK_SP_E_clIPiSE_SF_SF_EEDaS13_S14_SK_SP_EUlS13_E_NS1_11comp_targetILNS1_3genE8ELNS1_11target_archE1030ELNS1_3gpuE2ELNS1_3repE0EEENS1_47radix_sort_onesweep_sort_config_static_selectorELNS0_4arch9wavefront6targetE1EEEvSK_
	.p2align	8
	.type	_ZN7rocprim17ROCPRIM_400000_NS6detail17trampoline_kernelINS0_14default_configENS1_35radix_sort_onesweep_config_selectorIiNS0_10empty_typeEEEZZNS1_29radix_sort_onesweep_iterationIS3_Lb0EN6thrust23THRUST_200600_302600_NS6detail15normal_iteratorINS9_10device_ptrIiEEEESE_PS5_SF_jNS0_19identity_decomposerENS1_16block_id_wrapperIjLb0EEEEE10hipError_tT1_PNSt15iterator_traitsISK_E10value_typeET2_T3_PNSL_ISQ_E10value_typeET4_T5_PSV_SW_PNS1_23onesweep_lookback_stateEbbT6_jjT7_P12ihipStream_tbENKUlT_T0_SK_SP_E_clIPiSE_SF_SF_EEDaS13_S14_SK_SP_EUlS13_E_NS1_11comp_targetILNS1_3genE8ELNS1_11target_archE1030ELNS1_3gpuE2ELNS1_3repE0EEENS1_47radix_sort_onesweep_sort_config_static_selectorELNS0_4arch9wavefront6targetE1EEEvSK_,@function
_ZN7rocprim17ROCPRIM_400000_NS6detail17trampoline_kernelINS0_14default_configENS1_35radix_sort_onesweep_config_selectorIiNS0_10empty_typeEEEZZNS1_29radix_sort_onesweep_iterationIS3_Lb0EN6thrust23THRUST_200600_302600_NS6detail15normal_iteratorINS9_10device_ptrIiEEEESE_PS5_SF_jNS0_19identity_decomposerENS1_16block_id_wrapperIjLb0EEEEE10hipError_tT1_PNSt15iterator_traitsISK_E10value_typeET2_T3_PNSL_ISQ_E10value_typeET4_T5_PSV_SW_PNS1_23onesweep_lookback_stateEbbT6_jjT7_P12ihipStream_tbENKUlT_T0_SK_SP_E_clIPiSE_SF_SF_EEDaS13_S14_SK_SP_EUlS13_E_NS1_11comp_targetILNS1_3genE8ELNS1_11target_archE1030ELNS1_3gpuE2ELNS1_3repE0EEENS1_47radix_sort_onesweep_sort_config_static_selectorELNS0_4arch9wavefront6targetE1EEEvSK_: ; @_ZN7rocprim17ROCPRIM_400000_NS6detail17trampoline_kernelINS0_14default_configENS1_35radix_sort_onesweep_config_selectorIiNS0_10empty_typeEEEZZNS1_29radix_sort_onesweep_iterationIS3_Lb0EN6thrust23THRUST_200600_302600_NS6detail15normal_iteratorINS9_10device_ptrIiEEEESE_PS5_SF_jNS0_19identity_decomposerENS1_16block_id_wrapperIjLb0EEEEE10hipError_tT1_PNSt15iterator_traitsISK_E10value_typeET2_T3_PNSL_ISQ_E10value_typeET4_T5_PSV_SW_PNS1_23onesweep_lookback_stateEbbT6_jjT7_P12ihipStream_tbENKUlT_T0_SK_SP_E_clIPiSE_SF_SF_EEDaS13_S14_SK_SP_EUlS13_E_NS1_11comp_targetILNS1_3genE8ELNS1_11target_archE1030ELNS1_3gpuE2ELNS1_3repE0EEENS1_47radix_sort_onesweep_sort_config_static_selectorELNS0_4arch9wavefront6targetE1EEEvSK_
; %bb.0:
	.section	.rodata,"a",@progbits
	.p2align	6, 0x0
	.amdhsa_kernel _ZN7rocprim17ROCPRIM_400000_NS6detail17trampoline_kernelINS0_14default_configENS1_35radix_sort_onesweep_config_selectorIiNS0_10empty_typeEEEZZNS1_29radix_sort_onesweep_iterationIS3_Lb0EN6thrust23THRUST_200600_302600_NS6detail15normal_iteratorINS9_10device_ptrIiEEEESE_PS5_SF_jNS0_19identity_decomposerENS1_16block_id_wrapperIjLb0EEEEE10hipError_tT1_PNSt15iterator_traitsISK_E10value_typeET2_T3_PNSL_ISQ_E10value_typeET4_T5_PSV_SW_PNS1_23onesweep_lookback_stateEbbT6_jjT7_P12ihipStream_tbENKUlT_T0_SK_SP_E_clIPiSE_SF_SF_EEDaS13_S14_SK_SP_EUlS13_E_NS1_11comp_targetILNS1_3genE8ELNS1_11target_archE1030ELNS1_3gpuE2ELNS1_3repE0EEENS1_47radix_sort_onesweep_sort_config_static_selectorELNS0_4arch9wavefront6targetE1EEEvSK_
		.amdhsa_group_segment_fixed_size 0
		.amdhsa_private_segment_fixed_size 0
		.amdhsa_kernarg_size 88
		.amdhsa_user_sgpr_count 2
		.amdhsa_user_sgpr_dispatch_ptr 0
		.amdhsa_user_sgpr_queue_ptr 0
		.amdhsa_user_sgpr_kernarg_segment_ptr 1
		.amdhsa_user_sgpr_dispatch_id 0
		.amdhsa_user_sgpr_kernarg_preload_length 0
		.amdhsa_user_sgpr_kernarg_preload_offset 0
		.amdhsa_user_sgpr_private_segment_size 0
		.amdhsa_uses_dynamic_stack 0
		.amdhsa_enable_private_segment 0
		.amdhsa_system_sgpr_workgroup_id_x 1
		.amdhsa_system_sgpr_workgroup_id_y 0
		.amdhsa_system_sgpr_workgroup_id_z 0
		.amdhsa_system_sgpr_workgroup_info 0
		.amdhsa_system_vgpr_workitem_id 0
		.amdhsa_next_free_vgpr 1
		.amdhsa_next_free_sgpr 0
		.amdhsa_accum_offset 4
		.amdhsa_reserve_vcc 0
		.amdhsa_float_round_mode_32 0
		.amdhsa_float_round_mode_16_64 0
		.amdhsa_float_denorm_mode_32 3
		.amdhsa_float_denorm_mode_16_64 3
		.amdhsa_dx10_clamp 1
		.amdhsa_ieee_mode 1
		.amdhsa_fp16_overflow 0
		.amdhsa_tg_split 0
		.amdhsa_exception_fp_ieee_invalid_op 0
		.amdhsa_exception_fp_denorm_src 0
		.amdhsa_exception_fp_ieee_div_zero 0
		.amdhsa_exception_fp_ieee_overflow 0
		.amdhsa_exception_fp_ieee_underflow 0
		.amdhsa_exception_fp_ieee_inexact 0
		.amdhsa_exception_int_div_zero 0
	.end_amdhsa_kernel
	.section	.text._ZN7rocprim17ROCPRIM_400000_NS6detail17trampoline_kernelINS0_14default_configENS1_35radix_sort_onesweep_config_selectorIiNS0_10empty_typeEEEZZNS1_29radix_sort_onesweep_iterationIS3_Lb0EN6thrust23THRUST_200600_302600_NS6detail15normal_iteratorINS9_10device_ptrIiEEEESE_PS5_SF_jNS0_19identity_decomposerENS1_16block_id_wrapperIjLb0EEEEE10hipError_tT1_PNSt15iterator_traitsISK_E10value_typeET2_T3_PNSL_ISQ_E10value_typeET4_T5_PSV_SW_PNS1_23onesweep_lookback_stateEbbT6_jjT7_P12ihipStream_tbENKUlT_T0_SK_SP_E_clIPiSE_SF_SF_EEDaS13_S14_SK_SP_EUlS13_E_NS1_11comp_targetILNS1_3genE8ELNS1_11target_archE1030ELNS1_3gpuE2ELNS1_3repE0EEENS1_47radix_sort_onesweep_sort_config_static_selectorELNS0_4arch9wavefront6targetE1EEEvSK_,"axG",@progbits,_ZN7rocprim17ROCPRIM_400000_NS6detail17trampoline_kernelINS0_14default_configENS1_35radix_sort_onesweep_config_selectorIiNS0_10empty_typeEEEZZNS1_29radix_sort_onesweep_iterationIS3_Lb0EN6thrust23THRUST_200600_302600_NS6detail15normal_iteratorINS9_10device_ptrIiEEEESE_PS5_SF_jNS0_19identity_decomposerENS1_16block_id_wrapperIjLb0EEEEE10hipError_tT1_PNSt15iterator_traitsISK_E10value_typeET2_T3_PNSL_ISQ_E10value_typeET4_T5_PSV_SW_PNS1_23onesweep_lookback_stateEbbT6_jjT7_P12ihipStream_tbENKUlT_T0_SK_SP_E_clIPiSE_SF_SF_EEDaS13_S14_SK_SP_EUlS13_E_NS1_11comp_targetILNS1_3genE8ELNS1_11target_archE1030ELNS1_3gpuE2ELNS1_3repE0EEENS1_47radix_sort_onesweep_sort_config_static_selectorELNS0_4arch9wavefront6targetE1EEEvSK_,comdat
.Lfunc_end212:
	.size	_ZN7rocprim17ROCPRIM_400000_NS6detail17trampoline_kernelINS0_14default_configENS1_35radix_sort_onesweep_config_selectorIiNS0_10empty_typeEEEZZNS1_29radix_sort_onesweep_iterationIS3_Lb0EN6thrust23THRUST_200600_302600_NS6detail15normal_iteratorINS9_10device_ptrIiEEEESE_PS5_SF_jNS0_19identity_decomposerENS1_16block_id_wrapperIjLb0EEEEE10hipError_tT1_PNSt15iterator_traitsISK_E10value_typeET2_T3_PNSL_ISQ_E10value_typeET4_T5_PSV_SW_PNS1_23onesweep_lookback_stateEbbT6_jjT7_P12ihipStream_tbENKUlT_T0_SK_SP_E_clIPiSE_SF_SF_EEDaS13_S14_SK_SP_EUlS13_E_NS1_11comp_targetILNS1_3genE8ELNS1_11target_archE1030ELNS1_3gpuE2ELNS1_3repE0EEENS1_47radix_sort_onesweep_sort_config_static_selectorELNS0_4arch9wavefront6targetE1EEEvSK_, .Lfunc_end212-_ZN7rocprim17ROCPRIM_400000_NS6detail17trampoline_kernelINS0_14default_configENS1_35radix_sort_onesweep_config_selectorIiNS0_10empty_typeEEEZZNS1_29radix_sort_onesweep_iterationIS3_Lb0EN6thrust23THRUST_200600_302600_NS6detail15normal_iteratorINS9_10device_ptrIiEEEESE_PS5_SF_jNS0_19identity_decomposerENS1_16block_id_wrapperIjLb0EEEEE10hipError_tT1_PNSt15iterator_traitsISK_E10value_typeET2_T3_PNSL_ISQ_E10value_typeET4_T5_PSV_SW_PNS1_23onesweep_lookback_stateEbbT6_jjT7_P12ihipStream_tbENKUlT_T0_SK_SP_E_clIPiSE_SF_SF_EEDaS13_S14_SK_SP_EUlS13_E_NS1_11comp_targetILNS1_3genE8ELNS1_11target_archE1030ELNS1_3gpuE2ELNS1_3repE0EEENS1_47radix_sort_onesweep_sort_config_static_selectorELNS0_4arch9wavefront6targetE1EEEvSK_
                                        ; -- End function
	.set _ZN7rocprim17ROCPRIM_400000_NS6detail17trampoline_kernelINS0_14default_configENS1_35radix_sort_onesweep_config_selectorIiNS0_10empty_typeEEEZZNS1_29radix_sort_onesweep_iterationIS3_Lb0EN6thrust23THRUST_200600_302600_NS6detail15normal_iteratorINS9_10device_ptrIiEEEESE_PS5_SF_jNS0_19identity_decomposerENS1_16block_id_wrapperIjLb0EEEEE10hipError_tT1_PNSt15iterator_traitsISK_E10value_typeET2_T3_PNSL_ISQ_E10value_typeET4_T5_PSV_SW_PNS1_23onesweep_lookback_stateEbbT6_jjT7_P12ihipStream_tbENKUlT_T0_SK_SP_E_clIPiSE_SF_SF_EEDaS13_S14_SK_SP_EUlS13_E_NS1_11comp_targetILNS1_3genE8ELNS1_11target_archE1030ELNS1_3gpuE2ELNS1_3repE0EEENS1_47radix_sort_onesweep_sort_config_static_selectorELNS0_4arch9wavefront6targetE1EEEvSK_.num_vgpr, 0
	.set _ZN7rocprim17ROCPRIM_400000_NS6detail17trampoline_kernelINS0_14default_configENS1_35radix_sort_onesweep_config_selectorIiNS0_10empty_typeEEEZZNS1_29radix_sort_onesweep_iterationIS3_Lb0EN6thrust23THRUST_200600_302600_NS6detail15normal_iteratorINS9_10device_ptrIiEEEESE_PS5_SF_jNS0_19identity_decomposerENS1_16block_id_wrapperIjLb0EEEEE10hipError_tT1_PNSt15iterator_traitsISK_E10value_typeET2_T3_PNSL_ISQ_E10value_typeET4_T5_PSV_SW_PNS1_23onesweep_lookback_stateEbbT6_jjT7_P12ihipStream_tbENKUlT_T0_SK_SP_E_clIPiSE_SF_SF_EEDaS13_S14_SK_SP_EUlS13_E_NS1_11comp_targetILNS1_3genE8ELNS1_11target_archE1030ELNS1_3gpuE2ELNS1_3repE0EEENS1_47radix_sort_onesweep_sort_config_static_selectorELNS0_4arch9wavefront6targetE1EEEvSK_.num_agpr, 0
	.set _ZN7rocprim17ROCPRIM_400000_NS6detail17trampoline_kernelINS0_14default_configENS1_35radix_sort_onesweep_config_selectorIiNS0_10empty_typeEEEZZNS1_29radix_sort_onesweep_iterationIS3_Lb0EN6thrust23THRUST_200600_302600_NS6detail15normal_iteratorINS9_10device_ptrIiEEEESE_PS5_SF_jNS0_19identity_decomposerENS1_16block_id_wrapperIjLb0EEEEE10hipError_tT1_PNSt15iterator_traitsISK_E10value_typeET2_T3_PNSL_ISQ_E10value_typeET4_T5_PSV_SW_PNS1_23onesweep_lookback_stateEbbT6_jjT7_P12ihipStream_tbENKUlT_T0_SK_SP_E_clIPiSE_SF_SF_EEDaS13_S14_SK_SP_EUlS13_E_NS1_11comp_targetILNS1_3genE8ELNS1_11target_archE1030ELNS1_3gpuE2ELNS1_3repE0EEENS1_47radix_sort_onesweep_sort_config_static_selectorELNS0_4arch9wavefront6targetE1EEEvSK_.numbered_sgpr, 0
	.set _ZN7rocprim17ROCPRIM_400000_NS6detail17trampoline_kernelINS0_14default_configENS1_35radix_sort_onesweep_config_selectorIiNS0_10empty_typeEEEZZNS1_29radix_sort_onesweep_iterationIS3_Lb0EN6thrust23THRUST_200600_302600_NS6detail15normal_iteratorINS9_10device_ptrIiEEEESE_PS5_SF_jNS0_19identity_decomposerENS1_16block_id_wrapperIjLb0EEEEE10hipError_tT1_PNSt15iterator_traitsISK_E10value_typeET2_T3_PNSL_ISQ_E10value_typeET4_T5_PSV_SW_PNS1_23onesweep_lookback_stateEbbT6_jjT7_P12ihipStream_tbENKUlT_T0_SK_SP_E_clIPiSE_SF_SF_EEDaS13_S14_SK_SP_EUlS13_E_NS1_11comp_targetILNS1_3genE8ELNS1_11target_archE1030ELNS1_3gpuE2ELNS1_3repE0EEENS1_47radix_sort_onesweep_sort_config_static_selectorELNS0_4arch9wavefront6targetE1EEEvSK_.num_named_barrier, 0
	.set _ZN7rocprim17ROCPRIM_400000_NS6detail17trampoline_kernelINS0_14default_configENS1_35radix_sort_onesweep_config_selectorIiNS0_10empty_typeEEEZZNS1_29radix_sort_onesweep_iterationIS3_Lb0EN6thrust23THRUST_200600_302600_NS6detail15normal_iteratorINS9_10device_ptrIiEEEESE_PS5_SF_jNS0_19identity_decomposerENS1_16block_id_wrapperIjLb0EEEEE10hipError_tT1_PNSt15iterator_traitsISK_E10value_typeET2_T3_PNSL_ISQ_E10value_typeET4_T5_PSV_SW_PNS1_23onesweep_lookback_stateEbbT6_jjT7_P12ihipStream_tbENKUlT_T0_SK_SP_E_clIPiSE_SF_SF_EEDaS13_S14_SK_SP_EUlS13_E_NS1_11comp_targetILNS1_3genE8ELNS1_11target_archE1030ELNS1_3gpuE2ELNS1_3repE0EEENS1_47radix_sort_onesweep_sort_config_static_selectorELNS0_4arch9wavefront6targetE1EEEvSK_.private_seg_size, 0
	.set _ZN7rocprim17ROCPRIM_400000_NS6detail17trampoline_kernelINS0_14default_configENS1_35radix_sort_onesweep_config_selectorIiNS0_10empty_typeEEEZZNS1_29radix_sort_onesweep_iterationIS3_Lb0EN6thrust23THRUST_200600_302600_NS6detail15normal_iteratorINS9_10device_ptrIiEEEESE_PS5_SF_jNS0_19identity_decomposerENS1_16block_id_wrapperIjLb0EEEEE10hipError_tT1_PNSt15iterator_traitsISK_E10value_typeET2_T3_PNSL_ISQ_E10value_typeET4_T5_PSV_SW_PNS1_23onesweep_lookback_stateEbbT6_jjT7_P12ihipStream_tbENKUlT_T0_SK_SP_E_clIPiSE_SF_SF_EEDaS13_S14_SK_SP_EUlS13_E_NS1_11comp_targetILNS1_3genE8ELNS1_11target_archE1030ELNS1_3gpuE2ELNS1_3repE0EEENS1_47radix_sort_onesweep_sort_config_static_selectorELNS0_4arch9wavefront6targetE1EEEvSK_.uses_vcc, 0
	.set _ZN7rocprim17ROCPRIM_400000_NS6detail17trampoline_kernelINS0_14default_configENS1_35radix_sort_onesweep_config_selectorIiNS0_10empty_typeEEEZZNS1_29radix_sort_onesweep_iterationIS3_Lb0EN6thrust23THRUST_200600_302600_NS6detail15normal_iteratorINS9_10device_ptrIiEEEESE_PS5_SF_jNS0_19identity_decomposerENS1_16block_id_wrapperIjLb0EEEEE10hipError_tT1_PNSt15iterator_traitsISK_E10value_typeET2_T3_PNSL_ISQ_E10value_typeET4_T5_PSV_SW_PNS1_23onesweep_lookback_stateEbbT6_jjT7_P12ihipStream_tbENKUlT_T0_SK_SP_E_clIPiSE_SF_SF_EEDaS13_S14_SK_SP_EUlS13_E_NS1_11comp_targetILNS1_3genE8ELNS1_11target_archE1030ELNS1_3gpuE2ELNS1_3repE0EEENS1_47radix_sort_onesweep_sort_config_static_selectorELNS0_4arch9wavefront6targetE1EEEvSK_.uses_flat_scratch, 0
	.set _ZN7rocprim17ROCPRIM_400000_NS6detail17trampoline_kernelINS0_14default_configENS1_35radix_sort_onesweep_config_selectorIiNS0_10empty_typeEEEZZNS1_29radix_sort_onesweep_iterationIS3_Lb0EN6thrust23THRUST_200600_302600_NS6detail15normal_iteratorINS9_10device_ptrIiEEEESE_PS5_SF_jNS0_19identity_decomposerENS1_16block_id_wrapperIjLb0EEEEE10hipError_tT1_PNSt15iterator_traitsISK_E10value_typeET2_T3_PNSL_ISQ_E10value_typeET4_T5_PSV_SW_PNS1_23onesweep_lookback_stateEbbT6_jjT7_P12ihipStream_tbENKUlT_T0_SK_SP_E_clIPiSE_SF_SF_EEDaS13_S14_SK_SP_EUlS13_E_NS1_11comp_targetILNS1_3genE8ELNS1_11target_archE1030ELNS1_3gpuE2ELNS1_3repE0EEENS1_47radix_sort_onesweep_sort_config_static_selectorELNS0_4arch9wavefront6targetE1EEEvSK_.has_dyn_sized_stack, 0
	.set _ZN7rocprim17ROCPRIM_400000_NS6detail17trampoline_kernelINS0_14default_configENS1_35radix_sort_onesweep_config_selectorIiNS0_10empty_typeEEEZZNS1_29radix_sort_onesweep_iterationIS3_Lb0EN6thrust23THRUST_200600_302600_NS6detail15normal_iteratorINS9_10device_ptrIiEEEESE_PS5_SF_jNS0_19identity_decomposerENS1_16block_id_wrapperIjLb0EEEEE10hipError_tT1_PNSt15iterator_traitsISK_E10value_typeET2_T3_PNSL_ISQ_E10value_typeET4_T5_PSV_SW_PNS1_23onesweep_lookback_stateEbbT6_jjT7_P12ihipStream_tbENKUlT_T0_SK_SP_E_clIPiSE_SF_SF_EEDaS13_S14_SK_SP_EUlS13_E_NS1_11comp_targetILNS1_3genE8ELNS1_11target_archE1030ELNS1_3gpuE2ELNS1_3repE0EEENS1_47radix_sort_onesweep_sort_config_static_selectorELNS0_4arch9wavefront6targetE1EEEvSK_.has_recursion, 0
	.set _ZN7rocprim17ROCPRIM_400000_NS6detail17trampoline_kernelINS0_14default_configENS1_35radix_sort_onesweep_config_selectorIiNS0_10empty_typeEEEZZNS1_29radix_sort_onesweep_iterationIS3_Lb0EN6thrust23THRUST_200600_302600_NS6detail15normal_iteratorINS9_10device_ptrIiEEEESE_PS5_SF_jNS0_19identity_decomposerENS1_16block_id_wrapperIjLb0EEEEE10hipError_tT1_PNSt15iterator_traitsISK_E10value_typeET2_T3_PNSL_ISQ_E10value_typeET4_T5_PSV_SW_PNS1_23onesweep_lookback_stateEbbT6_jjT7_P12ihipStream_tbENKUlT_T0_SK_SP_E_clIPiSE_SF_SF_EEDaS13_S14_SK_SP_EUlS13_E_NS1_11comp_targetILNS1_3genE8ELNS1_11target_archE1030ELNS1_3gpuE2ELNS1_3repE0EEENS1_47radix_sort_onesweep_sort_config_static_selectorELNS0_4arch9wavefront6targetE1EEEvSK_.has_indirect_call, 0
	.section	.AMDGPU.csdata,"",@progbits
; Kernel info:
; codeLenInByte = 0
; TotalNumSgprs: 6
; NumVgprs: 0
; NumAgprs: 0
; TotalNumVgprs: 0
; ScratchSize: 0
; MemoryBound: 0
; FloatMode: 240
; IeeeMode: 1
; LDSByteSize: 0 bytes/workgroup (compile time only)
; SGPRBlocks: 0
; VGPRBlocks: 0
; NumSGPRsForWavesPerEU: 6
; NumVGPRsForWavesPerEU: 1
; AccumOffset: 4
; Occupancy: 8
; WaveLimiterHint : 0
; COMPUTE_PGM_RSRC2:SCRATCH_EN: 0
; COMPUTE_PGM_RSRC2:USER_SGPR: 2
; COMPUTE_PGM_RSRC2:TRAP_HANDLER: 0
; COMPUTE_PGM_RSRC2:TGID_X_EN: 1
; COMPUTE_PGM_RSRC2:TGID_Y_EN: 0
; COMPUTE_PGM_RSRC2:TGID_Z_EN: 0
; COMPUTE_PGM_RSRC2:TIDIG_COMP_CNT: 0
; COMPUTE_PGM_RSRC3_GFX90A:ACCUM_OFFSET: 0
; COMPUTE_PGM_RSRC3_GFX90A:TG_SPLIT: 0
	.section	.text._ZN7rocprim17ROCPRIM_400000_NS6detail17trampoline_kernelINS0_13kernel_configILj256ELj4ELj4294967295EEENS1_37radix_sort_block_sort_config_selectorIiNS0_10empty_typeEEEZNS1_21radix_sort_block_sortIS4_Lb1EN6thrust23THRUST_200600_302600_NS6detail15normal_iteratorINSA_10device_ptrIiEEEESF_PS6_SG_NS0_19identity_decomposerEEE10hipError_tT1_T2_T3_T4_jRjT5_jjP12ihipStream_tbEUlT_E_NS1_11comp_targetILNS1_3genE0ELNS1_11target_archE4294967295ELNS1_3gpuE0ELNS1_3repE0EEENS1_44radix_sort_block_sort_config_static_selectorELNS0_4arch9wavefront6targetE1EEEvSJ_,"axG",@progbits,_ZN7rocprim17ROCPRIM_400000_NS6detail17trampoline_kernelINS0_13kernel_configILj256ELj4ELj4294967295EEENS1_37radix_sort_block_sort_config_selectorIiNS0_10empty_typeEEEZNS1_21radix_sort_block_sortIS4_Lb1EN6thrust23THRUST_200600_302600_NS6detail15normal_iteratorINSA_10device_ptrIiEEEESF_PS6_SG_NS0_19identity_decomposerEEE10hipError_tT1_T2_T3_T4_jRjT5_jjP12ihipStream_tbEUlT_E_NS1_11comp_targetILNS1_3genE0ELNS1_11target_archE4294967295ELNS1_3gpuE0ELNS1_3repE0EEENS1_44radix_sort_block_sort_config_static_selectorELNS0_4arch9wavefront6targetE1EEEvSJ_,comdat
	.protected	_ZN7rocprim17ROCPRIM_400000_NS6detail17trampoline_kernelINS0_13kernel_configILj256ELj4ELj4294967295EEENS1_37radix_sort_block_sort_config_selectorIiNS0_10empty_typeEEEZNS1_21radix_sort_block_sortIS4_Lb1EN6thrust23THRUST_200600_302600_NS6detail15normal_iteratorINSA_10device_ptrIiEEEESF_PS6_SG_NS0_19identity_decomposerEEE10hipError_tT1_T2_T3_T4_jRjT5_jjP12ihipStream_tbEUlT_E_NS1_11comp_targetILNS1_3genE0ELNS1_11target_archE4294967295ELNS1_3gpuE0ELNS1_3repE0EEENS1_44radix_sort_block_sort_config_static_selectorELNS0_4arch9wavefront6targetE1EEEvSJ_ ; -- Begin function _ZN7rocprim17ROCPRIM_400000_NS6detail17trampoline_kernelINS0_13kernel_configILj256ELj4ELj4294967295EEENS1_37radix_sort_block_sort_config_selectorIiNS0_10empty_typeEEEZNS1_21radix_sort_block_sortIS4_Lb1EN6thrust23THRUST_200600_302600_NS6detail15normal_iteratorINSA_10device_ptrIiEEEESF_PS6_SG_NS0_19identity_decomposerEEE10hipError_tT1_T2_T3_T4_jRjT5_jjP12ihipStream_tbEUlT_E_NS1_11comp_targetILNS1_3genE0ELNS1_11target_archE4294967295ELNS1_3gpuE0ELNS1_3repE0EEENS1_44radix_sort_block_sort_config_static_selectorELNS0_4arch9wavefront6targetE1EEEvSJ_
	.globl	_ZN7rocprim17ROCPRIM_400000_NS6detail17trampoline_kernelINS0_13kernel_configILj256ELj4ELj4294967295EEENS1_37radix_sort_block_sort_config_selectorIiNS0_10empty_typeEEEZNS1_21radix_sort_block_sortIS4_Lb1EN6thrust23THRUST_200600_302600_NS6detail15normal_iteratorINSA_10device_ptrIiEEEESF_PS6_SG_NS0_19identity_decomposerEEE10hipError_tT1_T2_T3_T4_jRjT5_jjP12ihipStream_tbEUlT_E_NS1_11comp_targetILNS1_3genE0ELNS1_11target_archE4294967295ELNS1_3gpuE0ELNS1_3repE0EEENS1_44radix_sort_block_sort_config_static_selectorELNS0_4arch9wavefront6targetE1EEEvSJ_
	.p2align	8
	.type	_ZN7rocprim17ROCPRIM_400000_NS6detail17trampoline_kernelINS0_13kernel_configILj256ELj4ELj4294967295EEENS1_37radix_sort_block_sort_config_selectorIiNS0_10empty_typeEEEZNS1_21radix_sort_block_sortIS4_Lb1EN6thrust23THRUST_200600_302600_NS6detail15normal_iteratorINSA_10device_ptrIiEEEESF_PS6_SG_NS0_19identity_decomposerEEE10hipError_tT1_T2_T3_T4_jRjT5_jjP12ihipStream_tbEUlT_E_NS1_11comp_targetILNS1_3genE0ELNS1_11target_archE4294967295ELNS1_3gpuE0ELNS1_3repE0EEENS1_44radix_sort_block_sort_config_static_selectorELNS0_4arch9wavefront6targetE1EEEvSJ_,@function
_ZN7rocprim17ROCPRIM_400000_NS6detail17trampoline_kernelINS0_13kernel_configILj256ELj4ELj4294967295EEENS1_37radix_sort_block_sort_config_selectorIiNS0_10empty_typeEEEZNS1_21radix_sort_block_sortIS4_Lb1EN6thrust23THRUST_200600_302600_NS6detail15normal_iteratorINSA_10device_ptrIiEEEESF_PS6_SG_NS0_19identity_decomposerEEE10hipError_tT1_T2_T3_T4_jRjT5_jjP12ihipStream_tbEUlT_E_NS1_11comp_targetILNS1_3genE0ELNS1_11target_archE4294967295ELNS1_3gpuE0ELNS1_3repE0EEENS1_44radix_sort_block_sort_config_static_selectorELNS0_4arch9wavefront6targetE1EEEvSJ_: ; @_ZN7rocprim17ROCPRIM_400000_NS6detail17trampoline_kernelINS0_13kernel_configILj256ELj4ELj4294967295EEENS1_37radix_sort_block_sort_config_selectorIiNS0_10empty_typeEEEZNS1_21radix_sort_block_sortIS4_Lb1EN6thrust23THRUST_200600_302600_NS6detail15normal_iteratorINSA_10device_ptrIiEEEESF_PS6_SG_NS0_19identity_decomposerEEE10hipError_tT1_T2_T3_T4_jRjT5_jjP12ihipStream_tbEUlT_E_NS1_11comp_targetILNS1_3genE0ELNS1_11target_archE4294967295ELNS1_3gpuE0ELNS1_3repE0EEENS1_44radix_sort_block_sort_config_static_selectorELNS0_4arch9wavefront6targetE1EEEvSJ_
; %bb.0:
	s_load_dword s8, s[0:1], 0x20
	s_load_dwordx4 s[28:31], s[0:1], 0x0
	s_lshl_b32 s4, s2, 10
	s_mov_b32 s5, 0
	v_mbcnt_lo_u32_b32 v1, -1, 0
	s_waitcnt lgkmcnt(0)
	s_lshr_b32 s3, s8, 10
	s_cmp_lg_u32 s2, s3
	v_and_b32_e32 v6, 0x3ff, v0
	s_cselect_b64 s[34:35], -1, 0
	s_lshl_b64 s[36:37], s[4:5], 2
	v_mbcnt_hi_u32_b32 v19, -1, v1
	s_add_u32 s6, s28, s36
	v_and_b32_e32 v1, 63, v19
	v_lshlrev_b32_e32 v8, 2, v6
	s_addc_u32 s7, s29, s37
	v_and_b32_e32 v7, 0x300, v8
	v_lshlrev_b32_e32 v10, 2, v1
	v_mov_b32_e32 v11, 0
	v_lshl_add_u64 v[2:3], s[6:7], 0, v[10:11]
	v_lshlrev_b32_e32 v10, 2, v7
	s_cmp_eq_u32 s2, s3
	v_lshl_add_u64 v[12:13], v[2:3], 0, v[10:11]
	s_cbranch_scc1 .LBB213_2
; %bb.1:
	global_load_dword v2, v[12:13], off
	global_load_dword v3, v[12:13], off offset:256
	global_load_dword v4, v[12:13], off offset:512
	s_mov_b64 s[2:3], -1
	s_load_dwordx2 s[28:29], s[0:1], 0x28
	s_sub_i32 s33, s8, s4
	s_cbranch_execz .LBB213_3
	s_branch .LBB213_10
.LBB213_2:
	s_mov_b64 s[2:3], 0
                                        ; implicit-def: $vgpr2_vgpr3_vgpr4_vgpr5
	s_load_dwordx2 s[28:29], s[0:1], 0x28
	s_sub_i32 s33, s8, s4
.LBB213_3:
	v_or_b32_e32 v7, v1, v7
	s_waitcnt vmcnt(2)
	v_bfrev_b32_e32 v2, 1
	v_cmp_gt_u32_e32 vcc, s33, v7
	s_waitcnt vmcnt(1)
	v_mov_b32_e32 v3, v2
	s_waitcnt vmcnt(0)
	v_mov_b32_e32 v4, v2
	v_mov_b32_e32 v5, v2
	s_and_saveexec_b64 s[2:3], vcc
	s_cbranch_execz .LBB213_5
; %bb.4:
	global_load_dword v14, v[12:13], off
	v_mov_b32_e32 v15, v2
	v_mov_b32_e32 v16, v2
	;; [unrolled: 1-line block ×3, first 2 shown]
	s_waitcnt vmcnt(0)
	v_mov_b64_e32 v[2:3], v[14:15]
	v_mov_b64_e32 v[4:5], v[16:17]
.LBB213_5:
	s_or_b64 exec, exec, s[2:3]
	v_or_b32_e32 v9, 64, v7
	v_cmp_gt_u32_e32 vcc, s33, v9
	s_and_saveexec_b64 s[2:3], vcc
	s_cbranch_execz .LBB213_7
; %bb.6:
	global_load_dword v3, v[12:13], off offset:256
.LBB213_7:
	s_or_b64 exec, exec, s[2:3]
	v_or_b32_e32 v9, 0x80, v7
	v_cmp_gt_u32_e32 vcc, s33, v9
	s_and_saveexec_b64 s[2:3], vcc
	s_cbranch_execz .LBB213_9
; %bb.8:
	global_load_dword v4, v[12:13], off offset:512
.LBB213_9:
	s_or_b64 exec, exec, s[2:3]
	v_or_b32_e32 v7, 0xc0, v7
	v_cmp_gt_u32_e64 s[2:3], s33, v7
.LBB213_10:
	s_and_saveexec_b64 s[4:5], s[2:3]
	s_cbranch_execz .LBB213_12
; %bb.11:
	global_load_dword v5, v[12:13], off offset:768
.LBB213_12:
	s_or_b64 exec, exec, s[4:5]
	s_load_dword s2, s[0:1], 0x3c
	s_waitcnt lgkmcnt(0)
	s_add_i32 s38, s29, s28
	s_getpc_b64 s[0:1]
	s_add_u32 s0, s0, _ZN7rocprim17ROCPRIM_400000_NS16block_radix_sortIiLj256ELj4ENS0_10empty_typeELj1ELj1ELj0ELNS0_26block_radix_rank_algorithmE1ELNS0_18block_padding_hintE2ELNS0_4arch9wavefront6targetE1EE19radix_bits_per_passE@rel32@lo+4
	s_addc_u32 s1, s1, _ZN7rocprim17ROCPRIM_400000_NS16block_radix_sortIiLj256ELj4ENS0_10empty_typeELj1ELj1ELj0ELNS0_26block_radix_rank_algorithmE1ELNS0_18block_padding_hintE2ELNS0_4arch9wavefront6targetE1EE19radix_bits_per_passE@rel32@hi+12
	s_waitcnt vmcnt(0)
	v_xor_b32_e32 v14, 0x7fffffff, v4
	s_load_dword s39, s[0:1], 0x0
	s_lshr_b32 s0, s2, 16
	v_bfe_u32 v4, v0, 10, 10
	v_bfe_u32 v0, v0, 20, 10
	s_and_b32 s1, s2, 0xffff
	v_mad_u32_u24 v0, v0, s0, v4
	v_xor_b32_e32 v15, 0x7fffffff, v5
	v_mad_u64_u32 v[4:5], s[0:1], v0, s1, v[6:7]
	v_lshrrev_b32_e32 v0, 4, v4
	v_and_b32_e32 v9, 0xffffffc, v0
	v_and_b32_e32 v0, 15, v19
	v_cmp_eq_u32_e64 s[0:1], 0, v0
	v_cmp_lt_u32_e64 s[2:3], 1, v0
	v_cmp_lt_u32_e64 s[4:5], 3, v0
	;; [unrolled: 1-line block ×3, first 2 shown]
	v_and_b32_e32 v0, 16, v19
	v_cmp_eq_u32_e64 s[8:9], 0, v0
	v_and_b32_e32 v0, 0x3c0, v6
	v_min_u32_e32 v0, 0xc0, v0
	v_or_b32_e32 v0, 63, v0
	v_cmp_eq_u32_e64 s[12:13], v6, v0
	v_subrev_co_u32_e64 v0, s[18:19], 1, v19
	v_and_b32_e32 v4, 64, v19
	v_cmp_lt_i32_e32 vcc, v0, v4
	s_mov_b32 s26, 0
	s_mov_b32 s27, s26
	v_cndmask_b32_e32 v0, v0, v19, vcc
	v_lshlrev_b32_e32 v17, 2, v0
	v_lshrrev_b32_e32 v0, 4, v6
	v_and_b32_e32 v18, 60, v0
	v_and_b32_e32 v0, 3, v19
	s_mov_b32 s40, s26
	s_mov_b32 s41, s26
	v_xor_b32_e32 v2, 0x7fffffff, v2
	v_xor_b32_e32 v3, 0x7fffffff, v3
	v_lshlrev_b32_e32 v7, 2, v8
	v_cmp_lt_u32_e64 s[10:11], 31, v19
	v_cmp_gt_u32_e64 s[14:15], 4, v6
	v_cmp_lt_u32_e64 s[16:17], 63, v6
	v_cmp_eq_u32_e64 s[20:21], 0, v6
	v_mul_i32_i24_e32 v16, -12, v6
	v_cmp_eq_u32_e64 s[22:23], 0, v0
	v_cmp_lt_u32_e64 s[24:25], 1, v0
	v_add_u32_e32 v19, -4, v18
	v_lshl_add_u32 v20, v1, 2, v10
	v_mov_b64_e32 v[4:5], s[26:27]
	v_mov_b64_e32 v[10:11], s[40:41]
	v_mov_b32_e32 v13, 0
	s_branch .LBB213_14
.LBB213_13:                             ;   in Loop: Header=BB213_14 Depth=1
	s_andn2_b64 vcc, exec, s[26:27]
	s_mov_b32 s29, s40
	s_cbranch_vccz .LBB213_30
.LBB213_14:                             ; =>This Inner Loop Header: Depth=1
	v_mov_b32_e32 v24, v2
	s_waitcnt lgkmcnt(0)
	s_min_u32 s26, s39, s29
	s_lshl_b32 s40, -1, s26
	v_lshrrev_b32_e32 v0, s28, v24
	v_bitop3_b32 v2, v0, s40, v0 bitop3:0x30
	v_and_b32_e32 v12, 1, v2
	v_lshl_add_u64 v[0:1], v[12:13], 0, -1
	v_cmp_ne_u32_e32 vcc, 0, v12
	v_mov_b32_e32 v22, v14
	v_mov_b32_e32 v23, v3
	v_xor_b32_e32 v1, vcc_hi, v1
	v_xor_b32_e32 v0, vcc_lo, v0
	v_and_b32_e32 v12, exec_hi, v1
	v_and_b32_e32 v14, exec_lo, v0
	v_lshlrev_b32_e32 v1, 30, v2
	v_mov_b32_e32 v0, v13
	v_cmp_gt_i64_e32 vcc, 0, v[0:1]
	v_not_b32_e32 v0, v1
	v_ashrrev_i32_e32 v0, 31, v0
	v_xor_b32_e32 v1, vcc_hi, v0
	v_xor_b32_e32 v0, vcc_lo, v0
	v_and_b32_e32 v12, v12, v1
	v_and_b32_e32 v14, v14, v0
	v_lshlrev_b32_e32 v1, 29, v2
	v_mov_b32_e32 v0, v13
	v_cmp_gt_i64_e32 vcc, 0, v[0:1]
	v_not_b32_e32 v0, v1
	v_ashrrev_i32_e32 v0, 31, v0
	v_xor_b32_e32 v1, vcc_hi, v0
	v_xor_b32_e32 v0, vcc_lo, v0
	v_and_b32_e32 v12, v12, v1
	v_and_b32_e32 v14, v14, v0
	;; [unrolled: 9-line block ×6, first 2 shown]
	v_lshlrev_b32_e32 v1, 24, v2
	v_mov_b32_e32 v0, v13
	v_cmp_gt_i64_e32 vcc, 0, v[0:1]
	v_not_b32_e32 v0, v1
	v_ashrrev_i32_e32 v0, 31, v0
	v_xor_b32_e32 v1, vcc_hi, v0
	v_xor_b32_e32 v0, vcc_lo, v0
	v_and_b32_e32 v0, v14, v0
	v_lshlrev_b32_e32 v3, 4, v2
	v_and_b32_e32 v1, v12, v1
	v_mbcnt_lo_u32_b32 v2, v0, 0
	v_mbcnt_hi_u32_b32 v14, v1, v2
	v_cmp_eq_u32_e32 vcc, 0, v14
	v_cmp_ne_u64_e64 s[26:27], 0, v[0:1]
	v_mov_b32_e32 v21, v15
	s_and_b64 s[42:43], s[26:27], vcc
	v_add_u32_e32 v15, v9, v3
	ds_write2_b64 v7, v[4:5], v[10:11] offset0:2 offset1:3
	s_waitcnt lgkmcnt(0)
	s_barrier
	; wave barrier
	s_and_saveexec_b64 s[26:27], s[42:43]
; %bb.15:                               ;   in Loop: Header=BB213_14 Depth=1
	v_bcnt_u32_b32 v0, v0, 0
	v_bcnt_u32_b32 v0, v1, v0
	ds_write_b32 v15, v0 offset:16
; %bb.16:                               ;   in Loop: Header=BB213_14 Depth=1
	s_or_b64 exec, exec, s[26:27]
	s_not_b32 s40, s40
	v_lshrrev_b32_e32 v0, s28, v23
	v_and_b32_e32 v2, s40, v0
	v_lshlrev_b32_e32 v0, 4, v2
	v_and_b32_e32 v12, 1, v2
	v_add_u32_e32 v26, v9, v0
	v_lshl_add_u64 v[0:1], v[12:13], 0, -1
	v_cmp_ne_u32_e32 vcc, 0, v12
	; wave barrier
	s_nop 1
	v_xor_b32_e32 v1, vcc_hi, v1
	v_xor_b32_e32 v0, vcc_lo, v0
	v_and_b32_e32 v3, exec_hi, v1
	v_and_b32_e32 v12, exec_lo, v0
	v_lshlrev_b32_e32 v1, 30, v2
	v_mov_b32_e32 v0, v13
	v_cmp_gt_i64_e32 vcc, 0, v[0:1]
	v_not_b32_e32 v0, v1
	v_ashrrev_i32_e32 v0, 31, v0
	v_xor_b32_e32 v1, vcc_hi, v0
	v_xor_b32_e32 v0, vcc_lo, v0
	v_and_b32_e32 v3, v3, v1
	v_and_b32_e32 v12, v12, v0
	v_lshlrev_b32_e32 v1, 29, v2
	v_mov_b32_e32 v0, v13
	v_cmp_gt_i64_e32 vcc, 0, v[0:1]
	v_not_b32_e32 v0, v1
	v_ashrrev_i32_e32 v0, 31, v0
	v_xor_b32_e32 v1, vcc_hi, v0
	v_xor_b32_e32 v0, vcc_lo, v0
	v_and_b32_e32 v3, v3, v1
	v_and_b32_e32 v12, v12, v0
	;; [unrolled: 9-line block ×6, first 2 shown]
	v_lshlrev_b32_e32 v1, 24, v2
	v_mov_b32_e32 v0, v13
	v_cmp_gt_i64_e32 vcc, 0, v[0:1]
	v_not_b32_e32 v0, v1
	v_ashrrev_i32_e32 v0, 31, v0
	v_xor_b32_e32 v1, vcc_hi, v0
	v_xor_b32_e32 v0, vcc_lo, v0
	ds_read_b32 v25, v26 offset:16
	v_and_b32_e32 v0, v12, v0
	v_and_b32_e32 v1, v3, v1
	v_mbcnt_lo_u32_b32 v2, v0, 0
	v_mbcnt_hi_u32_b32 v27, v1, v2
	v_cmp_eq_u32_e32 vcc, 0, v27
	v_cmp_ne_u64_e64 s[26:27], 0, v[0:1]
	s_and_b64 s[42:43], s[26:27], vcc
	; wave barrier
	s_and_saveexec_b64 s[26:27], s[42:43]
	s_cbranch_execz .LBB213_18
; %bb.17:                               ;   in Loop: Header=BB213_14 Depth=1
	v_bcnt_u32_b32 v0, v0, 0
	v_bcnt_u32_b32 v0, v1, v0
	s_waitcnt lgkmcnt(0)
	v_add_u32_e32 v0, v25, v0
	ds_write_b32 v26, v0 offset:16
.LBB213_18:                             ;   in Loop: Header=BB213_14 Depth=1
	s_or_b64 exec, exec, s[26:27]
	v_lshrrev_b32_e32 v0, s28, v22
	v_and_b32_e32 v2, s40, v0
	v_lshlrev_b32_e32 v0, 4, v2
	v_and_b32_e32 v12, 1, v2
	v_add_u32_e32 v29, v9, v0
	v_lshl_add_u64 v[0:1], v[12:13], 0, -1
	v_cmp_ne_u32_e32 vcc, 0, v12
	; wave barrier
	s_nop 1
	v_xor_b32_e32 v1, vcc_hi, v1
	v_xor_b32_e32 v0, vcc_lo, v0
	v_and_b32_e32 v3, exec_hi, v1
	v_and_b32_e32 v12, exec_lo, v0
	v_lshlrev_b32_e32 v1, 30, v2
	v_mov_b32_e32 v0, v13
	v_cmp_gt_i64_e32 vcc, 0, v[0:1]
	v_not_b32_e32 v0, v1
	v_ashrrev_i32_e32 v0, 31, v0
	v_xor_b32_e32 v1, vcc_hi, v0
	v_xor_b32_e32 v0, vcc_lo, v0
	v_and_b32_e32 v3, v3, v1
	v_and_b32_e32 v12, v12, v0
	v_lshlrev_b32_e32 v1, 29, v2
	v_mov_b32_e32 v0, v13
	v_cmp_gt_i64_e32 vcc, 0, v[0:1]
	v_not_b32_e32 v0, v1
	v_ashrrev_i32_e32 v0, 31, v0
	v_xor_b32_e32 v1, vcc_hi, v0
	v_xor_b32_e32 v0, vcc_lo, v0
	v_and_b32_e32 v3, v3, v1
	v_and_b32_e32 v12, v12, v0
	;; [unrolled: 9-line block ×6, first 2 shown]
	v_lshlrev_b32_e32 v1, 24, v2
	v_mov_b32_e32 v0, v13
	v_cmp_gt_i64_e32 vcc, 0, v[0:1]
	v_not_b32_e32 v0, v1
	v_ashrrev_i32_e32 v0, 31, v0
	v_xor_b32_e32 v1, vcc_hi, v0
	v_xor_b32_e32 v0, vcc_lo, v0
	ds_read_b32 v28, v29 offset:16
	v_and_b32_e32 v0, v12, v0
	v_and_b32_e32 v1, v3, v1
	v_mbcnt_lo_u32_b32 v2, v0, 0
	v_mbcnt_hi_u32_b32 v30, v1, v2
	v_cmp_eq_u32_e32 vcc, 0, v30
	v_cmp_ne_u64_e64 s[26:27], 0, v[0:1]
	s_and_b64 s[42:43], s[26:27], vcc
	; wave barrier
	s_and_saveexec_b64 s[26:27], s[42:43]
	s_cbranch_execz .LBB213_20
; %bb.19:                               ;   in Loop: Header=BB213_14 Depth=1
	v_bcnt_u32_b32 v0, v0, 0
	v_bcnt_u32_b32 v0, v1, v0
	s_waitcnt lgkmcnt(0)
	v_add_u32_e32 v0, v28, v0
	ds_write_b32 v29, v0 offset:16
.LBB213_20:                             ;   in Loop: Header=BB213_14 Depth=1
	s_or_b64 exec, exec, s[26:27]
	v_lshrrev_b32_e32 v0, s28, v21
	v_and_b32_e32 v2, s40, v0
	v_lshlrev_b32_e32 v0, 4, v2
	v_and_b32_e32 v12, 1, v2
	v_add_u32_e32 v32, v9, v0
	v_lshl_add_u64 v[0:1], v[12:13], 0, -1
	v_cmp_ne_u32_e32 vcc, 0, v12
	; wave barrier
	s_nop 1
	v_xor_b32_e32 v1, vcc_hi, v1
	v_xor_b32_e32 v0, vcc_lo, v0
	v_and_b32_e32 v3, exec_hi, v1
	v_and_b32_e32 v12, exec_lo, v0
	v_lshlrev_b32_e32 v1, 30, v2
	v_mov_b32_e32 v0, v13
	v_cmp_gt_i64_e32 vcc, 0, v[0:1]
	v_not_b32_e32 v0, v1
	v_ashrrev_i32_e32 v0, 31, v0
	v_xor_b32_e32 v1, vcc_hi, v0
	v_xor_b32_e32 v0, vcc_lo, v0
	v_and_b32_e32 v3, v3, v1
	v_and_b32_e32 v12, v12, v0
	v_lshlrev_b32_e32 v1, 29, v2
	v_mov_b32_e32 v0, v13
	v_cmp_gt_i64_e32 vcc, 0, v[0:1]
	v_not_b32_e32 v0, v1
	v_ashrrev_i32_e32 v0, 31, v0
	v_xor_b32_e32 v1, vcc_hi, v0
	v_xor_b32_e32 v0, vcc_lo, v0
	v_and_b32_e32 v3, v3, v1
	v_and_b32_e32 v12, v12, v0
	v_lshlrev_b32_e32 v1, 28, v2
	v_mov_b32_e32 v0, v13
	v_cmp_gt_i64_e32 vcc, 0, v[0:1]
	v_not_b32_e32 v0, v1
	v_ashrrev_i32_e32 v0, 31, v0
	v_xor_b32_e32 v1, vcc_hi, v0
	v_xor_b32_e32 v0, vcc_lo, v0
	v_and_b32_e32 v3, v3, v1
	v_and_b32_e32 v12, v12, v0
	v_lshlrev_b32_e32 v1, 27, v2
	v_mov_b32_e32 v0, v13
	v_cmp_gt_i64_e32 vcc, 0, v[0:1]
	v_not_b32_e32 v0, v1
	v_ashrrev_i32_e32 v0, 31, v0
	v_xor_b32_e32 v1, vcc_hi, v0
	v_xor_b32_e32 v0, vcc_lo, v0
	v_and_b32_e32 v3, v3, v1
	v_and_b32_e32 v12, v12, v0
	v_lshlrev_b32_e32 v1, 26, v2
	v_mov_b32_e32 v0, v13
	v_cmp_gt_i64_e32 vcc, 0, v[0:1]
	v_not_b32_e32 v0, v1
	v_ashrrev_i32_e32 v0, 31, v0
	v_xor_b32_e32 v1, vcc_hi, v0
	v_xor_b32_e32 v0, vcc_lo, v0
	v_and_b32_e32 v3, v3, v1
	v_and_b32_e32 v12, v12, v0
	v_lshlrev_b32_e32 v1, 25, v2
	v_mov_b32_e32 v0, v13
	v_cmp_gt_i64_e32 vcc, 0, v[0:1]
	v_not_b32_e32 v0, v1
	v_ashrrev_i32_e32 v0, 31, v0
	v_xor_b32_e32 v1, vcc_hi, v0
	v_xor_b32_e32 v0, vcc_lo, v0
	v_and_b32_e32 v3, v3, v1
	v_and_b32_e32 v12, v12, v0
	v_lshlrev_b32_e32 v1, 24, v2
	v_mov_b32_e32 v0, v13
	v_cmp_gt_i64_e32 vcc, 0, v[0:1]
	v_not_b32_e32 v0, v1
	v_ashrrev_i32_e32 v0, 31, v0
	v_xor_b32_e32 v1, vcc_hi, v0
	v_xor_b32_e32 v0, vcc_lo, v0
	ds_read_b32 v31, v32 offset:16
	v_and_b32_e32 v0, v12, v0
	v_and_b32_e32 v1, v3, v1
	v_mbcnt_lo_u32_b32 v2, v0, 0
	v_mbcnt_hi_u32_b32 v12, v1, v2
	v_cmp_eq_u32_e32 vcc, 0, v12
	v_cmp_ne_u64_e64 s[26:27], 0, v[0:1]
	s_and_b64 s[40:41], s[26:27], vcc
	; wave barrier
	s_and_saveexec_b64 s[26:27], s[40:41]
	s_cbranch_execz .LBB213_22
; %bb.21:                               ;   in Loop: Header=BB213_14 Depth=1
	v_bcnt_u32_b32 v0, v0, 0
	v_bcnt_u32_b32 v0, v1, v0
	s_waitcnt lgkmcnt(0)
	v_add_u32_e32 v0, v31, v0
	ds_write_b32 v32, v0 offset:16
.LBB213_22:                             ;   in Loop: Header=BB213_14 Depth=1
	s_or_b64 exec, exec, s[26:27]
	; wave barrier
	s_waitcnt lgkmcnt(0)
	s_barrier
	ds_read2_b64 v[0:3], v7 offset0:2 offset1:3
	s_waitcnt lgkmcnt(0)
	v_add_u32_e32 v33, v1, v0
	v_add3_u32 v3, v33, v2, v3
	s_nop 1
	v_mov_b32_dpp v33, v3 row_shr:1 row_mask:0xf bank_mask:0xf
	v_cndmask_b32_e64 v33, v33, 0, s[0:1]
	v_add_u32_e32 v3, v33, v3
	s_nop 1
	v_mov_b32_dpp v33, v3 row_shr:2 row_mask:0xf bank_mask:0xf
	v_cndmask_b32_e64 v33, 0, v33, s[2:3]
	v_add_u32_e32 v3, v3, v33
	s_nop 1
	v_mov_b32_dpp v33, v3 row_shr:4 row_mask:0xf bank_mask:0xf
	v_cndmask_b32_e64 v33, 0, v33, s[4:5]
	v_add_u32_e32 v3, v3, v33
	s_nop 1
	v_mov_b32_dpp v33, v3 row_shr:8 row_mask:0xf bank_mask:0xf
	v_cndmask_b32_e64 v33, 0, v33, s[6:7]
	v_add_u32_e32 v3, v3, v33
	s_nop 1
	v_mov_b32_dpp v33, v3 row_bcast:15 row_mask:0xf bank_mask:0xf
	v_cndmask_b32_e64 v33, v33, 0, s[8:9]
	v_add_u32_e32 v3, v3, v33
	s_nop 1
	v_mov_b32_dpp v33, v3 row_bcast:31 row_mask:0xf bank_mask:0xf
	v_cndmask_b32_e64 v33, 0, v33, s[10:11]
	v_add_u32_e32 v3, v3, v33
	s_and_saveexec_b64 s[26:27], s[12:13]
; %bb.23:                               ;   in Loop: Header=BB213_14 Depth=1
	ds_write_b32 v18, v3
; %bb.24:                               ;   in Loop: Header=BB213_14 Depth=1
	s_or_b64 exec, exec, s[26:27]
	s_waitcnt lgkmcnt(0)
	s_barrier
	s_and_saveexec_b64 s[26:27], s[14:15]
	s_cbranch_execz .LBB213_26
; %bb.25:                               ;   in Loop: Header=BB213_14 Depth=1
	v_add_u32_e32 v33, v7, v16
	ds_read_b32 v34, v33
	s_waitcnt lgkmcnt(0)
	s_nop 0
	v_mov_b32_dpp v35, v34 row_shr:1 row_mask:0xf bank_mask:0xf
	v_cndmask_b32_e64 v35, v35, 0, s[22:23]
	v_add_u32_e32 v34, v35, v34
	s_nop 1
	v_mov_b32_dpp v35, v34 row_shr:2 row_mask:0xf bank_mask:0xf
	v_cndmask_b32_e64 v35, 0, v35, s[24:25]
	v_add_u32_e32 v34, v34, v35
	ds_write_b32 v33, v34
.LBB213_26:                             ;   in Loop: Header=BB213_14 Depth=1
	s_or_b64 exec, exec, s[26:27]
	v_mov_b32_e32 v33, 0
	s_waitcnt lgkmcnt(0)
	s_barrier
	s_and_saveexec_b64 s[26:27], s[16:17]
; %bb.27:                               ;   in Loop: Header=BB213_14 Depth=1
	ds_read_b32 v33, v19
; %bb.28:                               ;   in Loop: Header=BB213_14 Depth=1
	s_or_b64 exec, exec, s[26:27]
	s_waitcnt lgkmcnt(0)
	v_add_u32_e32 v3, v33, v3
	ds_bpermute_b32 v3, v17, v3
	v_lshlrev_b32_e32 v14, 2, v14
	s_add_i32 s28, s28, 8
	s_cmp_ge_u32 s28, s38
	s_mov_b64 s[26:27], -1
	s_waitcnt lgkmcnt(0)
	v_cndmask_b32_e64 v3, v3, v33, s[18:19]
	v_cndmask_b32_e64 v34, v3, 0, s[20:21]
	v_add_u32_e32 v35, v34, v0
	v_add_u32_e32 v0, v35, v1
	;; [unrolled: 1-line block ×3, first 2 shown]
	ds_write2_b64 v7, v[34:35], v[0:1] offset0:2 offset1:3
	s_waitcnt lgkmcnt(0)
	s_barrier
	ds_read_b32 v0, v15 offset:16
	ds_read_b32 v1, v26 offset:16
	;; [unrolled: 1-line block ×4, first 2 shown]
	v_lshlrev_b32_e32 v15, 2, v25
	s_waitcnt lgkmcnt(3)
	v_lshl_add_u32 v0, v0, 2, v14
	v_lshlrev_b32_e32 v14, 2, v27
	s_waitcnt lgkmcnt(2)
	v_lshlrev_b32_e32 v1, 2, v1
	v_add3_u32 v1, v14, v15, v1
	v_lshlrev_b32_e32 v14, 2, v30
	v_lshlrev_b32_e32 v15, 2, v28
	s_waitcnt lgkmcnt(1)
	v_lshlrev_b32_e32 v2, 2, v2
	v_add3_u32 v25, v14, v15, v2
	v_lshlrev_b32_e32 v2, 2, v12
	v_lshlrev_b32_e32 v12, 2, v31
	s_waitcnt lgkmcnt(0)
	v_lshlrev_b32_e32 v3, 2, v3
	v_add3_u32 v12, v2, v12, v3
	v_readfirstlane_b32 s40, v0
                                        ; implicit-def: $vgpr15
                                        ; implicit-def: $vgpr3
	s_cbranch_scc1 .LBB213_13
; %bb.29:                               ;   in Loop: Header=BB213_14 Depth=1
	s_barrier
	ds_write_b32 v0, v24
	ds_write_b32 v1, v23
	;; [unrolled: 1-line block ×4, first 2 shown]
	s_waitcnt lgkmcnt(0)
	s_barrier
	ds_read2st64_b32 v[2:3], v20 offset1:1
	ds_read2st64_b32 v[14:15], v20 offset0:2 offset1:3
	s_add_i32 s40, s29, -8
	s_mov_b64 s[26:27], 0
	s_waitcnt lgkmcnt(0)
	s_barrier
	s_branch .LBB213_13
.LBB213_30:
	s_barrier
	ds_write_b32 v0, v24
	ds_write_b32 v1, v23
	;; [unrolled: 1-line block ×4, first 2 shown]
	v_add_u32_e32 v0, v7, v16
	s_waitcnt lgkmcnt(0)
	s_barrier
	ds_read2st64_b32 v[2:3], v0 offset1:4
	ds_read2st64_b32 v[0:1], v0 offset0:8 offset1:12
	s_add_u32 s0, s30, s36
	s_addc_u32 s1, s31, s37
	v_mov_b32_e32 v9, 0
	s_waitcnt lgkmcnt(1)
	v_xor_b32_e32 v5, 0x7fffffff, v2
	v_xor_b32_e32 v4, 0x7fffffff, v3
	s_waitcnt lgkmcnt(0)
	v_xor_b32_e32 v0, 0x7fffffff, v0
	s_andn2_b64 vcc, exec, s[34:35]
	v_lshl_add_u64 v[2:3], s[0:1], 0, v[8:9]
	s_cbranch_vccnz .LBB213_32
; %bb.31:
	s_mov_b64 s[0:1], -1
	global_store_dword v[2:3], v5, off
	global_store_dword v[2:3], v4, off offset:1024
	global_store_dword v[2:3], v0, off offset:2048
	s_cbranch_execz .LBB213_33
	s_branch .LBB213_40
.LBB213_32:
	s_mov_b64 s[0:1], 0
.LBB213_33:
	v_cmp_gt_u32_e32 vcc, s33, v6
	s_and_saveexec_b64 s[0:1], vcc
	s_cbranch_execz .LBB213_35
; %bb.34:
	global_store_dword v[2:3], v5, off
.LBB213_35:
	s_or_b64 exec, exec, s[0:1]
	v_add_u32_e32 v5, 0x100, v6
	v_cmp_gt_u32_e32 vcc, s33, v5
	s_and_saveexec_b64 s[0:1], vcc
	s_cbranch_execz .LBB213_37
; %bb.36:
	global_store_dword v[2:3], v4, off offset:1024
.LBB213_37:
	s_or_b64 exec, exec, s[0:1]
	v_add_u32_e32 v4, 0x200, v6
	v_cmp_gt_u32_e32 vcc, s33, v4
	s_and_saveexec_b64 s[0:1], vcc
	s_cbranch_execz .LBB213_39
; %bb.38:
	global_store_dword v[2:3], v0, off offset:2048
.LBB213_39:
	s_or_b64 exec, exec, s[0:1]
	v_add_u32_e32 v0, 0x300, v6
	v_cmp_gt_u32_e64 s[0:1], s33, v0
.LBB213_40:
	s_and_saveexec_b64 s[2:3], s[0:1]
	s_cbranch_execnz .LBB213_42
; %bb.41:
	s_endpgm
.LBB213_42:
	v_xor_b32_e32 v0, 0x7fffffff, v1
	global_store_dword v[2:3], v0, off offset:3072
	s_endpgm
	.section	.rodata,"a",@progbits
	.p2align	6, 0x0
	.amdhsa_kernel _ZN7rocprim17ROCPRIM_400000_NS6detail17trampoline_kernelINS0_13kernel_configILj256ELj4ELj4294967295EEENS1_37radix_sort_block_sort_config_selectorIiNS0_10empty_typeEEEZNS1_21radix_sort_block_sortIS4_Lb1EN6thrust23THRUST_200600_302600_NS6detail15normal_iteratorINSA_10device_ptrIiEEEESF_PS6_SG_NS0_19identity_decomposerEEE10hipError_tT1_T2_T3_T4_jRjT5_jjP12ihipStream_tbEUlT_E_NS1_11comp_targetILNS1_3genE0ELNS1_11target_archE4294967295ELNS1_3gpuE0ELNS1_3repE0EEENS1_44radix_sort_block_sort_config_static_selectorELNS0_4arch9wavefront6targetE1EEEvSJ_
		.amdhsa_group_segment_fixed_size 4112
		.amdhsa_private_segment_fixed_size 0
		.amdhsa_kernarg_size 304
		.amdhsa_user_sgpr_count 2
		.amdhsa_user_sgpr_dispatch_ptr 0
		.amdhsa_user_sgpr_queue_ptr 0
		.amdhsa_user_sgpr_kernarg_segment_ptr 1
		.amdhsa_user_sgpr_dispatch_id 0
		.amdhsa_user_sgpr_kernarg_preload_length 0
		.amdhsa_user_sgpr_kernarg_preload_offset 0
		.amdhsa_user_sgpr_private_segment_size 0
		.amdhsa_uses_dynamic_stack 0
		.amdhsa_enable_private_segment 0
		.amdhsa_system_sgpr_workgroup_id_x 1
		.amdhsa_system_sgpr_workgroup_id_y 0
		.amdhsa_system_sgpr_workgroup_id_z 0
		.amdhsa_system_sgpr_workgroup_info 0
		.amdhsa_system_vgpr_workitem_id 2
		.amdhsa_next_free_vgpr 36
		.amdhsa_next_free_sgpr 44
		.amdhsa_accum_offset 36
		.amdhsa_reserve_vcc 1
		.amdhsa_float_round_mode_32 0
		.amdhsa_float_round_mode_16_64 0
		.amdhsa_float_denorm_mode_32 3
		.amdhsa_float_denorm_mode_16_64 3
		.amdhsa_dx10_clamp 1
		.amdhsa_ieee_mode 1
		.amdhsa_fp16_overflow 0
		.amdhsa_tg_split 0
		.amdhsa_exception_fp_ieee_invalid_op 0
		.amdhsa_exception_fp_denorm_src 0
		.amdhsa_exception_fp_ieee_div_zero 0
		.amdhsa_exception_fp_ieee_overflow 0
		.amdhsa_exception_fp_ieee_underflow 0
		.amdhsa_exception_fp_ieee_inexact 0
		.amdhsa_exception_int_div_zero 0
	.end_amdhsa_kernel
	.section	.text._ZN7rocprim17ROCPRIM_400000_NS6detail17trampoline_kernelINS0_13kernel_configILj256ELj4ELj4294967295EEENS1_37radix_sort_block_sort_config_selectorIiNS0_10empty_typeEEEZNS1_21radix_sort_block_sortIS4_Lb1EN6thrust23THRUST_200600_302600_NS6detail15normal_iteratorINSA_10device_ptrIiEEEESF_PS6_SG_NS0_19identity_decomposerEEE10hipError_tT1_T2_T3_T4_jRjT5_jjP12ihipStream_tbEUlT_E_NS1_11comp_targetILNS1_3genE0ELNS1_11target_archE4294967295ELNS1_3gpuE0ELNS1_3repE0EEENS1_44radix_sort_block_sort_config_static_selectorELNS0_4arch9wavefront6targetE1EEEvSJ_,"axG",@progbits,_ZN7rocprim17ROCPRIM_400000_NS6detail17trampoline_kernelINS0_13kernel_configILj256ELj4ELj4294967295EEENS1_37radix_sort_block_sort_config_selectorIiNS0_10empty_typeEEEZNS1_21radix_sort_block_sortIS4_Lb1EN6thrust23THRUST_200600_302600_NS6detail15normal_iteratorINSA_10device_ptrIiEEEESF_PS6_SG_NS0_19identity_decomposerEEE10hipError_tT1_T2_T3_T4_jRjT5_jjP12ihipStream_tbEUlT_E_NS1_11comp_targetILNS1_3genE0ELNS1_11target_archE4294967295ELNS1_3gpuE0ELNS1_3repE0EEENS1_44radix_sort_block_sort_config_static_selectorELNS0_4arch9wavefront6targetE1EEEvSJ_,comdat
.Lfunc_end213:
	.size	_ZN7rocprim17ROCPRIM_400000_NS6detail17trampoline_kernelINS0_13kernel_configILj256ELj4ELj4294967295EEENS1_37radix_sort_block_sort_config_selectorIiNS0_10empty_typeEEEZNS1_21radix_sort_block_sortIS4_Lb1EN6thrust23THRUST_200600_302600_NS6detail15normal_iteratorINSA_10device_ptrIiEEEESF_PS6_SG_NS0_19identity_decomposerEEE10hipError_tT1_T2_T3_T4_jRjT5_jjP12ihipStream_tbEUlT_E_NS1_11comp_targetILNS1_3genE0ELNS1_11target_archE4294967295ELNS1_3gpuE0ELNS1_3repE0EEENS1_44radix_sort_block_sort_config_static_selectorELNS0_4arch9wavefront6targetE1EEEvSJ_, .Lfunc_end213-_ZN7rocprim17ROCPRIM_400000_NS6detail17trampoline_kernelINS0_13kernel_configILj256ELj4ELj4294967295EEENS1_37radix_sort_block_sort_config_selectorIiNS0_10empty_typeEEEZNS1_21radix_sort_block_sortIS4_Lb1EN6thrust23THRUST_200600_302600_NS6detail15normal_iteratorINSA_10device_ptrIiEEEESF_PS6_SG_NS0_19identity_decomposerEEE10hipError_tT1_T2_T3_T4_jRjT5_jjP12ihipStream_tbEUlT_E_NS1_11comp_targetILNS1_3genE0ELNS1_11target_archE4294967295ELNS1_3gpuE0ELNS1_3repE0EEENS1_44radix_sort_block_sort_config_static_selectorELNS0_4arch9wavefront6targetE1EEEvSJ_
                                        ; -- End function
	.set _ZN7rocprim17ROCPRIM_400000_NS6detail17trampoline_kernelINS0_13kernel_configILj256ELj4ELj4294967295EEENS1_37radix_sort_block_sort_config_selectorIiNS0_10empty_typeEEEZNS1_21radix_sort_block_sortIS4_Lb1EN6thrust23THRUST_200600_302600_NS6detail15normal_iteratorINSA_10device_ptrIiEEEESF_PS6_SG_NS0_19identity_decomposerEEE10hipError_tT1_T2_T3_T4_jRjT5_jjP12ihipStream_tbEUlT_E_NS1_11comp_targetILNS1_3genE0ELNS1_11target_archE4294967295ELNS1_3gpuE0ELNS1_3repE0EEENS1_44radix_sort_block_sort_config_static_selectorELNS0_4arch9wavefront6targetE1EEEvSJ_.num_vgpr, 36
	.set _ZN7rocprim17ROCPRIM_400000_NS6detail17trampoline_kernelINS0_13kernel_configILj256ELj4ELj4294967295EEENS1_37radix_sort_block_sort_config_selectorIiNS0_10empty_typeEEEZNS1_21radix_sort_block_sortIS4_Lb1EN6thrust23THRUST_200600_302600_NS6detail15normal_iteratorINSA_10device_ptrIiEEEESF_PS6_SG_NS0_19identity_decomposerEEE10hipError_tT1_T2_T3_T4_jRjT5_jjP12ihipStream_tbEUlT_E_NS1_11comp_targetILNS1_3genE0ELNS1_11target_archE4294967295ELNS1_3gpuE0ELNS1_3repE0EEENS1_44radix_sort_block_sort_config_static_selectorELNS0_4arch9wavefront6targetE1EEEvSJ_.num_agpr, 0
	.set _ZN7rocprim17ROCPRIM_400000_NS6detail17trampoline_kernelINS0_13kernel_configILj256ELj4ELj4294967295EEENS1_37radix_sort_block_sort_config_selectorIiNS0_10empty_typeEEEZNS1_21radix_sort_block_sortIS4_Lb1EN6thrust23THRUST_200600_302600_NS6detail15normal_iteratorINSA_10device_ptrIiEEEESF_PS6_SG_NS0_19identity_decomposerEEE10hipError_tT1_T2_T3_T4_jRjT5_jjP12ihipStream_tbEUlT_E_NS1_11comp_targetILNS1_3genE0ELNS1_11target_archE4294967295ELNS1_3gpuE0ELNS1_3repE0EEENS1_44radix_sort_block_sort_config_static_selectorELNS0_4arch9wavefront6targetE1EEEvSJ_.numbered_sgpr, 44
	.set _ZN7rocprim17ROCPRIM_400000_NS6detail17trampoline_kernelINS0_13kernel_configILj256ELj4ELj4294967295EEENS1_37radix_sort_block_sort_config_selectorIiNS0_10empty_typeEEEZNS1_21radix_sort_block_sortIS4_Lb1EN6thrust23THRUST_200600_302600_NS6detail15normal_iteratorINSA_10device_ptrIiEEEESF_PS6_SG_NS0_19identity_decomposerEEE10hipError_tT1_T2_T3_T4_jRjT5_jjP12ihipStream_tbEUlT_E_NS1_11comp_targetILNS1_3genE0ELNS1_11target_archE4294967295ELNS1_3gpuE0ELNS1_3repE0EEENS1_44radix_sort_block_sort_config_static_selectorELNS0_4arch9wavefront6targetE1EEEvSJ_.num_named_barrier, 0
	.set _ZN7rocprim17ROCPRIM_400000_NS6detail17trampoline_kernelINS0_13kernel_configILj256ELj4ELj4294967295EEENS1_37radix_sort_block_sort_config_selectorIiNS0_10empty_typeEEEZNS1_21radix_sort_block_sortIS4_Lb1EN6thrust23THRUST_200600_302600_NS6detail15normal_iteratorINSA_10device_ptrIiEEEESF_PS6_SG_NS0_19identity_decomposerEEE10hipError_tT1_T2_T3_T4_jRjT5_jjP12ihipStream_tbEUlT_E_NS1_11comp_targetILNS1_3genE0ELNS1_11target_archE4294967295ELNS1_3gpuE0ELNS1_3repE0EEENS1_44radix_sort_block_sort_config_static_selectorELNS0_4arch9wavefront6targetE1EEEvSJ_.private_seg_size, 0
	.set _ZN7rocprim17ROCPRIM_400000_NS6detail17trampoline_kernelINS0_13kernel_configILj256ELj4ELj4294967295EEENS1_37radix_sort_block_sort_config_selectorIiNS0_10empty_typeEEEZNS1_21radix_sort_block_sortIS4_Lb1EN6thrust23THRUST_200600_302600_NS6detail15normal_iteratorINSA_10device_ptrIiEEEESF_PS6_SG_NS0_19identity_decomposerEEE10hipError_tT1_T2_T3_T4_jRjT5_jjP12ihipStream_tbEUlT_E_NS1_11comp_targetILNS1_3genE0ELNS1_11target_archE4294967295ELNS1_3gpuE0ELNS1_3repE0EEENS1_44radix_sort_block_sort_config_static_selectorELNS0_4arch9wavefront6targetE1EEEvSJ_.uses_vcc, 1
	.set _ZN7rocprim17ROCPRIM_400000_NS6detail17trampoline_kernelINS0_13kernel_configILj256ELj4ELj4294967295EEENS1_37radix_sort_block_sort_config_selectorIiNS0_10empty_typeEEEZNS1_21radix_sort_block_sortIS4_Lb1EN6thrust23THRUST_200600_302600_NS6detail15normal_iteratorINSA_10device_ptrIiEEEESF_PS6_SG_NS0_19identity_decomposerEEE10hipError_tT1_T2_T3_T4_jRjT5_jjP12ihipStream_tbEUlT_E_NS1_11comp_targetILNS1_3genE0ELNS1_11target_archE4294967295ELNS1_3gpuE0ELNS1_3repE0EEENS1_44radix_sort_block_sort_config_static_selectorELNS0_4arch9wavefront6targetE1EEEvSJ_.uses_flat_scratch, 0
	.set _ZN7rocprim17ROCPRIM_400000_NS6detail17trampoline_kernelINS0_13kernel_configILj256ELj4ELj4294967295EEENS1_37radix_sort_block_sort_config_selectorIiNS0_10empty_typeEEEZNS1_21radix_sort_block_sortIS4_Lb1EN6thrust23THRUST_200600_302600_NS6detail15normal_iteratorINSA_10device_ptrIiEEEESF_PS6_SG_NS0_19identity_decomposerEEE10hipError_tT1_T2_T3_T4_jRjT5_jjP12ihipStream_tbEUlT_E_NS1_11comp_targetILNS1_3genE0ELNS1_11target_archE4294967295ELNS1_3gpuE0ELNS1_3repE0EEENS1_44radix_sort_block_sort_config_static_selectorELNS0_4arch9wavefront6targetE1EEEvSJ_.has_dyn_sized_stack, 0
	.set _ZN7rocprim17ROCPRIM_400000_NS6detail17trampoline_kernelINS0_13kernel_configILj256ELj4ELj4294967295EEENS1_37radix_sort_block_sort_config_selectorIiNS0_10empty_typeEEEZNS1_21radix_sort_block_sortIS4_Lb1EN6thrust23THRUST_200600_302600_NS6detail15normal_iteratorINSA_10device_ptrIiEEEESF_PS6_SG_NS0_19identity_decomposerEEE10hipError_tT1_T2_T3_T4_jRjT5_jjP12ihipStream_tbEUlT_E_NS1_11comp_targetILNS1_3genE0ELNS1_11target_archE4294967295ELNS1_3gpuE0ELNS1_3repE0EEENS1_44radix_sort_block_sort_config_static_selectorELNS0_4arch9wavefront6targetE1EEEvSJ_.has_recursion, 0
	.set _ZN7rocprim17ROCPRIM_400000_NS6detail17trampoline_kernelINS0_13kernel_configILj256ELj4ELj4294967295EEENS1_37radix_sort_block_sort_config_selectorIiNS0_10empty_typeEEEZNS1_21radix_sort_block_sortIS4_Lb1EN6thrust23THRUST_200600_302600_NS6detail15normal_iteratorINSA_10device_ptrIiEEEESF_PS6_SG_NS0_19identity_decomposerEEE10hipError_tT1_T2_T3_T4_jRjT5_jjP12ihipStream_tbEUlT_E_NS1_11comp_targetILNS1_3genE0ELNS1_11target_archE4294967295ELNS1_3gpuE0ELNS1_3repE0EEENS1_44radix_sort_block_sort_config_static_selectorELNS0_4arch9wavefront6targetE1EEEvSJ_.has_indirect_call, 0
	.section	.AMDGPU.csdata,"",@progbits
; Kernel info:
; codeLenInByte = 3204
; TotalNumSgprs: 50
; NumVgprs: 36
; NumAgprs: 0
; TotalNumVgprs: 36
; ScratchSize: 0
; MemoryBound: 0
; FloatMode: 240
; IeeeMode: 1
; LDSByteSize: 4112 bytes/workgroup (compile time only)
; SGPRBlocks: 6
; VGPRBlocks: 4
; NumSGPRsForWavesPerEU: 50
; NumVGPRsForWavesPerEU: 36
; AccumOffset: 36
; Occupancy: 8
; WaveLimiterHint : 1
; COMPUTE_PGM_RSRC2:SCRATCH_EN: 0
; COMPUTE_PGM_RSRC2:USER_SGPR: 2
; COMPUTE_PGM_RSRC2:TRAP_HANDLER: 0
; COMPUTE_PGM_RSRC2:TGID_X_EN: 1
; COMPUTE_PGM_RSRC2:TGID_Y_EN: 0
; COMPUTE_PGM_RSRC2:TGID_Z_EN: 0
; COMPUTE_PGM_RSRC2:TIDIG_COMP_CNT: 2
; COMPUTE_PGM_RSRC3_GFX90A:ACCUM_OFFSET: 8
; COMPUTE_PGM_RSRC3_GFX90A:TG_SPLIT: 0
	.section	.text._ZN7rocprim17ROCPRIM_400000_NS6detail17trampoline_kernelINS0_13kernel_configILj256ELj4ELj4294967295EEENS1_37radix_sort_block_sort_config_selectorIiNS0_10empty_typeEEEZNS1_21radix_sort_block_sortIS4_Lb1EN6thrust23THRUST_200600_302600_NS6detail15normal_iteratorINSA_10device_ptrIiEEEESF_PS6_SG_NS0_19identity_decomposerEEE10hipError_tT1_T2_T3_T4_jRjT5_jjP12ihipStream_tbEUlT_E_NS1_11comp_targetILNS1_3genE5ELNS1_11target_archE942ELNS1_3gpuE9ELNS1_3repE0EEENS1_44radix_sort_block_sort_config_static_selectorELNS0_4arch9wavefront6targetE1EEEvSJ_,"axG",@progbits,_ZN7rocprim17ROCPRIM_400000_NS6detail17trampoline_kernelINS0_13kernel_configILj256ELj4ELj4294967295EEENS1_37radix_sort_block_sort_config_selectorIiNS0_10empty_typeEEEZNS1_21radix_sort_block_sortIS4_Lb1EN6thrust23THRUST_200600_302600_NS6detail15normal_iteratorINSA_10device_ptrIiEEEESF_PS6_SG_NS0_19identity_decomposerEEE10hipError_tT1_T2_T3_T4_jRjT5_jjP12ihipStream_tbEUlT_E_NS1_11comp_targetILNS1_3genE5ELNS1_11target_archE942ELNS1_3gpuE9ELNS1_3repE0EEENS1_44radix_sort_block_sort_config_static_selectorELNS0_4arch9wavefront6targetE1EEEvSJ_,comdat
	.protected	_ZN7rocprim17ROCPRIM_400000_NS6detail17trampoline_kernelINS0_13kernel_configILj256ELj4ELj4294967295EEENS1_37radix_sort_block_sort_config_selectorIiNS0_10empty_typeEEEZNS1_21radix_sort_block_sortIS4_Lb1EN6thrust23THRUST_200600_302600_NS6detail15normal_iteratorINSA_10device_ptrIiEEEESF_PS6_SG_NS0_19identity_decomposerEEE10hipError_tT1_T2_T3_T4_jRjT5_jjP12ihipStream_tbEUlT_E_NS1_11comp_targetILNS1_3genE5ELNS1_11target_archE942ELNS1_3gpuE9ELNS1_3repE0EEENS1_44radix_sort_block_sort_config_static_selectorELNS0_4arch9wavefront6targetE1EEEvSJ_ ; -- Begin function _ZN7rocprim17ROCPRIM_400000_NS6detail17trampoline_kernelINS0_13kernel_configILj256ELj4ELj4294967295EEENS1_37radix_sort_block_sort_config_selectorIiNS0_10empty_typeEEEZNS1_21radix_sort_block_sortIS4_Lb1EN6thrust23THRUST_200600_302600_NS6detail15normal_iteratorINSA_10device_ptrIiEEEESF_PS6_SG_NS0_19identity_decomposerEEE10hipError_tT1_T2_T3_T4_jRjT5_jjP12ihipStream_tbEUlT_E_NS1_11comp_targetILNS1_3genE5ELNS1_11target_archE942ELNS1_3gpuE9ELNS1_3repE0EEENS1_44radix_sort_block_sort_config_static_selectorELNS0_4arch9wavefront6targetE1EEEvSJ_
	.globl	_ZN7rocprim17ROCPRIM_400000_NS6detail17trampoline_kernelINS0_13kernel_configILj256ELj4ELj4294967295EEENS1_37radix_sort_block_sort_config_selectorIiNS0_10empty_typeEEEZNS1_21radix_sort_block_sortIS4_Lb1EN6thrust23THRUST_200600_302600_NS6detail15normal_iteratorINSA_10device_ptrIiEEEESF_PS6_SG_NS0_19identity_decomposerEEE10hipError_tT1_T2_T3_T4_jRjT5_jjP12ihipStream_tbEUlT_E_NS1_11comp_targetILNS1_3genE5ELNS1_11target_archE942ELNS1_3gpuE9ELNS1_3repE0EEENS1_44radix_sort_block_sort_config_static_selectorELNS0_4arch9wavefront6targetE1EEEvSJ_
	.p2align	8
	.type	_ZN7rocprim17ROCPRIM_400000_NS6detail17trampoline_kernelINS0_13kernel_configILj256ELj4ELj4294967295EEENS1_37radix_sort_block_sort_config_selectorIiNS0_10empty_typeEEEZNS1_21radix_sort_block_sortIS4_Lb1EN6thrust23THRUST_200600_302600_NS6detail15normal_iteratorINSA_10device_ptrIiEEEESF_PS6_SG_NS0_19identity_decomposerEEE10hipError_tT1_T2_T3_T4_jRjT5_jjP12ihipStream_tbEUlT_E_NS1_11comp_targetILNS1_3genE5ELNS1_11target_archE942ELNS1_3gpuE9ELNS1_3repE0EEENS1_44radix_sort_block_sort_config_static_selectorELNS0_4arch9wavefront6targetE1EEEvSJ_,@function
_ZN7rocprim17ROCPRIM_400000_NS6detail17trampoline_kernelINS0_13kernel_configILj256ELj4ELj4294967295EEENS1_37radix_sort_block_sort_config_selectorIiNS0_10empty_typeEEEZNS1_21radix_sort_block_sortIS4_Lb1EN6thrust23THRUST_200600_302600_NS6detail15normal_iteratorINSA_10device_ptrIiEEEESF_PS6_SG_NS0_19identity_decomposerEEE10hipError_tT1_T2_T3_T4_jRjT5_jjP12ihipStream_tbEUlT_E_NS1_11comp_targetILNS1_3genE5ELNS1_11target_archE942ELNS1_3gpuE9ELNS1_3repE0EEENS1_44radix_sort_block_sort_config_static_selectorELNS0_4arch9wavefront6targetE1EEEvSJ_: ; @_ZN7rocprim17ROCPRIM_400000_NS6detail17trampoline_kernelINS0_13kernel_configILj256ELj4ELj4294967295EEENS1_37radix_sort_block_sort_config_selectorIiNS0_10empty_typeEEEZNS1_21radix_sort_block_sortIS4_Lb1EN6thrust23THRUST_200600_302600_NS6detail15normal_iteratorINSA_10device_ptrIiEEEESF_PS6_SG_NS0_19identity_decomposerEEE10hipError_tT1_T2_T3_T4_jRjT5_jjP12ihipStream_tbEUlT_E_NS1_11comp_targetILNS1_3genE5ELNS1_11target_archE942ELNS1_3gpuE9ELNS1_3repE0EEENS1_44radix_sort_block_sort_config_static_selectorELNS0_4arch9wavefront6targetE1EEEvSJ_
; %bb.0:
	.section	.rodata,"a",@progbits
	.p2align	6, 0x0
	.amdhsa_kernel _ZN7rocprim17ROCPRIM_400000_NS6detail17trampoline_kernelINS0_13kernel_configILj256ELj4ELj4294967295EEENS1_37radix_sort_block_sort_config_selectorIiNS0_10empty_typeEEEZNS1_21radix_sort_block_sortIS4_Lb1EN6thrust23THRUST_200600_302600_NS6detail15normal_iteratorINSA_10device_ptrIiEEEESF_PS6_SG_NS0_19identity_decomposerEEE10hipError_tT1_T2_T3_T4_jRjT5_jjP12ihipStream_tbEUlT_E_NS1_11comp_targetILNS1_3genE5ELNS1_11target_archE942ELNS1_3gpuE9ELNS1_3repE0EEENS1_44radix_sort_block_sort_config_static_selectorELNS0_4arch9wavefront6targetE1EEEvSJ_
		.amdhsa_group_segment_fixed_size 0
		.amdhsa_private_segment_fixed_size 0
		.amdhsa_kernarg_size 48
		.amdhsa_user_sgpr_count 2
		.amdhsa_user_sgpr_dispatch_ptr 0
		.amdhsa_user_sgpr_queue_ptr 0
		.amdhsa_user_sgpr_kernarg_segment_ptr 1
		.amdhsa_user_sgpr_dispatch_id 0
		.amdhsa_user_sgpr_kernarg_preload_length 0
		.amdhsa_user_sgpr_kernarg_preload_offset 0
		.amdhsa_user_sgpr_private_segment_size 0
		.amdhsa_uses_dynamic_stack 0
		.amdhsa_enable_private_segment 0
		.amdhsa_system_sgpr_workgroup_id_x 1
		.amdhsa_system_sgpr_workgroup_id_y 0
		.amdhsa_system_sgpr_workgroup_id_z 0
		.amdhsa_system_sgpr_workgroup_info 0
		.amdhsa_system_vgpr_workitem_id 0
		.amdhsa_next_free_vgpr 1
		.amdhsa_next_free_sgpr 0
		.amdhsa_accum_offset 4
		.amdhsa_reserve_vcc 0
		.amdhsa_float_round_mode_32 0
		.amdhsa_float_round_mode_16_64 0
		.amdhsa_float_denorm_mode_32 3
		.amdhsa_float_denorm_mode_16_64 3
		.amdhsa_dx10_clamp 1
		.amdhsa_ieee_mode 1
		.amdhsa_fp16_overflow 0
		.amdhsa_tg_split 0
		.amdhsa_exception_fp_ieee_invalid_op 0
		.amdhsa_exception_fp_denorm_src 0
		.amdhsa_exception_fp_ieee_div_zero 0
		.amdhsa_exception_fp_ieee_overflow 0
		.amdhsa_exception_fp_ieee_underflow 0
		.amdhsa_exception_fp_ieee_inexact 0
		.amdhsa_exception_int_div_zero 0
	.end_amdhsa_kernel
	.section	.text._ZN7rocprim17ROCPRIM_400000_NS6detail17trampoline_kernelINS0_13kernel_configILj256ELj4ELj4294967295EEENS1_37radix_sort_block_sort_config_selectorIiNS0_10empty_typeEEEZNS1_21radix_sort_block_sortIS4_Lb1EN6thrust23THRUST_200600_302600_NS6detail15normal_iteratorINSA_10device_ptrIiEEEESF_PS6_SG_NS0_19identity_decomposerEEE10hipError_tT1_T2_T3_T4_jRjT5_jjP12ihipStream_tbEUlT_E_NS1_11comp_targetILNS1_3genE5ELNS1_11target_archE942ELNS1_3gpuE9ELNS1_3repE0EEENS1_44radix_sort_block_sort_config_static_selectorELNS0_4arch9wavefront6targetE1EEEvSJ_,"axG",@progbits,_ZN7rocprim17ROCPRIM_400000_NS6detail17trampoline_kernelINS0_13kernel_configILj256ELj4ELj4294967295EEENS1_37radix_sort_block_sort_config_selectorIiNS0_10empty_typeEEEZNS1_21radix_sort_block_sortIS4_Lb1EN6thrust23THRUST_200600_302600_NS6detail15normal_iteratorINSA_10device_ptrIiEEEESF_PS6_SG_NS0_19identity_decomposerEEE10hipError_tT1_T2_T3_T4_jRjT5_jjP12ihipStream_tbEUlT_E_NS1_11comp_targetILNS1_3genE5ELNS1_11target_archE942ELNS1_3gpuE9ELNS1_3repE0EEENS1_44radix_sort_block_sort_config_static_selectorELNS0_4arch9wavefront6targetE1EEEvSJ_,comdat
.Lfunc_end214:
	.size	_ZN7rocprim17ROCPRIM_400000_NS6detail17trampoline_kernelINS0_13kernel_configILj256ELj4ELj4294967295EEENS1_37radix_sort_block_sort_config_selectorIiNS0_10empty_typeEEEZNS1_21radix_sort_block_sortIS4_Lb1EN6thrust23THRUST_200600_302600_NS6detail15normal_iteratorINSA_10device_ptrIiEEEESF_PS6_SG_NS0_19identity_decomposerEEE10hipError_tT1_T2_T3_T4_jRjT5_jjP12ihipStream_tbEUlT_E_NS1_11comp_targetILNS1_3genE5ELNS1_11target_archE942ELNS1_3gpuE9ELNS1_3repE0EEENS1_44radix_sort_block_sort_config_static_selectorELNS0_4arch9wavefront6targetE1EEEvSJ_, .Lfunc_end214-_ZN7rocprim17ROCPRIM_400000_NS6detail17trampoline_kernelINS0_13kernel_configILj256ELj4ELj4294967295EEENS1_37radix_sort_block_sort_config_selectorIiNS0_10empty_typeEEEZNS1_21radix_sort_block_sortIS4_Lb1EN6thrust23THRUST_200600_302600_NS6detail15normal_iteratorINSA_10device_ptrIiEEEESF_PS6_SG_NS0_19identity_decomposerEEE10hipError_tT1_T2_T3_T4_jRjT5_jjP12ihipStream_tbEUlT_E_NS1_11comp_targetILNS1_3genE5ELNS1_11target_archE942ELNS1_3gpuE9ELNS1_3repE0EEENS1_44radix_sort_block_sort_config_static_selectorELNS0_4arch9wavefront6targetE1EEEvSJ_
                                        ; -- End function
	.set _ZN7rocprim17ROCPRIM_400000_NS6detail17trampoline_kernelINS0_13kernel_configILj256ELj4ELj4294967295EEENS1_37radix_sort_block_sort_config_selectorIiNS0_10empty_typeEEEZNS1_21radix_sort_block_sortIS4_Lb1EN6thrust23THRUST_200600_302600_NS6detail15normal_iteratorINSA_10device_ptrIiEEEESF_PS6_SG_NS0_19identity_decomposerEEE10hipError_tT1_T2_T3_T4_jRjT5_jjP12ihipStream_tbEUlT_E_NS1_11comp_targetILNS1_3genE5ELNS1_11target_archE942ELNS1_3gpuE9ELNS1_3repE0EEENS1_44radix_sort_block_sort_config_static_selectorELNS0_4arch9wavefront6targetE1EEEvSJ_.num_vgpr, 0
	.set _ZN7rocprim17ROCPRIM_400000_NS6detail17trampoline_kernelINS0_13kernel_configILj256ELj4ELj4294967295EEENS1_37radix_sort_block_sort_config_selectorIiNS0_10empty_typeEEEZNS1_21radix_sort_block_sortIS4_Lb1EN6thrust23THRUST_200600_302600_NS6detail15normal_iteratorINSA_10device_ptrIiEEEESF_PS6_SG_NS0_19identity_decomposerEEE10hipError_tT1_T2_T3_T4_jRjT5_jjP12ihipStream_tbEUlT_E_NS1_11comp_targetILNS1_3genE5ELNS1_11target_archE942ELNS1_3gpuE9ELNS1_3repE0EEENS1_44radix_sort_block_sort_config_static_selectorELNS0_4arch9wavefront6targetE1EEEvSJ_.num_agpr, 0
	.set _ZN7rocprim17ROCPRIM_400000_NS6detail17trampoline_kernelINS0_13kernel_configILj256ELj4ELj4294967295EEENS1_37radix_sort_block_sort_config_selectorIiNS0_10empty_typeEEEZNS1_21radix_sort_block_sortIS4_Lb1EN6thrust23THRUST_200600_302600_NS6detail15normal_iteratorINSA_10device_ptrIiEEEESF_PS6_SG_NS0_19identity_decomposerEEE10hipError_tT1_T2_T3_T4_jRjT5_jjP12ihipStream_tbEUlT_E_NS1_11comp_targetILNS1_3genE5ELNS1_11target_archE942ELNS1_3gpuE9ELNS1_3repE0EEENS1_44radix_sort_block_sort_config_static_selectorELNS0_4arch9wavefront6targetE1EEEvSJ_.numbered_sgpr, 0
	.set _ZN7rocprim17ROCPRIM_400000_NS6detail17trampoline_kernelINS0_13kernel_configILj256ELj4ELj4294967295EEENS1_37radix_sort_block_sort_config_selectorIiNS0_10empty_typeEEEZNS1_21radix_sort_block_sortIS4_Lb1EN6thrust23THRUST_200600_302600_NS6detail15normal_iteratorINSA_10device_ptrIiEEEESF_PS6_SG_NS0_19identity_decomposerEEE10hipError_tT1_T2_T3_T4_jRjT5_jjP12ihipStream_tbEUlT_E_NS1_11comp_targetILNS1_3genE5ELNS1_11target_archE942ELNS1_3gpuE9ELNS1_3repE0EEENS1_44radix_sort_block_sort_config_static_selectorELNS0_4arch9wavefront6targetE1EEEvSJ_.num_named_barrier, 0
	.set _ZN7rocprim17ROCPRIM_400000_NS6detail17trampoline_kernelINS0_13kernel_configILj256ELj4ELj4294967295EEENS1_37radix_sort_block_sort_config_selectorIiNS0_10empty_typeEEEZNS1_21radix_sort_block_sortIS4_Lb1EN6thrust23THRUST_200600_302600_NS6detail15normal_iteratorINSA_10device_ptrIiEEEESF_PS6_SG_NS0_19identity_decomposerEEE10hipError_tT1_T2_T3_T4_jRjT5_jjP12ihipStream_tbEUlT_E_NS1_11comp_targetILNS1_3genE5ELNS1_11target_archE942ELNS1_3gpuE9ELNS1_3repE0EEENS1_44radix_sort_block_sort_config_static_selectorELNS0_4arch9wavefront6targetE1EEEvSJ_.private_seg_size, 0
	.set _ZN7rocprim17ROCPRIM_400000_NS6detail17trampoline_kernelINS0_13kernel_configILj256ELj4ELj4294967295EEENS1_37radix_sort_block_sort_config_selectorIiNS0_10empty_typeEEEZNS1_21radix_sort_block_sortIS4_Lb1EN6thrust23THRUST_200600_302600_NS6detail15normal_iteratorINSA_10device_ptrIiEEEESF_PS6_SG_NS0_19identity_decomposerEEE10hipError_tT1_T2_T3_T4_jRjT5_jjP12ihipStream_tbEUlT_E_NS1_11comp_targetILNS1_3genE5ELNS1_11target_archE942ELNS1_3gpuE9ELNS1_3repE0EEENS1_44radix_sort_block_sort_config_static_selectorELNS0_4arch9wavefront6targetE1EEEvSJ_.uses_vcc, 0
	.set _ZN7rocprim17ROCPRIM_400000_NS6detail17trampoline_kernelINS0_13kernel_configILj256ELj4ELj4294967295EEENS1_37radix_sort_block_sort_config_selectorIiNS0_10empty_typeEEEZNS1_21radix_sort_block_sortIS4_Lb1EN6thrust23THRUST_200600_302600_NS6detail15normal_iteratorINSA_10device_ptrIiEEEESF_PS6_SG_NS0_19identity_decomposerEEE10hipError_tT1_T2_T3_T4_jRjT5_jjP12ihipStream_tbEUlT_E_NS1_11comp_targetILNS1_3genE5ELNS1_11target_archE942ELNS1_3gpuE9ELNS1_3repE0EEENS1_44radix_sort_block_sort_config_static_selectorELNS0_4arch9wavefront6targetE1EEEvSJ_.uses_flat_scratch, 0
	.set _ZN7rocprim17ROCPRIM_400000_NS6detail17trampoline_kernelINS0_13kernel_configILj256ELj4ELj4294967295EEENS1_37radix_sort_block_sort_config_selectorIiNS0_10empty_typeEEEZNS1_21radix_sort_block_sortIS4_Lb1EN6thrust23THRUST_200600_302600_NS6detail15normal_iteratorINSA_10device_ptrIiEEEESF_PS6_SG_NS0_19identity_decomposerEEE10hipError_tT1_T2_T3_T4_jRjT5_jjP12ihipStream_tbEUlT_E_NS1_11comp_targetILNS1_3genE5ELNS1_11target_archE942ELNS1_3gpuE9ELNS1_3repE0EEENS1_44radix_sort_block_sort_config_static_selectorELNS0_4arch9wavefront6targetE1EEEvSJ_.has_dyn_sized_stack, 0
	.set _ZN7rocprim17ROCPRIM_400000_NS6detail17trampoline_kernelINS0_13kernel_configILj256ELj4ELj4294967295EEENS1_37radix_sort_block_sort_config_selectorIiNS0_10empty_typeEEEZNS1_21radix_sort_block_sortIS4_Lb1EN6thrust23THRUST_200600_302600_NS6detail15normal_iteratorINSA_10device_ptrIiEEEESF_PS6_SG_NS0_19identity_decomposerEEE10hipError_tT1_T2_T3_T4_jRjT5_jjP12ihipStream_tbEUlT_E_NS1_11comp_targetILNS1_3genE5ELNS1_11target_archE942ELNS1_3gpuE9ELNS1_3repE0EEENS1_44radix_sort_block_sort_config_static_selectorELNS0_4arch9wavefront6targetE1EEEvSJ_.has_recursion, 0
	.set _ZN7rocprim17ROCPRIM_400000_NS6detail17trampoline_kernelINS0_13kernel_configILj256ELj4ELj4294967295EEENS1_37radix_sort_block_sort_config_selectorIiNS0_10empty_typeEEEZNS1_21radix_sort_block_sortIS4_Lb1EN6thrust23THRUST_200600_302600_NS6detail15normal_iteratorINSA_10device_ptrIiEEEESF_PS6_SG_NS0_19identity_decomposerEEE10hipError_tT1_T2_T3_T4_jRjT5_jjP12ihipStream_tbEUlT_E_NS1_11comp_targetILNS1_3genE5ELNS1_11target_archE942ELNS1_3gpuE9ELNS1_3repE0EEENS1_44radix_sort_block_sort_config_static_selectorELNS0_4arch9wavefront6targetE1EEEvSJ_.has_indirect_call, 0
	.section	.AMDGPU.csdata,"",@progbits
; Kernel info:
; codeLenInByte = 0
; TotalNumSgprs: 6
; NumVgprs: 0
; NumAgprs: 0
; TotalNumVgprs: 0
; ScratchSize: 0
; MemoryBound: 0
; FloatMode: 240
; IeeeMode: 1
; LDSByteSize: 0 bytes/workgroup (compile time only)
; SGPRBlocks: 0
; VGPRBlocks: 0
; NumSGPRsForWavesPerEU: 6
; NumVGPRsForWavesPerEU: 1
; AccumOffset: 4
; Occupancy: 8
; WaveLimiterHint : 0
; COMPUTE_PGM_RSRC2:SCRATCH_EN: 0
; COMPUTE_PGM_RSRC2:USER_SGPR: 2
; COMPUTE_PGM_RSRC2:TRAP_HANDLER: 0
; COMPUTE_PGM_RSRC2:TGID_X_EN: 1
; COMPUTE_PGM_RSRC2:TGID_Y_EN: 0
; COMPUTE_PGM_RSRC2:TGID_Z_EN: 0
; COMPUTE_PGM_RSRC2:TIDIG_COMP_CNT: 0
; COMPUTE_PGM_RSRC3_GFX90A:ACCUM_OFFSET: 0
; COMPUTE_PGM_RSRC3_GFX90A:TG_SPLIT: 0
	.section	.text._ZN7rocprim17ROCPRIM_400000_NS6detail17trampoline_kernelINS0_13kernel_configILj256ELj4ELj4294967295EEENS1_37radix_sort_block_sort_config_selectorIiNS0_10empty_typeEEEZNS1_21radix_sort_block_sortIS4_Lb1EN6thrust23THRUST_200600_302600_NS6detail15normal_iteratorINSA_10device_ptrIiEEEESF_PS6_SG_NS0_19identity_decomposerEEE10hipError_tT1_T2_T3_T4_jRjT5_jjP12ihipStream_tbEUlT_E_NS1_11comp_targetILNS1_3genE4ELNS1_11target_archE910ELNS1_3gpuE8ELNS1_3repE0EEENS1_44radix_sort_block_sort_config_static_selectorELNS0_4arch9wavefront6targetE1EEEvSJ_,"axG",@progbits,_ZN7rocprim17ROCPRIM_400000_NS6detail17trampoline_kernelINS0_13kernel_configILj256ELj4ELj4294967295EEENS1_37radix_sort_block_sort_config_selectorIiNS0_10empty_typeEEEZNS1_21radix_sort_block_sortIS4_Lb1EN6thrust23THRUST_200600_302600_NS6detail15normal_iteratorINSA_10device_ptrIiEEEESF_PS6_SG_NS0_19identity_decomposerEEE10hipError_tT1_T2_T3_T4_jRjT5_jjP12ihipStream_tbEUlT_E_NS1_11comp_targetILNS1_3genE4ELNS1_11target_archE910ELNS1_3gpuE8ELNS1_3repE0EEENS1_44radix_sort_block_sort_config_static_selectorELNS0_4arch9wavefront6targetE1EEEvSJ_,comdat
	.protected	_ZN7rocprim17ROCPRIM_400000_NS6detail17trampoline_kernelINS0_13kernel_configILj256ELj4ELj4294967295EEENS1_37radix_sort_block_sort_config_selectorIiNS0_10empty_typeEEEZNS1_21radix_sort_block_sortIS4_Lb1EN6thrust23THRUST_200600_302600_NS6detail15normal_iteratorINSA_10device_ptrIiEEEESF_PS6_SG_NS0_19identity_decomposerEEE10hipError_tT1_T2_T3_T4_jRjT5_jjP12ihipStream_tbEUlT_E_NS1_11comp_targetILNS1_3genE4ELNS1_11target_archE910ELNS1_3gpuE8ELNS1_3repE0EEENS1_44radix_sort_block_sort_config_static_selectorELNS0_4arch9wavefront6targetE1EEEvSJ_ ; -- Begin function _ZN7rocprim17ROCPRIM_400000_NS6detail17trampoline_kernelINS0_13kernel_configILj256ELj4ELj4294967295EEENS1_37radix_sort_block_sort_config_selectorIiNS0_10empty_typeEEEZNS1_21radix_sort_block_sortIS4_Lb1EN6thrust23THRUST_200600_302600_NS6detail15normal_iteratorINSA_10device_ptrIiEEEESF_PS6_SG_NS0_19identity_decomposerEEE10hipError_tT1_T2_T3_T4_jRjT5_jjP12ihipStream_tbEUlT_E_NS1_11comp_targetILNS1_3genE4ELNS1_11target_archE910ELNS1_3gpuE8ELNS1_3repE0EEENS1_44radix_sort_block_sort_config_static_selectorELNS0_4arch9wavefront6targetE1EEEvSJ_
	.globl	_ZN7rocprim17ROCPRIM_400000_NS6detail17trampoline_kernelINS0_13kernel_configILj256ELj4ELj4294967295EEENS1_37radix_sort_block_sort_config_selectorIiNS0_10empty_typeEEEZNS1_21radix_sort_block_sortIS4_Lb1EN6thrust23THRUST_200600_302600_NS6detail15normal_iteratorINSA_10device_ptrIiEEEESF_PS6_SG_NS0_19identity_decomposerEEE10hipError_tT1_T2_T3_T4_jRjT5_jjP12ihipStream_tbEUlT_E_NS1_11comp_targetILNS1_3genE4ELNS1_11target_archE910ELNS1_3gpuE8ELNS1_3repE0EEENS1_44radix_sort_block_sort_config_static_selectorELNS0_4arch9wavefront6targetE1EEEvSJ_
	.p2align	8
	.type	_ZN7rocprim17ROCPRIM_400000_NS6detail17trampoline_kernelINS0_13kernel_configILj256ELj4ELj4294967295EEENS1_37radix_sort_block_sort_config_selectorIiNS0_10empty_typeEEEZNS1_21radix_sort_block_sortIS4_Lb1EN6thrust23THRUST_200600_302600_NS6detail15normal_iteratorINSA_10device_ptrIiEEEESF_PS6_SG_NS0_19identity_decomposerEEE10hipError_tT1_T2_T3_T4_jRjT5_jjP12ihipStream_tbEUlT_E_NS1_11comp_targetILNS1_3genE4ELNS1_11target_archE910ELNS1_3gpuE8ELNS1_3repE0EEENS1_44radix_sort_block_sort_config_static_selectorELNS0_4arch9wavefront6targetE1EEEvSJ_,@function
_ZN7rocprim17ROCPRIM_400000_NS6detail17trampoline_kernelINS0_13kernel_configILj256ELj4ELj4294967295EEENS1_37radix_sort_block_sort_config_selectorIiNS0_10empty_typeEEEZNS1_21radix_sort_block_sortIS4_Lb1EN6thrust23THRUST_200600_302600_NS6detail15normal_iteratorINSA_10device_ptrIiEEEESF_PS6_SG_NS0_19identity_decomposerEEE10hipError_tT1_T2_T3_T4_jRjT5_jjP12ihipStream_tbEUlT_E_NS1_11comp_targetILNS1_3genE4ELNS1_11target_archE910ELNS1_3gpuE8ELNS1_3repE0EEENS1_44radix_sort_block_sort_config_static_selectorELNS0_4arch9wavefront6targetE1EEEvSJ_: ; @_ZN7rocprim17ROCPRIM_400000_NS6detail17trampoline_kernelINS0_13kernel_configILj256ELj4ELj4294967295EEENS1_37radix_sort_block_sort_config_selectorIiNS0_10empty_typeEEEZNS1_21radix_sort_block_sortIS4_Lb1EN6thrust23THRUST_200600_302600_NS6detail15normal_iteratorINSA_10device_ptrIiEEEESF_PS6_SG_NS0_19identity_decomposerEEE10hipError_tT1_T2_T3_T4_jRjT5_jjP12ihipStream_tbEUlT_E_NS1_11comp_targetILNS1_3genE4ELNS1_11target_archE910ELNS1_3gpuE8ELNS1_3repE0EEENS1_44radix_sort_block_sort_config_static_selectorELNS0_4arch9wavefront6targetE1EEEvSJ_
; %bb.0:
	.section	.rodata,"a",@progbits
	.p2align	6, 0x0
	.amdhsa_kernel _ZN7rocprim17ROCPRIM_400000_NS6detail17trampoline_kernelINS0_13kernel_configILj256ELj4ELj4294967295EEENS1_37radix_sort_block_sort_config_selectorIiNS0_10empty_typeEEEZNS1_21radix_sort_block_sortIS4_Lb1EN6thrust23THRUST_200600_302600_NS6detail15normal_iteratorINSA_10device_ptrIiEEEESF_PS6_SG_NS0_19identity_decomposerEEE10hipError_tT1_T2_T3_T4_jRjT5_jjP12ihipStream_tbEUlT_E_NS1_11comp_targetILNS1_3genE4ELNS1_11target_archE910ELNS1_3gpuE8ELNS1_3repE0EEENS1_44radix_sort_block_sort_config_static_selectorELNS0_4arch9wavefront6targetE1EEEvSJ_
		.amdhsa_group_segment_fixed_size 0
		.amdhsa_private_segment_fixed_size 0
		.amdhsa_kernarg_size 48
		.amdhsa_user_sgpr_count 2
		.amdhsa_user_sgpr_dispatch_ptr 0
		.amdhsa_user_sgpr_queue_ptr 0
		.amdhsa_user_sgpr_kernarg_segment_ptr 1
		.amdhsa_user_sgpr_dispatch_id 0
		.amdhsa_user_sgpr_kernarg_preload_length 0
		.amdhsa_user_sgpr_kernarg_preload_offset 0
		.amdhsa_user_sgpr_private_segment_size 0
		.amdhsa_uses_dynamic_stack 0
		.amdhsa_enable_private_segment 0
		.amdhsa_system_sgpr_workgroup_id_x 1
		.amdhsa_system_sgpr_workgroup_id_y 0
		.amdhsa_system_sgpr_workgroup_id_z 0
		.amdhsa_system_sgpr_workgroup_info 0
		.amdhsa_system_vgpr_workitem_id 0
		.amdhsa_next_free_vgpr 1
		.amdhsa_next_free_sgpr 0
		.amdhsa_accum_offset 4
		.amdhsa_reserve_vcc 0
		.amdhsa_float_round_mode_32 0
		.amdhsa_float_round_mode_16_64 0
		.amdhsa_float_denorm_mode_32 3
		.amdhsa_float_denorm_mode_16_64 3
		.amdhsa_dx10_clamp 1
		.amdhsa_ieee_mode 1
		.amdhsa_fp16_overflow 0
		.amdhsa_tg_split 0
		.amdhsa_exception_fp_ieee_invalid_op 0
		.amdhsa_exception_fp_denorm_src 0
		.amdhsa_exception_fp_ieee_div_zero 0
		.amdhsa_exception_fp_ieee_overflow 0
		.amdhsa_exception_fp_ieee_underflow 0
		.amdhsa_exception_fp_ieee_inexact 0
		.amdhsa_exception_int_div_zero 0
	.end_amdhsa_kernel
	.section	.text._ZN7rocprim17ROCPRIM_400000_NS6detail17trampoline_kernelINS0_13kernel_configILj256ELj4ELj4294967295EEENS1_37radix_sort_block_sort_config_selectorIiNS0_10empty_typeEEEZNS1_21radix_sort_block_sortIS4_Lb1EN6thrust23THRUST_200600_302600_NS6detail15normal_iteratorINSA_10device_ptrIiEEEESF_PS6_SG_NS0_19identity_decomposerEEE10hipError_tT1_T2_T3_T4_jRjT5_jjP12ihipStream_tbEUlT_E_NS1_11comp_targetILNS1_3genE4ELNS1_11target_archE910ELNS1_3gpuE8ELNS1_3repE0EEENS1_44radix_sort_block_sort_config_static_selectorELNS0_4arch9wavefront6targetE1EEEvSJ_,"axG",@progbits,_ZN7rocprim17ROCPRIM_400000_NS6detail17trampoline_kernelINS0_13kernel_configILj256ELj4ELj4294967295EEENS1_37radix_sort_block_sort_config_selectorIiNS0_10empty_typeEEEZNS1_21radix_sort_block_sortIS4_Lb1EN6thrust23THRUST_200600_302600_NS6detail15normal_iteratorINSA_10device_ptrIiEEEESF_PS6_SG_NS0_19identity_decomposerEEE10hipError_tT1_T2_T3_T4_jRjT5_jjP12ihipStream_tbEUlT_E_NS1_11comp_targetILNS1_3genE4ELNS1_11target_archE910ELNS1_3gpuE8ELNS1_3repE0EEENS1_44radix_sort_block_sort_config_static_selectorELNS0_4arch9wavefront6targetE1EEEvSJ_,comdat
.Lfunc_end215:
	.size	_ZN7rocprim17ROCPRIM_400000_NS6detail17trampoline_kernelINS0_13kernel_configILj256ELj4ELj4294967295EEENS1_37radix_sort_block_sort_config_selectorIiNS0_10empty_typeEEEZNS1_21radix_sort_block_sortIS4_Lb1EN6thrust23THRUST_200600_302600_NS6detail15normal_iteratorINSA_10device_ptrIiEEEESF_PS6_SG_NS0_19identity_decomposerEEE10hipError_tT1_T2_T3_T4_jRjT5_jjP12ihipStream_tbEUlT_E_NS1_11comp_targetILNS1_3genE4ELNS1_11target_archE910ELNS1_3gpuE8ELNS1_3repE0EEENS1_44radix_sort_block_sort_config_static_selectorELNS0_4arch9wavefront6targetE1EEEvSJ_, .Lfunc_end215-_ZN7rocprim17ROCPRIM_400000_NS6detail17trampoline_kernelINS0_13kernel_configILj256ELj4ELj4294967295EEENS1_37radix_sort_block_sort_config_selectorIiNS0_10empty_typeEEEZNS1_21radix_sort_block_sortIS4_Lb1EN6thrust23THRUST_200600_302600_NS6detail15normal_iteratorINSA_10device_ptrIiEEEESF_PS6_SG_NS0_19identity_decomposerEEE10hipError_tT1_T2_T3_T4_jRjT5_jjP12ihipStream_tbEUlT_E_NS1_11comp_targetILNS1_3genE4ELNS1_11target_archE910ELNS1_3gpuE8ELNS1_3repE0EEENS1_44radix_sort_block_sort_config_static_selectorELNS0_4arch9wavefront6targetE1EEEvSJ_
                                        ; -- End function
	.set _ZN7rocprim17ROCPRIM_400000_NS6detail17trampoline_kernelINS0_13kernel_configILj256ELj4ELj4294967295EEENS1_37radix_sort_block_sort_config_selectorIiNS0_10empty_typeEEEZNS1_21radix_sort_block_sortIS4_Lb1EN6thrust23THRUST_200600_302600_NS6detail15normal_iteratorINSA_10device_ptrIiEEEESF_PS6_SG_NS0_19identity_decomposerEEE10hipError_tT1_T2_T3_T4_jRjT5_jjP12ihipStream_tbEUlT_E_NS1_11comp_targetILNS1_3genE4ELNS1_11target_archE910ELNS1_3gpuE8ELNS1_3repE0EEENS1_44radix_sort_block_sort_config_static_selectorELNS0_4arch9wavefront6targetE1EEEvSJ_.num_vgpr, 0
	.set _ZN7rocprim17ROCPRIM_400000_NS6detail17trampoline_kernelINS0_13kernel_configILj256ELj4ELj4294967295EEENS1_37radix_sort_block_sort_config_selectorIiNS0_10empty_typeEEEZNS1_21radix_sort_block_sortIS4_Lb1EN6thrust23THRUST_200600_302600_NS6detail15normal_iteratorINSA_10device_ptrIiEEEESF_PS6_SG_NS0_19identity_decomposerEEE10hipError_tT1_T2_T3_T4_jRjT5_jjP12ihipStream_tbEUlT_E_NS1_11comp_targetILNS1_3genE4ELNS1_11target_archE910ELNS1_3gpuE8ELNS1_3repE0EEENS1_44radix_sort_block_sort_config_static_selectorELNS0_4arch9wavefront6targetE1EEEvSJ_.num_agpr, 0
	.set _ZN7rocprim17ROCPRIM_400000_NS6detail17trampoline_kernelINS0_13kernel_configILj256ELj4ELj4294967295EEENS1_37radix_sort_block_sort_config_selectorIiNS0_10empty_typeEEEZNS1_21radix_sort_block_sortIS4_Lb1EN6thrust23THRUST_200600_302600_NS6detail15normal_iteratorINSA_10device_ptrIiEEEESF_PS6_SG_NS0_19identity_decomposerEEE10hipError_tT1_T2_T3_T4_jRjT5_jjP12ihipStream_tbEUlT_E_NS1_11comp_targetILNS1_3genE4ELNS1_11target_archE910ELNS1_3gpuE8ELNS1_3repE0EEENS1_44radix_sort_block_sort_config_static_selectorELNS0_4arch9wavefront6targetE1EEEvSJ_.numbered_sgpr, 0
	.set _ZN7rocprim17ROCPRIM_400000_NS6detail17trampoline_kernelINS0_13kernel_configILj256ELj4ELj4294967295EEENS1_37radix_sort_block_sort_config_selectorIiNS0_10empty_typeEEEZNS1_21radix_sort_block_sortIS4_Lb1EN6thrust23THRUST_200600_302600_NS6detail15normal_iteratorINSA_10device_ptrIiEEEESF_PS6_SG_NS0_19identity_decomposerEEE10hipError_tT1_T2_T3_T4_jRjT5_jjP12ihipStream_tbEUlT_E_NS1_11comp_targetILNS1_3genE4ELNS1_11target_archE910ELNS1_3gpuE8ELNS1_3repE0EEENS1_44radix_sort_block_sort_config_static_selectorELNS0_4arch9wavefront6targetE1EEEvSJ_.num_named_barrier, 0
	.set _ZN7rocprim17ROCPRIM_400000_NS6detail17trampoline_kernelINS0_13kernel_configILj256ELj4ELj4294967295EEENS1_37radix_sort_block_sort_config_selectorIiNS0_10empty_typeEEEZNS1_21radix_sort_block_sortIS4_Lb1EN6thrust23THRUST_200600_302600_NS6detail15normal_iteratorINSA_10device_ptrIiEEEESF_PS6_SG_NS0_19identity_decomposerEEE10hipError_tT1_T2_T3_T4_jRjT5_jjP12ihipStream_tbEUlT_E_NS1_11comp_targetILNS1_3genE4ELNS1_11target_archE910ELNS1_3gpuE8ELNS1_3repE0EEENS1_44radix_sort_block_sort_config_static_selectorELNS0_4arch9wavefront6targetE1EEEvSJ_.private_seg_size, 0
	.set _ZN7rocprim17ROCPRIM_400000_NS6detail17trampoline_kernelINS0_13kernel_configILj256ELj4ELj4294967295EEENS1_37radix_sort_block_sort_config_selectorIiNS0_10empty_typeEEEZNS1_21radix_sort_block_sortIS4_Lb1EN6thrust23THRUST_200600_302600_NS6detail15normal_iteratorINSA_10device_ptrIiEEEESF_PS6_SG_NS0_19identity_decomposerEEE10hipError_tT1_T2_T3_T4_jRjT5_jjP12ihipStream_tbEUlT_E_NS1_11comp_targetILNS1_3genE4ELNS1_11target_archE910ELNS1_3gpuE8ELNS1_3repE0EEENS1_44radix_sort_block_sort_config_static_selectorELNS0_4arch9wavefront6targetE1EEEvSJ_.uses_vcc, 0
	.set _ZN7rocprim17ROCPRIM_400000_NS6detail17trampoline_kernelINS0_13kernel_configILj256ELj4ELj4294967295EEENS1_37radix_sort_block_sort_config_selectorIiNS0_10empty_typeEEEZNS1_21radix_sort_block_sortIS4_Lb1EN6thrust23THRUST_200600_302600_NS6detail15normal_iteratorINSA_10device_ptrIiEEEESF_PS6_SG_NS0_19identity_decomposerEEE10hipError_tT1_T2_T3_T4_jRjT5_jjP12ihipStream_tbEUlT_E_NS1_11comp_targetILNS1_3genE4ELNS1_11target_archE910ELNS1_3gpuE8ELNS1_3repE0EEENS1_44radix_sort_block_sort_config_static_selectorELNS0_4arch9wavefront6targetE1EEEvSJ_.uses_flat_scratch, 0
	.set _ZN7rocprim17ROCPRIM_400000_NS6detail17trampoline_kernelINS0_13kernel_configILj256ELj4ELj4294967295EEENS1_37radix_sort_block_sort_config_selectorIiNS0_10empty_typeEEEZNS1_21radix_sort_block_sortIS4_Lb1EN6thrust23THRUST_200600_302600_NS6detail15normal_iteratorINSA_10device_ptrIiEEEESF_PS6_SG_NS0_19identity_decomposerEEE10hipError_tT1_T2_T3_T4_jRjT5_jjP12ihipStream_tbEUlT_E_NS1_11comp_targetILNS1_3genE4ELNS1_11target_archE910ELNS1_3gpuE8ELNS1_3repE0EEENS1_44radix_sort_block_sort_config_static_selectorELNS0_4arch9wavefront6targetE1EEEvSJ_.has_dyn_sized_stack, 0
	.set _ZN7rocprim17ROCPRIM_400000_NS6detail17trampoline_kernelINS0_13kernel_configILj256ELj4ELj4294967295EEENS1_37radix_sort_block_sort_config_selectorIiNS0_10empty_typeEEEZNS1_21radix_sort_block_sortIS4_Lb1EN6thrust23THRUST_200600_302600_NS6detail15normal_iteratorINSA_10device_ptrIiEEEESF_PS6_SG_NS0_19identity_decomposerEEE10hipError_tT1_T2_T3_T4_jRjT5_jjP12ihipStream_tbEUlT_E_NS1_11comp_targetILNS1_3genE4ELNS1_11target_archE910ELNS1_3gpuE8ELNS1_3repE0EEENS1_44radix_sort_block_sort_config_static_selectorELNS0_4arch9wavefront6targetE1EEEvSJ_.has_recursion, 0
	.set _ZN7rocprim17ROCPRIM_400000_NS6detail17trampoline_kernelINS0_13kernel_configILj256ELj4ELj4294967295EEENS1_37radix_sort_block_sort_config_selectorIiNS0_10empty_typeEEEZNS1_21radix_sort_block_sortIS4_Lb1EN6thrust23THRUST_200600_302600_NS6detail15normal_iteratorINSA_10device_ptrIiEEEESF_PS6_SG_NS0_19identity_decomposerEEE10hipError_tT1_T2_T3_T4_jRjT5_jjP12ihipStream_tbEUlT_E_NS1_11comp_targetILNS1_3genE4ELNS1_11target_archE910ELNS1_3gpuE8ELNS1_3repE0EEENS1_44radix_sort_block_sort_config_static_selectorELNS0_4arch9wavefront6targetE1EEEvSJ_.has_indirect_call, 0
	.section	.AMDGPU.csdata,"",@progbits
; Kernel info:
; codeLenInByte = 0
; TotalNumSgprs: 6
; NumVgprs: 0
; NumAgprs: 0
; TotalNumVgprs: 0
; ScratchSize: 0
; MemoryBound: 0
; FloatMode: 240
; IeeeMode: 1
; LDSByteSize: 0 bytes/workgroup (compile time only)
; SGPRBlocks: 0
; VGPRBlocks: 0
; NumSGPRsForWavesPerEU: 6
; NumVGPRsForWavesPerEU: 1
; AccumOffset: 4
; Occupancy: 8
; WaveLimiterHint : 0
; COMPUTE_PGM_RSRC2:SCRATCH_EN: 0
; COMPUTE_PGM_RSRC2:USER_SGPR: 2
; COMPUTE_PGM_RSRC2:TRAP_HANDLER: 0
; COMPUTE_PGM_RSRC2:TGID_X_EN: 1
; COMPUTE_PGM_RSRC2:TGID_Y_EN: 0
; COMPUTE_PGM_RSRC2:TGID_Z_EN: 0
; COMPUTE_PGM_RSRC2:TIDIG_COMP_CNT: 0
; COMPUTE_PGM_RSRC3_GFX90A:ACCUM_OFFSET: 0
; COMPUTE_PGM_RSRC3_GFX90A:TG_SPLIT: 0
	.section	.text._ZN7rocprim17ROCPRIM_400000_NS6detail17trampoline_kernelINS0_13kernel_configILj256ELj4ELj4294967295EEENS1_37radix_sort_block_sort_config_selectorIiNS0_10empty_typeEEEZNS1_21radix_sort_block_sortIS4_Lb1EN6thrust23THRUST_200600_302600_NS6detail15normal_iteratorINSA_10device_ptrIiEEEESF_PS6_SG_NS0_19identity_decomposerEEE10hipError_tT1_T2_T3_T4_jRjT5_jjP12ihipStream_tbEUlT_E_NS1_11comp_targetILNS1_3genE3ELNS1_11target_archE908ELNS1_3gpuE7ELNS1_3repE0EEENS1_44radix_sort_block_sort_config_static_selectorELNS0_4arch9wavefront6targetE1EEEvSJ_,"axG",@progbits,_ZN7rocprim17ROCPRIM_400000_NS6detail17trampoline_kernelINS0_13kernel_configILj256ELj4ELj4294967295EEENS1_37radix_sort_block_sort_config_selectorIiNS0_10empty_typeEEEZNS1_21radix_sort_block_sortIS4_Lb1EN6thrust23THRUST_200600_302600_NS6detail15normal_iteratorINSA_10device_ptrIiEEEESF_PS6_SG_NS0_19identity_decomposerEEE10hipError_tT1_T2_T3_T4_jRjT5_jjP12ihipStream_tbEUlT_E_NS1_11comp_targetILNS1_3genE3ELNS1_11target_archE908ELNS1_3gpuE7ELNS1_3repE0EEENS1_44radix_sort_block_sort_config_static_selectorELNS0_4arch9wavefront6targetE1EEEvSJ_,comdat
	.protected	_ZN7rocprim17ROCPRIM_400000_NS6detail17trampoline_kernelINS0_13kernel_configILj256ELj4ELj4294967295EEENS1_37radix_sort_block_sort_config_selectorIiNS0_10empty_typeEEEZNS1_21radix_sort_block_sortIS4_Lb1EN6thrust23THRUST_200600_302600_NS6detail15normal_iteratorINSA_10device_ptrIiEEEESF_PS6_SG_NS0_19identity_decomposerEEE10hipError_tT1_T2_T3_T4_jRjT5_jjP12ihipStream_tbEUlT_E_NS1_11comp_targetILNS1_3genE3ELNS1_11target_archE908ELNS1_3gpuE7ELNS1_3repE0EEENS1_44radix_sort_block_sort_config_static_selectorELNS0_4arch9wavefront6targetE1EEEvSJ_ ; -- Begin function _ZN7rocprim17ROCPRIM_400000_NS6detail17trampoline_kernelINS0_13kernel_configILj256ELj4ELj4294967295EEENS1_37radix_sort_block_sort_config_selectorIiNS0_10empty_typeEEEZNS1_21radix_sort_block_sortIS4_Lb1EN6thrust23THRUST_200600_302600_NS6detail15normal_iteratorINSA_10device_ptrIiEEEESF_PS6_SG_NS0_19identity_decomposerEEE10hipError_tT1_T2_T3_T4_jRjT5_jjP12ihipStream_tbEUlT_E_NS1_11comp_targetILNS1_3genE3ELNS1_11target_archE908ELNS1_3gpuE7ELNS1_3repE0EEENS1_44radix_sort_block_sort_config_static_selectorELNS0_4arch9wavefront6targetE1EEEvSJ_
	.globl	_ZN7rocprim17ROCPRIM_400000_NS6detail17trampoline_kernelINS0_13kernel_configILj256ELj4ELj4294967295EEENS1_37radix_sort_block_sort_config_selectorIiNS0_10empty_typeEEEZNS1_21radix_sort_block_sortIS4_Lb1EN6thrust23THRUST_200600_302600_NS6detail15normal_iteratorINSA_10device_ptrIiEEEESF_PS6_SG_NS0_19identity_decomposerEEE10hipError_tT1_T2_T3_T4_jRjT5_jjP12ihipStream_tbEUlT_E_NS1_11comp_targetILNS1_3genE3ELNS1_11target_archE908ELNS1_3gpuE7ELNS1_3repE0EEENS1_44radix_sort_block_sort_config_static_selectorELNS0_4arch9wavefront6targetE1EEEvSJ_
	.p2align	8
	.type	_ZN7rocprim17ROCPRIM_400000_NS6detail17trampoline_kernelINS0_13kernel_configILj256ELj4ELj4294967295EEENS1_37radix_sort_block_sort_config_selectorIiNS0_10empty_typeEEEZNS1_21radix_sort_block_sortIS4_Lb1EN6thrust23THRUST_200600_302600_NS6detail15normal_iteratorINSA_10device_ptrIiEEEESF_PS6_SG_NS0_19identity_decomposerEEE10hipError_tT1_T2_T3_T4_jRjT5_jjP12ihipStream_tbEUlT_E_NS1_11comp_targetILNS1_3genE3ELNS1_11target_archE908ELNS1_3gpuE7ELNS1_3repE0EEENS1_44radix_sort_block_sort_config_static_selectorELNS0_4arch9wavefront6targetE1EEEvSJ_,@function
_ZN7rocprim17ROCPRIM_400000_NS6detail17trampoline_kernelINS0_13kernel_configILj256ELj4ELj4294967295EEENS1_37radix_sort_block_sort_config_selectorIiNS0_10empty_typeEEEZNS1_21radix_sort_block_sortIS4_Lb1EN6thrust23THRUST_200600_302600_NS6detail15normal_iteratorINSA_10device_ptrIiEEEESF_PS6_SG_NS0_19identity_decomposerEEE10hipError_tT1_T2_T3_T4_jRjT5_jjP12ihipStream_tbEUlT_E_NS1_11comp_targetILNS1_3genE3ELNS1_11target_archE908ELNS1_3gpuE7ELNS1_3repE0EEENS1_44radix_sort_block_sort_config_static_selectorELNS0_4arch9wavefront6targetE1EEEvSJ_: ; @_ZN7rocprim17ROCPRIM_400000_NS6detail17trampoline_kernelINS0_13kernel_configILj256ELj4ELj4294967295EEENS1_37radix_sort_block_sort_config_selectorIiNS0_10empty_typeEEEZNS1_21radix_sort_block_sortIS4_Lb1EN6thrust23THRUST_200600_302600_NS6detail15normal_iteratorINSA_10device_ptrIiEEEESF_PS6_SG_NS0_19identity_decomposerEEE10hipError_tT1_T2_T3_T4_jRjT5_jjP12ihipStream_tbEUlT_E_NS1_11comp_targetILNS1_3genE3ELNS1_11target_archE908ELNS1_3gpuE7ELNS1_3repE0EEENS1_44radix_sort_block_sort_config_static_selectorELNS0_4arch9wavefront6targetE1EEEvSJ_
; %bb.0:
	.section	.rodata,"a",@progbits
	.p2align	6, 0x0
	.amdhsa_kernel _ZN7rocprim17ROCPRIM_400000_NS6detail17trampoline_kernelINS0_13kernel_configILj256ELj4ELj4294967295EEENS1_37radix_sort_block_sort_config_selectorIiNS0_10empty_typeEEEZNS1_21radix_sort_block_sortIS4_Lb1EN6thrust23THRUST_200600_302600_NS6detail15normal_iteratorINSA_10device_ptrIiEEEESF_PS6_SG_NS0_19identity_decomposerEEE10hipError_tT1_T2_T3_T4_jRjT5_jjP12ihipStream_tbEUlT_E_NS1_11comp_targetILNS1_3genE3ELNS1_11target_archE908ELNS1_3gpuE7ELNS1_3repE0EEENS1_44radix_sort_block_sort_config_static_selectorELNS0_4arch9wavefront6targetE1EEEvSJ_
		.amdhsa_group_segment_fixed_size 0
		.amdhsa_private_segment_fixed_size 0
		.amdhsa_kernarg_size 48
		.amdhsa_user_sgpr_count 2
		.amdhsa_user_sgpr_dispatch_ptr 0
		.amdhsa_user_sgpr_queue_ptr 0
		.amdhsa_user_sgpr_kernarg_segment_ptr 1
		.amdhsa_user_sgpr_dispatch_id 0
		.amdhsa_user_sgpr_kernarg_preload_length 0
		.amdhsa_user_sgpr_kernarg_preload_offset 0
		.amdhsa_user_sgpr_private_segment_size 0
		.amdhsa_uses_dynamic_stack 0
		.amdhsa_enable_private_segment 0
		.amdhsa_system_sgpr_workgroup_id_x 1
		.amdhsa_system_sgpr_workgroup_id_y 0
		.amdhsa_system_sgpr_workgroup_id_z 0
		.amdhsa_system_sgpr_workgroup_info 0
		.amdhsa_system_vgpr_workitem_id 0
		.amdhsa_next_free_vgpr 1
		.amdhsa_next_free_sgpr 0
		.amdhsa_accum_offset 4
		.amdhsa_reserve_vcc 0
		.amdhsa_float_round_mode_32 0
		.amdhsa_float_round_mode_16_64 0
		.amdhsa_float_denorm_mode_32 3
		.amdhsa_float_denorm_mode_16_64 3
		.amdhsa_dx10_clamp 1
		.amdhsa_ieee_mode 1
		.amdhsa_fp16_overflow 0
		.amdhsa_tg_split 0
		.amdhsa_exception_fp_ieee_invalid_op 0
		.amdhsa_exception_fp_denorm_src 0
		.amdhsa_exception_fp_ieee_div_zero 0
		.amdhsa_exception_fp_ieee_overflow 0
		.amdhsa_exception_fp_ieee_underflow 0
		.amdhsa_exception_fp_ieee_inexact 0
		.amdhsa_exception_int_div_zero 0
	.end_amdhsa_kernel
	.section	.text._ZN7rocprim17ROCPRIM_400000_NS6detail17trampoline_kernelINS0_13kernel_configILj256ELj4ELj4294967295EEENS1_37radix_sort_block_sort_config_selectorIiNS0_10empty_typeEEEZNS1_21radix_sort_block_sortIS4_Lb1EN6thrust23THRUST_200600_302600_NS6detail15normal_iteratorINSA_10device_ptrIiEEEESF_PS6_SG_NS0_19identity_decomposerEEE10hipError_tT1_T2_T3_T4_jRjT5_jjP12ihipStream_tbEUlT_E_NS1_11comp_targetILNS1_3genE3ELNS1_11target_archE908ELNS1_3gpuE7ELNS1_3repE0EEENS1_44radix_sort_block_sort_config_static_selectorELNS0_4arch9wavefront6targetE1EEEvSJ_,"axG",@progbits,_ZN7rocprim17ROCPRIM_400000_NS6detail17trampoline_kernelINS0_13kernel_configILj256ELj4ELj4294967295EEENS1_37radix_sort_block_sort_config_selectorIiNS0_10empty_typeEEEZNS1_21radix_sort_block_sortIS4_Lb1EN6thrust23THRUST_200600_302600_NS6detail15normal_iteratorINSA_10device_ptrIiEEEESF_PS6_SG_NS0_19identity_decomposerEEE10hipError_tT1_T2_T3_T4_jRjT5_jjP12ihipStream_tbEUlT_E_NS1_11comp_targetILNS1_3genE3ELNS1_11target_archE908ELNS1_3gpuE7ELNS1_3repE0EEENS1_44radix_sort_block_sort_config_static_selectorELNS0_4arch9wavefront6targetE1EEEvSJ_,comdat
.Lfunc_end216:
	.size	_ZN7rocprim17ROCPRIM_400000_NS6detail17trampoline_kernelINS0_13kernel_configILj256ELj4ELj4294967295EEENS1_37radix_sort_block_sort_config_selectorIiNS0_10empty_typeEEEZNS1_21radix_sort_block_sortIS4_Lb1EN6thrust23THRUST_200600_302600_NS6detail15normal_iteratorINSA_10device_ptrIiEEEESF_PS6_SG_NS0_19identity_decomposerEEE10hipError_tT1_T2_T3_T4_jRjT5_jjP12ihipStream_tbEUlT_E_NS1_11comp_targetILNS1_3genE3ELNS1_11target_archE908ELNS1_3gpuE7ELNS1_3repE0EEENS1_44radix_sort_block_sort_config_static_selectorELNS0_4arch9wavefront6targetE1EEEvSJ_, .Lfunc_end216-_ZN7rocprim17ROCPRIM_400000_NS6detail17trampoline_kernelINS0_13kernel_configILj256ELj4ELj4294967295EEENS1_37radix_sort_block_sort_config_selectorIiNS0_10empty_typeEEEZNS1_21radix_sort_block_sortIS4_Lb1EN6thrust23THRUST_200600_302600_NS6detail15normal_iteratorINSA_10device_ptrIiEEEESF_PS6_SG_NS0_19identity_decomposerEEE10hipError_tT1_T2_T3_T4_jRjT5_jjP12ihipStream_tbEUlT_E_NS1_11comp_targetILNS1_3genE3ELNS1_11target_archE908ELNS1_3gpuE7ELNS1_3repE0EEENS1_44radix_sort_block_sort_config_static_selectorELNS0_4arch9wavefront6targetE1EEEvSJ_
                                        ; -- End function
	.set _ZN7rocprim17ROCPRIM_400000_NS6detail17trampoline_kernelINS0_13kernel_configILj256ELj4ELj4294967295EEENS1_37radix_sort_block_sort_config_selectorIiNS0_10empty_typeEEEZNS1_21radix_sort_block_sortIS4_Lb1EN6thrust23THRUST_200600_302600_NS6detail15normal_iteratorINSA_10device_ptrIiEEEESF_PS6_SG_NS0_19identity_decomposerEEE10hipError_tT1_T2_T3_T4_jRjT5_jjP12ihipStream_tbEUlT_E_NS1_11comp_targetILNS1_3genE3ELNS1_11target_archE908ELNS1_3gpuE7ELNS1_3repE0EEENS1_44radix_sort_block_sort_config_static_selectorELNS0_4arch9wavefront6targetE1EEEvSJ_.num_vgpr, 0
	.set _ZN7rocprim17ROCPRIM_400000_NS6detail17trampoline_kernelINS0_13kernel_configILj256ELj4ELj4294967295EEENS1_37radix_sort_block_sort_config_selectorIiNS0_10empty_typeEEEZNS1_21radix_sort_block_sortIS4_Lb1EN6thrust23THRUST_200600_302600_NS6detail15normal_iteratorINSA_10device_ptrIiEEEESF_PS6_SG_NS0_19identity_decomposerEEE10hipError_tT1_T2_T3_T4_jRjT5_jjP12ihipStream_tbEUlT_E_NS1_11comp_targetILNS1_3genE3ELNS1_11target_archE908ELNS1_3gpuE7ELNS1_3repE0EEENS1_44radix_sort_block_sort_config_static_selectorELNS0_4arch9wavefront6targetE1EEEvSJ_.num_agpr, 0
	.set _ZN7rocprim17ROCPRIM_400000_NS6detail17trampoline_kernelINS0_13kernel_configILj256ELj4ELj4294967295EEENS1_37radix_sort_block_sort_config_selectorIiNS0_10empty_typeEEEZNS1_21radix_sort_block_sortIS4_Lb1EN6thrust23THRUST_200600_302600_NS6detail15normal_iteratorINSA_10device_ptrIiEEEESF_PS6_SG_NS0_19identity_decomposerEEE10hipError_tT1_T2_T3_T4_jRjT5_jjP12ihipStream_tbEUlT_E_NS1_11comp_targetILNS1_3genE3ELNS1_11target_archE908ELNS1_3gpuE7ELNS1_3repE0EEENS1_44radix_sort_block_sort_config_static_selectorELNS0_4arch9wavefront6targetE1EEEvSJ_.numbered_sgpr, 0
	.set _ZN7rocprim17ROCPRIM_400000_NS6detail17trampoline_kernelINS0_13kernel_configILj256ELj4ELj4294967295EEENS1_37radix_sort_block_sort_config_selectorIiNS0_10empty_typeEEEZNS1_21radix_sort_block_sortIS4_Lb1EN6thrust23THRUST_200600_302600_NS6detail15normal_iteratorINSA_10device_ptrIiEEEESF_PS6_SG_NS0_19identity_decomposerEEE10hipError_tT1_T2_T3_T4_jRjT5_jjP12ihipStream_tbEUlT_E_NS1_11comp_targetILNS1_3genE3ELNS1_11target_archE908ELNS1_3gpuE7ELNS1_3repE0EEENS1_44radix_sort_block_sort_config_static_selectorELNS0_4arch9wavefront6targetE1EEEvSJ_.num_named_barrier, 0
	.set _ZN7rocprim17ROCPRIM_400000_NS6detail17trampoline_kernelINS0_13kernel_configILj256ELj4ELj4294967295EEENS1_37radix_sort_block_sort_config_selectorIiNS0_10empty_typeEEEZNS1_21radix_sort_block_sortIS4_Lb1EN6thrust23THRUST_200600_302600_NS6detail15normal_iteratorINSA_10device_ptrIiEEEESF_PS6_SG_NS0_19identity_decomposerEEE10hipError_tT1_T2_T3_T4_jRjT5_jjP12ihipStream_tbEUlT_E_NS1_11comp_targetILNS1_3genE3ELNS1_11target_archE908ELNS1_3gpuE7ELNS1_3repE0EEENS1_44radix_sort_block_sort_config_static_selectorELNS0_4arch9wavefront6targetE1EEEvSJ_.private_seg_size, 0
	.set _ZN7rocprim17ROCPRIM_400000_NS6detail17trampoline_kernelINS0_13kernel_configILj256ELj4ELj4294967295EEENS1_37radix_sort_block_sort_config_selectorIiNS0_10empty_typeEEEZNS1_21radix_sort_block_sortIS4_Lb1EN6thrust23THRUST_200600_302600_NS6detail15normal_iteratorINSA_10device_ptrIiEEEESF_PS6_SG_NS0_19identity_decomposerEEE10hipError_tT1_T2_T3_T4_jRjT5_jjP12ihipStream_tbEUlT_E_NS1_11comp_targetILNS1_3genE3ELNS1_11target_archE908ELNS1_3gpuE7ELNS1_3repE0EEENS1_44radix_sort_block_sort_config_static_selectorELNS0_4arch9wavefront6targetE1EEEvSJ_.uses_vcc, 0
	.set _ZN7rocprim17ROCPRIM_400000_NS6detail17trampoline_kernelINS0_13kernel_configILj256ELj4ELj4294967295EEENS1_37radix_sort_block_sort_config_selectorIiNS0_10empty_typeEEEZNS1_21radix_sort_block_sortIS4_Lb1EN6thrust23THRUST_200600_302600_NS6detail15normal_iteratorINSA_10device_ptrIiEEEESF_PS6_SG_NS0_19identity_decomposerEEE10hipError_tT1_T2_T3_T4_jRjT5_jjP12ihipStream_tbEUlT_E_NS1_11comp_targetILNS1_3genE3ELNS1_11target_archE908ELNS1_3gpuE7ELNS1_3repE0EEENS1_44radix_sort_block_sort_config_static_selectorELNS0_4arch9wavefront6targetE1EEEvSJ_.uses_flat_scratch, 0
	.set _ZN7rocprim17ROCPRIM_400000_NS6detail17trampoline_kernelINS0_13kernel_configILj256ELj4ELj4294967295EEENS1_37radix_sort_block_sort_config_selectorIiNS0_10empty_typeEEEZNS1_21radix_sort_block_sortIS4_Lb1EN6thrust23THRUST_200600_302600_NS6detail15normal_iteratorINSA_10device_ptrIiEEEESF_PS6_SG_NS0_19identity_decomposerEEE10hipError_tT1_T2_T3_T4_jRjT5_jjP12ihipStream_tbEUlT_E_NS1_11comp_targetILNS1_3genE3ELNS1_11target_archE908ELNS1_3gpuE7ELNS1_3repE0EEENS1_44radix_sort_block_sort_config_static_selectorELNS0_4arch9wavefront6targetE1EEEvSJ_.has_dyn_sized_stack, 0
	.set _ZN7rocprim17ROCPRIM_400000_NS6detail17trampoline_kernelINS0_13kernel_configILj256ELj4ELj4294967295EEENS1_37radix_sort_block_sort_config_selectorIiNS0_10empty_typeEEEZNS1_21radix_sort_block_sortIS4_Lb1EN6thrust23THRUST_200600_302600_NS6detail15normal_iteratorINSA_10device_ptrIiEEEESF_PS6_SG_NS0_19identity_decomposerEEE10hipError_tT1_T2_T3_T4_jRjT5_jjP12ihipStream_tbEUlT_E_NS1_11comp_targetILNS1_3genE3ELNS1_11target_archE908ELNS1_3gpuE7ELNS1_3repE0EEENS1_44radix_sort_block_sort_config_static_selectorELNS0_4arch9wavefront6targetE1EEEvSJ_.has_recursion, 0
	.set _ZN7rocprim17ROCPRIM_400000_NS6detail17trampoline_kernelINS0_13kernel_configILj256ELj4ELj4294967295EEENS1_37radix_sort_block_sort_config_selectorIiNS0_10empty_typeEEEZNS1_21radix_sort_block_sortIS4_Lb1EN6thrust23THRUST_200600_302600_NS6detail15normal_iteratorINSA_10device_ptrIiEEEESF_PS6_SG_NS0_19identity_decomposerEEE10hipError_tT1_T2_T3_T4_jRjT5_jjP12ihipStream_tbEUlT_E_NS1_11comp_targetILNS1_3genE3ELNS1_11target_archE908ELNS1_3gpuE7ELNS1_3repE0EEENS1_44radix_sort_block_sort_config_static_selectorELNS0_4arch9wavefront6targetE1EEEvSJ_.has_indirect_call, 0
	.section	.AMDGPU.csdata,"",@progbits
; Kernel info:
; codeLenInByte = 0
; TotalNumSgprs: 6
; NumVgprs: 0
; NumAgprs: 0
; TotalNumVgprs: 0
; ScratchSize: 0
; MemoryBound: 0
; FloatMode: 240
; IeeeMode: 1
; LDSByteSize: 0 bytes/workgroup (compile time only)
; SGPRBlocks: 0
; VGPRBlocks: 0
; NumSGPRsForWavesPerEU: 6
; NumVGPRsForWavesPerEU: 1
; AccumOffset: 4
; Occupancy: 8
; WaveLimiterHint : 0
; COMPUTE_PGM_RSRC2:SCRATCH_EN: 0
; COMPUTE_PGM_RSRC2:USER_SGPR: 2
; COMPUTE_PGM_RSRC2:TRAP_HANDLER: 0
; COMPUTE_PGM_RSRC2:TGID_X_EN: 1
; COMPUTE_PGM_RSRC2:TGID_Y_EN: 0
; COMPUTE_PGM_RSRC2:TGID_Z_EN: 0
; COMPUTE_PGM_RSRC2:TIDIG_COMP_CNT: 0
; COMPUTE_PGM_RSRC3_GFX90A:ACCUM_OFFSET: 0
; COMPUTE_PGM_RSRC3_GFX90A:TG_SPLIT: 0
	.section	.text._ZN7rocprim17ROCPRIM_400000_NS6detail17trampoline_kernelINS0_13kernel_configILj256ELj4ELj4294967295EEENS1_37radix_sort_block_sort_config_selectorIiNS0_10empty_typeEEEZNS1_21radix_sort_block_sortIS4_Lb1EN6thrust23THRUST_200600_302600_NS6detail15normal_iteratorINSA_10device_ptrIiEEEESF_PS6_SG_NS0_19identity_decomposerEEE10hipError_tT1_T2_T3_T4_jRjT5_jjP12ihipStream_tbEUlT_E_NS1_11comp_targetILNS1_3genE2ELNS1_11target_archE906ELNS1_3gpuE6ELNS1_3repE0EEENS1_44radix_sort_block_sort_config_static_selectorELNS0_4arch9wavefront6targetE1EEEvSJ_,"axG",@progbits,_ZN7rocprim17ROCPRIM_400000_NS6detail17trampoline_kernelINS0_13kernel_configILj256ELj4ELj4294967295EEENS1_37radix_sort_block_sort_config_selectorIiNS0_10empty_typeEEEZNS1_21radix_sort_block_sortIS4_Lb1EN6thrust23THRUST_200600_302600_NS6detail15normal_iteratorINSA_10device_ptrIiEEEESF_PS6_SG_NS0_19identity_decomposerEEE10hipError_tT1_T2_T3_T4_jRjT5_jjP12ihipStream_tbEUlT_E_NS1_11comp_targetILNS1_3genE2ELNS1_11target_archE906ELNS1_3gpuE6ELNS1_3repE0EEENS1_44radix_sort_block_sort_config_static_selectorELNS0_4arch9wavefront6targetE1EEEvSJ_,comdat
	.protected	_ZN7rocprim17ROCPRIM_400000_NS6detail17trampoline_kernelINS0_13kernel_configILj256ELj4ELj4294967295EEENS1_37radix_sort_block_sort_config_selectorIiNS0_10empty_typeEEEZNS1_21radix_sort_block_sortIS4_Lb1EN6thrust23THRUST_200600_302600_NS6detail15normal_iteratorINSA_10device_ptrIiEEEESF_PS6_SG_NS0_19identity_decomposerEEE10hipError_tT1_T2_T3_T4_jRjT5_jjP12ihipStream_tbEUlT_E_NS1_11comp_targetILNS1_3genE2ELNS1_11target_archE906ELNS1_3gpuE6ELNS1_3repE0EEENS1_44radix_sort_block_sort_config_static_selectorELNS0_4arch9wavefront6targetE1EEEvSJ_ ; -- Begin function _ZN7rocprim17ROCPRIM_400000_NS6detail17trampoline_kernelINS0_13kernel_configILj256ELj4ELj4294967295EEENS1_37radix_sort_block_sort_config_selectorIiNS0_10empty_typeEEEZNS1_21radix_sort_block_sortIS4_Lb1EN6thrust23THRUST_200600_302600_NS6detail15normal_iteratorINSA_10device_ptrIiEEEESF_PS6_SG_NS0_19identity_decomposerEEE10hipError_tT1_T2_T3_T4_jRjT5_jjP12ihipStream_tbEUlT_E_NS1_11comp_targetILNS1_3genE2ELNS1_11target_archE906ELNS1_3gpuE6ELNS1_3repE0EEENS1_44radix_sort_block_sort_config_static_selectorELNS0_4arch9wavefront6targetE1EEEvSJ_
	.globl	_ZN7rocprim17ROCPRIM_400000_NS6detail17trampoline_kernelINS0_13kernel_configILj256ELj4ELj4294967295EEENS1_37radix_sort_block_sort_config_selectorIiNS0_10empty_typeEEEZNS1_21radix_sort_block_sortIS4_Lb1EN6thrust23THRUST_200600_302600_NS6detail15normal_iteratorINSA_10device_ptrIiEEEESF_PS6_SG_NS0_19identity_decomposerEEE10hipError_tT1_T2_T3_T4_jRjT5_jjP12ihipStream_tbEUlT_E_NS1_11comp_targetILNS1_3genE2ELNS1_11target_archE906ELNS1_3gpuE6ELNS1_3repE0EEENS1_44radix_sort_block_sort_config_static_selectorELNS0_4arch9wavefront6targetE1EEEvSJ_
	.p2align	8
	.type	_ZN7rocprim17ROCPRIM_400000_NS6detail17trampoline_kernelINS0_13kernel_configILj256ELj4ELj4294967295EEENS1_37radix_sort_block_sort_config_selectorIiNS0_10empty_typeEEEZNS1_21radix_sort_block_sortIS4_Lb1EN6thrust23THRUST_200600_302600_NS6detail15normal_iteratorINSA_10device_ptrIiEEEESF_PS6_SG_NS0_19identity_decomposerEEE10hipError_tT1_T2_T3_T4_jRjT5_jjP12ihipStream_tbEUlT_E_NS1_11comp_targetILNS1_3genE2ELNS1_11target_archE906ELNS1_3gpuE6ELNS1_3repE0EEENS1_44radix_sort_block_sort_config_static_selectorELNS0_4arch9wavefront6targetE1EEEvSJ_,@function
_ZN7rocprim17ROCPRIM_400000_NS6detail17trampoline_kernelINS0_13kernel_configILj256ELj4ELj4294967295EEENS1_37radix_sort_block_sort_config_selectorIiNS0_10empty_typeEEEZNS1_21radix_sort_block_sortIS4_Lb1EN6thrust23THRUST_200600_302600_NS6detail15normal_iteratorINSA_10device_ptrIiEEEESF_PS6_SG_NS0_19identity_decomposerEEE10hipError_tT1_T2_T3_T4_jRjT5_jjP12ihipStream_tbEUlT_E_NS1_11comp_targetILNS1_3genE2ELNS1_11target_archE906ELNS1_3gpuE6ELNS1_3repE0EEENS1_44radix_sort_block_sort_config_static_selectorELNS0_4arch9wavefront6targetE1EEEvSJ_: ; @_ZN7rocprim17ROCPRIM_400000_NS6detail17trampoline_kernelINS0_13kernel_configILj256ELj4ELj4294967295EEENS1_37radix_sort_block_sort_config_selectorIiNS0_10empty_typeEEEZNS1_21radix_sort_block_sortIS4_Lb1EN6thrust23THRUST_200600_302600_NS6detail15normal_iteratorINSA_10device_ptrIiEEEESF_PS6_SG_NS0_19identity_decomposerEEE10hipError_tT1_T2_T3_T4_jRjT5_jjP12ihipStream_tbEUlT_E_NS1_11comp_targetILNS1_3genE2ELNS1_11target_archE906ELNS1_3gpuE6ELNS1_3repE0EEENS1_44radix_sort_block_sort_config_static_selectorELNS0_4arch9wavefront6targetE1EEEvSJ_
; %bb.0:
	.section	.rodata,"a",@progbits
	.p2align	6, 0x0
	.amdhsa_kernel _ZN7rocprim17ROCPRIM_400000_NS6detail17trampoline_kernelINS0_13kernel_configILj256ELj4ELj4294967295EEENS1_37radix_sort_block_sort_config_selectorIiNS0_10empty_typeEEEZNS1_21radix_sort_block_sortIS4_Lb1EN6thrust23THRUST_200600_302600_NS6detail15normal_iteratorINSA_10device_ptrIiEEEESF_PS6_SG_NS0_19identity_decomposerEEE10hipError_tT1_T2_T3_T4_jRjT5_jjP12ihipStream_tbEUlT_E_NS1_11comp_targetILNS1_3genE2ELNS1_11target_archE906ELNS1_3gpuE6ELNS1_3repE0EEENS1_44radix_sort_block_sort_config_static_selectorELNS0_4arch9wavefront6targetE1EEEvSJ_
		.amdhsa_group_segment_fixed_size 0
		.amdhsa_private_segment_fixed_size 0
		.amdhsa_kernarg_size 48
		.amdhsa_user_sgpr_count 2
		.amdhsa_user_sgpr_dispatch_ptr 0
		.amdhsa_user_sgpr_queue_ptr 0
		.amdhsa_user_sgpr_kernarg_segment_ptr 1
		.amdhsa_user_sgpr_dispatch_id 0
		.amdhsa_user_sgpr_kernarg_preload_length 0
		.amdhsa_user_sgpr_kernarg_preload_offset 0
		.amdhsa_user_sgpr_private_segment_size 0
		.amdhsa_uses_dynamic_stack 0
		.amdhsa_enable_private_segment 0
		.amdhsa_system_sgpr_workgroup_id_x 1
		.amdhsa_system_sgpr_workgroup_id_y 0
		.amdhsa_system_sgpr_workgroup_id_z 0
		.amdhsa_system_sgpr_workgroup_info 0
		.amdhsa_system_vgpr_workitem_id 0
		.amdhsa_next_free_vgpr 1
		.amdhsa_next_free_sgpr 0
		.amdhsa_accum_offset 4
		.amdhsa_reserve_vcc 0
		.amdhsa_float_round_mode_32 0
		.amdhsa_float_round_mode_16_64 0
		.amdhsa_float_denorm_mode_32 3
		.amdhsa_float_denorm_mode_16_64 3
		.amdhsa_dx10_clamp 1
		.amdhsa_ieee_mode 1
		.amdhsa_fp16_overflow 0
		.amdhsa_tg_split 0
		.amdhsa_exception_fp_ieee_invalid_op 0
		.amdhsa_exception_fp_denorm_src 0
		.amdhsa_exception_fp_ieee_div_zero 0
		.amdhsa_exception_fp_ieee_overflow 0
		.amdhsa_exception_fp_ieee_underflow 0
		.amdhsa_exception_fp_ieee_inexact 0
		.amdhsa_exception_int_div_zero 0
	.end_amdhsa_kernel
	.section	.text._ZN7rocprim17ROCPRIM_400000_NS6detail17trampoline_kernelINS0_13kernel_configILj256ELj4ELj4294967295EEENS1_37radix_sort_block_sort_config_selectorIiNS0_10empty_typeEEEZNS1_21radix_sort_block_sortIS4_Lb1EN6thrust23THRUST_200600_302600_NS6detail15normal_iteratorINSA_10device_ptrIiEEEESF_PS6_SG_NS0_19identity_decomposerEEE10hipError_tT1_T2_T3_T4_jRjT5_jjP12ihipStream_tbEUlT_E_NS1_11comp_targetILNS1_3genE2ELNS1_11target_archE906ELNS1_3gpuE6ELNS1_3repE0EEENS1_44radix_sort_block_sort_config_static_selectorELNS0_4arch9wavefront6targetE1EEEvSJ_,"axG",@progbits,_ZN7rocprim17ROCPRIM_400000_NS6detail17trampoline_kernelINS0_13kernel_configILj256ELj4ELj4294967295EEENS1_37radix_sort_block_sort_config_selectorIiNS0_10empty_typeEEEZNS1_21radix_sort_block_sortIS4_Lb1EN6thrust23THRUST_200600_302600_NS6detail15normal_iteratorINSA_10device_ptrIiEEEESF_PS6_SG_NS0_19identity_decomposerEEE10hipError_tT1_T2_T3_T4_jRjT5_jjP12ihipStream_tbEUlT_E_NS1_11comp_targetILNS1_3genE2ELNS1_11target_archE906ELNS1_3gpuE6ELNS1_3repE0EEENS1_44radix_sort_block_sort_config_static_selectorELNS0_4arch9wavefront6targetE1EEEvSJ_,comdat
.Lfunc_end217:
	.size	_ZN7rocprim17ROCPRIM_400000_NS6detail17trampoline_kernelINS0_13kernel_configILj256ELj4ELj4294967295EEENS1_37radix_sort_block_sort_config_selectorIiNS0_10empty_typeEEEZNS1_21radix_sort_block_sortIS4_Lb1EN6thrust23THRUST_200600_302600_NS6detail15normal_iteratorINSA_10device_ptrIiEEEESF_PS6_SG_NS0_19identity_decomposerEEE10hipError_tT1_T2_T3_T4_jRjT5_jjP12ihipStream_tbEUlT_E_NS1_11comp_targetILNS1_3genE2ELNS1_11target_archE906ELNS1_3gpuE6ELNS1_3repE0EEENS1_44radix_sort_block_sort_config_static_selectorELNS0_4arch9wavefront6targetE1EEEvSJ_, .Lfunc_end217-_ZN7rocprim17ROCPRIM_400000_NS6detail17trampoline_kernelINS0_13kernel_configILj256ELj4ELj4294967295EEENS1_37radix_sort_block_sort_config_selectorIiNS0_10empty_typeEEEZNS1_21radix_sort_block_sortIS4_Lb1EN6thrust23THRUST_200600_302600_NS6detail15normal_iteratorINSA_10device_ptrIiEEEESF_PS6_SG_NS0_19identity_decomposerEEE10hipError_tT1_T2_T3_T4_jRjT5_jjP12ihipStream_tbEUlT_E_NS1_11comp_targetILNS1_3genE2ELNS1_11target_archE906ELNS1_3gpuE6ELNS1_3repE0EEENS1_44radix_sort_block_sort_config_static_selectorELNS0_4arch9wavefront6targetE1EEEvSJ_
                                        ; -- End function
	.set _ZN7rocprim17ROCPRIM_400000_NS6detail17trampoline_kernelINS0_13kernel_configILj256ELj4ELj4294967295EEENS1_37radix_sort_block_sort_config_selectorIiNS0_10empty_typeEEEZNS1_21radix_sort_block_sortIS4_Lb1EN6thrust23THRUST_200600_302600_NS6detail15normal_iteratorINSA_10device_ptrIiEEEESF_PS6_SG_NS0_19identity_decomposerEEE10hipError_tT1_T2_T3_T4_jRjT5_jjP12ihipStream_tbEUlT_E_NS1_11comp_targetILNS1_3genE2ELNS1_11target_archE906ELNS1_3gpuE6ELNS1_3repE0EEENS1_44radix_sort_block_sort_config_static_selectorELNS0_4arch9wavefront6targetE1EEEvSJ_.num_vgpr, 0
	.set _ZN7rocprim17ROCPRIM_400000_NS6detail17trampoline_kernelINS0_13kernel_configILj256ELj4ELj4294967295EEENS1_37radix_sort_block_sort_config_selectorIiNS0_10empty_typeEEEZNS1_21radix_sort_block_sortIS4_Lb1EN6thrust23THRUST_200600_302600_NS6detail15normal_iteratorINSA_10device_ptrIiEEEESF_PS6_SG_NS0_19identity_decomposerEEE10hipError_tT1_T2_T3_T4_jRjT5_jjP12ihipStream_tbEUlT_E_NS1_11comp_targetILNS1_3genE2ELNS1_11target_archE906ELNS1_3gpuE6ELNS1_3repE0EEENS1_44radix_sort_block_sort_config_static_selectorELNS0_4arch9wavefront6targetE1EEEvSJ_.num_agpr, 0
	.set _ZN7rocprim17ROCPRIM_400000_NS6detail17trampoline_kernelINS0_13kernel_configILj256ELj4ELj4294967295EEENS1_37radix_sort_block_sort_config_selectorIiNS0_10empty_typeEEEZNS1_21radix_sort_block_sortIS4_Lb1EN6thrust23THRUST_200600_302600_NS6detail15normal_iteratorINSA_10device_ptrIiEEEESF_PS6_SG_NS0_19identity_decomposerEEE10hipError_tT1_T2_T3_T4_jRjT5_jjP12ihipStream_tbEUlT_E_NS1_11comp_targetILNS1_3genE2ELNS1_11target_archE906ELNS1_3gpuE6ELNS1_3repE0EEENS1_44radix_sort_block_sort_config_static_selectorELNS0_4arch9wavefront6targetE1EEEvSJ_.numbered_sgpr, 0
	.set _ZN7rocprim17ROCPRIM_400000_NS6detail17trampoline_kernelINS0_13kernel_configILj256ELj4ELj4294967295EEENS1_37radix_sort_block_sort_config_selectorIiNS0_10empty_typeEEEZNS1_21radix_sort_block_sortIS4_Lb1EN6thrust23THRUST_200600_302600_NS6detail15normal_iteratorINSA_10device_ptrIiEEEESF_PS6_SG_NS0_19identity_decomposerEEE10hipError_tT1_T2_T3_T4_jRjT5_jjP12ihipStream_tbEUlT_E_NS1_11comp_targetILNS1_3genE2ELNS1_11target_archE906ELNS1_3gpuE6ELNS1_3repE0EEENS1_44radix_sort_block_sort_config_static_selectorELNS0_4arch9wavefront6targetE1EEEvSJ_.num_named_barrier, 0
	.set _ZN7rocprim17ROCPRIM_400000_NS6detail17trampoline_kernelINS0_13kernel_configILj256ELj4ELj4294967295EEENS1_37radix_sort_block_sort_config_selectorIiNS0_10empty_typeEEEZNS1_21radix_sort_block_sortIS4_Lb1EN6thrust23THRUST_200600_302600_NS6detail15normal_iteratorINSA_10device_ptrIiEEEESF_PS6_SG_NS0_19identity_decomposerEEE10hipError_tT1_T2_T3_T4_jRjT5_jjP12ihipStream_tbEUlT_E_NS1_11comp_targetILNS1_3genE2ELNS1_11target_archE906ELNS1_3gpuE6ELNS1_3repE0EEENS1_44radix_sort_block_sort_config_static_selectorELNS0_4arch9wavefront6targetE1EEEvSJ_.private_seg_size, 0
	.set _ZN7rocprim17ROCPRIM_400000_NS6detail17trampoline_kernelINS0_13kernel_configILj256ELj4ELj4294967295EEENS1_37radix_sort_block_sort_config_selectorIiNS0_10empty_typeEEEZNS1_21radix_sort_block_sortIS4_Lb1EN6thrust23THRUST_200600_302600_NS6detail15normal_iteratorINSA_10device_ptrIiEEEESF_PS6_SG_NS0_19identity_decomposerEEE10hipError_tT1_T2_T3_T4_jRjT5_jjP12ihipStream_tbEUlT_E_NS1_11comp_targetILNS1_3genE2ELNS1_11target_archE906ELNS1_3gpuE6ELNS1_3repE0EEENS1_44radix_sort_block_sort_config_static_selectorELNS0_4arch9wavefront6targetE1EEEvSJ_.uses_vcc, 0
	.set _ZN7rocprim17ROCPRIM_400000_NS6detail17trampoline_kernelINS0_13kernel_configILj256ELj4ELj4294967295EEENS1_37radix_sort_block_sort_config_selectorIiNS0_10empty_typeEEEZNS1_21radix_sort_block_sortIS4_Lb1EN6thrust23THRUST_200600_302600_NS6detail15normal_iteratorINSA_10device_ptrIiEEEESF_PS6_SG_NS0_19identity_decomposerEEE10hipError_tT1_T2_T3_T4_jRjT5_jjP12ihipStream_tbEUlT_E_NS1_11comp_targetILNS1_3genE2ELNS1_11target_archE906ELNS1_3gpuE6ELNS1_3repE0EEENS1_44radix_sort_block_sort_config_static_selectorELNS0_4arch9wavefront6targetE1EEEvSJ_.uses_flat_scratch, 0
	.set _ZN7rocprim17ROCPRIM_400000_NS6detail17trampoline_kernelINS0_13kernel_configILj256ELj4ELj4294967295EEENS1_37radix_sort_block_sort_config_selectorIiNS0_10empty_typeEEEZNS1_21radix_sort_block_sortIS4_Lb1EN6thrust23THRUST_200600_302600_NS6detail15normal_iteratorINSA_10device_ptrIiEEEESF_PS6_SG_NS0_19identity_decomposerEEE10hipError_tT1_T2_T3_T4_jRjT5_jjP12ihipStream_tbEUlT_E_NS1_11comp_targetILNS1_3genE2ELNS1_11target_archE906ELNS1_3gpuE6ELNS1_3repE0EEENS1_44radix_sort_block_sort_config_static_selectorELNS0_4arch9wavefront6targetE1EEEvSJ_.has_dyn_sized_stack, 0
	.set _ZN7rocprim17ROCPRIM_400000_NS6detail17trampoline_kernelINS0_13kernel_configILj256ELj4ELj4294967295EEENS1_37radix_sort_block_sort_config_selectorIiNS0_10empty_typeEEEZNS1_21radix_sort_block_sortIS4_Lb1EN6thrust23THRUST_200600_302600_NS6detail15normal_iteratorINSA_10device_ptrIiEEEESF_PS6_SG_NS0_19identity_decomposerEEE10hipError_tT1_T2_T3_T4_jRjT5_jjP12ihipStream_tbEUlT_E_NS1_11comp_targetILNS1_3genE2ELNS1_11target_archE906ELNS1_3gpuE6ELNS1_3repE0EEENS1_44radix_sort_block_sort_config_static_selectorELNS0_4arch9wavefront6targetE1EEEvSJ_.has_recursion, 0
	.set _ZN7rocprim17ROCPRIM_400000_NS6detail17trampoline_kernelINS0_13kernel_configILj256ELj4ELj4294967295EEENS1_37radix_sort_block_sort_config_selectorIiNS0_10empty_typeEEEZNS1_21radix_sort_block_sortIS4_Lb1EN6thrust23THRUST_200600_302600_NS6detail15normal_iteratorINSA_10device_ptrIiEEEESF_PS6_SG_NS0_19identity_decomposerEEE10hipError_tT1_T2_T3_T4_jRjT5_jjP12ihipStream_tbEUlT_E_NS1_11comp_targetILNS1_3genE2ELNS1_11target_archE906ELNS1_3gpuE6ELNS1_3repE0EEENS1_44radix_sort_block_sort_config_static_selectorELNS0_4arch9wavefront6targetE1EEEvSJ_.has_indirect_call, 0
	.section	.AMDGPU.csdata,"",@progbits
; Kernel info:
; codeLenInByte = 0
; TotalNumSgprs: 6
; NumVgprs: 0
; NumAgprs: 0
; TotalNumVgprs: 0
; ScratchSize: 0
; MemoryBound: 0
; FloatMode: 240
; IeeeMode: 1
; LDSByteSize: 0 bytes/workgroup (compile time only)
; SGPRBlocks: 0
; VGPRBlocks: 0
; NumSGPRsForWavesPerEU: 6
; NumVGPRsForWavesPerEU: 1
; AccumOffset: 4
; Occupancy: 8
; WaveLimiterHint : 0
; COMPUTE_PGM_RSRC2:SCRATCH_EN: 0
; COMPUTE_PGM_RSRC2:USER_SGPR: 2
; COMPUTE_PGM_RSRC2:TRAP_HANDLER: 0
; COMPUTE_PGM_RSRC2:TGID_X_EN: 1
; COMPUTE_PGM_RSRC2:TGID_Y_EN: 0
; COMPUTE_PGM_RSRC2:TGID_Z_EN: 0
; COMPUTE_PGM_RSRC2:TIDIG_COMP_CNT: 0
; COMPUTE_PGM_RSRC3_GFX90A:ACCUM_OFFSET: 0
; COMPUTE_PGM_RSRC3_GFX90A:TG_SPLIT: 0
	.section	.text._ZN7rocprim17ROCPRIM_400000_NS6detail17trampoline_kernelINS0_13kernel_configILj256ELj4ELj4294967295EEENS1_37radix_sort_block_sort_config_selectorIiNS0_10empty_typeEEEZNS1_21radix_sort_block_sortIS4_Lb1EN6thrust23THRUST_200600_302600_NS6detail15normal_iteratorINSA_10device_ptrIiEEEESF_PS6_SG_NS0_19identity_decomposerEEE10hipError_tT1_T2_T3_T4_jRjT5_jjP12ihipStream_tbEUlT_E_NS1_11comp_targetILNS1_3genE10ELNS1_11target_archE1201ELNS1_3gpuE5ELNS1_3repE0EEENS1_44radix_sort_block_sort_config_static_selectorELNS0_4arch9wavefront6targetE1EEEvSJ_,"axG",@progbits,_ZN7rocprim17ROCPRIM_400000_NS6detail17trampoline_kernelINS0_13kernel_configILj256ELj4ELj4294967295EEENS1_37radix_sort_block_sort_config_selectorIiNS0_10empty_typeEEEZNS1_21radix_sort_block_sortIS4_Lb1EN6thrust23THRUST_200600_302600_NS6detail15normal_iteratorINSA_10device_ptrIiEEEESF_PS6_SG_NS0_19identity_decomposerEEE10hipError_tT1_T2_T3_T4_jRjT5_jjP12ihipStream_tbEUlT_E_NS1_11comp_targetILNS1_3genE10ELNS1_11target_archE1201ELNS1_3gpuE5ELNS1_3repE0EEENS1_44radix_sort_block_sort_config_static_selectorELNS0_4arch9wavefront6targetE1EEEvSJ_,comdat
	.protected	_ZN7rocprim17ROCPRIM_400000_NS6detail17trampoline_kernelINS0_13kernel_configILj256ELj4ELj4294967295EEENS1_37radix_sort_block_sort_config_selectorIiNS0_10empty_typeEEEZNS1_21radix_sort_block_sortIS4_Lb1EN6thrust23THRUST_200600_302600_NS6detail15normal_iteratorINSA_10device_ptrIiEEEESF_PS6_SG_NS0_19identity_decomposerEEE10hipError_tT1_T2_T3_T4_jRjT5_jjP12ihipStream_tbEUlT_E_NS1_11comp_targetILNS1_3genE10ELNS1_11target_archE1201ELNS1_3gpuE5ELNS1_3repE0EEENS1_44radix_sort_block_sort_config_static_selectorELNS0_4arch9wavefront6targetE1EEEvSJ_ ; -- Begin function _ZN7rocprim17ROCPRIM_400000_NS6detail17trampoline_kernelINS0_13kernel_configILj256ELj4ELj4294967295EEENS1_37radix_sort_block_sort_config_selectorIiNS0_10empty_typeEEEZNS1_21radix_sort_block_sortIS4_Lb1EN6thrust23THRUST_200600_302600_NS6detail15normal_iteratorINSA_10device_ptrIiEEEESF_PS6_SG_NS0_19identity_decomposerEEE10hipError_tT1_T2_T3_T4_jRjT5_jjP12ihipStream_tbEUlT_E_NS1_11comp_targetILNS1_3genE10ELNS1_11target_archE1201ELNS1_3gpuE5ELNS1_3repE0EEENS1_44radix_sort_block_sort_config_static_selectorELNS0_4arch9wavefront6targetE1EEEvSJ_
	.globl	_ZN7rocprim17ROCPRIM_400000_NS6detail17trampoline_kernelINS0_13kernel_configILj256ELj4ELj4294967295EEENS1_37radix_sort_block_sort_config_selectorIiNS0_10empty_typeEEEZNS1_21radix_sort_block_sortIS4_Lb1EN6thrust23THRUST_200600_302600_NS6detail15normal_iteratorINSA_10device_ptrIiEEEESF_PS6_SG_NS0_19identity_decomposerEEE10hipError_tT1_T2_T3_T4_jRjT5_jjP12ihipStream_tbEUlT_E_NS1_11comp_targetILNS1_3genE10ELNS1_11target_archE1201ELNS1_3gpuE5ELNS1_3repE0EEENS1_44radix_sort_block_sort_config_static_selectorELNS0_4arch9wavefront6targetE1EEEvSJ_
	.p2align	8
	.type	_ZN7rocprim17ROCPRIM_400000_NS6detail17trampoline_kernelINS0_13kernel_configILj256ELj4ELj4294967295EEENS1_37radix_sort_block_sort_config_selectorIiNS0_10empty_typeEEEZNS1_21radix_sort_block_sortIS4_Lb1EN6thrust23THRUST_200600_302600_NS6detail15normal_iteratorINSA_10device_ptrIiEEEESF_PS6_SG_NS0_19identity_decomposerEEE10hipError_tT1_T2_T3_T4_jRjT5_jjP12ihipStream_tbEUlT_E_NS1_11comp_targetILNS1_3genE10ELNS1_11target_archE1201ELNS1_3gpuE5ELNS1_3repE0EEENS1_44radix_sort_block_sort_config_static_selectorELNS0_4arch9wavefront6targetE1EEEvSJ_,@function
_ZN7rocprim17ROCPRIM_400000_NS6detail17trampoline_kernelINS0_13kernel_configILj256ELj4ELj4294967295EEENS1_37radix_sort_block_sort_config_selectorIiNS0_10empty_typeEEEZNS1_21radix_sort_block_sortIS4_Lb1EN6thrust23THRUST_200600_302600_NS6detail15normal_iteratorINSA_10device_ptrIiEEEESF_PS6_SG_NS0_19identity_decomposerEEE10hipError_tT1_T2_T3_T4_jRjT5_jjP12ihipStream_tbEUlT_E_NS1_11comp_targetILNS1_3genE10ELNS1_11target_archE1201ELNS1_3gpuE5ELNS1_3repE0EEENS1_44radix_sort_block_sort_config_static_selectorELNS0_4arch9wavefront6targetE1EEEvSJ_: ; @_ZN7rocprim17ROCPRIM_400000_NS6detail17trampoline_kernelINS0_13kernel_configILj256ELj4ELj4294967295EEENS1_37radix_sort_block_sort_config_selectorIiNS0_10empty_typeEEEZNS1_21radix_sort_block_sortIS4_Lb1EN6thrust23THRUST_200600_302600_NS6detail15normal_iteratorINSA_10device_ptrIiEEEESF_PS6_SG_NS0_19identity_decomposerEEE10hipError_tT1_T2_T3_T4_jRjT5_jjP12ihipStream_tbEUlT_E_NS1_11comp_targetILNS1_3genE10ELNS1_11target_archE1201ELNS1_3gpuE5ELNS1_3repE0EEENS1_44radix_sort_block_sort_config_static_selectorELNS0_4arch9wavefront6targetE1EEEvSJ_
; %bb.0:
	.section	.rodata,"a",@progbits
	.p2align	6, 0x0
	.amdhsa_kernel _ZN7rocprim17ROCPRIM_400000_NS6detail17trampoline_kernelINS0_13kernel_configILj256ELj4ELj4294967295EEENS1_37radix_sort_block_sort_config_selectorIiNS0_10empty_typeEEEZNS1_21radix_sort_block_sortIS4_Lb1EN6thrust23THRUST_200600_302600_NS6detail15normal_iteratorINSA_10device_ptrIiEEEESF_PS6_SG_NS0_19identity_decomposerEEE10hipError_tT1_T2_T3_T4_jRjT5_jjP12ihipStream_tbEUlT_E_NS1_11comp_targetILNS1_3genE10ELNS1_11target_archE1201ELNS1_3gpuE5ELNS1_3repE0EEENS1_44radix_sort_block_sort_config_static_selectorELNS0_4arch9wavefront6targetE1EEEvSJ_
		.amdhsa_group_segment_fixed_size 0
		.amdhsa_private_segment_fixed_size 0
		.amdhsa_kernarg_size 48
		.amdhsa_user_sgpr_count 2
		.amdhsa_user_sgpr_dispatch_ptr 0
		.amdhsa_user_sgpr_queue_ptr 0
		.amdhsa_user_sgpr_kernarg_segment_ptr 1
		.amdhsa_user_sgpr_dispatch_id 0
		.amdhsa_user_sgpr_kernarg_preload_length 0
		.amdhsa_user_sgpr_kernarg_preload_offset 0
		.amdhsa_user_sgpr_private_segment_size 0
		.amdhsa_uses_dynamic_stack 0
		.amdhsa_enable_private_segment 0
		.amdhsa_system_sgpr_workgroup_id_x 1
		.amdhsa_system_sgpr_workgroup_id_y 0
		.amdhsa_system_sgpr_workgroup_id_z 0
		.amdhsa_system_sgpr_workgroup_info 0
		.amdhsa_system_vgpr_workitem_id 0
		.amdhsa_next_free_vgpr 1
		.amdhsa_next_free_sgpr 0
		.amdhsa_accum_offset 4
		.amdhsa_reserve_vcc 0
		.amdhsa_float_round_mode_32 0
		.amdhsa_float_round_mode_16_64 0
		.amdhsa_float_denorm_mode_32 3
		.amdhsa_float_denorm_mode_16_64 3
		.amdhsa_dx10_clamp 1
		.amdhsa_ieee_mode 1
		.amdhsa_fp16_overflow 0
		.amdhsa_tg_split 0
		.amdhsa_exception_fp_ieee_invalid_op 0
		.amdhsa_exception_fp_denorm_src 0
		.amdhsa_exception_fp_ieee_div_zero 0
		.amdhsa_exception_fp_ieee_overflow 0
		.amdhsa_exception_fp_ieee_underflow 0
		.amdhsa_exception_fp_ieee_inexact 0
		.amdhsa_exception_int_div_zero 0
	.end_amdhsa_kernel
	.section	.text._ZN7rocprim17ROCPRIM_400000_NS6detail17trampoline_kernelINS0_13kernel_configILj256ELj4ELj4294967295EEENS1_37radix_sort_block_sort_config_selectorIiNS0_10empty_typeEEEZNS1_21radix_sort_block_sortIS4_Lb1EN6thrust23THRUST_200600_302600_NS6detail15normal_iteratorINSA_10device_ptrIiEEEESF_PS6_SG_NS0_19identity_decomposerEEE10hipError_tT1_T2_T3_T4_jRjT5_jjP12ihipStream_tbEUlT_E_NS1_11comp_targetILNS1_3genE10ELNS1_11target_archE1201ELNS1_3gpuE5ELNS1_3repE0EEENS1_44radix_sort_block_sort_config_static_selectorELNS0_4arch9wavefront6targetE1EEEvSJ_,"axG",@progbits,_ZN7rocprim17ROCPRIM_400000_NS6detail17trampoline_kernelINS0_13kernel_configILj256ELj4ELj4294967295EEENS1_37radix_sort_block_sort_config_selectorIiNS0_10empty_typeEEEZNS1_21radix_sort_block_sortIS4_Lb1EN6thrust23THRUST_200600_302600_NS6detail15normal_iteratorINSA_10device_ptrIiEEEESF_PS6_SG_NS0_19identity_decomposerEEE10hipError_tT1_T2_T3_T4_jRjT5_jjP12ihipStream_tbEUlT_E_NS1_11comp_targetILNS1_3genE10ELNS1_11target_archE1201ELNS1_3gpuE5ELNS1_3repE0EEENS1_44radix_sort_block_sort_config_static_selectorELNS0_4arch9wavefront6targetE1EEEvSJ_,comdat
.Lfunc_end218:
	.size	_ZN7rocprim17ROCPRIM_400000_NS6detail17trampoline_kernelINS0_13kernel_configILj256ELj4ELj4294967295EEENS1_37radix_sort_block_sort_config_selectorIiNS0_10empty_typeEEEZNS1_21radix_sort_block_sortIS4_Lb1EN6thrust23THRUST_200600_302600_NS6detail15normal_iteratorINSA_10device_ptrIiEEEESF_PS6_SG_NS0_19identity_decomposerEEE10hipError_tT1_T2_T3_T4_jRjT5_jjP12ihipStream_tbEUlT_E_NS1_11comp_targetILNS1_3genE10ELNS1_11target_archE1201ELNS1_3gpuE5ELNS1_3repE0EEENS1_44radix_sort_block_sort_config_static_selectorELNS0_4arch9wavefront6targetE1EEEvSJ_, .Lfunc_end218-_ZN7rocprim17ROCPRIM_400000_NS6detail17trampoline_kernelINS0_13kernel_configILj256ELj4ELj4294967295EEENS1_37radix_sort_block_sort_config_selectorIiNS0_10empty_typeEEEZNS1_21radix_sort_block_sortIS4_Lb1EN6thrust23THRUST_200600_302600_NS6detail15normal_iteratorINSA_10device_ptrIiEEEESF_PS6_SG_NS0_19identity_decomposerEEE10hipError_tT1_T2_T3_T4_jRjT5_jjP12ihipStream_tbEUlT_E_NS1_11comp_targetILNS1_3genE10ELNS1_11target_archE1201ELNS1_3gpuE5ELNS1_3repE0EEENS1_44radix_sort_block_sort_config_static_selectorELNS0_4arch9wavefront6targetE1EEEvSJ_
                                        ; -- End function
	.set _ZN7rocprim17ROCPRIM_400000_NS6detail17trampoline_kernelINS0_13kernel_configILj256ELj4ELj4294967295EEENS1_37radix_sort_block_sort_config_selectorIiNS0_10empty_typeEEEZNS1_21radix_sort_block_sortIS4_Lb1EN6thrust23THRUST_200600_302600_NS6detail15normal_iteratorINSA_10device_ptrIiEEEESF_PS6_SG_NS0_19identity_decomposerEEE10hipError_tT1_T2_T3_T4_jRjT5_jjP12ihipStream_tbEUlT_E_NS1_11comp_targetILNS1_3genE10ELNS1_11target_archE1201ELNS1_3gpuE5ELNS1_3repE0EEENS1_44radix_sort_block_sort_config_static_selectorELNS0_4arch9wavefront6targetE1EEEvSJ_.num_vgpr, 0
	.set _ZN7rocprim17ROCPRIM_400000_NS6detail17trampoline_kernelINS0_13kernel_configILj256ELj4ELj4294967295EEENS1_37radix_sort_block_sort_config_selectorIiNS0_10empty_typeEEEZNS1_21radix_sort_block_sortIS4_Lb1EN6thrust23THRUST_200600_302600_NS6detail15normal_iteratorINSA_10device_ptrIiEEEESF_PS6_SG_NS0_19identity_decomposerEEE10hipError_tT1_T2_T3_T4_jRjT5_jjP12ihipStream_tbEUlT_E_NS1_11comp_targetILNS1_3genE10ELNS1_11target_archE1201ELNS1_3gpuE5ELNS1_3repE0EEENS1_44radix_sort_block_sort_config_static_selectorELNS0_4arch9wavefront6targetE1EEEvSJ_.num_agpr, 0
	.set _ZN7rocprim17ROCPRIM_400000_NS6detail17trampoline_kernelINS0_13kernel_configILj256ELj4ELj4294967295EEENS1_37radix_sort_block_sort_config_selectorIiNS0_10empty_typeEEEZNS1_21radix_sort_block_sortIS4_Lb1EN6thrust23THRUST_200600_302600_NS6detail15normal_iteratorINSA_10device_ptrIiEEEESF_PS6_SG_NS0_19identity_decomposerEEE10hipError_tT1_T2_T3_T4_jRjT5_jjP12ihipStream_tbEUlT_E_NS1_11comp_targetILNS1_3genE10ELNS1_11target_archE1201ELNS1_3gpuE5ELNS1_3repE0EEENS1_44radix_sort_block_sort_config_static_selectorELNS0_4arch9wavefront6targetE1EEEvSJ_.numbered_sgpr, 0
	.set _ZN7rocprim17ROCPRIM_400000_NS6detail17trampoline_kernelINS0_13kernel_configILj256ELj4ELj4294967295EEENS1_37radix_sort_block_sort_config_selectorIiNS0_10empty_typeEEEZNS1_21radix_sort_block_sortIS4_Lb1EN6thrust23THRUST_200600_302600_NS6detail15normal_iteratorINSA_10device_ptrIiEEEESF_PS6_SG_NS0_19identity_decomposerEEE10hipError_tT1_T2_T3_T4_jRjT5_jjP12ihipStream_tbEUlT_E_NS1_11comp_targetILNS1_3genE10ELNS1_11target_archE1201ELNS1_3gpuE5ELNS1_3repE0EEENS1_44radix_sort_block_sort_config_static_selectorELNS0_4arch9wavefront6targetE1EEEvSJ_.num_named_barrier, 0
	.set _ZN7rocprim17ROCPRIM_400000_NS6detail17trampoline_kernelINS0_13kernel_configILj256ELj4ELj4294967295EEENS1_37radix_sort_block_sort_config_selectorIiNS0_10empty_typeEEEZNS1_21radix_sort_block_sortIS4_Lb1EN6thrust23THRUST_200600_302600_NS6detail15normal_iteratorINSA_10device_ptrIiEEEESF_PS6_SG_NS0_19identity_decomposerEEE10hipError_tT1_T2_T3_T4_jRjT5_jjP12ihipStream_tbEUlT_E_NS1_11comp_targetILNS1_3genE10ELNS1_11target_archE1201ELNS1_3gpuE5ELNS1_3repE0EEENS1_44radix_sort_block_sort_config_static_selectorELNS0_4arch9wavefront6targetE1EEEvSJ_.private_seg_size, 0
	.set _ZN7rocprim17ROCPRIM_400000_NS6detail17trampoline_kernelINS0_13kernel_configILj256ELj4ELj4294967295EEENS1_37radix_sort_block_sort_config_selectorIiNS0_10empty_typeEEEZNS1_21radix_sort_block_sortIS4_Lb1EN6thrust23THRUST_200600_302600_NS6detail15normal_iteratorINSA_10device_ptrIiEEEESF_PS6_SG_NS0_19identity_decomposerEEE10hipError_tT1_T2_T3_T4_jRjT5_jjP12ihipStream_tbEUlT_E_NS1_11comp_targetILNS1_3genE10ELNS1_11target_archE1201ELNS1_3gpuE5ELNS1_3repE0EEENS1_44radix_sort_block_sort_config_static_selectorELNS0_4arch9wavefront6targetE1EEEvSJ_.uses_vcc, 0
	.set _ZN7rocprim17ROCPRIM_400000_NS6detail17trampoline_kernelINS0_13kernel_configILj256ELj4ELj4294967295EEENS1_37radix_sort_block_sort_config_selectorIiNS0_10empty_typeEEEZNS1_21radix_sort_block_sortIS4_Lb1EN6thrust23THRUST_200600_302600_NS6detail15normal_iteratorINSA_10device_ptrIiEEEESF_PS6_SG_NS0_19identity_decomposerEEE10hipError_tT1_T2_T3_T4_jRjT5_jjP12ihipStream_tbEUlT_E_NS1_11comp_targetILNS1_3genE10ELNS1_11target_archE1201ELNS1_3gpuE5ELNS1_3repE0EEENS1_44radix_sort_block_sort_config_static_selectorELNS0_4arch9wavefront6targetE1EEEvSJ_.uses_flat_scratch, 0
	.set _ZN7rocprim17ROCPRIM_400000_NS6detail17trampoline_kernelINS0_13kernel_configILj256ELj4ELj4294967295EEENS1_37radix_sort_block_sort_config_selectorIiNS0_10empty_typeEEEZNS1_21radix_sort_block_sortIS4_Lb1EN6thrust23THRUST_200600_302600_NS6detail15normal_iteratorINSA_10device_ptrIiEEEESF_PS6_SG_NS0_19identity_decomposerEEE10hipError_tT1_T2_T3_T4_jRjT5_jjP12ihipStream_tbEUlT_E_NS1_11comp_targetILNS1_3genE10ELNS1_11target_archE1201ELNS1_3gpuE5ELNS1_3repE0EEENS1_44radix_sort_block_sort_config_static_selectorELNS0_4arch9wavefront6targetE1EEEvSJ_.has_dyn_sized_stack, 0
	.set _ZN7rocprim17ROCPRIM_400000_NS6detail17trampoline_kernelINS0_13kernel_configILj256ELj4ELj4294967295EEENS1_37radix_sort_block_sort_config_selectorIiNS0_10empty_typeEEEZNS1_21radix_sort_block_sortIS4_Lb1EN6thrust23THRUST_200600_302600_NS6detail15normal_iteratorINSA_10device_ptrIiEEEESF_PS6_SG_NS0_19identity_decomposerEEE10hipError_tT1_T2_T3_T4_jRjT5_jjP12ihipStream_tbEUlT_E_NS1_11comp_targetILNS1_3genE10ELNS1_11target_archE1201ELNS1_3gpuE5ELNS1_3repE0EEENS1_44radix_sort_block_sort_config_static_selectorELNS0_4arch9wavefront6targetE1EEEvSJ_.has_recursion, 0
	.set _ZN7rocprim17ROCPRIM_400000_NS6detail17trampoline_kernelINS0_13kernel_configILj256ELj4ELj4294967295EEENS1_37radix_sort_block_sort_config_selectorIiNS0_10empty_typeEEEZNS1_21radix_sort_block_sortIS4_Lb1EN6thrust23THRUST_200600_302600_NS6detail15normal_iteratorINSA_10device_ptrIiEEEESF_PS6_SG_NS0_19identity_decomposerEEE10hipError_tT1_T2_T3_T4_jRjT5_jjP12ihipStream_tbEUlT_E_NS1_11comp_targetILNS1_3genE10ELNS1_11target_archE1201ELNS1_3gpuE5ELNS1_3repE0EEENS1_44radix_sort_block_sort_config_static_selectorELNS0_4arch9wavefront6targetE1EEEvSJ_.has_indirect_call, 0
	.section	.AMDGPU.csdata,"",@progbits
; Kernel info:
; codeLenInByte = 0
; TotalNumSgprs: 6
; NumVgprs: 0
; NumAgprs: 0
; TotalNumVgprs: 0
; ScratchSize: 0
; MemoryBound: 0
; FloatMode: 240
; IeeeMode: 1
; LDSByteSize: 0 bytes/workgroup (compile time only)
; SGPRBlocks: 0
; VGPRBlocks: 0
; NumSGPRsForWavesPerEU: 6
; NumVGPRsForWavesPerEU: 1
; AccumOffset: 4
; Occupancy: 8
; WaveLimiterHint : 0
; COMPUTE_PGM_RSRC2:SCRATCH_EN: 0
; COMPUTE_PGM_RSRC2:USER_SGPR: 2
; COMPUTE_PGM_RSRC2:TRAP_HANDLER: 0
; COMPUTE_PGM_RSRC2:TGID_X_EN: 1
; COMPUTE_PGM_RSRC2:TGID_Y_EN: 0
; COMPUTE_PGM_RSRC2:TGID_Z_EN: 0
; COMPUTE_PGM_RSRC2:TIDIG_COMP_CNT: 0
; COMPUTE_PGM_RSRC3_GFX90A:ACCUM_OFFSET: 0
; COMPUTE_PGM_RSRC3_GFX90A:TG_SPLIT: 0
	.section	.text._ZN7rocprim17ROCPRIM_400000_NS6detail17trampoline_kernelINS0_13kernel_configILj256ELj4ELj4294967295EEENS1_37radix_sort_block_sort_config_selectorIiNS0_10empty_typeEEEZNS1_21radix_sort_block_sortIS4_Lb1EN6thrust23THRUST_200600_302600_NS6detail15normal_iteratorINSA_10device_ptrIiEEEESF_PS6_SG_NS0_19identity_decomposerEEE10hipError_tT1_T2_T3_T4_jRjT5_jjP12ihipStream_tbEUlT_E_NS1_11comp_targetILNS1_3genE10ELNS1_11target_archE1200ELNS1_3gpuE4ELNS1_3repE0EEENS1_44radix_sort_block_sort_config_static_selectorELNS0_4arch9wavefront6targetE1EEEvSJ_,"axG",@progbits,_ZN7rocprim17ROCPRIM_400000_NS6detail17trampoline_kernelINS0_13kernel_configILj256ELj4ELj4294967295EEENS1_37radix_sort_block_sort_config_selectorIiNS0_10empty_typeEEEZNS1_21radix_sort_block_sortIS4_Lb1EN6thrust23THRUST_200600_302600_NS6detail15normal_iteratorINSA_10device_ptrIiEEEESF_PS6_SG_NS0_19identity_decomposerEEE10hipError_tT1_T2_T3_T4_jRjT5_jjP12ihipStream_tbEUlT_E_NS1_11comp_targetILNS1_3genE10ELNS1_11target_archE1200ELNS1_3gpuE4ELNS1_3repE0EEENS1_44radix_sort_block_sort_config_static_selectorELNS0_4arch9wavefront6targetE1EEEvSJ_,comdat
	.protected	_ZN7rocprim17ROCPRIM_400000_NS6detail17trampoline_kernelINS0_13kernel_configILj256ELj4ELj4294967295EEENS1_37radix_sort_block_sort_config_selectorIiNS0_10empty_typeEEEZNS1_21radix_sort_block_sortIS4_Lb1EN6thrust23THRUST_200600_302600_NS6detail15normal_iteratorINSA_10device_ptrIiEEEESF_PS6_SG_NS0_19identity_decomposerEEE10hipError_tT1_T2_T3_T4_jRjT5_jjP12ihipStream_tbEUlT_E_NS1_11comp_targetILNS1_3genE10ELNS1_11target_archE1200ELNS1_3gpuE4ELNS1_3repE0EEENS1_44radix_sort_block_sort_config_static_selectorELNS0_4arch9wavefront6targetE1EEEvSJ_ ; -- Begin function _ZN7rocprim17ROCPRIM_400000_NS6detail17trampoline_kernelINS0_13kernel_configILj256ELj4ELj4294967295EEENS1_37radix_sort_block_sort_config_selectorIiNS0_10empty_typeEEEZNS1_21radix_sort_block_sortIS4_Lb1EN6thrust23THRUST_200600_302600_NS6detail15normal_iteratorINSA_10device_ptrIiEEEESF_PS6_SG_NS0_19identity_decomposerEEE10hipError_tT1_T2_T3_T4_jRjT5_jjP12ihipStream_tbEUlT_E_NS1_11comp_targetILNS1_3genE10ELNS1_11target_archE1200ELNS1_3gpuE4ELNS1_3repE0EEENS1_44radix_sort_block_sort_config_static_selectorELNS0_4arch9wavefront6targetE1EEEvSJ_
	.globl	_ZN7rocprim17ROCPRIM_400000_NS6detail17trampoline_kernelINS0_13kernel_configILj256ELj4ELj4294967295EEENS1_37radix_sort_block_sort_config_selectorIiNS0_10empty_typeEEEZNS1_21radix_sort_block_sortIS4_Lb1EN6thrust23THRUST_200600_302600_NS6detail15normal_iteratorINSA_10device_ptrIiEEEESF_PS6_SG_NS0_19identity_decomposerEEE10hipError_tT1_T2_T3_T4_jRjT5_jjP12ihipStream_tbEUlT_E_NS1_11comp_targetILNS1_3genE10ELNS1_11target_archE1200ELNS1_3gpuE4ELNS1_3repE0EEENS1_44radix_sort_block_sort_config_static_selectorELNS0_4arch9wavefront6targetE1EEEvSJ_
	.p2align	8
	.type	_ZN7rocprim17ROCPRIM_400000_NS6detail17trampoline_kernelINS0_13kernel_configILj256ELj4ELj4294967295EEENS1_37radix_sort_block_sort_config_selectorIiNS0_10empty_typeEEEZNS1_21radix_sort_block_sortIS4_Lb1EN6thrust23THRUST_200600_302600_NS6detail15normal_iteratorINSA_10device_ptrIiEEEESF_PS6_SG_NS0_19identity_decomposerEEE10hipError_tT1_T2_T3_T4_jRjT5_jjP12ihipStream_tbEUlT_E_NS1_11comp_targetILNS1_3genE10ELNS1_11target_archE1200ELNS1_3gpuE4ELNS1_3repE0EEENS1_44radix_sort_block_sort_config_static_selectorELNS0_4arch9wavefront6targetE1EEEvSJ_,@function
_ZN7rocprim17ROCPRIM_400000_NS6detail17trampoline_kernelINS0_13kernel_configILj256ELj4ELj4294967295EEENS1_37radix_sort_block_sort_config_selectorIiNS0_10empty_typeEEEZNS1_21radix_sort_block_sortIS4_Lb1EN6thrust23THRUST_200600_302600_NS6detail15normal_iteratorINSA_10device_ptrIiEEEESF_PS6_SG_NS0_19identity_decomposerEEE10hipError_tT1_T2_T3_T4_jRjT5_jjP12ihipStream_tbEUlT_E_NS1_11comp_targetILNS1_3genE10ELNS1_11target_archE1200ELNS1_3gpuE4ELNS1_3repE0EEENS1_44radix_sort_block_sort_config_static_selectorELNS0_4arch9wavefront6targetE1EEEvSJ_: ; @_ZN7rocprim17ROCPRIM_400000_NS6detail17trampoline_kernelINS0_13kernel_configILj256ELj4ELj4294967295EEENS1_37radix_sort_block_sort_config_selectorIiNS0_10empty_typeEEEZNS1_21radix_sort_block_sortIS4_Lb1EN6thrust23THRUST_200600_302600_NS6detail15normal_iteratorINSA_10device_ptrIiEEEESF_PS6_SG_NS0_19identity_decomposerEEE10hipError_tT1_T2_T3_T4_jRjT5_jjP12ihipStream_tbEUlT_E_NS1_11comp_targetILNS1_3genE10ELNS1_11target_archE1200ELNS1_3gpuE4ELNS1_3repE0EEENS1_44radix_sort_block_sort_config_static_selectorELNS0_4arch9wavefront6targetE1EEEvSJ_
; %bb.0:
	.section	.rodata,"a",@progbits
	.p2align	6, 0x0
	.amdhsa_kernel _ZN7rocprim17ROCPRIM_400000_NS6detail17trampoline_kernelINS0_13kernel_configILj256ELj4ELj4294967295EEENS1_37radix_sort_block_sort_config_selectorIiNS0_10empty_typeEEEZNS1_21radix_sort_block_sortIS4_Lb1EN6thrust23THRUST_200600_302600_NS6detail15normal_iteratorINSA_10device_ptrIiEEEESF_PS6_SG_NS0_19identity_decomposerEEE10hipError_tT1_T2_T3_T4_jRjT5_jjP12ihipStream_tbEUlT_E_NS1_11comp_targetILNS1_3genE10ELNS1_11target_archE1200ELNS1_3gpuE4ELNS1_3repE0EEENS1_44radix_sort_block_sort_config_static_selectorELNS0_4arch9wavefront6targetE1EEEvSJ_
		.amdhsa_group_segment_fixed_size 0
		.amdhsa_private_segment_fixed_size 0
		.amdhsa_kernarg_size 48
		.amdhsa_user_sgpr_count 2
		.amdhsa_user_sgpr_dispatch_ptr 0
		.amdhsa_user_sgpr_queue_ptr 0
		.amdhsa_user_sgpr_kernarg_segment_ptr 1
		.amdhsa_user_sgpr_dispatch_id 0
		.amdhsa_user_sgpr_kernarg_preload_length 0
		.amdhsa_user_sgpr_kernarg_preload_offset 0
		.amdhsa_user_sgpr_private_segment_size 0
		.amdhsa_uses_dynamic_stack 0
		.amdhsa_enable_private_segment 0
		.amdhsa_system_sgpr_workgroup_id_x 1
		.amdhsa_system_sgpr_workgroup_id_y 0
		.amdhsa_system_sgpr_workgroup_id_z 0
		.amdhsa_system_sgpr_workgroup_info 0
		.amdhsa_system_vgpr_workitem_id 0
		.amdhsa_next_free_vgpr 1
		.amdhsa_next_free_sgpr 0
		.amdhsa_accum_offset 4
		.amdhsa_reserve_vcc 0
		.amdhsa_float_round_mode_32 0
		.amdhsa_float_round_mode_16_64 0
		.amdhsa_float_denorm_mode_32 3
		.amdhsa_float_denorm_mode_16_64 3
		.amdhsa_dx10_clamp 1
		.amdhsa_ieee_mode 1
		.amdhsa_fp16_overflow 0
		.amdhsa_tg_split 0
		.amdhsa_exception_fp_ieee_invalid_op 0
		.amdhsa_exception_fp_denorm_src 0
		.amdhsa_exception_fp_ieee_div_zero 0
		.amdhsa_exception_fp_ieee_overflow 0
		.amdhsa_exception_fp_ieee_underflow 0
		.amdhsa_exception_fp_ieee_inexact 0
		.amdhsa_exception_int_div_zero 0
	.end_amdhsa_kernel
	.section	.text._ZN7rocprim17ROCPRIM_400000_NS6detail17trampoline_kernelINS0_13kernel_configILj256ELj4ELj4294967295EEENS1_37radix_sort_block_sort_config_selectorIiNS0_10empty_typeEEEZNS1_21radix_sort_block_sortIS4_Lb1EN6thrust23THRUST_200600_302600_NS6detail15normal_iteratorINSA_10device_ptrIiEEEESF_PS6_SG_NS0_19identity_decomposerEEE10hipError_tT1_T2_T3_T4_jRjT5_jjP12ihipStream_tbEUlT_E_NS1_11comp_targetILNS1_3genE10ELNS1_11target_archE1200ELNS1_3gpuE4ELNS1_3repE0EEENS1_44radix_sort_block_sort_config_static_selectorELNS0_4arch9wavefront6targetE1EEEvSJ_,"axG",@progbits,_ZN7rocprim17ROCPRIM_400000_NS6detail17trampoline_kernelINS0_13kernel_configILj256ELj4ELj4294967295EEENS1_37radix_sort_block_sort_config_selectorIiNS0_10empty_typeEEEZNS1_21radix_sort_block_sortIS4_Lb1EN6thrust23THRUST_200600_302600_NS6detail15normal_iteratorINSA_10device_ptrIiEEEESF_PS6_SG_NS0_19identity_decomposerEEE10hipError_tT1_T2_T3_T4_jRjT5_jjP12ihipStream_tbEUlT_E_NS1_11comp_targetILNS1_3genE10ELNS1_11target_archE1200ELNS1_3gpuE4ELNS1_3repE0EEENS1_44radix_sort_block_sort_config_static_selectorELNS0_4arch9wavefront6targetE1EEEvSJ_,comdat
.Lfunc_end219:
	.size	_ZN7rocprim17ROCPRIM_400000_NS6detail17trampoline_kernelINS0_13kernel_configILj256ELj4ELj4294967295EEENS1_37radix_sort_block_sort_config_selectorIiNS0_10empty_typeEEEZNS1_21radix_sort_block_sortIS4_Lb1EN6thrust23THRUST_200600_302600_NS6detail15normal_iteratorINSA_10device_ptrIiEEEESF_PS6_SG_NS0_19identity_decomposerEEE10hipError_tT1_T2_T3_T4_jRjT5_jjP12ihipStream_tbEUlT_E_NS1_11comp_targetILNS1_3genE10ELNS1_11target_archE1200ELNS1_3gpuE4ELNS1_3repE0EEENS1_44radix_sort_block_sort_config_static_selectorELNS0_4arch9wavefront6targetE1EEEvSJ_, .Lfunc_end219-_ZN7rocprim17ROCPRIM_400000_NS6detail17trampoline_kernelINS0_13kernel_configILj256ELj4ELj4294967295EEENS1_37radix_sort_block_sort_config_selectorIiNS0_10empty_typeEEEZNS1_21radix_sort_block_sortIS4_Lb1EN6thrust23THRUST_200600_302600_NS6detail15normal_iteratorINSA_10device_ptrIiEEEESF_PS6_SG_NS0_19identity_decomposerEEE10hipError_tT1_T2_T3_T4_jRjT5_jjP12ihipStream_tbEUlT_E_NS1_11comp_targetILNS1_3genE10ELNS1_11target_archE1200ELNS1_3gpuE4ELNS1_3repE0EEENS1_44radix_sort_block_sort_config_static_selectorELNS0_4arch9wavefront6targetE1EEEvSJ_
                                        ; -- End function
	.set _ZN7rocprim17ROCPRIM_400000_NS6detail17trampoline_kernelINS0_13kernel_configILj256ELj4ELj4294967295EEENS1_37radix_sort_block_sort_config_selectorIiNS0_10empty_typeEEEZNS1_21radix_sort_block_sortIS4_Lb1EN6thrust23THRUST_200600_302600_NS6detail15normal_iteratorINSA_10device_ptrIiEEEESF_PS6_SG_NS0_19identity_decomposerEEE10hipError_tT1_T2_T3_T4_jRjT5_jjP12ihipStream_tbEUlT_E_NS1_11comp_targetILNS1_3genE10ELNS1_11target_archE1200ELNS1_3gpuE4ELNS1_3repE0EEENS1_44radix_sort_block_sort_config_static_selectorELNS0_4arch9wavefront6targetE1EEEvSJ_.num_vgpr, 0
	.set _ZN7rocprim17ROCPRIM_400000_NS6detail17trampoline_kernelINS0_13kernel_configILj256ELj4ELj4294967295EEENS1_37radix_sort_block_sort_config_selectorIiNS0_10empty_typeEEEZNS1_21radix_sort_block_sortIS4_Lb1EN6thrust23THRUST_200600_302600_NS6detail15normal_iteratorINSA_10device_ptrIiEEEESF_PS6_SG_NS0_19identity_decomposerEEE10hipError_tT1_T2_T3_T4_jRjT5_jjP12ihipStream_tbEUlT_E_NS1_11comp_targetILNS1_3genE10ELNS1_11target_archE1200ELNS1_3gpuE4ELNS1_3repE0EEENS1_44radix_sort_block_sort_config_static_selectorELNS0_4arch9wavefront6targetE1EEEvSJ_.num_agpr, 0
	.set _ZN7rocprim17ROCPRIM_400000_NS6detail17trampoline_kernelINS0_13kernel_configILj256ELj4ELj4294967295EEENS1_37radix_sort_block_sort_config_selectorIiNS0_10empty_typeEEEZNS1_21radix_sort_block_sortIS4_Lb1EN6thrust23THRUST_200600_302600_NS6detail15normal_iteratorINSA_10device_ptrIiEEEESF_PS6_SG_NS0_19identity_decomposerEEE10hipError_tT1_T2_T3_T4_jRjT5_jjP12ihipStream_tbEUlT_E_NS1_11comp_targetILNS1_3genE10ELNS1_11target_archE1200ELNS1_3gpuE4ELNS1_3repE0EEENS1_44radix_sort_block_sort_config_static_selectorELNS0_4arch9wavefront6targetE1EEEvSJ_.numbered_sgpr, 0
	.set _ZN7rocprim17ROCPRIM_400000_NS6detail17trampoline_kernelINS0_13kernel_configILj256ELj4ELj4294967295EEENS1_37radix_sort_block_sort_config_selectorIiNS0_10empty_typeEEEZNS1_21radix_sort_block_sortIS4_Lb1EN6thrust23THRUST_200600_302600_NS6detail15normal_iteratorINSA_10device_ptrIiEEEESF_PS6_SG_NS0_19identity_decomposerEEE10hipError_tT1_T2_T3_T4_jRjT5_jjP12ihipStream_tbEUlT_E_NS1_11comp_targetILNS1_3genE10ELNS1_11target_archE1200ELNS1_3gpuE4ELNS1_3repE0EEENS1_44radix_sort_block_sort_config_static_selectorELNS0_4arch9wavefront6targetE1EEEvSJ_.num_named_barrier, 0
	.set _ZN7rocprim17ROCPRIM_400000_NS6detail17trampoline_kernelINS0_13kernel_configILj256ELj4ELj4294967295EEENS1_37radix_sort_block_sort_config_selectorIiNS0_10empty_typeEEEZNS1_21radix_sort_block_sortIS4_Lb1EN6thrust23THRUST_200600_302600_NS6detail15normal_iteratorINSA_10device_ptrIiEEEESF_PS6_SG_NS0_19identity_decomposerEEE10hipError_tT1_T2_T3_T4_jRjT5_jjP12ihipStream_tbEUlT_E_NS1_11comp_targetILNS1_3genE10ELNS1_11target_archE1200ELNS1_3gpuE4ELNS1_3repE0EEENS1_44radix_sort_block_sort_config_static_selectorELNS0_4arch9wavefront6targetE1EEEvSJ_.private_seg_size, 0
	.set _ZN7rocprim17ROCPRIM_400000_NS6detail17trampoline_kernelINS0_13kernel_configILj256ELj4ELj4294967295EEENS1_37radix_sort_block_sort_config_selectorIiNS0_10empty_typeEEEZNS1_21radix_sort_block_sortIS4_Lb1EN6thrust23THRUST_200600_302600_NS6detail15normal_iteratorINSA_10device_ptrIiEEEESF_PS6_SG_NS0_19identity_decomposerEEE10hipError_tT1_T2_T3_T4_jRjT5_jjP12ihipStream_tbEUlT_E_NS1_11comp_targetILNS1_3genE10ELNS1_11target_archE1200ELNS1_3gpuE4ELNS1_3repE0EEENS1_44radix_sort_block_sort_config_static_selectorELNS0_4arch9wavefront6targetE1EEEvSJ_.uses_vcc, 0
	.set _ZN7rocprim17ROCPRIM_400000_NS6detail17trampoline_kernelINS0_13kernel_configILj256ELj4ELj4294967295EEENS1_37radix_sort_block_sort_config_selectorIiNS0_10empty_typeEEEZNS1_21radix_sort_block_sortIS4_Lb1EN6thrust23THRUST_200600_302600_NS6detail15normal_iteratorINSA_10device_ptrIiEEEESF_PS6_SG_NS0_19identity_decomposerEEE10hipError_tT1_T2_T3_T4_jRjT5_jjP12ihipStream_tbEUlT_E_NS1_11comp_targetILNS1_3genE10ELNS1_11target_archE1200ELNS1_3gpuE4ELNS1_3repE0EEENS1_44radix_sort_block_sort_config_static_selectorELNS0_4arch9wavefront6targetE1EEEvSJ_.uses_flat_scratch, 0
	.set _ZN7rocprim17ROCPRIM_400000_NS6detail17trampoline_kernelINS0_13kernel_configILj256ELj4ELj4294967295EEENS1_37radix_sort_block_sort_config_selectorIiNS0_10empty_typeEEEZNS1_21radix_sort_block_sortIS4_Lb1EN6thrust23THRUST_200600_302600_NS6detail15normal_iteratorINSA_10device_ptrIiEEEESF_PS6_SG_NS0_19identity_decomposerEEE10hipError_tT1_T2_T3_T4_jRjT5_jjP12ihipStream_tbEUlT_E_NS1_11comp_targetILNS1_3genE10ELNS1_11target_archE1200ELNS1_3gpuE4ELNS1_3repE0EEENS1_44radix_sort_block_sort_config_static_selectorELNS0_4arch9wavefront6targetE1EEEvSJ_.has_dyn_sized_stack, 0
	.set _ZN7rocprim17ROCPRIM_400000_NS6detail17trampoline_kernelINS0_13kernel_configILj256ELj4ELj4294967295EEENS1_37radix_sort_block_sort_config_selectorIiNS0_10empty_typeEEEZNS1_21radix_sort_block_sortIS4_Lb1EN6thrust23THRUST_200600_302600_NS6detail15normal_iteratorINSA_10device_ptrIiEEEESF_PS6_SG_NS0_19identity_decomposerEEE10hipError_tT1_T2_T3_T4_jRjT5_jjP12ihipStream_tbEUlT_E_NS1_11comp_targetILNS1_3genE10ELNS1_11target_archE1200ELNS1_3gpuE4ELNS1_3repE0EEENS1_44radix_sort_block_sort_config_static_selectorELNS0_4arch9wavefront6targetE1EEEvSJ_.has_recursion, 0
	.set _ZN7rocprim17ROCPRIM_400000_NS6detail17trampoline_kernelINS0_13kernel_configILj256ELj4ELj4294967295EEENS1_37radix_sort_block_sort_config_selectorIiNS0_10empty_typeEEEZNS1_21radix_sort_block_sortIS4_Lb1EN6thrust23THRUST_200600_302600_NS6detail15normal_iteratorINSA_10device_ptrIiEEEESF_PS6_SG_NS0_19identity_decomposerEEE10hipError_tT1_T2_T3_T4_jRjT5_jjP12ihipStream_tbEUlT_E_NS1_11comp_targetILNS1_3genE10ELNS1_11target_archE1200ELNS1_3gpuE4ELNS1_3repE0EEENS1_44radix_sort_block_sort_config_static_selectorELNS0_4arch9wavefront6targetE1EEEvSJ_.has_indirect_call, 0
	.section	.AMDGPU.csdata,"",@progbits
; Kernel info:
; codeLenInByte = 0
; TotalNumSgprs: 6
; NumVgprs: 0
; NumAgprs: 0
; TotalNumVgprs: 0
; ScratchSize: 0
; MemoryBound: 0
; FloatMode: 240
; IeeeMode: 1
; LDSByteSize: 0 bytes/workgroup (compile time only)
; SGPRBlocks: 0
; VGPRBlocks: 0
; NumSGPRsForWavesPerEU: 6
; NumVGPRsForWavesPerEU: 1
; AccumOffset: 4
; Occupancy: 8
; WaveLimiterHint : 0
; COMPUTE_PGM_RSRC2:SCRATCH_EN: 0
; COMPUTE_PGM_RSRC2:USER_SGPR: 2
; COMPUTE_PGM_RSRC2:TRAP_HANDLER: 0
; COMPUTE_PGM_RSRC2:TGID_X_EN: 1
; COMPUTE_PGM_RSRC2:TGID_Y_EN: 0
; COMPUTE_PGM_RSRC2:TGID_Z_EN: 0
; COMPUTE_PGM_RSRC2:TIDIG_COMP_CNT: 0
; COMPUTE_PGM_RSRC3_GFX90A:ACCUM_OFFSET: 0
; COMPUTE_PGM_RSRC3_GFX90A:TG_SPLIT: 0
	.section	.text._ZN7rocprim17ROCPRIM_400000_NS6detail17trampoline_kernelINS0_13kernel_configILj256ELj4ELj4294967295EEENS1_37radix_sort_block_sort_config_selectorIiNS0_10empty_typeEEEZNS1_21radix_sort_block_sortIS4_Lb1EN6thrust23THRUST_200600_302600_NS6detail15normal_iteratorINSA_10device_ptrIiEEEESF_PS6_SG_NS0_19identity_decomposerEEE10hipError_tT1_T2_T3_T4_jRjT5_jjP12ihipStream_tbEUlT_E_NS1_11comp_targetILNS1_3genE9ELNS1_11target_archE1100ELNS1_3gpuE3ELNS1_3repE0EEENS1_44radix_sort_block_sort_config_static_selectorELNS0_4arch9wavefront6targetE1EEEvSJ_,"axG",@progbits,_ZN7rocprim17ROCPRIM_400000_NS6detail17trampoline_kernelINS0_13kernel_configILj256ELj4ELj4294967295EEENS1_37radix_sort_block_sort_config_selectorIiNS0_10empty_typeEEEZNS1_21radix_sort_block_sortIS4_Lb1EN6thrust23THRUST_200600_302600_NS6detail15normal_iteratorINSA_10device_ptrIiEEEESF_PS6_SG_NS0_19identity_decomposerEEE10hipError_tT1_T2_T3_T4_jRjT5_jjP12ihipStream_tbEUlT_E_NS1_11comp_targetILNS1_3genE9ELNS1_11target_archE1100ELNS1_3gpuE3ELNS1_3repE0EEENS1_44radix_sort_block_sort_config_static_selectorELNS0_4arch9wavefront6targetE1EEEvSJ_,comdat
	.protected	_ZN7rocprim17ROCPRIM_400000_NS6detail17trampoline_kernelINS0_13kernel_configILj256ELj4ELj4294967295EEENS1_37radix_sort_block_sort_config_selectorIiNS0_10empty_typeEEEZNS1_21radix_sort_block_sortIS4_Lb1EN6thrust23THRUST_200600_302600_NS6detail15normal_iteratorINSA_10device_ptrIiEEEESF_PS6_SG_NS0_19identity_decomposerEEE10hipError_tT1_T2_T3_T4_jRjT5_jjP12ihipStream_tbEUlT_E_NS1_11comp_targetILNS1_3genE9ELNS1_11target_archE1100ELNS1_3gpuE3ELNS1_3repE0EEENS1_44radix_sort_block_sort_config_static_selectorELNS0_4arch9wavefront6targetE1EEEvSJ_ ; -- Begin function _ZN7rocprim17ROCPRIM_400000_NS6detail17trampoline_kernelINS0_13kernel_configILj256ELj4ELj4294967295EEENS1_37radix_sort_block_sort_config_selectorIiNS0_10empty_typeEEEZNS1_21radix_sort_block_sortIS4_Lb1EN6thrust23THRUST_200600_302600_NS6detail15normal_iteratorINSA_10device_ptrIiEEEESF_PS6_SG_NS0_19identity_decomposerEEE10hipError_tT1_T2_T3_T4_jRjT5_jjP12ihipStream_tbEUlT_E_NS1_11comp_targetILNS1_3genE9ELNS1_11target_archE1100ELNS1_3gpuE3ELNS1_3repE0EEENS1_44radix_sort_block_sort_config_static_selectorELNS0_4arch9wavefront6targetE1EEEvSJ_
	.globl	_ZN7rocprim17ROCPRIM_400000_NS6detail17trampoline_kernelINS0_13kernel_configILj256ELj4ELj4294967295EEENS1_37radix_sort_block_sort_config_selectorIiNS0_10empty_typeEEEZNS1_21radix_sort_block_sortIS4_Lb1EN6thrust23THRUST_200600_302600_NS6detail15normal_iteratorINSA_10device_ptrIiEEEESF_PS6_SG_NS0_19identity_decomposerEEE10hipError_tT1_T2_T3_T4_jRjT5_jjP12ihipStream_tbEUlT_E_NS1_11comp_targetILNS1_3genE9ELNS1_11target_archE1100ELNS1_3gpuE3ELNS1_3repE0EEENS1_44radix_sort_block_sort_config_static_selectorELNS0_4arch9wavefront6targetE1EEEvSJ_
	.p2align	8
	.type	_ZN7rocprim17ROCPRIM_400000_NS6detail17trampoline_kernelINS0_13kernel_configILj256ELj4ELj4294967295EEENS1_37radix_sort_block_sort_config_selectorIiNS0_10empty_typeEEEZNS1_21radix_sort_block_sortIS4_Lb1EN6thrust23THRUST_200600_302600_NS6detail15normal_iteratorINSA_10device_ptrIiEEEESF_PS6_SG_NS0_19identity_decomposerEEE10hipError_tT1_T2_T3_T4_jRjT5_jjP12ihipStream_tbEUlT_E_NS1_11comp_targetILNS1_3genE9ELNS1_11target_archE1100ELNS1_3gpuE3ELNS1_3repE0EEENS1_44radix_sort_block_sort_config_static_selectorELNS0_4arch9wavefront6targetE1EEEvSJ_,@function
_ZN7rocprim17ROCPRIM_400000_NS6detail17trampoline_kernelINS0_13kernel_configILj256ELj4ELj4294967295EEENS1_37radix_sort_block_sort_config_selectorIiNS0_10empty_typeEEEZNS1_21radix_sort_block_sortIS4_Lb1EN6thrust23THRUST_200600_302600_NS6detail15normal_iteratorINSA_10device_ptrIiEEEESF_PS6_SG_NS0_19identity_decomposerEEE10hipError_tT1_T2_T3_T4_jRjT5_jjP12ihipStream_tbEUlT_E_NS1_11comp_targetILNS1_3genE9ELNS1_11target_archE1100ELNS1_3gpuE3ELNS1_3repE0EEENS1_44radix_sort_block_sort_config_static_selectorELNS0_4arch9wavefront6targetE1EEEvSJ_: ; @_ZN7rocprim17ROCPRIM_400000_NS6detail17trampoline_kernelINS0_13kernel_configILj256ELj4ELj4294967295EEENS1_37radix_sort_block_sort_config_selectorIiNS0_10empty_typeEEEZNS1_21radix_sort_block_sortIS4_Lb1EN6thrust23THRUST_200600_302600_NS6detail15normal_iteratorINSA_10device_ptrIiEEEESF_PS6_SG_NS0_19identity_decomposerEEE10hipError_tT1_T2_T3_T4_jRjT5_jjP12ihipStream_tbEUlT_E_NS1_11comp_targetILNS1_3genE9ELNS1_11target_archE1100ELNS1_3gpuE3ELNS1_3repE0EEENS1_44radix_sort_block_sort_config_static_selectorELNS0_4arch9wavefront6targetE1EEEvSJ_
; %bb.0:
	.section	.rodata,"a",@progbits
	.p2align	6, 0x0
	.amdhsa_kernel _ZN7rocprim17ROCPRIM_400000_NS6detail17trampoline_kernelINS0_13kernel_configILj256ELj4ELj4294967295EEENS1_37radix_sort_block_sort_config_selectorIiNS0_10empty_typeEEEZNS1_21radix_sort_block_sortIS4_Lb1EN6thrust23THRUST_200600_302600_NS6detail15normal_iteratorINSA_10device_ptrIiEEEESF_PS6_SG_NS0_19identity_decomposerEEE10hipError_tT1_T2_T3_T4_jRjT5_jjP12ihipStream_tbEUlT_E_NS1_11comp_targetILNS1_3genE9ELNS1_11target_archE1100ELNS1_3gpuE3ELNS1_3repE0EEENS1_44radix_sort_block_sort_config_static_selectorELNS0_4arch9wavefront6targetE1EEEvSJ_
		.amdhsa_group_segment_fixed_size 0
		.amdhsa_private_segment_fixed_size 0
		.amdhsa_kernarg_size 48
		.amdhsa_user_sgpr_count 2
		.amdhsa_user_sgpr_dispatch_ptr 0
		.amdhsa_user_sgpr_queue_ptr 0
		.amdhsa_user_sgpr_kernarg_segment_ptr 1
		.amdhsa_user_sgpr_dispatch_id 0
		.amdhsa_user_sgpr_kernarg_preload_length 0
		.amdhsa_user_sgpr_kernarg_preload_offset 0
		.amdhsa_user_sgpr_private_segment_size 0
		.amdhsa_uses_dynamic_stack 0
		.amdhsa_enable_private_segment 0
		.amdhsa_system_sgpr_workgroup_id_x 1
		.amdhsa_system_sgpr_workgroup_id_y 0
		.amdhsa_system_sgpr_workgroup_id_z 0
		.amdhsa_system_sgpr_workgroup_info 0
		.amdhsa_system_vgpr_workitem_id 0
		.amdhsa_next_free_vgpr 1
		.amdhsa_next_free_sgpr 0
		.amdhsa_accum_offset 4
		.amdhsa_reserve_vcc 0
		.amdhsa_float_round_mode_32 0
		.amdhsa_float_round_mode_16_64 0
		.amdhsa_float_denorm_mode_32 3
		.amdhsa_float_denorm_mode_16_64 3
		.amdhsa_dx10_clamp 1
		.amdhsa_ieee_mode 1
		.amdhsa_fp16_overflow 0
		.amdhsa_tg_split 0
		.amdhsa_exception_fp_ieee_invalid_op 0
		.amdhsa_exception_fp_denorm_src 0
		.amdhsa_exception_fp_ieee_div_zero 0
		.amdhsa_exception_fp_ieee_overflow 0
		.amdhsa_exception_fp_ieee_underflow 0
		.amdhsa_exception_fp_ieee_inexact 0
		.amdhsa_exception_int_div_zero 0
	.end_amdhsa_kernel
	.section	.text._ZN7rocprim17ROCPRIM_400000_NS6detail17trampoline_kernelINS0_13kernel_configILj256ELj4ELj4294967295EEENS1_37radix_sort_block_sort_config_selectorIiNS0_10empty_typeEEEZNS1_21radix_sort_block_sortIS4_Lb1EN6thrust23THRUST_200600_302600_NS6detail15normal_iteratorINSA_10device_ptrIiEEEESF_PS6_SG_NS0_19identity_decomposerEEE10hipError_tT1_T2_T3_T4_jRjT5_jjP12ihipStream_tbEUlT_E_NS1_11comp_targetILNS1_3genE9ELNS1_11target_archE1100ELNS1_3gpuE3ELNS1_3repE0EEENS1_44radix_sort_block_sort_config_static_selectorELNS0_4arch9wavefront6targetE1EEEvSJ_,"axG",@progbits,_ZN7rocprim17ROCPRIM_400000_NS6detail17trampoline_kernelINS0_13kernel_configILj256ELj4ELj4294967295EEENS1_37radix_sort_block_sort_config_selectorIiNS0_10empty_typeEEEZNS1_21radix_sort_block_sortIS4_Lb1EN6thrust23THRUST_200600_302600_NS6detail15normal_iteratorINSA_10device_ptrIiEEEESF_PS6_SG_NS0_19identity_decomposerEEE10hipError_tT1_T2_T3_T4_jRjT5_jjP12ihipStream_tbEUlT_E_NS1_11comp_targetILNS1_3genE9ELNS1_11target_archE1100ELNS1_3gpuE3ELNS1_3repE0EEENS1_44radix_sort_block_sort_config_static_selectorELNS0_4arch9wavefront6targetE1EEEvSJ_,comdat
.Lfunc_end220:
	.size	_ZN7rocprim17ROCPRIM_400000_NS6detail17trampoline_kernelINS0_13kernel_configILj256ELj4ELj4294967295EEENS1_37radix_sort_block_sort_config_selectorIiNS0_10empty_typeEEEZNS1_21radix_sort_block_sortIS4_Lb1EN6thrust23THRUST_200600_302600_NS6detail15normal_iteratorINSA_10device_ptrIiEEEESF_PS6_SG_NS0_19identity_decomposerEEE10hipError_tT1_T2_T3_T4_jRjT5_jjP12ihipStream_tbEUlT_E_NS1_11comp_targetILNS1_3genE9ELNS1_11target_archE1100ELNS1_3gpuE3ELNS1_3repE0EEENS1_44radix_sort_block_sort_config_static_selectorELNS0_4arch9wavefront6targetE1EEEvSJ_, .Lfunc_end220-_ZN7rocprim17ROCPRIM_400000_NS6detail17trampoline_kernelINS0_13kernel_configILj256ELj4ELj4294967295EEENS1_37radix_sort_block_sort_config_selectorIiNS0_10empty_typeEEEZNS1_21radix_sort_block_sortIS4_Lb1EN6thrust23THRUST_200600_302600_NS6detail15normal_iteratorINSA_10device_ptrIiEEEESF_PS6_SG_NS0_19identity_decomposerEEE10hipError_tT1_T2_T3_T4_jRjT5_jjP12ihipStream_tbEUlT_E_NS1_11comp_targetILNS1_3genE9ELNS1_11target_archE1100ELNS1_3gpuE3ELNS1_3repE0EEENS1_44radix_sort_block_sort_config_static_selectorELNS0_4arch9wavefront6targetE1EEEvSJ_
                                        ; -- End function
	.set _ZN7rocprim17ROCPRIM_400000_NS6detail17trampoline_kernelINS0_13kernel_configILj256ELj4ELj4294967295EEENS1_37radix_sort_block_sort_config_selectorIiNS0_10empty_typeEEEZNS1_21radix_sort_block_sortIS4_Lb1EN6thrust23THRUST_200600_302600_NS6detail15normal_iteratorINSA_10device_ptrIiEEEESF_PS6_SG_NS0_19identity_decomposerEEE10hipError_tT1_T2_T3_T4_jRjT5_jjP12ihipStream_tbEUlT_E_NS1_11comp_targetILNS1_3genE9ELNS1_11target_archE1100ELNS1_3gpuE3ELNS1_3repE0EEENS1_44radix_sort_block_sort_config_static_selectorELNS0_4arch9wavefront6targetE1EEEvSJ_.num_vgpr, 0
	.set _ZN7rocprim17ROCPRIM_400000_NS6detail17trampoline_kernelINS0_13kernel_configILj256ELj4ELj4294967295EEENS1_37radix_sort_block_sort_config_selectorIiNS0_10empty_typeEEEZNS1_21radix_sort_block_sortIS4_Lb1EN6thrust23THRUST_200600_302600_NS6detail15normal_iteratorINSA_10device_ptrIiEEEESF_PS6_SG_NS0_19identity_decomposerEEE10hipError_tT1_T2_T3_T4_jRjT5_jjP12ihipStream_tbEUlT_E_NS1_11comp_targetILNS1_3genE9ELNS1_11target_archE1100ELNS1_3gpuE3ELNS1_3repE0EEENS1_44radix_sort_block_sort_config_static_selectorELNS0_4arch9wavefront6targetE1EEEvSJ_.num_agpr, 0
	.set _ZN7rocprim17ROCPRIM_400000_NS6detail17trampoline_kernelINS0_13kernel_configILj256ELj4ELj4294967295EEENS1_37radix_sort_block_sort_config_selectorIiNS0_10empty_typeEEEZNS1_21radix_sort_block_sortIS4_Lb1EN6thrust23THRUST_200600_302600_NS6detail15normal_iteratorINSA_10device_ptrIiEEEESF_PS6_SG_NS0_19identity_decomposerEEE10hipError_tT1_T2_T3_T4_jRjT5_jjP12ihipStream_tbEUlT_E_NS1_11comp_targetILNS1_3genE9ELNS1_11target_archE1100ELNS1_3gpuE3ELNS1_3repE0EEENS1_44radix_sort_block_sort_config_static_selectorELNS0_4arch9wavefront6targetE1EEEvSJ_.numbered_sgpr, 0
	.set _ZN7rocprim17ROCPRIM_400000_NS6detail17trampoline_kernelINS0_13kernel_configILj256ELj4ELj4294967295EEENS1_37radix_sort_block_sort_config_selectorIiNS0_10empty_typeEEEZNS1_21radix_sort_block_sortIS4_Lb1EN6thrust23THRUST_200600_302600_NS6detail15normal_iteratorINSA_10device_ptrIiEEEESF_PS6_SG_NS0_19identity_decomposerEEE10hipError_tT1_T2_T3_T4_jRjT5_jjP12ihipStream_tbEUlT_E_NS1_11comp_targetILNS1_3genE9ELNS1_11target_archE1100ELNS1_3gpuE3ELNS1_3repE0EEENS1_44radix_sort_block_sort_config_static_selectorELNS0_4arch9wavefront6targetE1EEEvSJ_.num_named_barrier, 0
	.set _ZN7rocprim17ROCPRIM_400000_NS6detail17trampoline_kernelINS0_13kernel_configILj256ELj4ELj4294967295EEENS1_37radix_sort_block_sort_config_selectorIiNS0_10empty_typeEEEZNS1_21radix_sort_block_sortIS4_Lb1EN6thrust23THRUST_200600_302600_NS6detail15normal_iteratorINSA_10device_ptrIiEEEESF_PS6_SG_NS0_19identity_decomposerEEE10hipError_tT1_T2_T3_T4_jRjT5_jjP12ihipStream_tbEUlT_E_NS1_11comp_targetILNS1_3genE9ELNS1_11target_archE1100ELNS1_3gpuE3ELNS1_3repE0EEENS1_44radix_sort_block_sort_config_static_selectorELNS0_4arch9wavefront6targetE1EEEvSJ_.private_seg_size, 0
	.set _ZN7rocprim17ROCPRIM_400000_NS6detail17trampoline_kernelINS0_13kernel_configILj256ELj4ELj4294967295EEENS1_37radix_sort_block_sort_config_selectorIiNS0_10empty_typeEEEZNS1_21radix_sort_block_sortIS4_Lb1EN6thrust23THRUST_200600_302600_NS6detail15normal_iteratorINSA_10device_ptrIiEEEESF_PS6_SG_NS0_19identity_decomposerEEE10hipError_tT1_T2_T3_T4_jRjT5_jjP12ihipStream_tbEUlT_E_NS1_11comp_targetILNS1_3genE9ELNS1_11target_archE1100ELNS1_3gpuE3ELNS1_3repE0EEENS1_44radix_sort_block_sort_config_static_selectorELNS0_4arch9wavefront6targetE1EEEvSJ_.uses_vcc, 0
	.set _ZN7rocprim17ROCPRIM_400000_NS6detail17trampoline_kernelINS0_13kernel_configILj256ELj4ELj4294967295EEENS1_37radix_sort_block_sort_config_selectorIiNS0_10empty_typeEEEZNS1_21radix_sort_block_sortIS4_Lb1EN6thrust23THRUST_200600_302600_NS6detail15normal_iteratorINSA_10device_ptrIiEEEESF_PS6_SG_NS0_19identity_decomposerEEE10hipError_tT1_T2_T3_T4_jRjT5_jjP12ihipStream_tbEUlT_E_NS1_11comp_targetILNS1_3genE9ELNS1_11target_archE1100ELNS1_3gpuE3ELNS1_3repE0EEENS1_44radix_sort_block_sort_config_static_selectorELNS0_4arch9wavefront6targetE1EEEvSJ_.uses_flat_scratch, 0
	.set _ZN7rocprim17ROCPRIM_400000_NS6detail17trampoline_kernelINS0_13kernel_configILj256ELj4ELj4294967295EEENS1_37radix_sort_block_sort_config_selectorIiNS0_10empty_typeEEEZNS1_21radix_sort_block_sortIS4_Lb1EN6thrust23THRUST_200600_302600_NS6detail15normal_iteratorINSA_10device_ptrIiEEEESF_PS6_SG_NS0_19identity_decomposerEEE10hipError_tT1_T2_T3_T4_jRjT5_jjP12ihipStream_tbEUlT_E_NS1_11comp_targetILNS1_3genE9ELNS1_11target_archE1100ELNS1_3gpuE3ELNS1_3repE0EEENS1_44radix_sort_block_sort_config_static_selectorELNS0_4arch9wavefront6targetE1EEEvSJ_.has_dyn_sized_stack, 0
	.set _ZN7rocprim17ROCPRIM_400000_NS6detail17trampoline_kernelINS0_13kernel_configILj256ELj4ELj4294967295EEENS1_37radix_sort_block_sort_config_selectorIiNS0_10empty_typeEEEZNS1_21radix_sort_block_sortIS4_Lb1EN6thrust23THRUST_200600_302600_NS6detail15normal_iteratorINSA_10device_ptrIiEEEESF_PS6_SG_NS0_19identity_decomposerEEE10hipError_tT1_T2_T3_T4_jRjT5_jjP12ihipStream_tbEUlT_E_NS1_11comp_targetILNS1_3genE9ELNS1_11target_archE1100ELNS1_3gpuE3ELNS1_3repE0EEENS1_44radix_sort_block_sort_config_static_selectorELNS0_4arch9wavefront6targetE1EEEvSJ_.has_recursion, 0
	.set _ZN7rocprim17ROCPRIM_400000_NS6detail17trampoline_kernelINS0_13kernel_configILj256ELj4ELj4294967295EEENS1_37radix_sort_block_sort_config_selectorIiNS0_10empty_typeEEEZNS1_21radix_sort_block_sortIS4_Lb1EN6thrust23THRUST_200600_302600_NS6detail15normal_iteratorINSA_10device_ptrIiEEEESF_PS6_SG_NS0_19identity_decomposerEEE10hipError_tT1_T2_T3_T4_jRjT5_jjP12ihipStream_tbEUlT_E_NS1_11comp_targetILNS1_3genE9ELNS1_11target_archE1100ELNS1_3gpuE3ELNS1_3repE0EEENS1_44radix_sort_block_sort_config_static_selectorELNS0_4arch9wavefront6targetE1EEEvSJ_.has_indirect_call, 0
	.section	.AMDGPU.csdata,"",@progbits
; Kernel info:
; codeLenInByte = 0
; TotalNumSgprs: 6
; NumVgprs: 0
; NumAgprs: 0
; TotalNumVgprs: 0
; ScratchSize: 0
; MemoryBound: 0
; FloatMode: 240
; IeeeMode: 1
; LDSByteSize: 0 bytes/workgroup (compile time only)
; SGPRBlocks: 0
; VGPRBlocks: 0
; NumSGPRsForWavesPerEU: 6
; NumVGPRsForWavesPerEU: 1
; AccumOffset: 4
; Occupancy: 8
; WaveLimiterHint : 0
; COMPUTE_PGM_RSRC2:SCRATCH_EN: 0
; COMPUTE_PGM_RSRC2:USER_SGPR: 2
; COMPUTE_PGM_RSRC2:TRAP_HANDLER: 0
; COMPUTE_PGM_RSRC2:TGID_X_EN: 1
; COMPUTE_PGM_RSRC2:TGID_Y_EN: 0
; COMPUTE_PGM_RSRC2:TGID_Z_EN: 0
; COMPUTE_PGM_RSRC2:TIDIG_COMP_CNT: 0
; COMPUTE_PGM_RSRC3_GFX90A:ACCUM_OFFSET: 0
; COMPUTE_PGM_RSRC3_GFX90A:TG_SPLIT: 0
	.section	.text._ZN7rocprim17ROCPRIM_400000_NS6detail17trampoline_kernelINS0_13kernel_configILj256ELj4ELj4294967295EEENS1_37radix_sort_block_sort_config_selectorIiNS0_10empty_typeEEEZNS1_21radix_sort_block_sortIS4_Lb1EN6thrust23THRUST_200600_302600_NS6detail15normal_iteratorINSA_10device_ptrIiEEEESF_PS6_SG_NS0_19identity_decomposerEEE10hipError_tT1_T2_T3_T4_jRjT5_jjP12ihipStream_tbEUlT_E_NS1_11comp_targetILNS1_3genE8ELNS1_11target_archE1030ELNS1_3gpuE2ELNS1_3repE0EEENS1_44radix_sort_block_sort_config_static_selectorELNS0_4arch9wavefront6targetE1EEEvSJ_,"axG",@progbits,_ZN7rocprim17ROCPRIM_400000_NS6detail17trampoline_kernelINS0_13kernel_configILj256ELj4ELj4294967295EEENS1_37radix_sort_block_sort_config_selectorIiNS0_10empty_typeEEEZNS1_21radix_sort_block_sortIS4_Lb1EN6thrust23THRUST_200600_302600_NS6detail15normal_iteratorINSA_10device_ptrIiEEEESF_PS6_SG_NS0_19identity_decomposerEEE10hipError_tT1_T2_T3_T4_jRjT5_jjP12ihipStream_tbEUlT_E_NS1_11comp_targetILNS1_3genE8ELNS1_11target_archE1030ELNS1_3gpuE2ELNS1_3repE0EEENS1_44radix_sort_block_sort_config_static_selectorELNS0_4arch9wavefront6targetE1EEEvSJ_,comdat
	.protected	_ZN7rocprim17ROCPRIM_400000_NS6detail17trampoline_kernelINS0_13kernel_configILj256ELj4ELj4294967295EEENS1_37radix_sort_block_sort_config_selectorIiNS0_10empty_typeEEEZNS1_21radix_sort_block_sortIS4_Lb1EN6thrust23THRUST_200600_302600_NS6detail15normal_iteratorINSA_10device_ptrIiEEEESF_PS6_SG_NS0_19identity_decomposerEEE10hipError_tT1_T2_T3_T4_jRjT5_jjP12ihipStream_tbEUlT_E_NS1_11comp_targetILNS1_3genE8ELNS1_11target_archE1030ELNS1_3gpuE2ELNS1_3repE0EEENS1_44radix_sort_block_sort_config_static_selectorELNS0_4arch9wavefront6targetE1EEEvSJ_ ; -- Begin function _ZN7rocprim17ROCPRIM_400000_NS6detail17trampoline_kernelINS0_13kernel_configILj256ELj4ELj4294967295EEENS1_37radix_sort_block_sort_config_selectorIiNS0_10empty_typeEEEZNS1_21radix_sort_block_sortIS4_Lb1EN6thrust23THRUST_200600_302600_NS6detail15normal_iteratorINSA_10device_ptrIiEEEESF_PS6_SG_NS0_19identity_decomposerEEE10hipError_tT1_T2_T3_T4_jRjT5_jjP12ihipStream_tbEUlT_E_NS1_11comp_targetILNS1_3genE8ELNS1_11target_archE1030ELNS1_3gpuE2ELNS1_3repE0EEENS1_44radix_sort_block_sort_config_static_selectorELNS0_4arch9wavefront6targetE1EEEvSJ_
	.globl	_ZN7rocprim17ROCPRIM_400000_NS6detail17trampoline_kernelINS0_13kernel_configILj256ELj4ELj4294967295EEENS1_37radix_sort_block_sort_config_selectorIiNS0_10empty_typeEEEZNS1_21radix_sort_block_sortIS4_Lb1EN6thrust23THRUST_200600_302600_NS6detail15normal_iteratorINSA_10device_ptrIiEEEESF_PS6_SG_NS0_19identity_decomposerEEE10hipError_tT1_T2_T3_T4_jRjT5_jjP12ihipStream_tbEUlT_E_NS1_11comp_targetILNS1_3genE8ELNS1_11target_archE1030ELNS1_3gpuE2ELNS1_3repE0EEENS1_44radix_sort_block_sort_config_static_selectorELNS0_4arch9wavefront6targetE1EEEvSJ_
	.p2align	8
	.type	_ZN7rocprim17ROCPRIM_400000_NS6detail17trampoline_kernelINS0_13kernel_configILj256ELj4ELj4294967295EEENS1_37radix_sort_block_sort_config_selectorIiNS0_10empty_typeEEEZNS1_21radix_sort_block_sortIS4_Lb1EN6thrust23THRUST_200600_302600_NS6detail15normal_iteratorINSA_10device_ptrIiEEEESF_PS6_SG_NS0_19identity_decomposerEEE10hipError_tT1_T2_T3_T4_jRjT5_jjP12ihipStream_tbEUlT_E_NS1_11comp_targetILNS1_3genE8ELNS1_11target_archE1030ELNS1_3gpuE2ELNS1_3repE0EEENS1_44radix_sort_block_sort_config_static_selectorELNS0_4arch9wavefront6targetE1EEEvSJ_,@function
_ZN7rocprim17ROCPRIM_400000_NS6detail17trampoline_kernelINS0_13kernel_configILj256ELj4ELj4294967295EEENS1_37radix_sort_block_sort_config_selectorIiNS0_10empty_typeEEEZNS1_21radix_sort_block_sortIS4_Lb1EN6thrust23THRUST_200600_302600_NS6detail15normal_iteratorINSA_10device_ptrIiEEEESF_PS6_SG_NS0_19identity_decomposerEEE10hipError_tT1_T2_T3_T4_jRjT5_jjP12ihipStream_tbEUlT_E_NS1_11comp_targetILNS1_3genE8ELNS1_11target_archE1030ELNS1_3gpuE2ELNS1_3repE0EEENS1_44radix_sort_block_sort_config_static_selectorELNS0_4arch9wavefront6targetE1EEEvSJ_: ; @_ZN7rocprim17ROCPRIM_400000_NS6detail17trampoline_kernelINS0_13kernel_configILj256ELj4ELj4294967295EEENS1_37radix_sort_block_sort_config_selectorIiNS0_10empty_typeEEEZNS1_21radix_sort_block_sortIS4_Lb1EN6thrust23THRUST_200600_302600_NS6detail15normal_iteratorINSA_10device_ptrIiEEEESF_PS6_SG_NS0_19identity_decomposerEEE10hipError_tT1_T2_T3_T4_jRjT5_jjP12ihipStream_tbEUlT_E_NS1_11comp_targetILNS1_3genE8ELNS1_11target_archE1030ELNS1_3gpuE2ELNS1_3repE0EEENS1_44radix_sort_block_sort_config_static_selectorELNS0_4arch9wavefront6targetE1EEEvSJ_
; %bb.0:
	.section	.rodata,"a",@progbits
	.p2align	6, 0x0
	.amdhsa_kernel _ZN7rocprim17ROCPRIM_400000_NS6detail17trampoline_kernelINS0_13kernel_configILj256ELj4ELj4294967295EEENS1_37radix_sort_block_sort_config_selectorIiNS0_10empty_typeEEEZNS1_21radix_sort_block_sortIS4_Lb1EN6thrust23THRUST_200600_302600_NS6detail15normal_iteratorINSA_10device_ptrIiEEEESF_PS6_SG_NS0_19identity_decomposerEEE10hipError_tT1_T2_T3_T4_jRjT5_jjP12ihipStream_tbEUlT_E_NS1_11comp_targetILNS1_3genE8ELNS1_11target_archE1030ELNS1_3gpuE2ELNS1_3repE0EEENS1_44radix_sort_block_sort_config_static_selectorELNS0_4arch9wavefront6targetE1EEEvSJ_
		.amdhsa_group_segment_fixed_size 0
		.amdhsa_private_segment_fixed_size 0
		.amdhsa_kernarg_size 48
		.amdhsa_user_sgpr_count 2
		.amdhsa_user_sgpr_dispatch_ptr 0
		.amdhsa_user_sgpr_queue_ptr 0
		.amdhsa_user_sgpr_kernarg_segment_ptr 1
		.amdhsa_user_sgpr_dispatch_id 0
		.amdhsa_user_sgpr_kernarg_preload_length 0
		.amdhsa_user_sgpr_kernarg_preload_offset 0
		.amdhsa_user_sgpr_private_segment_size 0
		.amdhsa_uses_dynamic_stack 0
		.amdhsa_enable_private_segment 0
		.amdhsa_system_sgpr_workgroup_id_x 1
		.amdhsa_system_sgpr_workgroup_id_y 0
		.amdhsa_system_sgpr_workgroup_id_z 0
		.amdhsa_system_sgpr_workgroup_info 0
		.amdhsa_system_vgpr_workitem_id 0
		.amdhsa_next_free_vgpr 1
		.amdhsa_next_free_sgpr 0
		.amdhsa_accum_offset 4
		.amdhsa_reserve_vcc 0
		.amdhsa_float_round_mode_32 0
		.amdhsa_float_round_mode_16_64 0
		.amdhsa_float_denorm_mode_32 3
		.amdhsa_float_denorm_mode_16_64 3
		.amdhsa_dx10_clamp 1
		.amdhsa_ieee_mode 1
		.amdhsa_fp16_overflow 0
		.amdhsa_tg_split 0
		.amdhsa_exception_fp_ieee_invalid_op 0
		.amdhsa_exception_fp_denorm_src 0
		.amdhsa_exception_fp_ieee_div_zero 0
		.amdhsa_exception_fp_ieee_overflow 0
		.amdhsa_exception_fp_ieee_underflow 0
		.amdhsa_exception_fp_ieee_inexact 0
		.amdhsa_exception_int_div_zero 0
	.end_amdhsa_kernel
	.section	.text._ZN7rocprim17ROCPRIM_400000_NS6detail17trampoline_kernelINS0_13kernel_configILj256ELj4ELj4294967295EEENS1_37radix_sort_block_sort_config_selectorIiNS0_10empty_typeEEEZNS1_21radix_sort_block_sortIS4_Lb1EN6thrust23THRUST_200600_302600_NS6detail15normal_iteratorINSA_10device_ptrIiEEEESF_PS6_SG_NS0_19identity_decomposerEEE10hipError_tT1_T2_T3_T4_jRjT5_jjP12ihipStream_tbEUlT_E_NS1_11comp_targetILNS1_3genE8ELNS1_11target_archE1030ELNS1_3gpuE2ELNS1_3repE0EEENS1_44radix_sort_block_sort_config_static_selectorELNS0_4arch9wavefront6targetE1EEEvSJ_,"axG",@progbits,_ZN7rocprim17ROCPRIM_400000_NS6detail17trampoline_kernelINS0_13kernel_configILj256ELj4ELj4294967295EEENS1_37radix_sort_block_sort_config_selectorIiNS0_10empty_typeEEEZNS1_21radix_sort_block_sortIS4_Lb1EN6thrust23THRUST_200600_302600_NS6detail15normal_iteratorINSA_10device_ptrIiEEEESF_PS6_SG_NS0_19identity_decomposerEEE10hipError_tT1_T2_T3_T4_jRjT5_jjP12ihipStream_tbEUlT_E_NS1_11comp_targetILNS1_3genE8ELNS1_11target_archE1030ELNS1_3gpuE2ELNS1_3repE0EEENS1_44radix_sort_block_sort_config_static_selectorELNS0_4arch9wavefront6targetE1EEEvSJ_,comdat
.Lfunc_end221:
	.size	_ZN7rocprim17ROCPRIM_400000_NS6detail17trampoline_kernelINS0_13kernel_configILj256ELj4ELj4294967295EEENS1_37radix_sort_block_sort_config_selectorIiNS0_10empty_typeEEEZNS1_21radix_sort_block_sortIS4_Lb1EN6thrust23THRUST_200600_302600_NS6detail15normal_iteratorINSA_10device_ptrIiEEEESF_PS6_SG_NS0_19identity_decomposerEEE10hipError_tT1_T2_T3_T4_jRjT5_jjP12ihipStream_tbEUlT_E_NS1_11comp_targetILNS1_3genE8ELNS1_11target_archE1030ELNS1_3gpuE2ELNS1_3repE0EEENS1_44radix_sort_block_sort_config_static_selectorELNS0_4arch9wavefront6targetE1EEEvSJ_, .Lfunc_end221-_ZN7rocprim17ROCPRIM_400000_NS6detail17trampoline_kernelINS0_13kernel_configILj256ELj4ELj4294967295EEENS1_37radix_sort_block_sort_config_selectorIiNS0_10empty_typeEEEZNS1_21radix_sort_block_sortIS4_Lb1EN6thrust23THRUST_200600_302600_NS6detail15normal_iteratorINSA_10device_ptrIiEEEESF_PS6_SG_NS0_19identity_decomposerEEE10hipError_tT1_T2_T3_T4_jRjT5_jjP12ihipStream_tbEUlT_E_NS1_11comp_targetILNS1_3genE8ELNS1_11target_archE1030ELNS1_3gpuE2ELNS1_3repE0EEENS1_44radix_sort_block_sort_config_static_selectorELNS0_4arch9wavefront6targetE1EEEvSJ_
                                        ; -- End function
	.set _ZN7rocprim17ROCPRIM_400000_NS6detail17trampoline_kernelINS0_13kernel_configILj256ELj4ELj4294967295EEENS1_37radix_sort_block_sort_config_selectorIiNS0_10empty_typeEEEZNS1_21radix_sort_block_sortIS4_Lb1EN6thrust23THRUST_200600_302600_NS6detail15normal_iteratorINSA_10device_ptrIiEEEESF_PS6_SG_NS0_19identity_decomposerEEE10hipError_tT1_T2_T3_T4_jRjT5_jjP12ihipStream_tbEUlT_E_NS1_11comp_targetILNS1_3genE8ELNS1_11target_archE1030ELNS1_3gpuE2ELNS1_3repE0EEENS1_44radix_sort_block_sort_config_static_selectorELNS0_4arch9wavefront6targetE1EEEvSJ_.num_vgpr, 0
	.set _ZN7rocprim17ROCPRIM_400000_NS6detail17trampoline_kernelINS0_13kernel_configILj256ELj4ELj4294967295EEENS1_37radix_sort_block_sort_config_selectorIiNS0_10empty_typeEEEZNS1_21radix_sort_block_sortIS4_Lb1EN6thrust23THRUST_200600_302600_NS6detail15normal_iteratorINSA_10device_ptrIiEEEESF_PS6_SG_NS0_19identity_decomposerEEE10hipError_tT1_T2_T3_T4_jRjT5_jjP12ihipStream_tbEUlT_E_NS1_11comp_targetILNS1_3genE8ELNS1_11target_archE1030ELNS1_3gpuE2ELNS1_3repE0EEENS1_44radix_sort_block_sort_config_static_selectorELNS0_4arch9wavefront6targetE1EEEvSJ_.num_agpr, 0
	.set _ZN7rocprim17ROCPRIM_400000_NS6detail17trampoline_kernelINS0_13kernel_configILj256ELj4ELj4294967295EEENS1_37radix_sort_block_sort_config_selectorIiNS0_10empty_typeEEEZNS1_21radix_sort_block_sortIS4_Lb1EN6thrust23THRUST_200600_302600_NS6detail15normal_iteratorINSA_10device_ptrIiEEEESF_PS6_SG_NS0_19identity_decomposerEEE10hipError_tT1_T2_T3_T4_jRjT5_jjP12ihipStream_tbEUlT_E_NS1_11comp_targetILNS1_3genE8ELNS1_11target_archE1030ELNS1_3gpuE2ELNS1_3repE0EEENS1_44radix_sort_block_sort_config_static_selectorELNS0_4arch9wavefront6targetE1EEEvSJ_.numbered_sgpr, 0
	.set _ZN7rocprim17ROCPRIM_400000_NS6detail17trampoline_kernelINS0_13kernel_configILj256ELj4ELj4294967295EEENS1_37radix_sort_block_sort_config_selectorIiNS0_10empty_typeEEEZNS1_21radix_sort_block_sortIS4_Lb1EN6thrust23THRUST_200600_302600_NS6detail15normal_iteratorINSA_10device_ptrIiEEEESF_PS6_SG_NS0_19identity_decomposerEEE10hipError_tT1_T2_T3_T4_jRjT5_jjP12ihipStream_tbEUlT_E_NS1_11comp_targetILNS1_3genE8ELNS1_11target_archE1030ELNS1_3gpuE2ELNS1_3repE0EEENS1_44radix_sort_block_sort_config_static_selectorELNS0_4arch9wavefront6targetE1EEEvSJ_.num_named_barrier, 0
	.set _ZN7rocprim17ROCPRIM_400000_NS6detail17trampoline_kernelINS0_13kernel_configILj256ELj4ELj4294967295EEENS1_37radix_sort_block_sort_config_selectorIiNS0_10empty_typeEEEZNS1_21radix_sort_block_sortIS4_Lb1EN6thrust23THRUST_200600_302600_NS6detail15normal_iteratorINSA_10device_ptrIiEEEESF_PS6_SG_NS0_19identity_decomposerEEE10hipError_tT1_T2_T3_T4_jRjT5_jjP12ihipStream_tbEUlT_E_NS1_11comp_targetILNS1_3genE8ELNS1_11target_archE1030ELNS1_3gpuE2ELNS1_3repE0EEENS1_44radix_sort_block_sort_config_static_selectorELNS0_4arch9wavefront6targetE1EEEvSJ_.private_seg_size, 0
	.set _ZN7rocprim17ROCPRIM_400000_NS6detail17trampoline_kernelINS0_13kernel_configILj256ELj4ELj4294967295EEENS1_37radix_sort_block_sort_config_selectorIiNS0_10empty_typeEEEZNS1_21radix_sort_block_sortIS4_Lb1EN6thrust23THRUST_200600_302600_NS6detail15normal_iteratorINSA_10device_ptrIiEEEESF_PS6_SG_NS0_19identity_decomposerEEE10hipError_tT1_T2_T3_T4_jRjT5_jjP12ihipStream_tbEUlT_E_NS1_11comp_targetILNS1_3genE8ELNS1_11target_archE1030ELNS1_3gpuE2ELNS1_3repE0EEENS1_44radix_sort_block_sort_config_static_selectorELNS0_4arch9wavefront6targetE1EEEvSJ_.uses_vcc, 0
	.set _ZN7rocprim17ROCPRIM_400000_NS6detail17trampoline_kernelINS0_13kernel_configILj256ELj4ELj4294967295EEENS1_37radix_sort_block_sort_config_selectorIiNS0_10empty_typeEEEZNS1_21radix_sort_block_sortIS4_Lb1EN6thrust23THRUST_200600_302600_NS6detail15normal_iteratorINSA_10device_ptrIiEEEESF_PS6_SG_NS0_19identity_decomposerEEE10hipError_tT1_T2_T3_T4_jRjT5_jjP12ihipStream_tbEUlT_E_NS1_11comp_targetILNS1_3genE8ELNS1_11target_archE1030ELNS1_3gpuE2ELNS1_3repE0EEENS1_44radix_sort_block_sort_config_static_selectorELNS0_4arch9wavefront6targetE1EEEvSJ_.uses_flat_scratch, 0
	.set _ZN7rocprim17ROCPRIM_400000_NS6detail17trampoline_kernelINS0_13kernel_configILj256ELj4ELj4294967295EEENS1_37radix_sort_block_sort_config_selectorIiNS0_10empty_typeEEEZNS1_21radix_sort_block_sortIS4_Lb1EN6thrust23THRUST_200600_302600_NS6detail15normal_iteratorINSA_10device_ptrIiEEEESF_PS6_SG_NS0_19identity_decomposerEEE10hipError_tT1_T2_T3_T4_jRjT5_jjP12ihipStream_tbEUlT_E_NS1_11comp_targetILNS1_3genE8ELNS1_11target_archE1030ELNS1_3gpuE2ELNS1_3repE0EEENS1_44radix_sort_block_sort_config_static_selectorELNS0_4arch9wavefront6targetE1EEEvSJ_.has_dyn_sized_stack, 0
	.set _ZN7rocprim17ROCPRIM_400000_NS6detail17trampoline_kernelINS0_13kernel_configILj256ELj4ELj4294967295EEENS1_37radix_sort_block_sort_config_selectorIiNS0_10empty_typeEEEZNS1_21radix_sort_block_sortIS4_Lb1EN6thrust23THRUST_200600_302600_NS6detail15normal_iteratorINSA_10device_ptrIiEEEESF_PS6_SG_NS0_19identity_decomposerEEE10hipError_tT1_T2_T3_T4_jRjT5_jjP12ihipStream_tbEUlT_E_NS1_11comp_targetILNS1_3genE8ELNS1_11target_archE1030ELNS1_3gpuE2ELNS1_3repE0EEENS1_44radix_sort_block_sort_config_static_selectorELNS0_4arch9wavefront6targetE1EEEvSJ_.has_recursion, 0
	.set _ZN7rocprim17ROCPRIM_400000_NS6detail17trampoline_kernelINS0_13kernel_configILj256ELj4ELj4294967295EEENS1_37radix_sort_block_sort_config_selectorIiNS0_10empty_typeEEEZNS1_21radix_sort_block_sortIS4_Lb1EN6thrust23THRUST_200600_302600_NS6detail15normal_iteratorINSA_10device_ptrIiEEEESF_PS6_SG_NS0_19identity_decomposerEEE10hipError_tT1_T2_T3_T4_jRjT5_jjP12ihipStream_tbEUlT_E_NS1_11comp_targetILNS1_3genE8ELNS1_11target_archE1030ELNS1_3gpuE2ELNS1_3repE0EEENS1_44radix_sort_block_sort_config_static_selectorELNS0_4arch9wavefront6targetE1EEEvSJ_.has_indirect_call, 0
	.section	.AMDGPU.csdata,"",@progbits
; Kernel info:
; codeLenInByte = 0
; TotalNumSgprs: 6
; NumVgprs: 0
; NumAgprs: 0
; TotalNumVgprs: 0
; ScratchSize: 0
; MemoryBound: 0
; FloatMode: 240
; IeeeMode: 1
; LDSByteSize: 0 bytes/workgroup (compile time only)
; SGPRBlocks: 0
; VGPRBlocks: 0
; NumSGPRsForWavesPerEU: 6
; NumVGPRsForWavesPerEU: 1
; AccumOffset: 4
; Occupancy: 8
; WaveLimiterHint : 0
; COMPUTE_PGM_RSRC2:SCRATCH_EN: 0
; COMPUTE_PGM_RSRC2:USER_SGPR: 2
; COMPUTE_PGM_RSRC2:TRAP_HANDLER: 0
; COMPUTE_PGM_RSRC2:TGID_X_EN: 1
; COMPUTE_PGM_RSRC2:TGID_Y_EN: 0
; COMPUTE_PGM_RSRC2:TGID_Z_EN: 0
; COMPUTE_PGM_RSRC2:TIDIG_COMP_CNT: 0
; COMPUTE_PGM_RSRC3_GFX90A:ACCUM_OFFSET: 0
; COMPUTE_PGM_RSRC3_GFX90A:TG_SPLIT: 0
	.section	.text._ZN7rocprim17ROCPRIM_400000_NS6detail17trampoline_kernelINS0_14default_configENS1_38merge_sort_block_merge_config_selectorIiNS0_10empty_typeEEEZZNS1_27merge_sort_block_merge_implIS3_N6thrust23THRUST_200600_302600_NS6detail15normal_iteratorINS9_10device_ptrIiEEEEPS5_jNS1_19radix_merge_compareILb1ELb0EiNS0_19identity_decomposerEEEEE10hipError_tT0_T1_T2_jT3_P12ihipStream_tbPNSt15iterator_traitsISK_E10value_typeEPNSQ_ISL_E10value_typeEPSM_NS1_7vsmem_tEENKUlT_SK_SL_SM_E_clIPiSE_SF_SF_EESJ_SZ_SK_SL_SM_EUlSZ_E_NS1_11comp_targetILNS1_3genE0ELNS1_11target_archE4294967295ELNS1_3gpuE0ELNS1_3repE0EEENS1_48merge_mergepath_partition_config_static_selectorELNS0_4arch9wavefront6targetE1EEEvSL_,"axG",@progbits,_ZN7rocprim17ROCPRIM_400000_NS6detail17trampoline_kernelINS0_14default_configENS1_38merge_sort_block_merge_config_selectorIiNS0_10empty_typeEEEZZNS1_27merge_sort_block_merge_implIS3_N6thrust23THRUST_200600_302600_NS6detail15normal_iteratorINS9_10device_ptrIiEEEEPS5_jNS1_19radix_merge_compareILb1ELb0EiNS0_19identity_decomposerEEEEE10hipError_tT0_T1_T2_jT3_P12ihipStream_tbPNSt15iterator_traitsISK_E10value_typeEPNSQ_ISL_E10value_typeEPSM_NS1_7vsmem_tEENKUlT_SK_SL_SM_E_clIPiSE_SF_SF_EESJ_SZ_SK_SL_SM_EUlSZ_E_NS1_11comp_targetILNS1_3genE0ELNS1_11target_archE4294967295ELNS1_3gpuE0ELNS1_3repE0EEENS1_48merge_mergepath_partition_config_static_selectorELNS0_4arch9wavefront6targetE1EEEvSL_,comdat
	.protected	_ZN7rocprim17ROCPRIM_400000_NS6detail17trampoline_kernelINS0_14default_configENS1_38merge_sort_block_merge_config_selectorIiNS0_10empty_typeEEEZZNS1_27merge_sort_block_merge_implIS3_N6thrust23THRUST_200600_302600_NS6detail15normal_iteratorINS9_10device_ptrIiEEEEPS5_jNS1_19radix_merge_compareILb1ELb0EiNS0_19identity_decomposerEEEEE10hipError_tT0_T1_T2_jT3_P12ihipStream_tbPNSt15iterator_traitsISK_E10value_typeEPNSQ_ISL_E10value_typeEPSM_NS1_7vsmem_tEENKUlT_SK_SL_SM_E_clIPiSE_SF_SF_EESJ_SZ_SK_SL_SM_EUlSZ_E_NS1_11comp_targetILNS1_3genE0ELNS1_11target_archE4294967295ELNS1_3gpuE0ELNS1_3repE0EEENS1_48merge_mergepath_partition_config_static_selectorELNS0_4arch9wavefront6targetE1EEEvSL_ ; -- Begin function _ZN7rocprim17ROCPRIM_400000_NS6detail17trampoline_kernelINS0_14default_configENS1_38merge_sort_block_merge_config_selectorIiNS0_10empty_typeEEEZZNS1_27merge_sort_block_merge_implIS3_N6thrust23THRUST_200600_302600_NS6detail15normal_iteratorINS9_10device_ptrIiEEEEPS5_jNS1_19radix_merge_compareILb1ELb0EiNS0_19identity_decomposerEEEEE10hipError_tT0_T1_T2_jT3_P12ihipStream_tbPNSt15iterator_traitsISK_E10value_typeEPNSQ_ISL_E10value_typeEPSM_NS1_7vsmem_tEENKUlT_SK_SL_SM_E_clIPiSE_SF_SF_EESJ_SZ_SK_SL_SM_EUlSZ_E_NS1_11comp_targetILNS1_3genE0ELNS1_11target_archE4294967295ELNS1_3gpuE0ELNS1_3repE0EEENS1_48merge_mergepath_partition_config_static_selectorELNS0_4arch9wavefront6targetE1EEEvSL_
	.globl	_ZN7rocprim17ROCPRIM_400000_NS6detail17trampoline_kernelINS0_14default_configENS1_38merge_sort_block_merge_config_selectorIiNS0_10empty_typeEEEZZNS1_27merge_sort_block_merge_implIS3_N6thrust23THRUST_200600_302600_NS6detail15normal_iteratorINS9_10device_ptrIiEEEEPS5_jNS1_19radix_merge_compareILb1ELb0EiNS0_19identity_decomposerEEEEE10hipError_tT0_T1_T2_jT3_P12ihipStream_tbPNSt15iterator_traitsISK_E10value_typeEPNSQ_ISL_E10value_typeEPSM_NS1_7vsmem_tEENKUlT_SK_SL_SM_E_clIPiSE_SF_SF_EESJ_SZ_SK_SL_SM_EUlSZ_E_NS1_11comp_targetILNS1_3genE0ELNS1_11target_archE4294967295ELNS1_3gpuE0ELNS1_3repE0EEENS1_48merge_mergepath_partition_config_static_selectorELNS0_4arch9wavefront6targetE1EEEvSL_
	.p2align	8
	.type	_ZN7rocprim17ROCPRIM_400000_NS6detail17trampoline_kernelINS0_14default_configENS1_38merge_sort_block_merge_config_selectorIiNS0_10empty_typeEEEZZNS1_27merge_sort_block_merge_implIS3_N6thrust23THRUST_200600_302600_NS6detail15normal_iteratorINS9_10device_ptrIiEEEEPS5_jNS1_19radix_merge_compareILb1ELb0EiNS0_19identity_decomposerEEEEE10hipError_tT0_T1_T2_jT3_P12ihipStream_tbPNSt15iterator_traitsISK_E10value_typeEPNSQ_ISL_E10value_typeEPSM_NS1_7vsmem_tEENKUlT_SK_SL_SM_E_clIPiSE_SF_SF_EESJ_SZ_SK_SL_SM_EUlSZ_E_NS1_11comp_targetILNS1_3genE0ELNS1_11target_archE4294967295ELNS1_3gpuE0ELNS1_3repE0EEENS1_48merge_mergepath_partition_config_static_selectorELNS0_4arch9wavefront6targetE1EEEvSL_,@function
_ZN7rocprim17ROCPRIM_400000_NS6detail17trampoline_kernelINS0_14default_configENS1_38merge_sort_block_merge_config_selectorIiNS0_10empty_typeEEEZZNS1_27merge_sort_block_merge_implIS3_N6thrust23THRUST_200600_302600_NS6detail15normal_iteratorINS9_10device_ptrIiEEEEPS5_jNS1_19radix_merge_compareILb1ELb0EiNS0_19identity_decomposerEEEEE10hipError_tT0_T1_T2_jT3_P12ihipStream_tbPNSt15iterator_traitsISK_E10value_typeEPNSQ_ISL_E10value_typeEPSM_NS1_7vsmem_tEENKUlT_SK_SL_SM_E_clIPiSE_SF_SF_EESJ_SZ_SK_SL_SM_EUlSZ_E_NS1_11comp_targetILNS1_3genE0ELNS1_11target_archE4294967295ELNS1_3gpuE0ELNS1_3repE0EEENS1_48merge_mergepath_partition_config_static_selectorELNS0_4arch9wavefront6targetE1EEEvSL_: ; @_ZN7rocprim17ROCPRIM_400000_NS6detail17trampoline_kernelINS0_14default_configENS1_38merge_sort_block_merge_config_selectorIiNS0_10empty_typeEEEZZNS1_27merge_sort_block_merge_implIS3_N6thrust23THRUST_200600_302600_NS6detail15normal_iteratorINS9_10device_ptrIiEEEEPS5_jNS1_19radix_merge_compareILb1ELb0EiNS0_19identity_decomposerEEEEE10hipError_tT0_T1_T2_jT3_P12ihipStream_tbPNSt15iterator_traitsISK_E10value_typeEPNSQ_ISL_E10value_typeEPSM_NS1_7vsmem_tEENKUlT_SK_SL_SM_E_clIPiSE_SF_SF_EESJ_SZ_SK_SL_SM_EUlSZ_E_NS1_11comp_targetILNS1_3genE0ELNS1_11target_archE4294967295ELNS1_3gpuE0ELNS1_3repE0EEENS1_48merge_mergepath_partition_config_static_selectorELNS0_4arch9wavefront6targetE1EEEvSL_
; %bb.0:
	s_load_dword s3, s[0:1], 0x0
	v_lshl_or_b32 v0, s2, 7, v0
	s_waitcnt lgkmcnt(0)
	v_cmp_gt_u32_e32 vcc, s3, v0
	s_and_saveexec_b64 s[2:3], vcc
	s_cbranch_execz .LBB222_6
; %bb.1:
	s_load_dwordx2 s[4:5], s[0:1], 0x4
	s_load_dwordx2 s[2:3], s[0:1], 0x20
	s_waitcnt lgkmcnt(0)
	s_lshr_b32 s6, s4, 9
	s_and_b32 s6, s6, 0x7ffffe
	s_add_i32 s7, s6, -1
	s_sub_i32 s6, 0, s6
	v_and_b32_e32 v1, s6, v0
	v_lshlrev_b32_e32 v1, 10, v1
	v_min_u32_e32 v2, s5, v1
	v_add_u32_e32 v1, s4, v1
	v_min_u32_e32 v4, s5, v1
	v_add_u32_e32 v1, s4, v4
	v_and_b32_e32 v3, s7, v0
	v_min_u32_e32 v1, s5, v1
	v_sub_u32_e32 v5, v1, v2
	v_lshlrev_b32_e32 v3, 10, v3
	v_min_u32_e32 v10, v5, v3
	v_sub_u32_e32 v3, v4, v2
	v_sub_u32_e32 v1, v1, v4
	v_sub_u32_e64 v1, v10, v1 clamp
	v_min_u32_e32 v11, v10, v3
	v_cmp_lt_u32_e32 vcc, v1, v11
	s_and_saveexec_b64 s[4:5], vcc
	s_cbranch_execz .LBB222_5
; %bb.2:
	s_load_dwordx2 s[0:1], s[0:1], 0x10
	v_mov_b32_e32 v5, 0
	v_mov_b32_e32 v3, v5
	s_waitcnt lgkmcnt(0)
	v_lshl_add_u64 v[6:7], v[2:3], 2, s[0:1]
	v_lshl_add_u64 v[8:9], v[4:5], 2, s[0:1]
	s_mov_b64 s[0:1], 0
.LBB222_3:                              ; =>This Inner Loop Header: Depth=1
	v_add_u32_e32 v3, v11, v1
	v_lshrrev_b32_e32 v4, 1, v3
	v_mov_b32_e32 v13, v5
	v_xad_u32 v12, v4, -1, v10
	v_lshl_add_u64 v[14:15], v[4:5], 2, v[6:7]
	v_lshl_add_u64 v[12:13], v[12:13], 2, v[8:9]
	global_load_dword v3, v[14:15], off
	global_load_dword v16, v[12:13], off
	v_add_u32_e32 v12, 1, v4
	s_waitcnt vmcnt(0)
	v_cmp_gt_i32_e32 vcc, v16, v3
	s_nop 1
	v_cndmask_b32_e32 v11, v11, v4, vcc
	v_cndmask_b32_e32 v1, v12, v1, vcc
	v_cmp_ge_u32_e32 vcc, v1, v11
	s_or_b64 s[0:1], vcc, s[0:1]
	s_andn2_b64 exec, exec, s[0:1]
	s_cbranch_execnz .LBB222_3
; %bb.4:
	s_or_b64 exec, exec, s[0:1]
.LBB222_5:
	s_or_b64 exec, exec, s[4:5]
	v_add_u32_e32 v2, v1, v2
	v_mov_b32_e32 v1, 0
	v_lshl_add_u64 v[0:1], v[0:1], 2, s[2:3]
	global_store_dword v[0:1], v2, off
.LBB222_6:
	s_endpgm
	.section	.rodata,"a",@progbits
	.p2align	6, 0x0
	.amdhsa_kernel _ZN7rocprim17ROCPRIM_400000_NS6detail17trampoline_kernelINS0_14default_configENS1_38merge_sort_block_merge_config_selectorIiNS0_10empty_typeEEEZZNS1_27merge_sort_block_merge_implIS3_N6thrust23THRUST_200600_302600_NS6detail15normal_iteratorINS9_10device_ptrIiEEEEPS5_jNS1_19radix_merge_compareILb1ELb0EiNS0_19identity_decomposerEEEEE10hipError_tT0_T1_T2_jT3_P12ihipStream_tbPNSt15iterator_traitsISK_E10value_typeEPNSQ_ISL_E10value_typeEPSM_NS1_7vsmem_tEENKUlT_SK_SL_SM_E_clIPiSE_SF_SF_EESJ_SZ_SK_SL_SM_EUlSZ_E_NS1_11comp_targetILNS1_3genE0ELNS1_11target_archE4294967295ELNS1_3gpuE0ELNS1_3repE0EEENS1_48merge_mergepath_partition_config_static_selectorELNS0_4arch9wavefront6targetE1EEEvSL_
		.amdhsa_group_segment_fixed_size 0
		.amdhsa_private_segment_fixed_size 0
		.amdhsa_kernarg_size 40
		.amdhsa_user_sgpr_count 2
		.amdhsa_user_sgpr_dispatch_ptr 0
		.amdhsa_user_sgpr_queue_ptr 0
		.amdhsa_user_sgpr_kernarg_segment_ptr 1
		.amdhsa_user_sgpr_dispatch_id 0
		.amdhsa_user_sgpr_kernarg_preload_length 0
		.amdhsa_user_sgpr_kernarg_preload_offset 0
		.amdhsa_user_sgpr_private_segment_size 0
		.amdhsa_uses_dynamic_stack 0
		.amdhsa_enable_private_segment 0
		.amdhsa_system_sgpr_workgroup_id_x 1
		.amdhsa_system_sgpr_workgroup_id_y 0
		.amdhsa_system_sgpr_workgroup_id_z 0
		.amdhsa_system_sgpr_workgroup_info 0
		.amdhsa_system_vgpr_workitem_id 0
		.amdhsa_next_free_vgpr 17
		.amdhsa_next_free_sgpr 8
		.amdhsa_accum_offset 20
		.amdhsa_reserve_vcc 1
		.amdhsa_float_round_mode_32 0
		.amdhsa_float_round_mode_16_64 0
		.amdhsa_float_denorm_mode_32 3
		.amdhsa_float_denorm_mode_16_64 3
		.amdhsa_dx10_clamp 1
		.amdhsa_ieee_mode 1
		.amdhsa_fp16_overflow 0
		.amdhsa_tg_split 0
		.amdhsa_exception_fp_ieee_invalid_op 0
		.amdhsa_exception_fp_denorm_src 0
		.amdhsa_exception_fp_ieee_div_zero 0
		.amdhsa_exception_fp_ieee_overflow 0
		.amdhsa_exception_fp_ieee_underflow 0
		.amdhsa_exception_fp_ieee_inexact 0
		.amdhsa_exception_int_div_zero 0
	.end_amdhsa_kernel
	.section	.text._ZN7rocprim17ROCPRIM_400000_NS6detail17trampoline_kernelINS0_14default_configENS1_38merge_sort_block_merge_config_selectorIiNS0_10empty_typeEEEZZNS1_27merge_sort_block_merge_implIS3_N6thrust23THRUST_200600_302600_NS6detail15normal_iteratorINS9_10device_ptrIiEEEEPS5_jNS1_19radix_merge_compareILb1ELb0EiNS0_19identity_decomposerEEEEE10hipError_tT0_T1_T2_jT3_P12ihipStream_tbPNSt15iterator_traitsISK_E10value_typeEPNSQ_ISL_E10value_typeEPSM_NS1_7vsmem_tEENKUlT_SK_SL_SM_E_clIPiSE_SF_SF_EESJ_SZ_SK_SL_SM_EUlSZ_E_NS1_11comp_targetILNS1_3genE0ELNS1_11target_archE4294967295ELNS1_3gpuE0ELNS1_3repE0EEENS1_48merge_mergepath_partition_config_static_selectorELNS0_4arch9wavefront6targetE1EEEvSL_,"axG",@progbits,_ZN7rocprim17ROCPRIM_400000_NS6detail17trampoline_kernelINS0_14default_configENS1_38merge_sort_block_merge_config_selectorIiNS0_10empty_typeEEEZZNS1_27merge_sort_block_merge_implIS3_N6thrust23THRUST_200600_302600_NS6detail15normal_iteratorINS9_10device_ptrIiEEEEPS5_jNS1_19radix_merge_compareILb1ELb0EiNS0_19identity_decomposerEEEEE10hipError_tT0_T1_T2_jT3_P12ihipStream_tbPNSt15iterator_traitsISK_E10value_typeEPNSQ_ISL_E10value_typeEPSM_NS1_7vsmem_tEENKUlT_SK_SL_SM_E_clIPiSE_SF_SF_EESJ_SZ_SK_SL_SM_EUlSZ_E_NS1_11comp_targetILNS1_3genE0ELNS1_11target_archE4294967295ELNS1_3gpuE0ELNS1_3repE0EEENS1_48merge_mergepath_partition_config_static_selectorELNS0_4arch9wavefront6targetE1EEEvSL_,comdat
.Lfunc_end222:
	.size	_ZN7rocprim17ROCPRIM_400000_NS6detail17trampoline_kernelINS0_14default_configENS1_38merge_sort_block_merge_config_selectorIiNS0_10empty_typeEEEZZNS1_27merge_sort_block_merge_implIS3_N6thrust23THRUST_200600_302600_NS6detail15normal_iteratorINS9_10device_ptrIiEEEEPS5_jNS1_19radix_merge_compareILb1ELb0EiNS0_19identity_decomposerEEEEE10hipError_tT0_T1_T2_jT3_P12ihipStream_tbPNSt15iterator_traitsISK_E10value_typeEPNSQ_ISL_E10value_typeEPSM_NS1_7vsmem_tEENKUlT_SK_SL_SM_E_clIPiSE_SF_SF_EESJ_SZ_SK_SL_SM_EUlSZ_E_NS1_11comp_targetILNS1_3genE0ELNS1_11target_archE4294967295ELNS1_3gpuE0ELNS1_3repE0EEENS1_48merge_mergepath_partition_config_static_selectorELNS0_4arch9wavefront6targetE1EEEvSL_, .Lfunc_end222-_ZN7rocprim17ROCPRIM_400000_NS6detail17trampoline_kernelINS0_14default_configENS1_38merge_sort_block_merge_config_selectorIiNS0_10empty_typeEEEZZNS1_27merge_sort_block_merge_implIS3_N6thrust23THRUST_200600_302600_NS6detail15normal_iteratorINS9_10device_ptrIiEEEEPS5_jNS1_19radix_merge_compareILb1ELb0EiNS0_19identity_decomposerEEEEE10hipError_tT0_T1_T2_jT3_P12ihipStream_tbPNSt15iterator_traitsISK_E10value_typeEPNSQ_ISL_E10value_typeEPSM_NS1_7vsmem_tEENKUlT_SK_SL_SM_E_clIPiSE_SF_SF_EESJ_SZ_SK_SL_SM_EUlSZ_E_NS1_11comp_targetILNS1_3genE0ELNS1_11target_archE4294967295ELNS1_3gpuE0ELNS1_3repE0EEENS1_48merge_mergepath_partition_config_static_selectorELNS0_4arch9wavefront6targetE1EEEvSL_
                                        ; -- End function
	.set _ZN7rocprim17ROCPRIM_400000_NS6detail17trampoline_kernelINS0_14default_configENS1_38merge_sort_block_merge_config_selectorIiNS0_10empty_typeEEEZZNS1_27merge_sort_block_merge_implIS3_N6thrust23THRUST_200600_302600_NS6detail15normal_iteratorINS9_10device_ptrIiEEEEPS5_jNS1_19radix_merge_compareILb1ELb0EiNS0_19identity_decomposerEEEEE10hipError_tT0_T1_T2_jT3_P12ihipStream_tbPNSt15iterator_traitsISK_E10value_typeEPNSQ_ISL_E10value_typeEPSM_NS1_7vsmem_tEENKUlT_SK_SL_SM_E_clIPiSE_SF_SF_EESJ_SZ_SK_SL_SM_EUlSZ_E_NS1_11comp_targetILNS1_3genE0ELNS1_11target_archE4294967295ELNS1_3gpuE0ELNS1_3repE0EEENS1_48merge_mergepath_partition_config_static_selectorELNS0_4arch9wavefront6targetE1EEEvSL_.num_vgpr, 17
	.set _ZN7rocprim17ROCPRIM_400000_NS6detail17trampoline_kernelINS0_14default_configENS1_38merge_sort_block_merge_config_selectorIiNS0_10empty_typeEEEZZNS1_27merge_sort_block_merge_implIS3_N6thrust23THRUST_200600_302600_NS6detail15normal_iteratorINS9_10device_ptrIiEEEEPS5_jNS1_19radix_merge_compareILb1ELb0EiNS0_19identity_decomposerEEEEE10hipError_tT0_T1_T2_jT3_P12ihipStream_tbPNSt15iterator_traitsISK_E10value_typeEPNSQ_ISL_E10value_typeEPSM_NS1_7vsmem_tEENKUlT_SK_SL_SM_E_clIPiSE_SF_SF_EESJ_SZ_SK_SL_SM_EUlSZ_E_NS1_11comp_targetILNS1_3genE0ELNS1_11target_archE4294967295ELNS1_3gpuE0ELNS1_3repE0EEENS1_48merge_mergepath_partition_config_static_selectorELNS0_4arch9wavefront6targetE1EEEvSL_.num_agpr, 0
	.set _ZN7rocprim17ROCPRIM_400000_NS6detail17trampoline_kernelINS0_14default_configENS1_38merge_sort_block_merge_config_selectorIiNS0_10empty_typeEEEZZNS1_27merge_sort_block_merge_implIS3_N6thrust23THRUST_200600_302600_NS6detail15normal_iteratorINS9_10device_ptrIiEEEEPS5_jNS1_19radix_merge_compareILb1ELb0EiNS0_19identity_decomposerEEEEE10hipError_tT0_T1_T2_jT3_P12ihipStream_tbPNSt15iterator_traitsISK_E10value_typeEPNSQ_ISL_E10value_typeEPSM_NS1_7vsmem_tEENKUlT_SK_SL_SM_E_clIPiSE_SF_SF_EESJ_SZ_SK_SL_SM_EUlSZ_E_NS1_11comp_targetILNS1_3genE0ELNS1_11target_archE4294967295ELNS1_3gpuE0ELNS1_3repE0EEENS1_48merge_mergepath_partition_config_static_selectorELNS0_4arch9wavefront6targetE1EEEvSL_.numbered_sgpr, 8
	.set _ZN7rocprim17ROCPRIM_400000_NS6detail17trampoline_kernelINS0_14default_configENS1_38merge_sort_block_merge_config_selectorIiNS0_10empty_typeEEEZZNS1_27merge_sort_block_merge_implIS3_N6thrust23THRUST_200600_302600_NS6detail15normal_iteratorINS9_10device_ptrIiEEEEPS5_jNS1_19radix_merge_compareILb1ELb0EiNS0_19identity_decomposerEEEEE10hipError_tT0_T1_T2_jT3_P12ihipStream_tbPNSt15iterator_traitsISK_E10value_typeEPNSQ_ISL_E10value_typeEPSM_NS1_7vsmem_tEENKUlT_SK_SL_SM_E_clIPiSE_SF_SF_EESJ_SZ_SK_SL_SM_EUlSZ_E_NS1_11comp_targetILNS1_3genE0ELNS1_11target_archE4294967295ELNS1_3gpuE0ELNS1_3repE0EEENS1_48merge_mergepath_partition_config_static_selectorELNS0_4arch9wavefront6targetE1EEEvSL_.num_named_barrier, 0
	.set _ZN7rocprim17ROCPRIM_400000_NS6detail17trampoline_kernelINS0_14default_configENS1_38merge_sort_block_merge_config_selectorIiNS0_10empty_typeEEEZZNS1_27merge_sort_block_merge_implIS3_N6thrust23THRUST_200600_302600_NS6detail15normal_iteratorINS9_10device_ptrIiEEEEPS5_jNS1_19radix_merge_compareILb1ELb0EiNS0_19identity_decomposerEEEEE10hipError_tT0_T1_T2_jT3_P12ihipStream_tbPNSt15iterator_traitsISK_E10value_typeEPNSQ_ISL_E10value_typeEPSM_NS1_7vsmem_tEENKUlT_SK_SL_SM_E_clIPiSE_SF_SF_EESJ_SZ_SK_SL_SM_EUlSZ_E_NS1_11comp_targetILNS1_3genE0ELNS1_11target_archE4294967295ELNS1_3gpuE0ELNS1_3repE0EEENS1_48merge_mergepath_partition_config_static_selectorELNS0_4arch9wavefront6targetE1EEEvSL_.private_seg_size, 0
	.set _ZN7rocprim17ROCPRIM_400000_NS6detail17trampoline_kernelINS0_14default_configENS1_38merge_sort_block_merge_config_selectorIiNS0_10empty_typeEEEZZNS1_27merge_sort_block_merge_implIS3_N6thrust23THRUST_200600_302600_NS6detail15normal_iteratorINS9_10device_ptrIiEEEEPS5_jNS1_19radix_merge_compareILb1ELb0EiNS0_19identity_decomposerEEEEE10hipError_tT0_T1_T2_jT3_P12ihipStream_tbPNSt15iterator_traitsISK_E10value_typeEPNSQ_ISL_E10value_typeEPSM_NS1_7vsmem_tEENKUlT_SK_SL_SM_E_clIPiSE_SF_SF_EESJ_SZ_SK_SL_SM_EUlSZ_E_NS1_11comp_targetILNS1_3genE0ELNS1_11target_archE4294967295ELNS1_3gpuE0ELNS1_3repE0EEENS1_48merge_mergepath_partition_config_static_selectorELNS0_4arch9wavefront6targetE1EEEvSL_.uses_vcc, 1
	.set _ZN7rocprim17ROCPRIM_400000_NS6detail17trampoline_kernelINS0_14default_configENS1_38merge_sort_block_merge_config_selectorIiNS0_10empty_typeEEEZZNS1_27merge_sort_block_merge_implIS3_N6thrust23THRUST_200600_302600_NS6detail15normal_iteratorINS9_10device_ptrIiEEEEPS5_jNS1_19radix_merge_compareILb1ELb0EiNS0_19identity_decomposerEEEEE10hipError_tT0_T1_T2_jT3_P12ihipStream_tbPNSt15iterator_traitsISK_E10value_typeEPNSQ_ISL_E10value_typeEPSM_NS1_7vsmem_tEENKUlT_SK_SL_SM_E_clIPiSE_SF_SF_EESJ_SZ_SK_SL_SM_EUlSZ_E_NS1_11comp_targetILNS1_3genE0ELNS1_11target_archE4294967295ELNS1_3gpuE0ELNS1_3repE0EEENS1_48merge_mergepath_partition_config_static_selectorELNS0_4arch9wavefront6targetE1EEEvSL_.uses_flat_scratch, 0
	.set _ZN7rocprim17ROCPRIM_400000_NS6detail17trampoline_kernelINS0_14default_configENS1_38merge_sort_block_merge_config_selectorIiNS0_10empty_typeEEEZZNS1_27merge_sort_block_merge_implIS3_N6thrust23THRUST_200600_302600_NS6detail15normal_iteratorINS9_10device_ptrIiEEEEPS5_jNS1_19radix_merge_compareILb1ELb0EiNS0_19identity_decomposerEEEEE10hipError_tT0_T1_T2_jT3_P12ihipStream_tbPNSt15iterator_traitsISK_E10value_typeEPNSQ_ISL_E10value_typeEPSM_NS1_7vsmem_tEENKUlT_SK_SL_SM_E_clIPiSE_SF_SF_EESJ_SZ_SK_SL_SM_EUlSZ_E_NS1_11comp_targetILNS1_3genE0ELNS1_11target_archE4294967295ELNS1_3gpuE0ELNS1_3repE0EEENS1_48merge_mergepath_partition_config_static_selectorELNS0_4arch9wavefront6targetE1EEEvSL_.has_dyn_sized_stack, 0
	.set _ZN7rocprim17ROCPRIM_400000_NS6detail17trampoline_kernelINS0_14default_configENS1_38merge_sort_block_merge_config_selectorIiNS0_10empty_typeEEEZZNS1_27merge_sort_block_merge_implIS3_N6thrust23THRUST_200600_302600_NS6detail15normal_iteratorINS9_10device_ptrIiEEEEPS5_jNS1_19radix_merge_compareILb1ELb0EiNS0_19identity_decomposerEEEEE10hipError_tT0_T1_T2_jT3_P12ihipStream_tbPNSt15iterator_traitsISK_E10value_typeEPNSQ_ISL_E10value_typeEPSM_NS1_7vsmem_tEENKUlT_SK_SL_SM_E_clIPiSE_SF_SF_EESJ_SZ_SK_SL_SM_EUlSZ_E_NS1_11comp_targetILNS1_3genE0ELNS1_11target_archE4294967295ELNS1_3gpuE0ELNS1_3repE0EEENS1_48merge_mergepath_partition_config_static_selectorELNS0_4arch9wavefront6targetE1EEEvSL_.has_recursion, 0
	.set _ZN7rocprim17ROCPRIM_400000_NS6detail17trampoline_kernelINS0_14default_configENS1_38merge_sort_block_merge_config_selectorIiNS0_10empty_typeEEEZZNS1_27merge_sort_block_merge_implIS3_N6thrust23THRUST_200600_302600_NS6detail15normal_iteratorINS9_10device_ptrIiEEEEPS5_jNS1_19radix_merge_compareILb1ELb0EiNS0_19identity_decomposerEEEEE10hipError_tT0_T1_T2_jT3_P12ihipStream_tbPNSt15iterator_traitsISK_E10value_typeEPNSQ_ISL_E10value_typeEPSM_NS1_7vsmem_tEENKUlT_SK_SL_SM_E_clIPiSE_SF_SF_EESJ_SZ_SK_SL_SM_EUlSZ_E_NS1_11comp_targetILNS1_3genE0ELNS1_11target_archE4294967295ELNS1_3gpuE0ELNS1_3repE0EEENS1_48merge_mergepath_partition_config_static_selectorELNS0_4arch9wavefront6targetE1EEEvSL_.has_indirect_call, 0
	.section	.AMDGPU.csdata,"",@progbits
; Kernel info:
; codeLenInByte = 316
; TotalNumSgprs: 14
; NumVgprs: 17
; NumAgprs: 0
; TotalNumVgprs: 17
; ScratchSize: 0
; MemoryBound: 0
; FloatMode: 240
; IeeeMode: 1
; LDSByteSize: 0 bytes/workgroup (compile time only)
; SGPRBlocks: 1
; VGPRBlocks: 2
; NumSGPRsForWavesPerEU: 14
; NumVGPRsForWavesPerEU: 17
; AccumOffset: 20
; Occupancy: 8
; WaveLimiterHint : 0
; COMPUTE_PGM_RSRC2:SCRATCH_EN: 0
; COMPUTE_PGM_RSRC2:USER_SGPR: 2
; COMPUTE_PGM_RSRC2:TRAP_HANDLER: 0
; COMPUTE_PGM_RSRC2:TGID_X_EN: 1
; COMPUTE_PGM_RSRC2:TGID_Y_EN: 0
; COMPUTE_PGM_RSRC2:TGID_Z_EN: 0
; COMPUTE_PGM_RSRC2:TIDIG_COMP_CNT: 0
; COMPUTE_PGM_RSRC3_GFX90A:ACCUM_OFFSET: 4
; COMPUTE_PGM_RSRC3_GFX90A:TG_SPLIT: 0
	.section	.text._ZN7rocprim17ROCPRIM_400000_NS6detail17trampoline_kernelINS0_14default_configENS1_38merge_sort_block_merge_config_selectorIiNS0_10empty_typeEEEZZNS1_27merge_sort_block_merge_implIS3_N6thrust23THRUST_200600_302600_NS6detail15normal_iteratorINS9_10device_ptrIiEEEEPS5_jNS1_19radix_merge_compareILb1ELb0EiNS0_19identity_decomposerEEEEE10hipError_tT0_T1_T2_jT3_P12ihipStream_tbPNSt15iterator_traitsISK_E10value_typeEPNSQ_ISL_E10value_typeEPSM_NS1_7vsmem_tEENKUlT_SK_SL_SM_E_clIPiSE_SF_SF_EESJ_SZ_SK_SL_SM_EUlSZ_E_NS1_11comp_targetILNS1_3genE10ELNS1_11target_archE1201ELNS1_3gpuE5ELNS1_3repE0EEENS1_48merge_mergepath_partition_config_static_selectorELNS0_4arch9wavefront6targetE1EEEvSL_,"axG",@progbits,_ZN7rocprim17ROCPRIM_400000_NS6detail17trampoline_kernelINS0_14default_configENS1_38merge_sort_block_merge_config_selectorIiNS0_10empty_typeEEEZZNS1_27merge_sort_block_merge_implIS3_N6thrust23THRUST_200600_302600_NS6detail15normal_iteratorINS9_10device_ptrIiEEEEPS5_jNS1_19radix_merge_compareILb1ELb0EiNS0_19identity_decomposerEEEEE10hipError_tT0_T1_T2_jT3_P12ihipStream_tbPNSt15iterator_traitsISK_E10value_typeEPNSQ_ISL_E10value_typeEPSM_NS1_7vsmem_tEENKUlT_SK_SL_SM_E_clIPiSE_SF_SF_EESJ_SZ_SK_SL_SM_EUlSZ_E_NS1_11comp_targetILNS1_3genE10ELNS1_11target_archE1201ELNS1_3gpuE5ELNS1_3repE0EEENS1_48merge_mergepath_partition_config_static_selectorELNS0_4arch9wavefront6targetE1EEEvSL_,comdat
	.protected	_ZN7rocprim17ROCPRIM_400000_NS6detail17trampoline_kernelINS0_14default_configENS1_38merge_sort_block_merge_config_selectorIiNS0_10empty_typeEEEZZNS1_27merge_sort_block_merge_implIS3_N6thrust23THRUST_200600_302600_NS6detail15normal_iteratorINS9_10device_ptrIiEEEEPS5_jNS1_19radix_merge_compareILb1ELb0EiNS0_19identity_decomposerEEEEE10hipError_tT0_T1_T2_jT3_P12ihipStream_tbPNSt15iterator_traitsISK_E10value_typeEPNSQ_ISL_E10value_typeEPSM_NS1_7vsmem_tEENKUlT_SK_SL_SM_E_clIPiSE_SF_SF_EESJ_SZ_SK_SL_SM_EUlSZ_E_NS1_11comp_targetILNS1_3genE10ELNS1_11target_archE1201ELNS1_3gpuE5ELNS1_3repE0EEENS1_48merge_mergepath_partition_config_static_selectorELNS0_4arch9wavefront6targetE1EEEvSL_ ; -- Begin function _ZN7rocprim17ROCPRIM_400000_NS6detail17trampoline_kernelINS0_14default_configENS1_38merge_sort_block_merge_config_selectorIiNS0_10empty_typeEEEZZNS1_27merge_sort_block_merge_implIS3_N6thrust23THRUST_200600_302600_NS6detail15normal_iteratorINS9_10device_ptrIiEEEEPS5_jNS1_19radix_merge_compareILb1ELb0EiNS0_19identity_decomposerEEEEE10hipError_tT0_T1_T2_jT3_P12ihipStream_tbPNSt15iterator_traitsISK_E10value_typeEPNSQ_ISL_E10value_typeEPSM_NS1_7vsmem_tEENKUlT_SK_SL_SM_E_clIPiSE_SF_SF_EESJ_SZ_SK_SL_SM_EUlSZ_E_NS1_11comp_targetILNS1_3genE10ELNS1_11target_archE1201ELNS1_3gpuE5ELNS1_3repE0EEENS1_48merge_mergepath_partition_config_static_selectorELNS0_4arch9wavefront6targetE1EEEvSL_
	.globl	_ZN7rocprim17ROCPRIM_400000_NS6detail17trampoline_kernelINS0_14default_configENS1_38merge_sort_block_merge_config_selectorIiNS0_10empty_typeEEEZZNS1_27merge_sort_block_merge_implIS3_N6thrust23THRUST_200600_302600_NS6detail15normal_iteratorINS9_10device_ptrIiEEEEPS5_jNS1_19radix_merge_compareILb1ELb0EiNS0_19identity_decomposerEEEEE10hipError_tT0_T1_T2_jT3_P12ihipStream_tbPNSt15iterator_traitsISK_E10value_typeEPNSQ_ISL_E10value_typeEPSM_NS1_7vsmem_tEENKUlT_SK_SL_SM_E_clIPiSE_SF_SF_EESJ_SZ_SK_SL_SM_EUlSZ_E_NS1_11comp_targetILNS1_3genE10ELNS1_11target_archE1201ELNS1_3gpuE5ELNS1_3repE0EEENS1_48merge_mergepath_partition_config_static_selectorELNS0_4arch9wavefront6targetE1EEEvSL_
	.p2align	8
	.type	_ZN7rocprim17ROCPRIM_400000_NS6detail17trampoline_kernelINS0_14default_configENS1_38merge_sort_block_merge_config_selectorIiNS0_10empty_typeEEEZZNS1_27merge_sort_block_merge_implIS3_N6thrust23THRUST_200600_302600_NS6detail15normal_iteratorINS9_10device_ptrIiEEEEPS5_jNS1_19radix_merge_compareILb1ELb0EiNS0_19identity_decomposerEEEEE10hipError_tT0_T1_T2_jT3_P12ihipStream_tbPNSt15iterator_traitsISK_E10value_typeEPNSQ_ISL_E10value_typeEPSM_NS1_7vsmem_tEENKUlT_SK_SL_SM_E_clIPiSE_SF_SF_EESJ_SZ_SK_SL_SM_EUlSZ_E_NS1_11comp_targetILNS1_3genE10ELNS1_11target_archE1201ELNS1_3gpuE5ELNS1_3repE0EEENS1_48merge_mergepath_partition_config_static_selectorELNS0_4arch9wavefront6targetE1EEEvSL_,@function
_ZN7rocprim17ROCPRIM_400000_NS6detail17trampoline_kernelINS0_14default_configENS1_38merge_sort_block_merge_config_selectorIiNS0_10empty_typeEEEZZNS1_27merge_sort_block_merge_implIS3_N6thrust23THRUST_200600_302600_NS6detail15normal_iteratorINS9_10device_ptrIiEEEEPS5_jNS1_19radix_merge_compareILb1ELb0EiNS0_19identity_decomposerEEEEE10hipError_tT0_T1_T2_jT3_P12ihipStream_tbPNSt15iterator_traitsISK_E10value_typeEPNSQ_ISL_E10value_typeEPSM_NS1_7vsmem_tEENKUlT_SK_SL_SM_E_clIPiSE_SF_SF_EESJ_SZ_SK_SL_SM_EUlSZ_E_NS1_11comp_targetILNS1_3genE10ELNS1_11target_archE1201ELNS1_3gpuE5ELNS1_3repE0EEENS1_48merge_mergepath_partition_config_static_selectorELNS0_4arch9wavefront6targetE1EEEvSL_: ; @_ZN7rocprim17ROCPRIM_400000_NS6detail17trampoline_kernelINS0_14default_configENS1_38merge_sort_block_merge_config_selectorIiNS0_10empty_typeEEEZZNS1_27merge_sort_block_merge_implIS3_N6thrust23THRUST_200600_302600_NS6detail15normal_iteratorINS9_10device_ptrIiEEEEPS5_jNS1_19radix_merge_compareILb1ELb0EiNS0_19identity_decomposerEEEEE10hipError_tT0_T1_T2_jT3_P12ihipStream_tbPNSt15iterator_traitsISK_E10value_typeEPNSQ_ISL_E10value_typeEPSM_NS1_7vsmem_tEENKUlT_SK_SL_SM_E_clIPiSE_SF_SF_EESJ_SZ_SK_SL_SM_EUlSZ_E_NS1_11comp_targetILNS1_3genE10ELNS1_11target_archE1201ELNS1_3gpuE5ELNS1_3repE0EEENS1_48merge_mergepath_partition_config_static_selectorELNS0_4arch9wavefront6targetE1EEEvSL_
; %bb.0:
	.section	.rodata,"a",@progbits
	.p2align	6, 0x0
	.amdhsa_kernel _ZN7rocprim17ROCPRIM_400000_NS6detail17trampoline_kernelINS0_14default_configENS1_38merge_sort_block_merge_config_selectorIiNS0_10empty_typeEEEZZNS1_27merge_sort_block_merge_implIS3_N6thrust23THRUST_200600_302600_NS6detail15normal_iteratorINS9_10device_ptrIiEEEEPS5_jNS1_19radix_merge_compareILb1ELb0EiNS0_19identity_decomposerEEEEE10hipError_tT0_T1_T2_jT3_P12ihipStream_tbPNSt15iterator_traitsISK_E10value_typeEPNSQ_ISL_E10value_typeEPSM_NS1_7vsmem_tEENKUlT_SK_SL_SM_E_clIPiSE_SF_SF_EESJ_SZ_SK_SL_SM_EUlSZ_E_NS1_11comp_targetILNS1_3genE10ELNS1_11target_archE1201ELNS1_3gpuE5ELNS1_3repE0EEENS1_48merge_mergepath_partition_config_static_selectorELNS0_4arch9wavefront6targetE1EEEvSL_
		.amdhsa_group_segment_fixed_size 0
		.amdhsa_private_segment_fixed_size 0
		.amdhsa_kernarg_size 40
		.amdhsa_user_sgpr_count 2
		.amdhsa_user_sgpr_dispatch_ptr 0
		.amdhsa_user_sgpr_queue_ptr 0
		.amdhsa_user_sgpr_kernarg_segment_ptr 1
		.amdhsa_user_sgpr_dispatch_id 0
		.amdhsa_user_sgpr_kernarg_preload_length 0
		.amdhsa_user_sgpr_kernarg_preload_offset 0
		.amdhsa_user_sgpr_private_segment_size 0
		.amdhsa_uses_dynamic_stack 0
		.amdhsa_enable_private_segment 0
		.amdhsa_system_sgpr_workgroup_id_x 1
		.amdhsa_system_sgpr_workgroup_id_y 0
		.amdhsa_system_sgpr_workgroup_id_z 0
		.amdhsa_system_sgpr_workgroup_info 0
		.amdhsa_system_vgpr_workitem_id 0
		.amdhsa_next_free_vgpr 1
		.amdhsa_next_free_sgpr 0
		.amdhsa_accum_offset 4
		.amdhsa_reserve_vcc 0
		.amdhsa_float_round_mode_32 0
		.amdhsa_float_round_mode_16_64 0
		.amdhsa_float_denorm_mode_32 3
		.amdhsa_float_denorm_mode_16_64 3
		.amdhsa_dx10_clamp 1
		.amdhsa_ieee_mode 1
		.amdhsa_fp16_overflow 0
		.amdhsa_tg_split 0
		.amdhsa_exception_fp_ieee_invalid_op 0
		.amdhsa_exception_fp_denorm_src 0
		.amdhsa_exception_fp_ieee_div_zero 0
		.amdhsa_exception_fp_ieee_overflow 0
		.amdhsa_exception_fp_ieee_underflow 0
		.amdhsa_exception_fp_ieee_inexact 0
		.amdhsa_exception_int_div_zero 0
	.end_amdhsa_kernel
	.section	.text._ZN7rocprim17ROCPRIM_400000_NS6detail17trampoline_kernelINS0_14default_configENS1_38merge_sort_block_merge_config_selectorIiNS0_10empty_typeEEEZZNS1_27merge_sort_block_merge_implIS3_N6thrust23THRUST_200600_302600_NS6detail15normal_iteratorINS9_10device_ptrIiEEEEPS5_jNS1_19radix_merge_compareILb1ELb0EiNS0_19identity_decomposerEEEEE10hipError_tT0_T1_T2_jT3_P12ihipStream_tbPNSt15iterator_traitsISK_E10value_typeEPNSQ_ISL_E10value_typeEPSM_NS1_7vsmem_tEENKUlT_SK_SL_SM_E_clIPiSE_SF_SF_EESJ_SZ_SK_SL_SM_EUlSZ_E_NS1_11comp_targetILNS1_3genE10ELNS1_11target_archE1201ELNS1_3gpuE5ELNS1_3repE0EEENS1_48merge_mergepath_partition_config_static_selectorELNS0_4arch9wavefront6targetE1EEEvSL_,"axG",@progbits,_ZN7rocprim17ROCPRIM_400000_NS6detail17trampoline_kernelINS0_14default_configENS1_38merge_sort_block_merge_config_selectorIiNS0_10empty_typeEEEZZNS1_27merge_sort_block_merge_implIS3_N6thrust23THRUST_200600_302600_NS6detail15normal_iteratorINS9_10device_ptrIiEEEEPS5_jNS1_19radix_merge_compareILb1ELb0EiNS0_19identity_decomposerEEEEE10hipError_tT0_T1_T2_jT3_P12ihipStream_tbPNSt15iterator_traitsISK_E10value_typeEPNSQ_ISL_E10value_typeEPSM_NS1_7vsmem_tEENKUlT_SK_SL_SM_E_clIPiSE_SF_SF_EESJ_SZ_SK_SL_SM_EUlSZ_E_NS1_11comp_targetILNS1_3genE10ELNS1_11target_archE1201ELNS1_3gpuE5ELNS1_3repE0EEENS1_48merge_mergepath_partition_config_static_selectorELNS0_4arch9wavefront6targetE1EEEvSL_,comdat
.Lfunc_end223:
	.size	_ZN7rocprim17ROCPRIM_400000_NS6detail17trampoline_kernelINS0_14default_configENS1_38merge_sort_block_merge_config_selectorIiNS0_10empty_typeEEEZZNS1_27merge_sort_block_merge_implIS3_N6thrust23THRUST_200600_302600_NS6detail15normal_iteratorINS9_10device_ptrIiEEEEPS5_jNS1_19radix_merge_compareILb1ELb0EiNS0_19identity_decomposerEEEEE10hipError_tT0_T1_T2_jT3_P12ihipStream_tbPNSt15iterator_traitsISK_E10value_typeEPNSQ_ISL_E10value_typeEPSM_NS1_7vsmem_tEENKUlT_SK_SL_SM_E_clIPiSE_SF_SF_EESJ_SZ_SK_SL_SM_EUlSZ_E_NS1_11comp_targetILNS1_3genE10ELNS1_11target_archE1201ELNS1_3gpuE5ELNS1_3repE0EEENS1_48merge_mergepath_partition_config_static_selectorELNS0_4arch9wavefront6targetE1EEEvSL_, .Lfunc_end223-_ZN7rocprim17ROCPRIM_400000_NS6detail17trampoline_kernelINS0_14default_configENS1_38merge_sort_block_merge_config_selectorIiNS0_10empty_typeEEEZZNS1_27merge_sort_block_merge_implIS3_N6thrust23THRUST_200600_302600_NS6detail15normal_iteratorINS9_10device_ptrIiEEEEPS5_jNS1_19radix_merge_compareILb1ELb0EiNS0_19identity_decomposerEEEEE10hipError_tT0_T1_T2_jT3_P12ihipStream_tbPNSt15iterator_traitsISK_E10value_typeEPNSQ_ISL_E10value_typeEPSM_NS1_7vsmem_tEENKUlT_SK_SL_SM_E_clIPiSE_SF_SF_EESJ_SZ_SK_SL_SM_EUlSZ_E_NS1_11comp_targetILNS1_3genE10ELNS1_11target_archE1201ELNS1_3gpuE5ELNS1_3repE0EEENS1_48merge_mergepath_partition_config_static_selectorELNS0_4arch9wavefront6targetE1EEEvSL_
                                        ; -- End function
	.set _ZN7rocprim17ROCPRIM_400000_NS6detail17trampoline_kernelINS0_14default_configENS1_38merge_sort_block_merge_config_selectorIiNS0_10empty_typeEEEZZNS1_27merge_sort_block_merge_implIS3_N6thrust23THRUST_200600_302600_NS6detail15normal_iteratorINS9_10device_ptrIiEEEEPS5_jNS1_19radix_merge_compareILb1ELb0EiNS0_19identity_decomposerEEEEE10hipError_tT0_T1_T2_jT3_P12ihipStream_tbPNSt15iterator_traitsISK_E10value_typeEPNSQ_ISL_E10value_typeEPSM_NS1_7vsmem_tEENKUlT_SK_SL_SM_E_clIPiSE_SF_SF_EESJ_SZ_SK_SL_SM_EUlSZ_E_NS1_11comp_targetILNS1_3genE10ELNS1_11target_archE1201ELNS1_3gpuE5ELNS1_3repE0EEENS1_48merge_mergepath_partition_config_static_selectorELNS0_4arch9wavefront6targetE1EEEvSL_.num_vgpr, 0
	.set _ZN7rocprim17ROCPRIM_400000_NS6detail17trampoline_kernelINS0_14default_configENS1_38merge_sort_block_merge_config_selectorIiNS0_10empty_typeEEEZZNS1_27merge_sort_block_merge_implIS3_N6thrust23THRUST_200600_302600_NS6detail15normal_iteratorINS9_10device_ptrIiEEEEPS5_jNS1_19radix_merge_compareILb1ELb0EiNS0_19identity_decomposerEEEEE10hipError_tT0_T1_T2_jT3_P12ihipStream_tbPNSt15iterator_traitsISK_E10value_typeEPNSQ_ISL_E10value_typeEPSM_NS1_7vsmem_tEENKUlT_SK_SL_SM_E_clIPiSE_SF_SF_EESJ_SZ_SK_SL_SM_EUlSZ_E_NS1_11comp_targetILNS1_3genE10ELNS1_11target_archE1201ELNS1_3gpuE5ELNS1_3repE0EEENS1_48merge_mergepath_partition_config_static_selectorELNS0_4arch9wavefront6targetE1EEEvSL_.num_agpr, 0
	.set _ZN7rocprim17ROCPRIM_400000_NS6detail17trampoline_kernelINS0_14default_configENS1_38merge_sort_block_merge_config_selectorIiNS0_10empty_typeEEEZZNS1_27merge_sort_block_merge_implIS3_N6thrust23THRUST_200600_302600_NS6detail15normal_iteratorINS9_10device_ptrIiEEEEPS5_jNS1_19radix_merge_compareILb1ELb0EiNS0_19identity_decomposerEEEEE10hipError_tT0_T1_T2_jT3_P12ihipStream_tbPNSt15iterator_traitsISK_E10value_typeEPNSQ_ISL_E10value_typeEPSM_NS1_7vsmem_tEENKUlT_SK_SL_SM_E_clIPiSE_SF_SF_EESJ_SZ_SK_SL_SM_EUlSZ_E_NS1_11comp_targetILNS1_3genE10ELNS1_11target_archE1201ELNS1_3gpuE5ELNS1_3repE0EEENS1_48merge_mergepath_partition_config_static_selectorELNS0_4arch9wavefront6targetE1EEEvSL_.numbered_sgpr, 0
	.set _ZN7rocprim17ROCPRIM_400000_NS6detail17trampoline_kernelINS0_14default_configENS1_38merge_sort_block_merge_config_selectorIiNS0_10empty_typeEEEZZNS1_27merge_sort_block_merge_implIS3_N6thrust23THRUST_200600_302600_NS6detail15normal_iteratorINS9_10device_ptrIiEEEEPS5_jNS1_19radix_merge_compareILb1ELb0EiNS0_19identity_decomposerEEEEE10hipError_tT0_T1_T2_jT3_P12ihipStream_tbPNSt15iterator_traitsISK_E10value_typeEPNSQ_ISL_E10value_typeEPSM_NS1_7vsmem_tEENKUlT_SK_SL_SM_E_clIPiSE_SF_SF_EESJ_SZ_SK_SL_SM_EUlSZ_E_NS1_11comp_targetILNS1_3genE10ELNS1_11target_archE1201ELNS1_3gpuE5ELNS1_3repE0EEENS1_48merge_mergepath_partition_config_static_selectorELNS0_4arch9wavefront6targetE1EEEvSL_.num_named_barrier, 0
	.set _ZN7rocprim17ROCPRIM_400000_NS6detail17trampoline_kernelINS0_14default_configENS1_38merge_sort_block_merge_config_selectorIiNS0_10empty_typeEEEZZNS1_27merge_sort_block_merge_implIS3_N6thrust23THRUST_200600_302600_NS6detail15normal_iteratorINS9_10device_ptrIiEEEEPS5_jNS1_19radix_merge_compareILb1ELb0EiNS0_19identity_decomposerEEEEE10hipError_tT0_T1_T2_jT3_P12ihipStream_tbPNSt15iterator_traitsISK_E10value_typeEPNSQ_ISL_E10value_typeEPSM_NS1_7vsmem_tEENKUlT_SK_SL_SM_E_clIPiSE_SF_SF_EESJ_SZ_SK_SL_SM_EUlSZ_E_NS1_11comp_targetILNS1_3genE10ELNS1_11target_archE1201ELNS1_3gpuE5ELNS1_3repE0EEENS1_48merge_mergepath_partition_config_static_selectorELNS0_4arch9wavefront6targetE1EEEvSL_.private_seg_size, 0
	.set _ZN7rocprim17ROCPRIM_400000_NS6detail17trampoline_kernelINS0_14default_configENS1_38merge_sort_block_merge_config_selectorIiNS0_10empty_typeEEEZZNS1_27merge_sort_block_merge_implIS3_N6thrust23THRUST_200600_302600_NS6detail15normal_iteratorINS9_10device_ptrIiEEEEPS5_jNS1_19radix_merge_compareILb1ELb0EiNS0_19identity_decomposerEEEEE10hipError_tT0_T1_T2_jT3_P12ihipStream_tbPNSt15iterator_traitsISK_E10value_typeEPNSQ_ISL_E10value_typeEPSM_NS1_7vsmem_tEENKUlT_SK_SL_SM_E_clIPiSE_SF_SF_EESJ_SZ_SK_SL_SM_EUlSZ_E_NS1_11comp_targetILNS1_3genE10ELNS1_11target_archE1201ELNS1_3gpuE5ELNS1_3repE0EEENS1_48merge_mergepath_partition_config_static_selectorELNS0_4arch9wavefront6targetE1EEEvSL_.uses_vcc, 0
	.set _ZN7rocprim17ROCPRIM_400000_NS6detail17trampoline_kernelINS0_14default_configENS1_38merge_sort_block_merge_config_selectorIiNS0_10empty_typeEEEZZNS1_27merge_sort_block_merge_implIS3_N6thrust23THRUST_200600_302600_NS6detail15normal_iteratorINS9_10device_ptrIiEEEEPS5_jNS1_19radix_merge_compareILb1ELb0EiNS0_19identity_decomposerEEEEE10hipError_tT0_T1_T2_jT3_P12ihipStream_tbPNSt15iterator_traitsISK_E10value_typeEPNSQ_ISL_E10value_typeEPSM_NS1_7vsmem_tEENKUlT_SK_SL_SM_E_clIPiSE_SF_SF_EESJ_SZ_SK_SL_SM_EUlSZ_E_NS1_11comp_targetILNS1_3genE10ELNS1_11target_archE1201ELNS1_3gpuE5ELNS1_3repE0EEENS1_48merge_mergepath_partition_config_static_selectorELNS0_4arch9wavefront6targetE1EEEvSL_.uses_flat_scratch, 0
	.set _ZN7rocprim17ROCPRIM_400000_NS6detail17trampoline_kernelINS0_14default_configENS1_38merge_sort_block_merge_config_selectorIiNS0_10empty_typeEEEZZNS1_27merge_sort_block_merge_implIS3_N6thrust23THRUST_200600_302600_NS6detail15normal_iteratorINS9_10device_ptrIiEEEEPS5_jNS1_19radix_merge_compareILb1ELb0EiNS0_19identity_decomposerEEEEE10hipError_tT0_T1_T2_jT3_P12ihipStream_tbPNSt15iterator_traitsISK_E10value_typeEPNSQ_ISL_E10value_typeEPSM_NS1_7vsmem_tEENKUlT_SK_SL_SM_E_clIPiSE_SF_SF_EESJ_SZ_SK_SL_SM_EUlSZ_E_NS1_11comp_targetILNS1_3genE10ELNS1_11target_archE1201ELNS1_3gpuE5ELNS1_3repE0EEENS1_48merge_mergepath_partition_config_static_selectorELNS0_4arch9wavefront6targetE1EEEvSL_.has_dyn_sized_stack, 0
	.set _ZN7rocprim17ROCPRIM_400000_NS6detail17trampoline_kernelINS0_14default_configENS1_38merge_sort_block_merge_config_selectorIiNS0_10empty_typeEEEZZNS1_27merge_sort_block_merge_implIS3_N6thrust23THRUST_200600_302600_NS6detail15normal_iteratorINS9_10device_ptrIiEEEEPS5_jNS1_19radix_merge_compareILb1ELb0EiNS0_19identity_decomposerEEEEE10hipError_tT0_T1_T2_jT3_P12ihipStream_tbPNSt15iterator_traitsISK_E10value_typeEPNSQ_ISL_E10value_typeEPSM_NS1_7vsmem_tEENKUlT_SK_SL_SM_E_clIPiSE_SF_SF_EESJ_SZ_SK_SL_SM_EUlSZ_E_NS1_11comp_targetILNS1_3genE10ELNS1_11target_archE1201ELNS1_3gpuE5ELNS1_3repE0EEENS1_48merge_mergepath_partition_config_static_selectorELNS0_4arch9wavefront6targetE1EEEvSL_.has_recursion, 0
	.set _ZN7rocprim17ROCPRIM_400000_NS6detail17trampoline_kernelINS0_14default_configENS1_38merge_sort_block_merge_config_selectorIiNS0_10empty_typeEEEZZNS1_27merge_sort_block_merge_implIS3_N6thrust23THRUST_200600_302600_NS6detail15normal_iteratorINS9_10device_ptrIiEEEEPS5_jNS1_19radix_merge_compareILb1ELb0EiNS0_19identity_decomposerEEEEE10hipError_tT0_T1_T2_jT3_P12ihipStream_tbPNSt15iterator_traitsISK_E10value_typeEPNSQ_ISL_E10value_typeEPSM_NS1_7vsmem_tEENKUlT_SK_SL_SM_E_clIPiSE_SF_SF_EESJ_SZ_SK_SL_SM_EUlSZ_E_NS1_11comp_targetILNS1_3genE10ELNS1_11target_archE1201ELNS1_3gpuE5ELNS1_3repE0EEENS1_48merge_mergepath_partition_config_static_selectorELNS0_4arch9wavefront6targetE1EEEvSL_.has_indirect_call, 0
	.section	.AMDGPU.csdata,"",@progbits
; Kernel info:
; codeLenInByte = 0
; TotalNumSgprs: 6
; NumVgprs: 0
; NumAgprs: 0
; TotalNumVgprs: 0
; ScratchSize: 0
; MemoryBound: 0
; FloatMode: 240
; IeeeMode: 1
; LDSByteSize: 0 bytes/workgroup (compile time only)
; SGPRBlocks: 0
; VGPRBlocks: 0
; NumSGPRsForWavesPerEU: 6
; NumVGPRsForWavesPerEU: 1
; AccumOffset: 4
; Occupancy: 8
; WaveLimiterHint : 0
; COMPUTE_PGM_RSRC2:SCRATCH_EN: 0
; COMPUTE_PGM_RSRC2:USER_SGPR: 2
; COMPUTE_PGM_RSRC2:TRAP_HANDLER: 0
; COMPUTE_PGM_RSRC2:TGID_X_EN: 1
; COMPUTE_PGM_RSRC2:TGID_Y_EN: 0
; COMPUTE_PGM_RSRC2:TGID_Z_EN: 0
; COMPUTE_PGM_RSRC2:TIDIG_COMP_CNT: 0
; COMPUTE_PGM_RSRC3_GFX90A:ACCUM_OFFSET: 0
; COMPUTE_PGM_RSRC3_GFX90A:TG_SPLIT: 0
	.section	.text._ZN7rocprim17ROCPRIM_400000_NS6detail17trampoline_kernelINS0_14default_configENS1_38merge_sort_block_merge_config_selectorIiNS0_10empty_typeEEEZZNS1_27merge_sort_block_merge_implIS3_N6thrust23THRUST_200600_302600_NS6detail15normal_iteratorINS9_10device_ptrIiEEEEPS5_jNS1_19radix_merge_compareILb1ELb0EiNS0_19identity_decomposerEEEEE10hipError_tT0_T1_T2_jT3_P12ihipStream_tbPNSt15iterator_traitsISK_E10value_typeEPNSQ_ISL_E10value_typeEPSM_NS1_7vsmem_tEENKUlT_SK_SL_SM_E_clIPiSE_SF_SF_EESJ_SZ_SK_SL_SM_EUlSZ_E_NS1_11comp_targetILNS1_3genE5ELNS1_11target_archE942ELNS1_3gpuE9ELNS1_3repE0EEENS1_48merge_mergepath_partition_config_static_selectorELNS0_4arch9wavefront6targetE1EEEvSL_,"axG",@progbits,_ZN7rocprim17ROCPRIM_400000_NS6detail17trampoline_kernelINS0_14default_configENS1_38merge_sort_block_merge_config_selectorIiNS0_10empty_typeEEEZZNS1_27merge_sort_block_merge_implIS3_N6thrust23THRUST_200600_302600_NS6detail15normal_iteratorINS9_10device_ptrIiEEEEPS5_jNS1_19radix_merge_compareILb1ELb0EiNS0_19identity_decomposerEEEEE10hipError_tT0_T1_T2_jT3_P12ihipStream_tbPNSt15iterator_traitsISK_E10value_typeEPNSQ_ISL_E10value_typeEPSM_NS1_7vsmem_tEENKUlT_SK_SL_SM_E_clIPiSE_SF_SF_EESJ_SZ_SK_SL_SM_EUlSZ_E_NS1_11comp_targetILNS1_3genE5ELNS1_11target_archE942ELNS1_3gpuE9ELNS1_3repE0EEENS1_48merge_mergepath_partition_config_static_selectorELNS0_4arch9wavefront6targetE1EEEvSL_,comdat
	.protected	_ZN7rocprim17ROCPRIM_400000_NS6detail17trampoline_kernelINS0_14default_configENS1_38merge_sort_block_merge_config_selectorIiNS0_10empty_typeEEEZZNS1_27merge_sort_block_merge_implIS3_N6thrust23THRUST_200600_302600_NS6detail15normal_iteratorINS9_10device_ptrIiEEEEPS5_jNS1_19radix_merge_compareILb1ELb0EiNS0_19identity_decomposerEEEEE10hipError_tT0_T1_T2_jT3_P12ihipStream_tbPNSt15iterator_traitsISK_E10value_typeEPNSQ_ISL_E10value_typeEPSM_NS1_7vsmem_tEENKUlT_SK_SL_SM_E_clIPiSE_SF_SF_EESJ_SZ_SK_SL_SM_EUlSZ_E_NS1_11comp_targetILNS1_3genE5ELNS1_11target_archE942ELNS1_3gpuE9ELNS1_3repE0EEENS1_48merge_mergepath_partition_config_static_selectorELNS0_4arch9wavefront6targetE1EEEvSL_ ; -- Begin function _ZN7rocprim17ROCPRIM_400000_NS6detail17trampoline_kernelINS0_14default_configENS1_38merge_sort_block_merge_config_selectorIiNS0_10empty_typeEEEZZNS1_27merge_sort_block_merge_implIS3_N6thrust23THRUST_200600_302600_NS6detail15normal_iteratorINS9_10device_ptrIiEEEEPS5_jNS1_19radix_merge_compareILb1ELb0EiNS0_19identity_decomposerEEEEE10hipError_tT0_T1_T2_jT3_P12ihipStream_tbPNSt15iterator_traitsISK_E10value_typeEPNSQ_ISL_E10value_typeEPSM_NS1_7vsmem_tEENKUlT_SK_SL_SM_E_clIPiSE_SF_SF_EESJ_SZ_SK_SL_SM_EUlSZ_E_NS1_11comp_targetILNS1_3genE5ELNS1_11target_archE942ELNS1_3gpuE9ELNS1_3repE0EEENS1_48merge_mergepath_partition_config_static_selectorELNS0_4arch9wavefront6targetE1EEEvSL_
	.globl	_ZN7rocprim17ROCPRIM_400000_NS6detail17trampoline_kernelINS0_14default_configENS1_38merge_sort_block_merge_config_selectorIiNS0_10empty_typeEEEZZNS1_27merge_sort_block_merge_implIS3_N6thrust23THRUST_200600_302600_NS6detail15normal_iteratorINS9_10device_ptrIiEEEEPS5_jNS1_19radix_merge_compareILb1ELb0EiNS0_19identity_decomposerEEEEE10hipError_tT0_T1_T2_jT3_P12ihipStream_tbPNSt15iterator_traitsISK_E10value_typeEPNSQ_ISL_E10value_typeEPSM_NS1_7vsmem_tEENKUlT_SK_SL_SM_E_clIPiSE_SF_SF_EESJ_SZ_SK_SL_SM_EUlSZ_E_NS1_11comp_targetILNS1_3genE5ELNS1_11target_archE942ELNS1_3gpuE9ELNS1_3repE0EEENS1_48merge_mergepath_partition_config_static_selectorELNS0_4arch9wavefront6targetE1EEEvSL_
	.p2align	8
	.type	_ZN7rocprim17ROCPRIM_400000_NS6detail17trampoline_kernelINS0_14default_configENS1_38merge_sort_block_merge_config_selectorIiNS0_10empty_typeEEEZZNS1_27merge_sort_block_merge_implIS3_N6thrust23THRUST_200600_302600_NS6detail15normal_iteratorINS9_10device_ptrIiEEEEPS5_jNS1_19radix_merge_compareILb1ELb0EiNS0_19identity_decomposerEEEEE10hipError_tT0_T1_T2_jT3_P12ihipStream_tbPNSt15iterator_traitsISK_E10value_typeEPNSQ_ISL_E10value_typeEPSM_NS1_7vsmem_tEENKUlT_SK_SL_SM_E_clIPiSE_SF_SF_EESJ_SZ_SK_SL_SM_EUlSZ_E_NS1_11comp_targetILNS1_3genE5ELNS1_11target_archE942ELNS1_3gpuE9ELNS1_3repE0EEENS1_48merge_mergepath_partition_config_static_selectorELNS0_4arch9wavefront6targetE1EEEvSL_,@function
_ZN7rocprim17ROCPRIM_400000_NS6detail17trampoline_kernelINS0_14default_configENS1_38merge_sort_block_merge_config_selectorIiNS0_10empty_typeEEEZZNS1_27merge_sort_block_merge_implIS3_N6thrust23THRUST_200600_302600_NS6detail15normal_iteratorINS9_10device_ptrIiEEEEPS5_jNS1_19radix_merge_compareILb1ELb0EiNS0_19identity_decomposerEEEEE10hipError_tT0_T1_T2_jT3_P12ihipStream_tbPNSt15iterator_traitsISK_E10value_typeEPNSQ_ISL_E10value_typeEPSM_NS1_7vsmem_tEENKUlT_SK_SL_SM_E_clIPiSE_SF_SF_EESJ_SZ_SK_SL_SM_EUlSZ_E_NS1_11comp_targetILNS1_3genE5ELNS1_11target_archE942ELNS1_3gpuE9ELNS1_3repE0EEENS1_48merge_mergepath_partition_config_static_selectorELNS0_4arch9wavefront6targetE1EEEvSL_: ; @_ZN7rocprim17ROCPRIM_400000_NS6detail17trampoline_kernelINS0_14default_configENS1_38merge_sort_block_merge_config_selectorIiNS0_10empty_typeEEEZZNS1_27merge_sort_block_merge_implIS3_N6thrust23THRUST_200600_302600_NS6detail15normal_iteratorINS9_10device_ptrIiEEEEPS5_jNS1_19radix_merge_compareILb1ELb0EiNS0_19identity_decomposerEEEEE10hipError_tT0_T1_T2_jT3_P12ihipStream_tbPNSt15iterator_traitsISK_E10value_typeEPNSQ_ISL_E10value_typeEPSM_NS1_7vsmem_tEENKUlT_SK_SL_SM_E_clIPiSE_SF_SF_EESJ_SZ_SK_SL_SM_EUlSZ_E_NS1_11comp_targetILNS1_3genE5ELNS1_11target_archE942ELNS1_3gpuE9ELNS1_3repE0EEENS1_48merge_mergepath_partition_config_static_selectorELNS0_4arch9wavefront6targetE1EEEvSL_
; %bb.0:
	.section	.rodata,"a",@progbits
	.p2align	6, 0x0
	.amdhsa_kernel _ZN7rocprim17ROCPRIM_400000_NS6detail17trampoline_kernelINS0_14default_configENS1_38merge_sort_block_merge_config_selectorIiNS0_10empty_typeEEEZZNS1_27merge_sort_block_merge_implIS3_N6thrust23THRUST_200600_302600_NS6detail15normal_iteratorINS9_10device_ptrIiEEEEPS5_jNS1_19radix_merge_compareILb1ELb0EiNS0_19identity_decomposerEEEEE10hipError_tT0_T1_T2_jT3_P12ihipStream_tbPNSt15iterator_traitsISK_E10value_typeEPNSQ_ISL_E10value_typeEPSM_NS1_7vsmem_tEENKUlT_SK_SL_SM_E_clIPiSE_SF_SF_EESJ_SZ_SK_SL_SM_EUlSZ_E_NS1_11comp_targetILNS1_3genE5ELNS1_11target_archE942ELNS1_3gpuE9ELNS1_3repE0EEENS1_48merge_mergepath_partition_config_static_selectorELNS0_4arch9wavefront6targetE1EEEvSL_
		.amdhsa_group_segment_fixed_size 0
		.amdhsa_private_segment_fixed_size 0
		.amdhsa_kernarg_size 40
		.amdhsa_user_sgpr_count 2
		.amdhsa_user_sgpr_dispatch_ptr 0
		.amdhsa_user_sgpr_queue_ptr 0
		.amdhsa_user_sgpr_kernarg_segment_ptr 1
		.amdhsa_user_sgpr_dispatch_id 0
		.amdhsa_user_sgpr_kernarg_preload_length 0
		.amdhsa_user_sgpr_kernarg_preload_offset 0
		.amdhsa_user_sgpr_private_segment_size 0
		.amdhsa_uses_dynamic_stack 0
		.amdhsa_enable_private_segment 0
		.amdhsa_system_sgpr_workgroup_id_x 1
		.amdhsa_system_sgpr_workgroup_id_y 0
		.amdhsa_system_sgpr_workgroup_id_z 0
		.amdhsa_system_sgpr_workgroup_info 0
		.amdhsa_system_vgpr_workitem_id 0
		.amdhsa_next_free_vgpr 1
		.amdhsa_next_free_sgpr 0
		.amdhsa_accum_offset 4
		.amdhsa_reserve_vcc 0
		.amdhsa_float_round_mode_32 0
		.amdhsa_float_round_mode_16_64 0
		.amdhsa_float_denorm_mode_32 3
		.amdhsa_float_denorm_mode_16_64 3
		.amdhsa_dx10_clamp 1
		.amdhsa_ieee_mode 1
		.amdhsa_fp16_overflow 0
		.amdhsa_tg_split 0
		.amdhsa_exception_fp_ieee_invalid_op 0
		.amdhsa_exception_fp_denorm_src 0
		.amdhsa_exception_fp_ieee_div_zero 0
		.amdhsa_exception_fp_ieee_overflow 0
		.amdhsa_exception_fp_ieee_underflow 0
		.amdhsa_exception_fp_ieee_inexact 0
		.amdhsa_exception_int_div_zero 0
	.end_amdhsa_kernel
	.section	.text._ZN7rocprim17ROCPRIM_400000_NS6detail17trampoline_kernelINS0_14default_configENS1_38merge_sort_block_merge_config_selectorIiNS0_10empty_typeEEEZZNS1_27merge_sort_block_merge_implIS3_N6thrust23THRUST_200600_302600_NS6detail15normal_iteratorINS9_10device_ptrIiEEEEPS5_jNS1_19radix_merge_compareILb1ELb0EiNS0_19identity_decomposerEEEEE10hipError_tT0_T1_T2_jT3_P12ihipStream_tbPNSt15iterator_traitsISK_E10value_typeEPNSQ_ISL_E10value_typeEPSM_NS1_7vsmem_tEENKUlT_SK_SL_SM_E_clIPiSE_SF_SF_EESJ_SZ_SK_SL_SM_EUlSZ_E_NS1_11comp_targetILNS1_3genE5ELNS1_11target_archE942ELNS1_3gpuE9ELNS1_3repE0EEENS1_48merge_mergepath_partition_config_static_selectorELNS0_4arch9wavefront6targetE1EEEvSL_,"axG",@progbits,_ZN7rocprim17ROCPRIM_400000_NS6detail17trampoline_kernelINS0_14default_configENS1_38merge_sort_block_merge_config_selectorIiNS0_10empty_typeEEEZZNS1_27merge_sort_block_merge_implIS3_N6thrust23THRUST_200600_302600_NS6detail15normal_iteratorINS9_10device_ptrIiEEEEPS5_jNS1_19radix_merge_compareILb1ELb0EiNS0_19identity_decomposerEEEEE10hipError_tT0_T1_T2_jT3_P12ihipStream_tbPNSt15iterator_traitsISK_E10value_typeEPNSQ_ISL_E10value_typeEPSM_NS1_7vsmem_tEENKUlT_SK_SL_SM_E_clIPiSE_SF_SF_EESJ_SZ_SK_SL_SM_EUlSZ_E_NS1_11comp_targetILNS1_3genE5ELNS1_11target_archE942ELNS1_3gpuE9ELNS1_3repE0EEENS1_48merge_mergepath_partition_config_static_selectorELNS0_4arch9wavefront6targetE1EEEvSL_,comdat
.Lfunc_end224:
	.size	_ZN7rocprim17ROCPRIM_400000_NS6detail17trampoline_kernelINS0_14default_configENS1_38merge_sort_block_merge_config_selectorIiNS0_10empty_typeEEEZZNS1_27merge_sort_block_merge_implIS3_N6thrust23THRUST_200600_302600_NS6detail15normal_iteratorINS9_10device_ptrIiEEEEPS5_jNS1_19radix_merge_compareILb1ELb0EiNS0_19identity_decomposerEEEEE10hipError_tT0_T1_T2_jT3_P12ihipStream_tbPNSt15iterator_traitsISK_E10value_typeEPNSQ_ISL_E10value_typeEPSM_NS1_7vsmem_tEENKUlT_SK_SL_SM_E_clIPiSE_SF_SF_EESJ_SZ_SK_SL_SM_EUlSZ_E_NS1_11comp_targetILNS1_3genE5ELNS1_11target_archE942ELNS1_3gpuE9ELNS1_3repE0EEENS1_48merge_mergepath_partition_config_static_selectorELNS0_4arch9wavefront6targetE1EEEvSL_, .Lfunc_end224-_ZN7rocprim17ROCPRIM_400000_NS6detail17trampoline_kernelINS0_14default_configENS1_38merge_sort_block_merge_config_selectorIiNS0_10empty_typeEEEZZNS1_27merge_sort_block_merge_implIS3_N6thrust23THRUST_200600_302600_NS6detail15normal_iteratorINS9_10device_ptrIiEEEEPS5_jNS1_19radix_merge_compareILb1ELb0EiNS0_19identity_decomposerEEEEE10hipError_tT0_T1_T2_jT3_P12ihipStream_tbPNSt15iterator_traitsISK_E10value_typeEPNSQ_ISL_E10value_typeEPSM_NS1_7vsmem_tEENKUlT_SK_SL_SM_E_clIPiSE_SF_SF_EESJ_SZ_SK_SL_SM_EUlSZ_E_NS1_11comp_targetILNS1_3genE5ELNS1_11target_archE942ELNS1_3gpuE9ELNS1_3repE0EEENS1_48merge_mergepath_partition_config_static_selectorELNS0_4arch9wavefront6targetE1EEEvSL_
                                        ; -- End function
	.set _ZN7rocprim17ROCPRIM_400000_NS6detail17trampoline_kernelINS0_14default_configENS1_38merge_sort_block_merge_config_selectorIiNS0_10empty_typeEEEZZNS1_27merge_sort_block_merge_implIS3_N6thrust23THRUST_200600_302600_NS6detail15normal_iteratorINS9_10device_ptrIiEEEEPS5_jNS1_19radix_merge_compareILb1ELb0EiNS0_19identity_decomposerEEEEE10hipError_tT0_T1_T2_jT3_P12ihipStream_tbPNSt15iterator_traitsISK_E10value_typeEPNSQ_ISL_E10value_typeEPSM_NS1_7vsmem_tEENKUlT_SK_SL_SM_E_clIPiSE_SF_SF_EESJ_SZ_SK_SL_SM_EUlSZ_E_NS1_11comp_targetILNS1_3genE5ELNS1_11target_archE942ELNS1_3gpuE9ELNS1_3repE0EEENS1_48merge_mergepath_partition_config_static_selectorELNS0_4arch9wavefront6targetE1EEEvSL_.num_vgpr, 0
	.set _ZN7rocprim17ROCPRIM_400000_NS6detail17trampoline_kernelINS0_14default_configENS1_38merge_sort_block_merge_config_selectorIiNS0_10empty_typeEEEZZNS1_27merge_sort_block_merge_implIS3_N6thrust23THRUST_200600_302600_NS6detail15normal_iteratorINS9_10device_ptrIiEEEEPS5_jNS1_19radix_merge_compareILb1ELb0EiNS0_19identity_decomposerEEEEE10hipError_tT0_T1_T2_jT3_P12ihipStream_tbPNSt15iterator_traitsISK_E10value_typeEPNSQ_ISL_E10value_typeEPSM_NS1_7vsmem_tEENKUlT_SK_SL_SM_E_clIPiSE_SF_SF_EESJ_SZ_SK_SL_SM_EUlSZ_E_NS1_11comp_targetILNS1_3genE5ELNS1_11target_archE942ELNS1_3gpuE9ELNS1_3repE0EEENS1_48merge_mergepath_partition_config_static_selectorELNS0_4arch9wavefront6targetE1EEEvSL_.num_agpr, 0
	.set _ZN7rocprim17ROCPRIM_400000_NS6detail17trampoline_kernelINS0_14default_configENS1_38merge_sort_block_merge_config_selectorIiNS0_10empty_typeEEEZZNS1_27merge_sort_block_merge_implIS3_N6thrust23THRUST_200600_302600_NS6detail15normal_iteratorINS9_10device_ptrIiEEEEPS5_jNS1_19radix_merge_compareILb1ELb0EiNS0_19identity_decomposerEEEEE10hipError_tT0_T1_T2_jT3_P12ihipStream_tbPNSt15iterator_traitsISK_E10value_typeEPNSQ_ISL_E10value_typeEPSM_NS1_7vsmem_tEENKUlT_SK_SL_SM_E_clIPiSE_SF_SF_EESJ_SZ_SK_SL_SM_EUlSZ_E_NS1_11comp_targetILNS1_3genE5ELNS1_11target_archE942ELNS1_3gpuE9ELNS1_3repE0EEENS1_48merge_mergepath_partition_config_static_selectorELNS0_4arch9wavefront6targetE1EEEvSL_.numbered_sgpr, 0
	.set _ZN7rocprim17ROCPRIM_400000_NS6detail17trampoline_kernelINS0_14default_configENS1_38merge_sort_block_merge_config_selectorIiNS0_10empty_typeEEEZZNS1_27merge_sort_block_merge_implIS3_N6thrust23THRUST_200600_302600_NS6detail15normal_iteratorINS9_10device_ptrIiEEEEPS5_jNS1_19radix_merge_compareILb1ELb0EiNS0_19identity_decomposerEEEEE10hipError_tT0_T1_T2_jT3_P12ihipStream_tbPNSt15iterator_traitsISK_E10value_typeEPNSQ_ISL_E10value_typeEPSM_NS1_7vsmem_tEENKUlT_SK_SL_SM_E_clIPiSE_SF_SF_EESJ_SZ_SK_SL_SM_EUlSZ_E_NS1_11comp_targetILNS1_3genE5ELNS1_11target_archE942ELNS1_3gpuE9ELNS1_3repE0EEENS1_48merge_mergepath_partition_config_static_selectorELNS0_4arch9wavefront6targetE1EEEvSL_.num_named_barrier, 0
	.set _ZN7rocprim17ROCPRIM_400000_NS6detail17trampoline_kernelINS0_14default_configENS1_38merge_sort_block_merge_config_selectorIiNS0_10empty_typeEEEZZNS1_27merge_sort_block_merge_implIS3_N6thrust23THRUST_200600_302600_NS6detail15normal_iteratorINS9_10device_ptrIiEEEEPS5_jNS1_19radix_merge_compareILb1ELb0EiNS0_19identity_decomposerEEEEE10hipError_tT0_T1_T2_jT3_P12ihipStream_tbPNSt15iterator_traitsISK_E10value_typeEPNSQ_ISL_E10value_typeEPSM_NS1_7vsmem_tEENKUlT_SK_SL_SM_E_clIPiSE_SF_SF_EESJ_SZ_SK_SL_SM_EUlSZ_E_NS1_11comp_targetILNS1_3genE5ELNS1_11target_archE942ELNS1_3gpuE9ELNS1_3repE0EEENS1_48merge_mergepath_partition_config_static_selectorELNS0_4arch9wavefront6targetE1EEEvSL_.private_seg_size, 0
	.set _ZN7rocprim17ROCPRIM_400000_NS6detail17trampoline_kernelINS0_14default_configENS1_38merge_sort_block_merge_config_selectorIiNS0_10empty_typeEEEZZNS1_27merge_sort_block_merge_implIS3_N6thrust23THRUST_200600_302600_NS6detail15normal_iteratorINS9_10device_ptrIiEEEEPS5_jNS1_19radix_merge_compareILb1ELb0EiNS0_19identity_decomposerEEEEE10hipError_tT0_T1_T2_jT3_P12ihipStream_tbPNSt15iterator_traitsISK_E10value_typeEPNSQ_ISL_E10value_typeEPSM_NS1_7vsmem_tEENKUlT_SK_SL_SM_E_clIPiSE_SF_SF_EESJ_SZ_SK_SL_SM_EUlSZ_E_NS1_11comp_targetILNS1_3genE5ELNS1_11target_archE942ELNS1_3gpuE9ELNS1_3repE0EEENS1_48merge_mergepath_partition_config_static_selectorELNS0_4arch9wavefront6targetE1EEEvSL_.uses_vcc, 0
	.set _ZN7rocprim17ROCPRIM_400000_NS6detail17trampoline_kernelINS0_14default_configENS1_38merge_sort_block_merge_config_selectorIiNS0_10empty_typeEEEZZNS1_27merge_sort_block_merge_implIS3_N6thrust23THRUST_200600_302600_NS6detail15normal_iteratorINS9_10device_ptrIiEEEEPS5_jNS1_19radix_merge_compareILb1ELb0EiNS0_19identity_decomposerEEEEE10hipError_tT0_T1_T2_jT3_P12ihipStream_tbPNSt15iterator_traitsISK_E10value_typeEPNSQ_ISL_E10value_typeEPSM_NS1_7vsmem_tEENKUlT_SK_SL_SM_E_clIPiSE_SF_SF_EESJ_SZ_SK_SL_SM_EUlSZ_E_NS1_11comp_targetILNS1_3genE5ELNS1_11target_archE942ELNS1_3gpuE9ELNS1_3repE0EEENS1_48merge_mergepath_partition_config_static_selectorELNS0_4arch9wavefront6targetE1EEEvSL_.uses_flat_scratch, 0
	.set _ZN7rocprim17ROCPRIM_400000_NS6detail17trampoline_kernelINS0_14default_configENS1_38merge_sort_block_merge_config_selectorIiNS0_10empty_typeEEEZZNS1_27merge_sort_block_merge_implIS3_N6thrust23THRUST_200600_302600_NS6detail15normal_iteratorINS9_10device_ptrIiEEEEPS5_jNS1_19radix_merge_compareILb1ELb0EiNS0_19identity_decomposerEEEEE10hipError_tT0_T1_T2_jT3_P12ihipStream_tbPNSt15iterator_traitsISK_E10value_typeEPNSQ_ISL_E10value_typeEPSM_NS1_7vsmem_tEENKUlT_SK_SL_SM_E_clIPiSE_SF_SF_EESJ_SZ_SK_SL_SM_EUlSZ_E_NS1_11comp_targetILNS1_3genE5ELNS1_11target_archE942ELNS1_3gpuE9ELNS1_3repE0EEENS1_48merge_mergepath_partition_config_static_selectorELNS0_4arch9wavefront6targetE1EEEvSL_.has_dyn_sized_stack, 0
	.set _ZN7rocprim17ROCPRIM_400000_NS6detail17trampoline_kernelINS0_14default_configENS1_38merge_sort_block_merge_config_selectorIiNS0_10empty_typeEEEZZNS1_27merge_sort_block_merge_implIS3_N6thrust23THRUST_200600_302600_NS6detail15normal_iteratorINS9_10device_ptrIiEEEEPS5_jNS1_19radix_merge_compareILb1ELb0EiNS0_19identity_decomposerEEEEE10hipError_tT0_T1_T2_jT3_P12ihipStream_tbPNSt15iterator_traitsISK_E10value_typeEPNSQ_ISL_E10value_typeEPSM_NS1_7vsmem_tEENKUlT_SK_SL_SM_E_clIPiSE_SF_SF_EESJ_SZ_SK_SL_SM_EUlSZ_E_NS1_11comp_targetILNS1_3genE5ELNS1_11target_archE942ELNS1_3gpuE9ELNS1_3repE0EEENS1_48merge_mergepath_partition_config_static_selectorELNS0_4arch9wavefront6targetE1EEEvSL_.has_recursion, 0
	.set _ZN7rocprim17ROCPRIM_400000_NS6detail17trampoline_kernelINS0_14default_configENS1_38merge_sort_block_merge_config_selectorIiNS0_10empty_typeEEEZZNS1_27merge_sort_block_merge_implIS3_N6thrust23THRUST_200600_302600_NS6detail15normal_iteratorINS9_10device_ptrIiEEEEPS5_jNS1_19radix_merge_compareILb1ELb0EiNS0_19identity_decomposerEEEEE10hipError_tT0_T1_T2_jT3_P12ihipStream_tbPNSt15iterator_traitsISK_E10value_typeEPNSQ_ISL_E10value_typeEPSM_NS1_7vsmem_tEENKUlT_SK_SL_SM_E_clIPiSE_SF_SF_EESJ_SZ_SK_SL_SM_EUlSZ_E_NS1_11comp_targetILNS1_3genE5ELNS1_11target_archE942ELNS1_3gpuE9ELNS1_3repE0EEENS1_48merge_mergepath_partition_config_static_selectorELNS0_4arch9wavefront6targetE1EEEvSL_.has_indirect_call, 0
	.section	.AMDGPU.csdata,"",@progbits
; Kernel info:
; codeLenInByte = 0
; TotalNumSgprs: 6
; NumVgprs: 0
; NumAgprs: 0
; TotalNumVgprs: 0
; ScratchSize: 0
; MemoryBound: 0
; FloatMode: 240
; IeeeMode: 1
; LDSByteSize: 0 bytes/workgroup (compile time only)
; SGPRBlocks: 0
; VGPRBlocks: 0
; NumSGPRsForWavesPerEU: 6
; NumVGPRsForWavesPerEU: 1
; AccumOffset: 4
; Occupancy: 8
; WaveLimiterHint : 0
; COMPUTE_PGM_RSRC2:SCRATCH_EN: 0
; COMPUTE_PGM_RSRC2:USER_SGPR: 2
; COMPUTE_PGM_RSRC2:TRAP_HANDLER: 0
; COMPUTE_PGM_RSRC2:TGID_X_EN: 1
; COMPUTE_PGM_RSRC2:TGID_Y_EN: 0
; COMPUTE_PGM_RSRC2:TGID_Z_EN: 0
; COMPUTE_PGM_RSRC2:TIDIG_COMP_CNT: 0
; COMPUTE_PGM_RSRC3_GFX90A:ACCUM_OFFSET: 0
; COMPUTE_PGM_RSRC3_GFX90A:TG_SPLIT: 0
	.section	.text._ZN7rocprim17ROCPRIM_400000_NS6detail17trampoline_kernelINS0_14default_configENS1_38merge_sort_block_merge_config_selectorIiNS0_10empty_typeEEEZZNS1_27merge_sort_block_merge_implIS3_N6thrust23THRUST_200600_302600_NS6detail15normal_iteratorINS9_10device_ptrIiEEEEPS5_jNS1_19radix_merge_compareILb1ELb0EiNS0_19identity_decomposerEEEEE10hipError_tT0_T1_T2_jT3_P12ihipStream_tbPNSt15iterator_traitsISK_E10value_typeEPNSQ_ISL_E10value_typeEPSM_NS1_7vsmem_tEENKUlT_SK_SL_SM_E_clIPiSE_SF_SF_EESJ_SZ_SK_SL_SM_EUlSZ_E_NS1_11comp_targetILNS1_3genE4ELNS1_11target_archE910ELNS1_3gpuE8ELNS1_3repE0EEENS1_48merge_mergepath_partition_config_static_selectorELNS0_4arch9wavefront6targetE1EEEvSL_,"axG",@progbits,_ZN7rocprim17ROCPRIM_400000_NS6detail17trampoline_kernelINS0_14default_configENS1_38merge_sort_block_merge_config_selectorIiNS0_10empty_typeEEEZZNS1_27merge_sort_block_merge_implIS3_N6thrust23THRUST_200600_302600_NS6detail15normal_iteratorINS9_10device_ptrIiEEEEPS5_jNS1_19radix_merge_compareILb1ELb0EiNS0_19identity_decomposerEEEEE10hipError_tT0_T1_T2_jT3_P12ihipStream_tbPNSt15iterator_traitsISK_E10value_typeEPNSQ_ISL_E10value_typeEPSM_NS1_7vsmem_tEENKUlT_SK_SL_SM_E_clIPiSE_SF_SF_EESJ_SZ_SK_SL_SM_EUlSZ_E_NS1_11comp_targetILNS1_3genE4ELNS1_11target_archE910ELNS1_3gpuE8ELNS1_3repE0EEENS1_48merge_mergepath_partition_config_static_selectorELNS0_4arch9wavefront6targetE1EEEvSL_,comdat
	.protected	_ZN7rocprim17ROCPRIM_400000_NS6detail17trampoline_kernelINS0_14default_configENS1_38merge_sort_block_merge_config_selectorIiNS0_10empty_typeEEEZZNS1_27merge_sort_block_merge_implIS3_N6thrust23THRUST_200600_302600_NS6detail15normal_iteratorINS9_10device_ptrIiEEEEPS5_jNS1_19radix_merge_compareILb1ELb0EiNS0_19identity_decomposerEEEEE10hipError_tT0_T1_T2_jT3_P12ihipStream_tbPNSt15iterator_traitsISK_E10value_typeEPNSQ_ISL_E10value_typeEPSM_NS1_7vsmem_tEENKUlT_SK_SL_SM_E_clIPiSE_SF_SF_EESJ_SZ_SK_SL_SM_EUlSZ_E_NS1_11comp_targetILNS1_3genE4ELNS1_11target_archE910ELNS1_3gpuE8ELNS1_3repE0EEENS1_48merge_mergepath_partition_config_static_selectorELNS0_4arch9wavefront6targetE1EEEvSL_ ; -- Begin function _ZN7rocprim17ROCPRIM_400000_NS6detail17trampoline_kernelINS0_14default_configENS1_38merge_sort_block_merge_config_selectorIiNS0_10empty_typeEEEZZNS1_27merge_sort_block_merge_implIS3_N6thrust23THRUST_200600_302600_NS6detail15normal_iteratorINS9_10device_ptrIiEEEEPS5_jNS1_19radix_merge_compareILb1ELb0EiNS0_19identity_decomposerEEEEE10hipError_tT0_T1_T2_jT3_P12ihipStream_tbPNSt15iterator_traitsISK_E10value_typeEPNSQ_ISL_E10value_typeEPSM_NS1_7vsmem_tEENKUlT_SK_SL_SM_E_clIPiSE_SF_SF_EESJ_SZ_SK_SL_SM_EUlSZ_E_NS1_11comp_targetILNS1_3genE4ELNS1_11target_archE910ELNS1_3gpuE8ELNS1_3repE0EEENS1_48merge_mergepath_partition_config_static_selectorELNS0_4arch9wavefront6targetE1EEEvSL_
	.globl	_ZN7rocprim17ROCPRIM_400000_NS6detail17trampoline_kernelINS0_14default_configENS1_38merge_sort_block_merge_config_selectorIiNS0_10empty_typeEEEZZNS1_27merge_sort_block_merge_implIS3_N6thrust23THRUST_200600_302600_NS6detail15normal_iteratorINS9_10device_ptrIiEEEEPS5_jNS1_19radix_merge_compareILb1ELb0EiNS0_19identity_decomposerEEEEE10hipError_tT0_T1_T2_jT3_P12ihipStream_tbPNSt15iterator_traitsISK_E10value_typeEPNSQ_ISL_E10value_typeEPSM_NS1_7vsmem_tEENKUlT_SK_SL_SM_E_clIPiSE_SF_SF_EESJ_SZ_SK_SL_SM_EUlSZ_E_NS1_11comp_targetILNS1_3genE4ELNS1_11target_archE910ELNS1_3gpuE8ELNS1_3repE0EEENS1_48merge_mergepath_partition_config_static_selectorELNS0_4arch9wavefront6targetE1EEEvSL_
	.p2align	8
	.type	_ZN7rocprim17ROCPRIM_400000_NS6detail17trampoline_kernelINS0_14default_configENS1_38merge_sort_block_merge_config_selectorIiNS0_10empty_typeEEEZZNS1_27merge_sort_block_merge_implIS3_N6thrust23THRUST_200600_302600_NS6detail15normal_iteratorINS9_10device_ptrIiEEEEPS5_jNS1_19radix_merge_compareILb1ELb0EiNS0_19identity_decomposerEEEEE10hipError_tT0_T1_T2_jT3_P12ihipStream_tbPNSt15iterator_traitsISK_E10value_typeEPNSQ_ISL_E10value_typeEPSM_NS1_7vsmem_tEENKUlT_SK_SL_SM_E_clIPiSE_SF_SF_EESJ_SZ_SK_SL_SM_EUlSZ_E_NS1_11comp_targetILNS1_3genE4ELNS1_11target_archE910ELNS1_3gpuE8ELNS1_3repE0EEENS1_48merge_mergepath_partition_config_static_selectorELNS0_4arch9wavefront6targetE1EEEvSL_,@function
_ZN7rocprim17ROCPRIM_400000_NS6detail17trampoline_kernelINS0_14default_configENS1_38merge_sort_block_merge_config_selectorIiNS0_10empty_typeEEEZZNS1_27merge_sort_block_merge_implIS3_N6thrust23THRUST_200600_302600_NS6detail15normal_iteratorINS9_10device_ptrIiEEEEPS5_jNS1_19radix_merge_compareILb1ELb0EiNS0_19identity_decomposerEEEEE10hipError_tT0_T1_T2_jT3_P12ihipStream_tbPNSt15iterator_traitsISK_E10value_typeEPNSQ_ISL_E10value_typeEPSM_NS1_7vsmem_tEENKUlT_SK_SL_SM_E_clIPiSE_SF_SF_EESJ_SZ_SK_SL_SM_EUlSZ_E_NS1_11comp_targetILNS1_3genE4ELNS1_11target_archE910ELNS1_3gpuE8ELNS1_3repE0EEENS1_48merge_mergepath_partition_config_static_selectorELNS0_4arch9wavefront6targetE1EEEvSL_: ; @_ZN7rocprim17ROCPRIM_400000_NS6detail17trampoline_kernelINS0_14default_configENS1_38merge_sort_block_merge_config_selectorIiNS0_10empty_typeEEEZZNS1_27merge_sort_block_merge_implIS3_N6thrust23THRUST_200600_302600_NS6detail15normal_iteratorINS9_10device_ptrIiEEEEPS5_jNS1_19radix_merge_compareILb1ELb0EiNS0_19identity_decomposerEEEEE10hipError_tT0_T1_T2_jT3_P12ihipStream_tbPNSt15iterator_traitsISK_E10value_typeEPNSQ_ISL_E10value_typeEPSM_NS1_7vsmem_tEENKUlT_SK_SL_SM_E_clIPiSE_SF_SF_EESJ_SZ_SK_SL_SM_EUlSZ_E_NS1_11comp_targetILNS1_3genE4ELNS1_11target_archE910ELNS1_3gpuE8ELNS1_3repE0EEENS1_48merge_mergepath_partition_config_static_selectorELNS0_4arch9wavefront6targetE1EEEvSL_
; %bb.0:
	.section	.rodata,"a",@progbits
	.p2align	6, 0x0
	.amdhsa_kernel _ZN7rocprim17ROCPRIM_400000_NS6detail17trampoline_kernelINS0_14default_configENS1_38merge_sort_block_merge_config_selectorIiNS0_10empty_typeEEEZZNS1_27merge_sort_block_merge_implIS3_N6thrust23THRUST_200600_302600_NS6detail15normal_iteratorINS9_10device_ptrIiEEEEPS5_jNS1_19radix_merge_compareILb1ELb0EiNS0_19identity_decomposerEEEEE10hipError_tT0_T1_T2_jT3_P12ihipStream_tbPNSt15iterator_traitsISK_E10value_typeEPNSQ_ISL_E10value_typeEPSM_NS1_7vsmem_tEENKUlT_SK_SL_SM_E_clIPiSE_SF_SF_EESJ_SZ_SK_SL_SM_EUlSZ_E_NS1_11comp_targetILNS1_3genE4ELNS1_11target_archE910ELNS1_3gpuE8ELNS1_3repE0EEENS1_48merge_mergepath_partition_config_static_selectorELNS0_4arch9wavefront6targetE1EEEvSL_
		.amdhsa_group_segment_fixed_size 0
		.amdhsa_private_segment_fixed_size 0
		.amdhsa_kernarg_size 40
		.amdhsa_user_sgpr_count 2
		.amdhsa_user_sgpr_dispatch_ptr 0
		.amdhsa_user_sgpr_queue_ptr 0
		.amdhsa_user_sgpr_kernarg_segment_ptr 1
		.amdhsa_user_sgpr_dispatch_id 0
		.amdhsa_user_sgpr_kernarg_preload_length 0
		.amdhsa_user_sgpr_kernarg_preload_offset 0
		.amdhsa_user_sgpr_private_segment_size 0
		.amdhsa_uses_dynamic_stack 0
		.amdhsa_enable_private_segment 0
		.amdhsa_system_sgpr_workgroup_id_x 1
		.amdhsa_system_sgpr_workgroup_id_y 0
		.amdhsa_system_sgpr_workgroup_id_z 0
		.amdhsa_system_sgpr_workgroup_info 0
		.amdhsa_system_vgpr_workitem_id 0
		.amdhsa_next_free_vgpr 1
		.amdhsa_next_free_sgpr 0
		.amdhsa_accum_offset 4
		.amdhsa_reserve_vcc 0
		.amdhsa_float_round_mode_32 0
		.amdhsa_float_round_mode_16_64 0
		.amdhsa_float_denorm_mode_32 3
		.amdhsa_float_denorm_mode_16_64 3
		.amdhsa_dx10_clamp 1
		.amdhsa_ieee_mode 1
		.amdhsa_fp16_overflow 0
		.amdhsa_tg_split 0
		.amdhsa_exception_fp_ieee_invalid_op 0
		.amdhsa_exception_fp_denorm_src 0
		.amdhsa_exception_fp_ieee_div_zero 0
		.amdhsa_exception_fp_ieee_overflow 0
		.amdhsa_exception_fp_ieee_underflow 0
		.amdhsa_exception_fp_ieee_inexact 0
		.amdhsa_exception_int_div_zero 0
	.end_amdhsa_kernel
	.section	.text._ZN7rocprim17ROCPRIM_400000_NS6detail17trampoline_kernelINS0_14default_configENS1_38merge_sort_block_merge_config_selectorIiNS0_10empty_typeEEEZZNS1_27merge_sort_block_merge_implIS3_N6thrust23THRUST_200600_302600_NS6detail15normal_iteratorINS9_10device_ptrIiEEEEPS5_jNS1_19radix_merge_compareILb1ELb0EiNS0_19identity_decomposerEEEEE10hipError_tT0_T1_T2_jT3_P12ihipStream_tbPNSt15iterator_traitsISK_E10value_typeEPNSQ_ISL_E10value_typeEPSM_NS1_7vsmem_tEENKUlT_SK_SL_SM_E_clIPiSE_SF_SF_EESJ_SZ_SK_SL_SM_EUlSZ_E_NS1_11comp_targetILNS1_3genE4ELNS1_11target_archE910ELNS1_3gpuE8ELNS1_3repE0EEENS1_48merge_mergepath_partition_config_static_selectorELNS0_4arch9wavefront6targetE1EEEvSL_,"axG",@progbits,_ZN7rocprim17ROCPRIM_400000_NS6detail17trampoline_kernelINS0_14default_configENS1_38merge_sort_block_merge_config_selectorIiNS0_10empty_typeEEEZZNS1_27merge_sort_block_merge_implIS3_N6thrust23THRUST_200600_302600_NS6detail15normal_iteratorINS9_10device_ptrIiEEEEPS5_jNS1_19radix_merge_compareILb1ELb0EiNS0_19identity_decomposerEEEEE10hipError_tT0_T1_T2_jT3_P12ihipStream_tbPNSt15iterator_traitsISK_E10value_typeEPNSQ_ISL_E10value_typeEPSM_NS1_7vsmem_tEENKUlT_SK_SL_SM_E_clIPiSE_SF_SF_EESJ_SZ_SK_SL_SM_EUlSZ_E_NS1_11comp_targetILNS1_3genE4ELNS1_11target_archE910ELNS1_3gpuE8ELNS1_3repE0EEENS1_48merge_mergepath_partition_config_static_selectorELNS0_4arch9wavefront6targetE1EEEvSL_,comdat
.Lfunc_end225:
	.size	_ZN7rocprim17ROCPRIM_400000_NS6detail17trampoline_kernelINS0_14default_configENS1_38merge_sort_block_merge_config_selectorIiNS0_10empty_typeEEEZZNS1_27merge_sort_block_merge_implIS3_N6thrust23THRUST_200600_302600_NS6detail15normal_iteratorINS9_10device_ptrIiEEEEPS5_jNS1_19radix_merge_compareILb1ELb0EiNS0_19identity_decomposerEEEEE10hipError_tT0_T1_T2_jT3_P12ihipStream_tbPNSt15iterator_traitsISK_E10value_typeEPNSQ_ISL_E10value_typeEPSM_NS1_7vsmem_tEENKUlT_SK_SL_SM_E_clIPiSE_SF_SF_EESJ_SZ_SK_SL_SM_EUlSZ_E_NS1_11comp_targetILNS1_3genE4ELNS1_11target_archE910ELNS1_3gpuE8ELNS1_3repE0EEENS1_48merge_mergepath_partition_config_static_selectorELNS0_4arch9wavefront6targetE1EEEvSL_, .Lfunc_end225-_ZN7rocprim17ROCPRIM_400000_NS6detail17trampoline_kernelINS0_14default_configENS1_38merge_sort_block_merge_config_selectorIiNS0_10empty_typeEEEZZNS1_27merge_sort_block_merge_implIS3_N6thrust23THRUST_200600_302600_NS6detail15normal_iteratorINS9_10device_ptrIiEEEEPS5_jNS1_19radix_merge_compareILb1ELb0EiNS0_19identity_decomposerEEEEE10hipError_tT0_T1_T2_jT3_P12ihipStream_tbPNSt15iterator_traitsISK_E10value_typeEPNSQ_ISL_E10value_typeEPSM_NS1_7vsmem_tEENKUlT_SK_SL_SM_E_clIPiSE_SF_SF_EESJ_SZ_SK_SL_SM_EUlSZ_E_NS1_11comp_targetILNS1_3genE4ELNS1_11target_archE910ELNS1_3gpuE8ELNS1_3repE0EEENS1_48merge_mergepath_partition_config_static_selectorELNS0_4arch9wavefront6targetE1EEEvSL_
                                        ; -- End function
	.set _ZN7rocprim17ROCPRIM_400000_NS6detail17trampoline_kernelINS0_14default_configENS1_38merge_sort_block_merge_config_selectorIiNS0_10empty_typeEEEZZNS1_27merge_sort_block_merge_implIS3_N6thrust23THRUST_200600_302600_NS6detail15normal_iteratorINS9_10device_ptrIiEEEEPS5_jNS1_19radix_merge_compareILb1ELb0EiNS0_19identity_decomposerEEEEE10hipError_tT0_T1_T2_jT3_P12ihipStream_tbPNSt15iterator_traitsISK_E10value_typeEPNSQ_ISL_E10value_typeEPSM_NS1_7vsmem_tEENKUlT_SK_SL_SM_E_clIPiSE_SF_SF_EESJ_SZ_SK_SL_SM_EUlSZ_E_NS1_11comp_targetILNS1_3genE4ELNS1_11target_archE910ELNS1_3gpuE8ELNS1_3repE0EEENS1_48merge_mergepath_partition_config_static_selectorELNS0_4arch9wavefront6targetE1EEEvSL_.num_vgpr, 0
	.set _ZN7rocprim17ROCPRIM_400000_NS6detail17trampoline_kernelINS0_14default_configENS1_38merge_sort_block_merge_config_selectorIiNS0_10empty_typeEEEZZNS1_27merge_sort_block_merge_implIS3_N6thrust23THRUST_200600_302600_NS6detail15normal_iteratorINS9_10device_ptrIiEEEEPS5_jNS1_19radix_merge_compareILb1ELb0EiNS0_19identity_decomposerEEEEE10hipError_tT0_T1_T2_jT3_P12ihipStream_tbPNSt15iterator_traitsISK_E10value_typeEPNSQ_ISL_E10value_typeEPSM_NS1_7vsmem_tEENKUlT_SK_SL_SM_E_clIPiSE_SF_SF_EESJ_SZ_SK_SL_SM_EUlSZ_E_NS1_11comp_targetILNS1_3genE4ELNS1_11target_archE910ELNS1_3gpuE8ELNS1_3repE0EEENS1_48merge_mergepath_partition_config_static_selectorELNS0_4arch9wavefront6targetE1EEEvSL_.num_agpr, 0
	.set _ZN7rocprim17ROCPRIM_400000_NS6detail17trampoline_kernelINS0_14default_configENS1_38merge_sort_block_merge_config_selectorIiNS0_10empty_typeEEEZZNS1_27merge_sort_block_merge_implIS3_N6thrust23THRUST_200600_302600_NS6detail15normal_iteratorINS9_10device_ptrIiEEEEPS5_jNS1_19radix_merge_compareILb1ELb0EiNS0_19identity_decomposerEEEEE10hipError_tT0_T1_T2_jT3_P12ihipStream_tbPNSt15iterator_traitsISK_E10value_typeEPNSQ_ISL_E10value_typeEPSM_NS1_7vsmem_tEENKUlT_SK_SL_SM_E_clIPiSE_SF_SF_EESJ_SZ_SK_SL_SM_EUlSZ_E_NS1_11comp_targetILNS1_3genE4ELNS1_11target_archE910ELNS1_3gpuE8ELNS1_3repE0EEENS1_48merge_mergepath_partition_config_static_selectorELNS0_4arch9wavefront6targetE1EEEvSL_.numbered_sgpr, 0
	.set _ZN7rocprim17ROCPRIM_400000_NS6detail17trampoline_kernelINS0_14default_configENS1_38merge_sort_block_merge_config_selectorIiNS0_10empty_typeEEEZZNS1_27merge_sort_block_merge_implIS3_N6thrust23THRUST_200600_302600_NS6detail15normal_iteratorINS9_10device_ptrIiEEEEPS5_jNS1_19radix_merge_compareILb1ELb0EiNS0_19identity_decomposerEEEEE10hipError_tT0_T1_T2_jT3_P12ihipStream_tbPNSt15iterator_traitsISK_E10value_typeEPNSQ_ISL_E10value_typeEPSM_NS1_7vsmem_tEENKUlT_SK_SL_SM_E_clIPiSE_SF_SF_EESJ_SZ_SK_SL_SM_EUlSZ_E_NS1_11comp_targetILNS1_3genE4ELNS1_11target_archE910ELNS1_3gpuE8ELNS1_3repE0EEENS1_48merge_mergepath_partition_config_static_selectorELNS0_4arch9wavefront6targetE1EEEvSL_.num_named_barrier, 0
	.set _ZN7rocprim17ROCPRIM_400000_NS6detail17trampoline_kernelINS0_14default_configENS1_38merge_sort_block_merge_config_selectorIiNS0_10empty_typeEEEZZNS1_27merge_sort_block_merge_implIS3_N6thrust23THRUST_200600_302600_NS6detail15normal_iteratorINS9_10device_ptrIiEEEEPS5_jNS1_19radix_merge_compareILb1ELb0EiNS0_19identity_decomposerEEEEE10hipError_tT0_T1_T2_jT3_P12ihipStream_tbPNSt15iterator_traitsISK_E10value_typeEPNSQ_ISL_E10value_typeEPSM_NS1_7vsmem_tEENKUlT_SK_SL_SM_E_clIPiSE_SF_SF_EESJ_SZ_SK_SL_SM_EUlSZ_E_NS1_11comp_targetILNS1_3genE4ELNS1_11target_archE910ELNS1_3gpuE8ELNS1_3repE0EEENS1_48merge_mergepath_partition_config_static_selectorELNS0_4arch9wavefront6targetE1EEEvSL_.private_seg_size, 0
	.set _ZN7rocprim17ROCPRIM_400000_NS6detail17trampoline_kernelINS0_14default_configENS1_38merge_sort_block_merge_config_selectorIiNS0_10empty_typeEEEZZNS1_27merge_sort_block_merge_implIS3_N6thrust23THRUST_200600_302600_NS6detail15normal_iteratorINS9_10device_ptrIiEEEEPS5_jNS1_19radix_merge_compareILb1ELb0EiNS0_19identity_decomposerEEEEE10hipError_tT0_T1_T2_jT3_P12ihipStream_tbPNSt15iterator_traitsISK_E10value_typeEPNSQ_ISL_E10value_typeEPSM_NS1_7vsmem_tEENKUlT_SK_SL_SM_E_clIPiSE_SF_SF_EESJ_SZ_SK_SL_SM_EUlSZ_E_NS1_11comp_targetILNS1_3genE4ELNS1_11target_archE910ELNS1_3gpuE8ELNS1_3repE0EEENS1_48merge_mergepath_partition_config_static_selectorELNS0_4arch9wavefront6targetE1EEEvSL_.uses_vcc, 0
	.set _ZN7rocprim17ROCPRIM_400000_NS6detail17trampoline_kernelINS0_14default_configENS1_38merge_sort_block_merge_config_selectorIiNS0_10empty_typeEEEZZNS1_27merge_sort_block_merge_implIS3_N6thrust23THRUST_200600_302600_NS6detail15normal_iteratorINS9_10device_ptrIiEEEEPS5_jNS1_19radix_merge_compareILb1ELb0EiNS0_19identity_decomposerEEEEE10hipError_tT0_T1_T2_jT3_P12ihipStream_tbPNSt15iterator_traitsISK_E10value_typeEPNSQ_ISL_E10value_typeEPSM_NS1_7vsmem_tEENKUlT_SK_SL_SM_E_clIPiSE_SF_SF_EESJ_SZ_SK_SL_SM_EUlSZ_E_NS1_11comp_targetILNS1_3genE4ELNS1_11target_archE910ELNS1_3gpuE8ELNS1_3repE0EEENS1_48merge_mergepath_partition_config_static_selectorELNS0_4arch9wavefront6targetE1EEEvSL_.uses_flat_scratch, 0
	.set _ZN7rocprim17ROCPRIM_400000_NS6detail17trampoline_kernelINS0_14default_configENS1_38merge_sort_block_merge_config_selectorIiNS0_10empty_typeEEEZZNS1_27merge_sort_block_merge_implIS3_N6thrust23THRUST_200600_302600_NS6detail15normal_iteratorINS9_10device_ptrIiEEEEPS5_jNS1_19radix_merge_compareILb1ELb0EiNS0_19identity_decomposerEEEEE10hipError_tT0_T1_T2_jT3_P12ihipStream_tbPNSt15iterator_traitsISK_E10value_typeEPNSQ_ISL_E10value_typeEPSM_NS1_7vsmem_tEENKUlT_SK_SL_SM_E_clIPiSE_SF_SF_EESJ_SZ_SK_SL_SM_EUlSZ_E_NS1_11comp_targetILNS1_3genE4ELNS1_11target_archE910ELNS1_3gpuE8ELNS1_3repE0EEENS1_48merge_mergepath_partition_config_static_selectorELNS0_4arch9wavefront6targetE1EEEvSL_.has_dyn_sized_stack, 0
	.set _ZN7rocprim17ROCPRIM_400000_NS6detail17trampoline_kernelINS0_14default_configENS1_38merge_sort_block_merge_config_selectorIiNS0_10empty_typeEEEZZNS1_27merge_sort_block_merge_implIS3_N6thrust23THRUST_200600_302600_NS6detail15normal_iteratorINS9_10device_ptrIiEEEEPS5_jNS1_19radix_merge_compareILb1ELb0EiNS0_19identity_decomposerEEEEE10hipError_tT0_T1_T2_jT3_P12ihipStream_tbPNSt15iterator_traitsISK_E10value_typeEPNSQ_ISL_E10value_typeEPSM_NS1_7vsmem_tEENKUlT_SK_SL_SM_E_clIPiSE_SF_SF_EESJ_SZ_SK_SL_SM_EUlSZ_E_NS1_11comp_targetILNS1_3genE4ELNS1_11target_archE910ELNS1_3gpuE8ELNS1_3repE0EEENS1_48merge_mergepath_partition_config_static_selectorELNS0_4arch9wavefront6targetE1EEEvSL_.has_recursion, 0
	.set _ZN7rocprim17ROCPRIM_400000_NS6detail17trampoline_kernelINS0_14default_configENS1_38merge_sort_block_merge_config_selectorIiNS0_10empty_typeEEEZZNS1_27merge_sort_block_merge_implIS3_N6thrust23THRUST_200600_302600_NS6detail15normal_iteratorINS9_10device_ptrIiEEEEPS5_jNS1_19radix_merge_compareILb1ELb0EiNS0_19identity_decomposerEEEEE10hipError_tT0_T1_T2_jT3_P12ihipStream_tbPNSt15iterator_traitsISK_E10value_typeEPNSQ_ISL_E10value_typeEPSM_NS1_7vsmem_tEENKUlT_SK_SL_SM_E_clIPiSE_SF_SF_EESJ_SZ_SK_SL_SM_EUlSZ_E_NS1_11comp_targetILNS1_3genE4ELNS1_11target_archE910ELNS1_3gpuE8ELNS1_3repE0EEENS1_48merge_mergepath_partition_config_static_selectorELNS0_4arch9wavefront6targetE1EEEvSL_.has_indirect_call, 0
	.section	.AMDGPU.csdata,"",@progbits
; Kernel info:
; codeLenInByte = 0
; TotalNumSgprs: 6
; NumVgprs: 0
; NumAgprs: 0
; TotalNumVgprs: 0
; ScratchSize: 0
; MemoryBound: 0
; FloatMode: 240
; IeeeMode: 1
; LDSByteSize: 0 bytes/workgroup (compile time only)
; SGPRBlocks: 0
; VGPRBlocks: 0
; NumSGPRsForWavesPerEU: 6
; NumVGPRsForWavesPerEU: 1
; AccumOffset: 4
; Occupancy: 8
; WaveLimiterHint : 0
; COMPUTE_PGM_RSRC2:SCRATCH_EN: 0
; COMPUTE_PGM_RSRC2:USER_SGPR: 2
; COMPUTE_PGM_RSRC2:TRAP_HANDLER: 0
; COMPUTE_PGM_RSRC2:TGID_X_EN: 1
; COMPUTE_PGM_RSRC2:TGID_Y_EN: 0
; COMPUTE_PGM_RSRC2:TGID_Z_EN: 0
; COMPUTE_PGM_RSRC2:TIDIG_COMP_CNT: 0
; COMPUTE_PGM_RSRC3_GFX90A:ACCUM_OFFSET: 0
; COMPUTE_PGM_RSRC3_GFX90A:TG_SPLIT: 0
	.section	.text._ZN7rocprim17ROCPRIM_400000_NS6detail17trampoline_kernelINS0_14default_configENS1_38merge_sort_block_merge_config_selectorIiNS0_10empty_typeEEEZZNS1_27merge_sort_block_merge_implIS3_N6thrust23THRUST_200600_302600_NS6detail15normal_iteratorINS9_10device_ptrIiEEEEPS5_jNS1_19radix_merge_compareILb1ELb0EiNS0_19identity_decomposerEEEEE10hipError_tT0_T1_T2_jT3_P12ihipStream_tbPNSt15iterator_traitsISK_E10value_typeEPNSQ_ISL_E10value_typeEPSM_NS1_7vsmem_tEENKUlT_SK_SL_SM_E_clIPiSE_SF_SF_EESJ_SZ_SK_SL_SM_EUlSZ_E_NS1_11comp_targetILNS1_3genE3ELNS1_11target_archE908ELNS1_3gpuE7ELNS1_3repE0EEENS1_48merge_mergepath_partition_config_static_selectorELNS0_4arch9wavefront6targetE1EEEvSL_,"axG",@progbits,_ZN7rocprim17ROCPRIM_400000_NS6detail17trampoline_kernelINS0_14default_configENS1_38merge_sort_block_merge_config_selectorIiNS0_10empty_typeEEEZZNS1_27merge_sort_block_merge_implIS3_N6thrust23THRUST_200600_302600_NS6detail15normal_iteratorINS9_10device_ptrIiEEEEPS5_jNS1_19radix_merge_compareILb1ELb0EiNS0_19identity_decomposerEEEEE10hipError_tT0_T1_T2_jT3_P12ihipStream_tbPNSt15iterator_traitsISK_E10value_typeEPNSQ_ISL_E10value_typeEPSM_NS1_7vsmem_tEENKUlT_SK_SL_SM_E_clIPiSE_SF_SF_EESJ_SZ_SK_SL_SM_EUlSZ_E_NS1_11comp_targetILNS1_3genE3ELNS1_11target_archE908ELNS1_3gpuE7ELNS1_3repE0EEENS1_48merge_mergepath_partition_config_static_selectorELNS0_4arch9wavefront6targetE1EEEvSL_,comdat
	.protected	_ZN7rocprim17ROCPRIM_400000_NS6detail17trampoline_kernelINS0_14default_configENS1_38merge_sort_block_merge_config_selectorIiNS0_10empty_typeEEEZZNS1_27merge_sort_block_merge_implIS3_N6thrust23THRUST_200600_302600_NS6detail15normal_iteratorINS9_10device_ptrIiEEEEPS5_jNS1_19radix_merge_compareILb1ELb0EiNS0_19identity_decomposerEEEEE10hipError_tT0_T1_T2_jT3_P12ihipStream_tbPNSt15iterator_traitsISK_E10value_typeEPNSQ_ISL_E10value_typeEPSM_NS1_7vsmem_tEENKUlT_SK_SL_SM_E_clIPiSE_SF_SF_EESJ_SZ_SK_SL_SM_EUlSZ_E_NS1_11comp_targetILNS1_3genE3ELNS1_11target_archE908ELNS1_3gpuE7ELNS1_3repE0EEENS1_48merge_mergepath_partition_config_static_selectorELNS0_4arch9wavefront6targetE1EEEvSL_ ; -- Begin function _ZN7rocprim17ROCPRIM_400000_NS6detail17trampoline_kernelINS0_14default_configENS1_38merge_sort_block_merge_config_selectorIiNS0_10empty_typeEEEZZNS1_27merge_sort_block_merge_implIS3_N6thrust23THRUST_200600_302600_NS6detail15normal_iteratorINS9_10device_ptrIiEEEEPS5_jNS1_19radix_merge_compareILb1ELb0EiNS0_19identity_decomposerEEEEE10hipError_tT0_T1_T2_jT3_P12ihipStream_tbPNSt15iterator_traitsISK_E10value_typeEPNSQ_ISL_E10value_typeEPSM_NS1_7vsmem_tEENKUlT_SK_SL_SM_E_clIPiSE_SF_SF_EESJ_SZ_SK_SL_SM_EUlSZ_E_NS1_11comp_targetILNS1_3genE3ELNS1_11target_archE908ELNS1_3gpuE7ELNS1_3repE0EEENS1_48merge_mergepath_partition_config_static_selectorELNS0_4arch9wavefront6targetE1EEEvSL_
	.globl	_ZN7rocprim17ROCPRIM_400000_NS6detail17trampoline_kernelINS0_14default_configENS1_38merge_sort_block_merge_config_selectorIiNS0_10empty_typeEEEZZNS1_27merge_sort_block_merge_implIS3_N6thrust23THRUST_200600_302600_NS6detail15normal_iteratorINS9_10device_ptrIiEEEEPS5_jNS1_19radix_merge_compareILb1ELb0EiNS0_19identity_decomposerEEEEE10hipError_tT0_T1_T2_jT3_P12ihipStream_tbPNSt15iterator_traitsISK_E10value_typeEPNSQ_ISL_E10value_typeEPSM_NS1_7vsmem_tEENKUlT_SK_SL_SM_E_clIPiSE_SF_SF_EESJ_SZ_SK_SL_SM_EUlSZ_E_NS1_11comp_targetILNS1_3genE3ELNS1_11target_archE908ELNS1_3gpuE7ELNS1_3repE0EEENS1_48merge_mergepath_partition_config_static_selectorELNS0_4arch9wavefront6targetE1EEEvSL_
	.p2align	8
	.type	_ZN7rocprim17ROCPRIM_400000_NS6detail17trampoline_kernelINS0_14default_configENS1_38merge_sort_block_merge_config_selectorIiNS0_10empty_typeEEEZZNS1_27merge_sort_block_merge_implIS3_N6thrust23THRUST_200600_302600_NS6detail15normal_iteratorINS9_10device_ptrIiEEEEPS5_jNS1_19radix_merge_compareILb1ELb0EiNS0_19identity_decomposerEEEEE10hipError_tT0_T1_T2_jT3_P12ihipStream_tbPNSt15iterator_traitsISK_E10value_typeEPNSQ_ISL_E10value_typeEPSM_NS1_7vsmem_tEENKUlT_SK_SL_SM_E_clIPiSE_SF_SF_EESJ_SZ_SK_SL_SM_EUlSZ_E_NS1_11comp_targetILNS1_3genE3ELNS1_11target_archE908ELNS1_3gpuE7ELNS1_3repE0EEENS1_48merge_mergepath_partition_config_static_selectorELNS0_4arch9wavefront6targetE1EEEvSL_,@function
_ZN7rocprim17ROCPRIM_400000_NS6detail17trampoline_kernelINS0_14default_configENS1_38merge_sort_block_merge_config_selectorIiNS0_10empty_typeEEEZZNS1_27merge_sort_block_merge_implIS3_N6thrust23THRUST_200600_302600_NS6detail15normal_iteratorINS9_10device_ptrIiEEEEPS5_jNS1_19radix_merge_compareILb1ELb0EiNS0_19identity_decomposerEEEEE10hipError_tT0_T1_T2_jT3_P12ihipStream_tbPNSt15iterator_traitsISK_E10value_typeEPNSQ_ISL_E10value_typeEPSM_NS1_7vsmem_tEENKUlT_SK_SL_SM_E_clIPiSE_SF_SF_EESJ_SZ_SK_SL_SM_EUlSZ_E_NS1_11comp_targetILNS1_3genE3ELNS1_11target_archE908ELNS1_3gpuE7ELNS1_3repE0EEENS1_48merge_mergepath_partition_config_static_selectorELNS0_4arch9wavefront6targetE1EEEvSL_: ; @_ZN7rocprim17ROCPRIM_400000_NS6detail17trampoline_kernelINS0_14default_configENS1_38merge_sort_block_merge_config_selectorIiNS0_10empty_typeEEEZZNS1_27merge_sort_block_merge_implIS3_N6thrust23THRUST_200600_302600_NS6detail15normal_iteratorINS9_10device_ptrIiEEEEPS5_jNS1_19radix_merge_compareILb1ELb0EiNS0_19identity_decomposerEEEEE10hipError_tT0_T1_T2_jT3_P12ihipStream_tbPNSt15iterator_traitsISK_E10value_typeEPNSQ_ISL_E10value_typeEPSM_NS1_7vsmem_tEENKUlT_SK_SL_SM_E_clIPiSE_SF_SF_EESJ_SZ_SK_SL_SM_EUlSZ_E_NS1_11comp_targetILNS1_3genE3ELNS1_11target_archE908ELNS1_3gpuE7ELNS1_3repE0EEENS1_48merge_mergepath_partition_config_static_selectorELNS0_4arch9wavefront6targetE1EEEvSL_
; %bb.0:
	.section	.rodata,"a",@progbits
	.p2align	6, 0x0
	.amdhsa_kernel _ZN7rocprim17ROCPRIM_400000_NS6detail17trampoline_kernelINS0_14default_configENS1_38merge_sort_block_merge_config_selectorIiNS0_10empty_typeEEEZZNS1_27merge_sort_block_merge_implIS3_N6thrust23THRUST_200600_302600_NS6detail15normal_iteratorINS9_10device_ptrIiEEEEPS5_jNS1_19radix_merge_compareILb1ELb0EiNS0_19identity_decomposerEEEEE10hipError_tT0_T1_T2_jT3_P12ihipStream_tbPNSt15iterator_traitsISK_E10value_typeEPNSQ_ISL_E10value_typeEPSM_NS1_7vsmem_tEENKUlT_SK_SL_SM_E_clIPiSE_SF_SF_EESJ_SZ_SK_SL_SM_EUlSZ_E_NS1_11comp_targetILNS1_3genE3ELNS1_11target_archE908ELNS1_3gpuE7ELNS1_3repE0EEENS1_48merge_mergepath_partition_config_static_selectorELNS0_4arch9wavefront6targetE1EEEvSL_
		.amdhsa_group_segment_fixed_size 0
		.amdhsa_private_segment_fixed_size 0
		.amdhsa_kernarg_size 40
		.amdhsa_user_sgpr_count 2
		.amdhsa_user_sgpr_dispatch_ptr 0
		.amdhsa_user_sgpr_queue_ptr 0
		.amdhsa_user_sgpr_kernarg_segment_ptr 1
		.amdhsa_user_sgpr_dispatch_id 0
		.amdhsa_user_sgpr_kernarg_preload_length 0
		.amdhsa_user_sgpr_kernarg_preload_offset 0
		.amdhsa_user_sgpr_private_segment_size 0
		.amdhsa_uses_dynamic_stack 0
		.amdhsa_enable_private_segment 0
		.amdhsa_system_sgpr_workgroup_id_x 1
		.amdhsa_system_sgpr_workgroup_id_y 0
		.amdhsa_system_sgpr_workgroup_id_z 0
		.amdhsa_system_sgpr_workgroup_info 0
		.amdhsa_system_vgpr_workitem_id 0
		.amdhsa_next_free_vgpr 1
		.amdhsa_next_free_sgpr 0
		.amdhsa_accum_offset 4
		.amdhsa_reserve_vcc 0
		.amdhsa_float_round_mode_32 0
		.amdhsa_float_round_mode_16_64 0
		.amdhsa_float_denorm_mode_32 3
		.amdhsa_float_denorm_mode_16_64 3
		.amdhsa_dx10_clamp 1
		.amdhsa_ieee_mode 1
		.amdhsa_fp16_overflow 0
		.amdhsa_tg_split 0
		.amdhsa_exception_fp_ieee_invalid_op 0
		.amdhsa_exception_fp_denorm_src 0
		.amdhsa_exception_fp_ieee_div_zero 0
		.amdhsa_exception_fp_ieee_overflow 0
		.amdhsa_exception_fp_ieee_underflow 0
		.amdhsa_exception_fp_ieee_inexact 0
		.amdhsa_exception_int_div_zero 0
	.end_amdhsa_kernel
	.section	.text._ZN7rocprim17ROCPRIM_400000_NS6detail17trampoline_kernelINS0_14default_configENS1_38merge_sort_block_merge_config_selectorIiNS0_10empty_typeEEEZZNS1_27merge_sort_block_merge_implIS3_N6thrust23THRUST_200600_302600_NS6detail15normal_iteratorINS9_10device_ptrIiEEEEPS5_jNS1_19radix_merge_compareILb1ELb0EiNS0_19identity_decomposerEEEEE10hipError_tT0_T1_T2_jT3_P12ihipStream_tbPNSt15iterator_traitsISK_E10value_typeEPNSQ_ISL_E10value_typeEPSM_NS1_7vsmem_tEENKUlT_SK_SL_SM_E_clIPiSE_SF_SF_EESJ_SZ_SK_SL_SM_EUlSZ_E_NS1_11comp_targetILNS1_3genE3ELNS1_11target_archE908ELNS1_3gpuE7ELNS1_3repE0EEENS1_48merge_mergepath_partition_config_static_selectorELNS0_4arch9wavefront6targetE1EEEvSL_,"axG",@progbits,_ZN7rocprim17ROCPRIM_400000_NS6detail17trampoline_kernelINS0_14default_configENS1_38merge_sort_block_merge_config_selectorIiNS0_10empty_typeEEEZZNS1_27merge_sort_block_merge_implIS3_N6thrust23THRUST_200600_302600_NS6detail15normal_iteratorINS9_10device_ptrIiEEEEPS5_jNS1_19radix_merge_compareILb1ELb0EiNS0_19identity_decomposerEEEEE10hipError_tT0_T1_T2_jT3_P12ihipStream_tbPNSt15iterator_traitsISK_E10value_typeEPNSQ_ISL_E10value_typeEPSM_NS1_7vsmem_tEENKUlT_SK_SL_SM_E_clIPiSE_SF_SF_EESJ_SZ_SK_SL_SM_EUlSZ_E_NS1_11comp_targetILNS1_3genE3ELNS1_11target_archE908ELNS1_3gpuE7ELNS1_3repE0EEENS1_48merge_mergepath_partition_config_static_selectorELNS0_4arch9wavefront6targetE1EEEvSL_,comdat
.Lfunc_end226:
	.size	_ZN7rocprim17ROCPRIM_400000_NS6detail17trampoline_kernelINS0_14default_configENS1_38merge_sort_block_merge_config_selectorIiNS0_10empty_typeEEEZZNS1_27merge_sort_block_merge_implIS3_N6thrust23THRUST_200600_302600_NS6detail15normal_iteratorINS9_10device_ptrIiEEEEPS5_jNS1_19radix_merge_compareILb1ELb0EiNS0_19identity_decomposerEEEEE10hipError_tT0_T1_T2_jT3_P12ihipStream_tbPNSt15iterator_traitsISK_E10value_typeEPNSQ_ISL_E10value_typeEPSM_NS1_7vsmem_tEENKUlT_SK_SL_SM_E_clIPiSE_SF_SF_EESJ_SZ_SK_SL_SM_EUlSZ_E_NS1_11comp_targetILNS1_3genE3ELNS1_11target_archE908ELNS1_3gpuE7ELNS1_3repE0EEENS1_48merge_mergepath_partition_config_static_selectorELNS0_4arch9wavefront6targetE1EEEvSL_, .Lfunc_end226-_ZN7rocprim17ROCPRIM_400000_NS6detail17trampoline_kernelINS0_14default_configENS1_38merge_sort_block_merge_config_selectorIiNS0_10empty_typeEEEZZNS1_27merge_sort_block_merge_implIS3_N6thrust23THRUST_200600_302600_NS6detail15normal_iteratorINS9_10device_ptrIiEEEEPS5_jNS1_19radix_merge_compareILb1ELb0EiNS0_19identity_decomposerEEEEE10hipError_tT0_T1_T2_jT3_P12ihipStream_tbPNSt15iterator_traitsISK_E10value_typeEPNSQ_ISL_E10value_typeEPSM_NS1_7vsmem_tEENKUlT_SK_SL_SM_E_clIPiSE_SF_SF_EESJ_SZ_SK_SL_SM_EUlSZ_E_NS1_11comp_targetILNS1_3genE3ELNS1_11target_archE908ELNS1_3gpuE7ELNS1_3repE0EEENS1_48merge_mergepath_partition_config_static_selectorELNS0_4arch9wavefront6targetE1EEEvSL_
                                        ; -- End function
	.set _ZN7rocprim17ROCPRIM_400000_NS6detail17trampoline_kernelINS0_14default_configENS1_38merge_sort_block_merge_config_selectorIiNS0_10empty_typeEEEZZNS1_27merge_sort_block_merge_implIS3_N6thrust23THRUST_200600_302600_NS6detail15normal_iteratorINS9_10device_ptrIiEEEEPS5_jNS1_19radix_merge_compareILb1ELb0EiNS0_19identity_decomposerEEEEE10hipError_tT0_T1_T2_jT3_P12ihipStream_tbPNSt15iterator_traitsISK_E10value_typeEPNSQ_ISL_E10value_typeEPSM_NS1_7vsmem_tEENKUlT_SK_SL_SM_E_clIPiSE_SF_SF_EESJ_SZ_SK_SL_SM_EUlSZ_E_NS1_11comp_targetILNS1_3genE3ELNS1_11target_archE908ELNS1_3gpuE7ELNS1_3repE0EEENS1_48merge_mergepath_partition_config_static_selectorELNS0_4arch9wavefront6targetE1EEEvSL_.num_vgpr, 0
	.set _ZN7rocprim17ROCPRIM_400000_NS6detail17trampoline_kernelINS0_14default_configENS1_38merge_sort_block_merge_config_selectorIiNS0_10empty_typeEEEZZNS1_27merge_sort_block_merge_implIS3_N6thrust23THRUST_200600_302600_NS6detail15normal_iteratorINS9_10device_ptrIiEEEEPS5_jNS1_19radix_merge_compareILb1ELb0EiNS0_19identity_decomposerEEEEE10hipError_tT0_T1_T2_jT3_P12ihipStream_tbPNSt15iterator_traitsISK_E10value_typeEPNSQ_ISL_E10value_typeEPSM_NS1_7vsmem_tEENKUlT_SK_SL_SM_E_clIPiSE_SF_SF_EESJ_SZ_SK_SL_SM_EUlSZ_E_NS1_11comp_targetILNS1_3genE3ELNS1_11target_archE908ELNS1_3gpuE7ELNS1_3repE0EEENS1_48merge_mergepath_partition_config_static_selectorELNS0_4arch9wavefront6targetE1EEEvSL_.num_agpr, 0
	.set _ZN7rocprim17ROCPRIM_400000_NS6detail17trampoline_kernelINS0_14default_configENS1_38merge_sort_block_merge_config_selectorIiNS0_10empty_typeEEEZZNS1_27merge_sort_block_merge_implIS3_N6thrust23THRUST_200600_302600_NS6detail15normal_iteratorINS9_10device_ptrIiEEEEPS5_jNS1_19radix_merge_compareILb1ELb0EiNS0_19identity_decomposerEEEEE10hipError_tT0_T1_T2_jT3_P12ihipStream_tbPNSt15iterator_traitsISK_E10value_typeEPNSQ_ISL_E10value_typeEPSM_NS1_7vsmem_tEENKUlT_SK_SL_SM_E_clIPiSE_SF_SF_EESJ_SZ_SK_SL_SM_EUlSZ_E_NS1_11comp_targetILNS1_3genE3ELNS1_11target_archE908ELNS1_3gpuE7ELNS1_3repE0EEENS1_48merge_mergepath_partition_config_static_selectorELNS0_4arch9wavefront6targetE1EEEvSL_.numbered_sgpr, 0
	.set _ZN7rocprim17ROCPRIM_400000_NS6detail17trampoline_kernelINS0_14default_configENS1_38merge_sort_block_merge_config_selectorIiNS0_10empty_typeEEEZZNS1_27merge_sort_block_merge_implIS3_N6thrust23THRUST_200600_302600_NS6detail15normal_iteratorINS9_10device_ptrIiEEEEPS5_jNS1_19radix_merge_compareILb1ELb0EiNS0_19identity_decomposerEEEEE10hipError_tT0_T1_T2_jT3_P12ihipStream_tbPNSt15iterator_traitsISK_E10value_typeEPNSQ_ISL_E10value_typeEPSM_NS1_7vsmem_tEENKUlT_SK_SL_SM_E_clIPiSE_SF_SF_EESJ_SZ_SK_SL_SM_EUlSZ_E_NS1_11comp_targetILNS1_3genE3ELNS1_11target_archE908ELNS1_3gpuE7ELNS1_3repE0EEENS1_48merge_mergepath_partition_config_static_selectorELNS0_4arch9wavefront6targetE1EEEvSL_.num_named_barrier, 0
	.set _ZN7rocprim17ROCPRIM_400000_NS6detail17trampoline_kernelINS0_14default_configENS1_38merge_sort_block_merge_config_selectorIiNS0_10empty_typeEEEZZNS1_27merge_sort_block_merge_implIS3_N6thrust23THRUST_200600_302600_NS6detail15normal_iteratorINS9_10device_ptrIiEEEEPS5_jNS1_19radix_merge_compareILb1ELb0EiNS0_19identity_decomposerEEEEE10hipError_tT0_T1_T2_jT3_P12ihipStream_tbPNSt15iterator_traitsISK_E10value_typeEPNSQ_ISL_E10value_typeEPSM_NS1_7vsmem_tEENKUlT_SK_SL_SM_E_clIPiSE_SF_SF_EESJ_SZ_SK_SL_SM_EUlSZ_E_NS1_11comp_targetILNS1_3genE3ELNS1_11target_archE908ELNS1_3gpuE7ELNS1_3repE0EEENS1_48merge_mergepath_partition_config_static_selectorELNS0_4arch9wavefront6targetE1EEEvSL_.private_seg_size, 0
	.set _ZN7rocprim17ROCPRIM_400000_NS6detail17trampoline_kernelINS0_14default_configENS1_38merge_sort_block_merge_config_selectorIiNS0_10empty_typeEEEZZNS1_27merge_sort_block_merge_implIS3_N6thrust23THRUST_200600_302600_NS6detail15normal_iteratorINS9_10device_ptrIiEEEEPS5_jNS1_19radix_merge_compareILb1ELb0EiNS0_19identity_decomposerEEEEE10hipError_tT0_T1_T2_jT3_P12ihipStream_tbPNSt15iterator_traitsISK_E10value_typeEPNSQ_ISL_E10value_typeEPSM_NS1_7vsmem_tEENKUlT_SK_SL_SM_E_clIPiSE_SF_SF_EESJ_SZ_SK_SL_SM_EUlSZ_E_NS1_11comp_targetILNS1_3genE3ELNS1_11target_archE908ELNS1_3gpuE7ELNS1_3repE0EEENS1_48merge_mergepath_partition_config_static_selectorELNS0_4arch9wavefront6targetE1EEEvSL_.uses_vcc, 0
	.set _ZN7rocprim17ROCPRIM_400000_NS6detail17trampoline_kernelINS0_14default_configENS1_38merge_sort_block_merge_config_selectorIiNS0_10empty_typeEEEZZNS1_27merge_sort_block_merge_implIS3_N6thrust23THRUST_200600_302600_NS6detail15normal_iteratorINS9_10device_ptrIiEEEEPS5_jNS1_19radix_merge_compareILb1ELb0EiNS0_19identity_decomposerEEEEE10hipError_tT0_T1_T2_jT3_P12ihipStream_tbPNSt15iterator_traitsISK_E10value_typeEPNSQ_ISL_E10value_typeEPSM_NS1_7vsmem_tEENKUlT_SK_SL_SM_E_clIPiSE_SF_SF_EESJ_SZ_SK_SL_SM_EUlSZ_E_NS1_11comp_targetILNS1_3genE3ELNS1_11target_archE908ELNS1_3gpuE7ELNS1_3repE0EEENS1_48merge_mergepath_partition_config_static_selectorELNS0_4arch9wavefront6targetE1EEEvSL_.uses_flat_scratch, 0
	.set _ZN7rocprim17ROCPRIM_400000_NS6detail17trampoline_kernelINS0_14default_configENS1_38merge_sort_block_merge_config_selectorIiNS0_10empty_typeEEEZZNS1_27merge_sort_block_merge_implIS3_N6thrust23THRUST_200600_302600_NS6detail15normal_iteratorINS9_10device_ptrIiEEEEPS5_jNS1_19radix_merge_compareILb1ELb0EiNS0_19identity_decomposerEEEEE10hipError_tT0_T1_T2_jT3_P12ihipStream_tbPNSt15iterator_traitsISK_E10value_typeEPNSQ_ISL_E10value_typeEPSM_NS1_7vsmem_tEENKUlT_SK_SL_SM_E_clIPiSE_SF_SF_EESJ_SZ_SK_SL_SM_EUlSZ_E_NS1_11comp_targetILNS1_3genE3ELNS1_11target_archE908ELNS1_3gpuE7ELNS1_3repE0EEENS1_48merge_mergepath_partition_config_static_selectorELNS0_4arch9wavefront6targetE1EEEvSL_.has_dyn_sized_stack, 0
	.set _ZN7rocprim17ROCPRIM_400000_NS6detail17trampoline_kernelINS0_14default_configENS1_38merge_sort_block_merge_config_selectorIiNS0_10empty_typeEEEZZNS1_27merge_sort_block_merge_implIS3_N6thrust23THRUST_200600_302600_NS6detail15normal_iteratorINS9_10device_ptrIiEEEEPS5_jNS1_19radix_merge_compareILb1ELb0EiNS0_19identity_decomposerEEEEE10hipError_tT0_T1_T2_jT3_P12ihipStream_tbPNSt15iterator_traitsISK_E10value_typeEPNSQ_ISL_E10value_typeEPSM_NS1_7vsmem_tEENKUlT_SK_SL_SM_E_clIPiSE_SF_SF_EESJ_SZ_SK_SL_SM_EUlSZ_E_NS1_11comp_targetILNS1_3genE3ELNS1_11target_archE908ELNS1_3gpuE7ELNS1_3repE0EEENS1_48merge_mergepath_partition_config_static_selectorELNS0_4arch9wavefront6targetE1EEEvSL_.has_recursion, 0
	.set _ZN7rocprim17ROCPRIM_400000_NS6detail17trampoline_kernelINS0_14default_configENS1_38merge_sort_block_merge_config_selectorIiNS0_10empty_typeEEEZZNS1_27merge_sort_block_merge_implIS3_N6thrust23THRUST_200600_302600_NS6detail15normal_iteratorINS9_10device_ptrIiEEEEPS5_jNS1_19radix_merge_compareILb1ELb0EiNS0_19identity_decomposerEEEEE10hipError_tT0_T1_T2_jT3_P12ihipStream_tbPNSt15iterator_traitsISK_E10value_typeEPNSQ_ISL_E10value_typeEPSM_NS1_7vsmem_tEENKUlT_SK_SL_SM_E_clIPiSE_SF_SF_EESJ_SZ_SK_SL_SM_EUlSZ_E_NS1_11comp_targetILNS1_3genE3ELNS1_11target_archE908ELNS1_3gpuE7ELNS1_3repE0EEENS1_48merge_mergepath_partition_config_static_selectorELNS0_4arch9wavefront6targetE1EEEvSL_.has_indirect_call, 0
	.section	.AMDGPU.csdata,"",@progbits
; Kernel info:
; codeLenInByte = 0
; TotalNumSgprs: 6
; NumVgprs: 0
; NumAgprs: 0
; TotalNumVgprs: 0
; ScratchSize: 0
; MemoryBound: 0
; FloatMode: 240
; IeeeMode: 1
; LDSByteSize: 0 bytes/workgroup (compile time only)
; SGPRBlocks: 0
; VGPRBlocks: 0
; NumSGPRsForWavesPerEU: 6
; NumVGPRsForWavesPerEU: 1
; AccumOffset: 4
; Occupancy: 8
; WaveLimiterHint : 0
; COMPUTE_PGM_RSRC2:SCRATCH_EN: 0
; COMPUTE_PGM_RSRC2:USER_SGPR: 2
; COMPUTE_PGM_RSRC2:TRAP_HANDLER: 0
; COMPUTE_PGM_RSRC2:TGID_X_EN: 1
; COMPUTE_PGM_RSRC2:TGID_Y_EN: 0
; COMPUTE_PGM_RSRC2:TGID_Z_EN: 0
; COMPUTE_PGM_RSRC2:TIDIG_COMP_CNT: 0
; COMPUTE_PGM_RSRC3_GFX90A:ACCUM_OFFSET: 0
; COMPUTE_PGM_RSRC3_GFX90A:TG_SPLIT: 0
	.section	.text._ZN7rocprim17ROCPRIM_400000_NS6detail17trampoline_kernelINS0_14default_configENS1_38merge_sort_block_merge_config_selectorIiNS0_10empty_typeEEEZZNS1_27merge_sort_block_merge_implIS3_N6thrust23THRUST_200600_302600_NS6detail15normal_iteratorINS9_10device_ptrIiEEEEPS5_jNS1_19radix_merge_compareILb1ELb0EiNS0_19identity_decomposerEEEEE10hipError_tT0_T1_T2_jT3_P12ihipStream_tbPNSt15iterator_traitsISK_E10value_typeEPNSQ_ISL_E10value_typeEPSM_NS1_7vsmem_tEENKUlT_SK_SL_SM_E_clIPiSE_SF_SF_EESJ_SZ_SK_SL_SM_EUlSZ_E_NS1_11comp_targetILNS1_3genE2ELNS1_11target_archE906ELNS1_3gpuE6ELNS1_3repE0EEENS1_48merge_mergepath_partition_config_static_selectorELNS0_4arch9wavefront6targetE1EEEvSL_,"axG",@progbits,_ZN7rocprim17ROCPRIM_400000_NS6detail17trampoline_kernelINS0_14default_configENS1_38merge_sort_block_merge_config_selectorIiNS0_10empty_typeEEEZZNS1_27merge_sort_block_merge_implIS3_N6thrust23THRUST_200600_302600_NS6detail15normal_iteratorINS9_10device_ptrIiEEEEPS5_jNS1_19radix_merge_compareILb1ELb0EiNS0_19identity_decomposerEEEEE10hipError_tT0_T1_T2_jT3_P12ihipStream_tbPNSt15iterator_traitsISK_E10value_typeEPNSQ_ISL_E10value_typeEPSM_NS1_7vsmem_tEENKUlT_SK_SL_SM_E_clIPiSE_SF_SF_EESJ_SZ_SK_SL_SM_EUlSZ_E_NS1_11comp_targetILNS1_3genE2ELNS1_11target_archE906ELNS1_3gpuE6ELNS1_3repE0EEENS1_48merge_mergepath_partition_config_static_selectorELNS0_4arch9wavefront6targetE1EEEvSL_,comdat
	.protected	_ZN7rocprim17ROCPRIM_400000_NS6detail17trampoline_kernelINS0_14default_configENS1_38merge_sort_block_merge_config_selectorIiNS0_10empty_typeEEEZZNS1_27merge_sort_block_merge_implIS3_N6thrust23THRUST_200600_302600_NS6detail15normal_iteratorINS9_10device_ptrIiEEEEPS5_jNS1_19radix_merge_compareILb1ELb0EiNS0_19identity_decomposerEEEEE10hipError_tT0_T1_T2_jT3_P12ihipStream_tbPNSt15iterator_traitsISK_E10value_typeEPNSQ_ISL_E10value_typeEPSM_NS1_7vsmem_tEENKUlT_SK_SL_SM_E_clIPiSE_SF_SF_EESJ_SZ_SK_SL_SM_EUlSZ_E_NS1_11comp_targetILNS1_3genE2ELNS1_11target_archE906ELNS1_3gpuE6ELNS1_3repE0EEENS1_48merge_mergepath_partition_config_static_selectorELNS0_4arch9wavefront6targetE1EEEvSL_ ; -- Begin function _ZN7rocprim17ROCPRIM_400000_NS6detail17trampoline_kernelINS0_14default_configENS1_38merge_sort_block_merge_config_selectorIiNS0_10empty_typeEEEZZNS1_27merge_sort_block_merge_implIS3_N6thrust23THRUST_200600_302600_NS6detail15normal_iteratorINS9_10device_ptrIiEEEEPS5_jNS1_19radix_merge_compareILb1ELb0EiNS0_19identity_decomposerEEEEE10hipError_tT0_T1_T2_jT3_P12ihipStream_tbPNSt15iterator_traitsISK_E10value_typeEPNSQ_ISL_E10value_typeEPSM_NS1_7vsmem_tEENKUlT_SK_SL_SM_E_clIPiSE_SF_SF_EESJ_SZ_SK_SL_SM_EUlSZ_E_NS1_11comp_targetILNS1_3genE2ELNS1_11target_archE906ELNS1_3gpuE6ELNS1_3repE0EEENS1_48merge_mergepath_partition_config_static_selectorELNS0_4arch9wavefront6targetE1EEEvSL_
	.globl	_ZN7rocprim17ROCPRIM_400000_NS6detail17trampoline_kernelINS0_14default_configENS1_38merge_sort_block_merge_config_selectorIiNS0_10empty_typeEEEZZNS1_27merge_sort_block_merge_implIS3_N6thrust23THRUST_200600_302600_NS6detail15normal_iteratorINS9_10device_ptrIiEEEEPS5_jNS1_19radix_merge_compareILb1ELb0EiNS0_19identity_decomposerEEEEE10hipError_tT0_T1_T2_jT3_P12ihipStream_tbPNSt15iterator_traitsISK_E10value_typeEPNSQ_ISL_E10value_typeEPSM_NS1_7vsmem_tEENKUlT_SK_SL_SM_E_clIPiSE_SF_SF_EESJ_SZ_SK_SL_SM_EUlSZ_E_NS1_11comp_targetILNS1_3genE2ELNS1_11target_archE906ELNS1_3gpuE6ELNS1_3repE0EEENS1_48merge_mergepath_partition_config_static_selectorELNS0_4arch9wavefront6targetE1EEEvSL_
	.p2align	8
	.type	_ZN7rocprim17ROCPRIM_400000_NS6detail17trampoline_kernelINS0_14default_configENS1_38merge_sort_block_merge_config_selectorIiNS0_10empty_typeEEEZZNS1_27merge_sort_block_merge_implIS3_N6thrust23THRUST_200600_302600_NS6detail15normal_iteratorINS9_10device_ptrIiEEEEPS5_jNS1_19radix_merge_compareILb1ELb0EiNS0_19identity_decomposerEEEEE10hipError_tT0_T1_T2_jT3_P12ihipStream_tbPNSt15iterator_traitsISK_E10value_typeEPNSQ_ISL_E10value_typeEPSM_NS1_7vsmem_tEENKUlT_SK_SL_SM_E_clIPiSE_SF_SF_EESJ_SZ_SK_SL_SM_EUlSZ_E_NS1_11comp_targetILNS1_3genE2ELNS1_11target_archE906ELNS1_3gpuE6ELNS1_3repE0EEENS1_48merge_mergepath_partition_config_static_selectorELNS0_4arch9wavefront6targetE1EEEvSL_,@function
_ZN7rocprim17ROCPRIM_400000_NS6detail17trampoline_kernelINS0_14default_configENS1_38merge_sort_block_merge_config_selectorIiNS0_10empty_typeEEEZZNS1_27merge_sort_block_merge_implIS3_N6thrust23THRUST_200600_302600_NS6detail15normal_iteratorINS9_10device_ptrIiEEEEPS5_jNS1_19radix_merge_compareILb1ELb0EiNS0_19identity_decomposerEEEEE10hipError_tT0_T1_T2_jT3_P12ihipStream_tbPNSt15iterator_traitsISK_E10value_typeEPNSQ_ISL_E10value_typeEPSM_NS1_7vsmem_tEENKUlT_SK_SL_SM_E_clIPiSE_SF_SF_EESJ_SZ_SK_SL_SM_EUlSZ_E_NS1_11comp_targetILNS1_3genE2ELNS1_11target_archE906ELNS1_3gpuE6ELNS1_3repE0EEENS1_48merge_mergepath_partition_config_static_selectorELNS0_4arch9wavefront6targetE1EEEvSL_: ; @_ZN7rocprim17ROCPRIM_400000_NS6detail17trampoline_kernelINS0_14default_configENS1_38merge_sort_block_merge_config_selectorIiNS0_10empty_typeEEEZZNS1_27merge_sort_block_merge_implIS3_N6thrust23THRUST_200600_302600_NS6detail15normal_iteratorINS9_10device_ptrIiEEEEPS5_jNS1_19radix_merge_compareILb1ELb0EiNS0_19identity_decomposerEEEEE10hipError_tT0_T1_T2_jT3_P12ihipStream_tbPNSt15iterator_traitsISK_E10value_typeEPNSQ_ISL_E10value_typeEPSM_NS1_7vsmem_tEENKUlT_SK_SL_SM_E_clIPiSE_SF_SF_EESJ_SZ_SK_SL_SM_EUlSZ_E_NS1_11comp_targetILNS1_3genE2ELNS1_11target_archE906ELNS1_3gpuE6ELNS1_3repE0EEENS1_48merge_mergepath_partition_config_static_selectorELNS0_4arch9wavefront6targetE1EEEvSL_
; %bb.0:
	.section	.rodata,"a",@progbits
	.p2align	6, 0x0
	.amdhsa_kernel _ZN7rocprim17ROCPRIM_400000_NS6detail17trampoline_kernelINS0_14default_configENS1_38merge_sort_block_merge_config_selectorIiNS0_10empty_typeEEEZZNS1_27merge_sort_block_merge_implIS3_N6thrust23THRUST_200600_302600_NS6detail15normal_iteratorINS9_10device_ptrIiEEEEPS5_jNS1_19radix_merge_compareILb1ELb0EiNS0_19identity_decomposerEEEEE10hipError_tT0_T1_T2_jT3_P12ihipStream_tbPNSt15iterator_traitsISK_E10value_typeEPNSQ_ISL_E10value_typeEPSM_NS1_7vsmem_tEENKUlT_SK_SL_SM_E_clIPiSE_SF_SF_EESJ_SZ_SK_SL_SM_EUlSZ_E_NS1_11comp_targetILNS1_3genE2ELNS1_11target_archE906ELNS1_3gpuE6ELNS1_3repE0EEENS1_48merge_mergepath_partition_config_static_selectorELNS0_4arch9wavefront6targetE1EEEvSL_
		.amdhsa_group_segment_fixed_size 0
		.amdhsa_private_segment_fixed_size 0
		.amdhsa_kernarg_size 40
		.amdhsa_user_sgpr_count 2
		.amdhsa_user_sgpr_dispatch_ptr 0
		.amdhsa_user_sgpr_queue_ptr 0
		.amdhsa_user_sgpr_kernarg_segment_ptr 1
		.amdhsa_user_sgpr_dispatch_id 0
		.amdhsa_user_sgpr_kernarg_preload_length 0
		.amdhsa_user_sgpr_kernarg_preload_offset 0
		.amdhsa_user_sgpr_private_segment_size 0
		.amdhsa_uses_dynamic_stack 0
		.amdhsa_enable_private_segment 0
		.amdhsa_system_sgpr_workgroup_id_x 1
		.amdhsa_system_sgpr_workgroup_id_y 0
		.amdhsa_system_sgpr_workgroup_id_z 0
		.amdhsa_system_sgpr_workgroup_info 0
		.amdhsa_system_vgpr_workitem_id 0
		.amdhsa_next_free_vgpr 1
		.amdhsa_next_free_sgpr 0
		.amdhsa_accum_offset 4
		.amdhsa_reserve_vcc 0
		.amdhsa_float_round_mode_32 0
		.amdhsa_float_round_mode_16_64 0
		.amdhsa_float_denorm_mode_32 3
		.amdhsa_float_denorm_mode_16_64 3
		.amdhsa_dx10_clamp 1
		.amdhsa_ieee_mode 1
		.amdhsa_fp16_overflow 0
		.amdhsa_tg_split 0
		.amdhsa_exception_fp_ieee_invalid_op 0
		.amdhsa_exception_fp_denorm_src 0
		.amdhsa_exception_fp_ieee_div_zero 0
		.amdhsa_exception_fp_ieee_overflow 0
		.amdhsa_exception_fp_ieee_underflow 0
		.amdhsa_exception_fp_ieee_inexact 0
		.amdhsa_exception_int_div_zero 0
	.end_amdhsa_kernel
	.section	.text._ZN7rocprim17ROCPRIM_400000_NS6detail17trampoline_kernelINS0_14default_configENS1_38merge_sort_block_merge_config_selectorIiNS0_10empty_typeEEEZZNS1_27merge_sort_block_merge_implIS3_N6thrust23THRUST_200600_302600_NS6detail15normal_iteratorINS9_10device_ptrIiEEEEPS5_jNS1_19radix_merge_compareILb1ELb0EiNS0_19identity_decomposerEEEEE10hipError_tT0_T1_T2_jT3_P12ihipStream_tbPNSt15iterator_traitsISK_E10value_typeEPNSQ_ISL_E10value_typeEPSM_NS1_7vsmem_tEENKUlT_SK_SL_SM_E_clIPiSE_SF_SF_EESJ_SZ_SK_SL_SM_EUlSZ_E_NS1_11comp_targetILNS1_3genE2ELNS1_11target_archE906ELNS1_3gpuE6ELNS1_3repE0EEENS1_48merge_mergepath_partition_config_static_selectorELNS0_4arch9wavefront6targetE1EEEvSL_,"axG",@progbits,_ZN7rocprim17ROCPRIM_400000_NS6detail17trampoline_kernelINS0_14default_configENS1_38merge_sort_block_merge_config_selectorIiNS0_10empty_typeEEEZZNS1_27merge_sort_block_merge_implIS3_N6thrust23THRUST_200600_302600_NS6detail15normal_iteratorINS9_10device_ptrIiEEEEPS5_jNS1_19radix_merge_compareILb1ELb0EiNS0_19identity_decomposerEEEEE10hipError_tT0_T1_T2_jT3_P12ihipStream_tbPNSt15iterator_traitsISK_E10value_typeEPNSQ_ISL_E10value_typeEPSM_NS1_7vsmem_tEENKUlT_SK_SL_SM_E_clIPiSE_SF_SF_EESJ_SZ_SK_SL_SM_EUlSZ_E_NS1_11comp_targetILNS1_3genE2ELNS1_11target_archE906ELNS1_3gpuE6ELNS1_3repE0EEENS1_48merge_mergepath_partition_config_static_selectorELNS0_4arch9wavefront6targetE1EEEvSL_,comdat
.Lfunc_end227:
	.size	_ZN7rocprim17ROCPRIM_400000_NS6detail17trampoline_kernelINS0_14default_configENS1_38merge_sort_block_merge_config_selectorIiNS0_10empty_typeEEEZZNS1_27merge_sort_block_merge_implIS3_N6thrust23THRUST_200600_302600_NS6detail15normal_iteratorINS9_10device_ptrIiEEEEPS5_jNS1_19radix_merge_compareILb1ELb0EiNS0_19identity_decomposerEEEEE10hipError_tT0_T1_T2_jT3_P12ihipStream_tbPNSt15iterator_traitsISK_E10value_typeEPNSQ_ISL_E10value_typeEPSM_NS1_7vsmem_tEENKUlT_SK_SL_SM_E_clIPiSE_SF_SF_EESJ_SZ_SK_SL_SM_EUlSZ_E_NS1_11comp_targetILNS1_3genE2ELNS1_11target_archE906ELNS1_3gpuE6ELNS1_3repE0EEENS1_48merge_mergepath_partition_config_static_selectorELNS0_4arch9wavefront6targetE1EEEvSL_, .Lfunc_end227-_ZN7rocprim17ROCPRIM_400000_NS6detail17trampoline_kernelINS0_14default_configENS1_38merge_sort_block_merge_config_selectorIiNS0_10empty_typeEEEZZNS1_27merge_sort_block_merge_implIS3_N6thrust23THRUST_200600_302600_NS6detail15normal_iteratorINS9_10device_ptrIiEEEEPS5_jNS1_19radix_merge_compareILb1ELb0EiNS0_19identity_decomposerEEEEE10hipError_tT0_T1_T2_jT3_P12ihipStream_tbPNSt15iterator_traitsISK_E10value_typeEPNSQ_ISL_E10value_typeEPSM_NS1_7vsmem_tEENKUlT_SK_SL_SM_E_clIPiSE_SF_SF_EESJ_SZ_SK_SL_SM_EUlSZ_E_NS1_11comp_targetILNS1_3genE2ELNS1_11target_archE906ELNS1_3gpuE6ELNS1_3repE0EEENS1_48merge_mergepath_partition_config_static_selectorELNS0_4arch9wavefront6targetE1EEEvSL_
                                        ; -- End function
	.set _ZN7rocprim17ROCPRIM_400000_NS6detail17trampoline_kernelINS0_14default_configENS1_38merge_sort_block_merge_config_selectorIiNS0_10empty_typeEEEZZNS1_27merge_sort_block_merge_implIS3_N6thrust23THRUST_200600_302600_NS6detail15normal_iteratorINS9_10device_ptrIiEEEEPS5_jNS1_19radix_merge_compareILb1ELb0EiNS0_19identity_decomposerEEEEE10hipError_tT0_T1_T2_jT3_P12ihipStream_tbPNSt15iterator_traitsISK_E10value_typeEPNSQ_ISL_E10value_typeEPSM_NS1_7vsmem_tEENKUlT_SK_SL_SM_E_clIPiSE_SF_SF_EESJ_SZ_SK_SL_SM_EUlSZ_E_NS1_11comp_targetILNS1_3genE2ELNS1_11target_archE906ELNS1_3gpuE6ELNS1_3repE0EEENS1_48merge_mergepath_partition_config_static_selectorELNS0_4arch9wavefront6targetE1EEEvSL_.num_vgpr, 0
	.set _ZN7rocprim17ROCPRIM_400000_NS6detail17trampoline_kernelINS0_14default_configENS1_38merge_sort_block_merge_config_selectorIiNS0_10empty_typeEEEZZNS1_27merge_sort_block_merge_implIS3_N6thrust23THRUST_200600_302600_NS6detail15normal_iteratorINS9_10device_ptrIiEEEEPS5_jNS1_19radix_merge_compareILb1ELb0EiNS0_19identity_decomposerEEEEE10hipError_tT0_T1_T2_jT3_P12ihipStream_tbPNSt15iterator_traitsISK_E10value_typeEPNSQ_ISL_E10value_typeEPSM_NS1_7vsmem_tEENKUlT_SK_SL_SM_E_clIPiSE_SF_SF_EESJ_SZ_SK_SL_SM_EUlSZ_E_NS1_11comp_targetILNS1_3genE2ELNS1_11target_archE906ELNS1_3gpuE6ELNS1_3repE0EEENS1_48merge_mergepath_partition_config_static_selectorELNS0_4arch9wavefront6targetE1EEEvSL_.num_agpr, 0
	.set _ZN7rocprim17ROCPRIM_400000_NS6detail17trampoline_kernelINS0_14default_configENS1_38merge_sort_block_merge_config_selectorIiNS0_10empty_typeEEEZZNS1_27merge_sort_block_merge_implIS3_N6thrust23THRUST_200600_302600_NS6detail15normal_iteratorINS9_10device_ptrIiEEEEPS5_jNS1_19radix_merge_compareILb1ELb0EiNS0_19identity_decomposerEEEEE10hipError_tT0_T1_T2_jT3_P12ihipStream_tbPNSt15iterator_traitsISK_E10value_typeEPNSQ_ISL_E10value_typeEPSM_NS1_7vsmem_tEENKUlT_SK_SL_SM_E_clIPiSE_SF_SF_EESJ_SZ_SK_SL_SM_EUlSZ_E_NS1_11comp_targetILNS1_3genE2ELNS1_11target_archE906ELNS1_3gpuE6ELNS1_3repE0EEENS1_48merge_mergepath_partition_config_static_selectorELNS0_4arch9wavefront6targetE1EEEvSL_.numbered_sgpr, 0
	.set _ZN7rocprim17ROCPRIM_400000_NS6detail17trampoline_kernelINS0_14default_configENS1_38merge_sort_block_merge_config_selectorIiNS0_10empty_typeEEEZZNS1_27merge_sort_block_merge_implIS3_N6thrust23THRUST_200600_302600_NS6detail15normal_iteratorINS9_10device_ptrIiEEEEPS5_jNS1_19radix_merge_compareILb1ELb0EiNS0_19identity_decomposerEEEEE10hipError_tT0_T1_T2_jT3_P12ihipStream_tbPNSt15iterator_traitsISK_E10value_typeEPNSQ_ISL_E10value_typeEPSM_NS1_7vsmem_tEENKUlT_SK_SL_SM_E_clIPiSE_SF_SF_EESJ_SZ_SK_SL_SM_EUlSZ_E_NS1_11comp_targetILNS1_3genE2ELNS1_11target_archE906ELNS1_3gpuE6ELNS1_3repE0EEENS1_48merge_mergepath_partition_config_static_selectorELNS0_4arch9wavefront6targetE1EEEvSL_.num_named_barrier, 0
	.set _ZN7rocprim17ROCPRIM_400000_NS6detail17trampoline_kernelINS0_14default_configENS1_38merge_sort_block_merge_config_selectorIiNS0_10empty_typeEEEZZNS1_27merge_sort_block_merge_implIS3_N6thrust23THRUST_200600_302600_NS6detail15normal_iteratorINS9_10device_ptrIiEEEEPS5_jNS1_19radix_merge_compareILb1ELb0EiNS0_19identity_decomposerEEEEE10hipError_tT0_T1_T2_jT3_P12ihipStream_tbPNSt15iterator_traitsISK_E10value_typeEPNSQ_ISL_E10value_typeEPSM_NS1_7vsmem_tEENKUlT_SK_SL_SM_E_clIPiSE_SF_SF_EESJ_SZ_SK_SL_SM_EUlSZ_E_NS1_11comp_targetILNS1_3genE2ELNS1_11target_archE906ELNS1_3gpuE6ELNS1_3repE0EEENS1_48merge_mergepath_partition_config_static_selectorELNS0_4arch9wavefront6targetE1EEEvSL_.private_seg_size, 0
	.set _ZN7rocprim17ROCPRIM_400000_NS6detail17trampoline_kernelINS0_14default_configENS1_38merge_sort_block_merge_config_selectorIiNS0_10empty_typeEEEZZNS1_27merge_sort_block_merge_implIS3_N6thrust23THRUST_200600_302600_NS6detail15normal_iteratorINS9_10device_ptrIiEEEEPS5_jNS1_19radix_merge_compareILb1ELb0EiNS0_19identity_decomposerEEEEE10hipError_tT0_T1_T2_jT3_P12ihipStream_tbPNSt15iterator_traitsISK_E10value_typeEPNSQ_ISL_E10value_typeEPSM_NS1_7vsmem_tEENKUlT_SK_SL_SM_E_clIPiSE_SF_SF_EESJ_SZ_SK_SL_SM_EUlSZ_E_NS1_11comp_targetILNS1_3genE2ELNS1_11target_archE906ELNS1_3gpuE6ELNS1_3repE0EEENS1_48merge_mergepath_partition_config_static_selectorELNS0_4arch9wavefront6targetE1EEEvSL_.uses_vcc, 0
	.set _ZN7rocprim17ROCPRIM_400000_NS6detail17trampoline_kernelINS0_14default_configENS1_38merge_sort_block_merge_config_selectorIiNS0_10empty_typeEEEZZNS1_27merge_sort_block_merge_implIS3_N6thrust23THRUST_200600_302600_NS6detail15normal_iteratorINS9_10device_ptrIiEEEEPS5_jNS1_19radix_merge_compareILb1ELb0EiNS0_19identity_decomposerEEEEE10hipError_tT0_T1_T2_jT3_P12ihipStream_tbPNSt15iterator_traitsISK_E10value_typeEPNSQ_ISL_E10value_typeEPSM_NS1_7vsmem_tEENKUlT_SK_SL_SM_E_clIPiSE_SF_SF_EESJ_SZ_SK_SL_SM_EUlSZ_E_NS1_11comp_targetILNS1_3genE2ELNS1_11target_archE906ELNS1_3gpuE6ELNS1_3repE0EEENS1_48merge_mergepath_partition_config_static_selectorELNS0_4arch9wavefront6targetE1EEEvSL_.uses_flat_scratch, 0
	.set _ZN7rocprim17ROCPRIM_400000_NS6detail17trampoline_kernelINS0_14default_configENS1_38merge_sort_block_merge_config_selectorIiNS0_10empty_typeEEEZZNS1_27merge_sort_block_merge_implIS3_N6thrust23THRUST_200600_302600_NS6detail15normal_iteratorINS9_10device_ptrIiEEEEPS5_jNS1_19radix_merge_compareILb1ELb0EiNS0_19identity_decomposerEEEEE10hipError_tT0_T1_T2_jT3_P12ihipStream_tbPNSt15iterator_traitsISK_E10value_typeEPNSQ_ISL_E10value_typeEPSM_NS1_7vsmem_tEENKUlT_SK_SL_SM_E_clIPiSE_SF_SF_EESJ_SZ_SK_SL_SM_EUlSZ_E_NS1_11comp_targetILNS1_3genE2ELNS1_11target_archE906ELNS1_3gpuE6ELNS1_3repE0EEENS1_48merge_mergepath_partition_config_static_selectorELNS0_4arch9wavefront6targetE1EEEvSL_.has_dyn_sized_stack, 0
	.set _ZN7rocprim17ROCPRIM_400000_NS6detail17trampoline_kernelINS0_14default_configENS1_38merge_sort_block_merge_config_selectorIiNS0_10empty_typeEEEZZNS1_27merge_sort_block_merge_implIS3_N6thrust23THRUST_200600_302600_NS6detail15normal_iteratorINS9_10device_ptrIiEEEEPS5_jNS1_19radix_merge_compareILb1ELb0EiNS0_19identity_decomposerEEEEE10hipError_tT0_T1_T2_jT3_P12ihipStream_tbPNSt15iterator_traitsISK_E10value_typeEPNSQ_ISL_E10value_typeEPSM_NS1_7vsmem_tEENKUlT_SK_SL_SM_E_clIPiSE_SF_SF_EESJ_SZ_SK_SL_SM_EUlSZ_E_NS1_11comp_targetILNS1_3genE2ELNS1_11target_archE906ELNS1_3gpuE6ELNS1_3repE0EEENS1_48merge_mergepath_partition_config_static_selectorELNS0_4arch9wavefront6targetE1EEEvSL_.has_recursion, 0
	.set _ZN7rocprim17ROCPRIM_400000_NS6detail17trampoline_kernelINS0_14default_configENS1_38merge_sort_block_merge_config_selectorIiNS0_10empty_typeEEEZZNS1_27merge_sort_block_merge_implIS3_N6thrust23THRUST_200600_302600_NS6detail15normal_iteratorINS9_10device_ptrIiEEEEPS5_jNS1_19radix_merge_compareILb1ELb0EiNS0_19identity_decomposerEEEEE10hipError_tT0_T1_T2_jT3_P12ihipStream_tbPNSt15iterator_traitsISK_E10value_typeEPNSQ_ISL_E10value_typeEPSM_NS1_7vsmem_tEENKUlT_SK_SL_SM_E_clIPiSE_SF_SF_EESJ_SZ_SK_SL_SM_EUlSZ_E_NS1_11comp_targetILNS1_3genE2ELNS1_11target_archE906ELNS1_3gpuE6ELNS1_3repE0EEENS1_48merge_mergepath_partition_config_static_selectorELNS0_4arch9wavefront6targetE1EEEvSL_.has_indirect_call, 0
	.section	.AMDGPU.csdata,"",@progbits
; Kernel info:
; codeLenInByte = 0
; TotalNumSgprs: 6
; NumVgprs: 0
; NumAgprs: 0
; TotalNumVgprs: 0
; ScratchSize: 0
; MemoryBound: 0
; FloatMode: 240
; IeeeMode: 1
; LDSByteSize: 0 bytes/workgroup (compile time only)
; SGPRBlocks: 0
; VGPRBlocks: 0
; NumSGPRsForWavesPerEU: 6
; NumVGPRsForWavesPerEU: 1
; AccumOffset: 4
; Occupancy: 8
; WaveLimiterHint : 0
; COMPUTE_PGM_RSRC2:SCRATCH_EN: 0
; COMPUTE_PGM_RSRC2:USER_SGPR: 2
; COMPUTE_PGM_RSRC2:TRAP_HANDLER: 0
; COMPUTE_PGM_RSRC2:TGID_X_EN: 1
; COMPUTE_PGM_RSRC2:TGID_Y_EN: 0
; COMPUTE_PGM_RSRC2:TGID_Z_EN: 0
; COMPUTE_PGM_RSRC2:TIDIG_COMP_CNT: 0
; COMPUTE_PGM_RSRC3_GFX90A:ACCUM_OFFSET: 0
; COMPUTE_PGM_RSRC3_GFX90A:TG_SPLIT: 0
	.section	.text._ZN7rocprim17ROCPRIM_400000_NS6detail17trampoline_kernelINS0_14default_configENS1_38merge_sort_block_merge_config_selectorIiNS0_10empty_typeEEEZZNS1_27merge_sort_block_merge_implIS3_N6thrust23THRUST_200600_302600_NS6detail15normal_iteratorINS9_10device_ptrIiEEEEPS5_jNS1_19radix_merge_compareILb1ELb0EiNS0_19identity_decomposerEEEEE10hipError_tT0_T1_T2_jT3_P12ihipStream_tbPNSt15iterator_traitsISK_E10value_typeEPNSQ_ISL_E10value_typeEPSM_NS1_7vsmem_tEENKUlT_SK_SL_SM_E_clIPiSE_SF_SF_EESJ_SZ_SK_SL_SM_EUlSZ_E_NS1_11comp_targetILNS1_3genE9ELNS1_11target_archE1100ELNS1_3gpuE3ELNS1_3repE0EEENS1_48merge_mergepath_partition_config_static_selectorELNS0_4arch9wavefront6targetE1EEEvSL_,"axG",@progbits,_ZN7rocprim17ROCPRIM_400000_NS6detail17trampoline_kernelINS0_14default_configENS1_38merge_sort_block_merge_config_selectorIiNS0_10empty_typeEEEZZNS1_27merge_sort_block_merge_implIS3_N6thrust23THRUST_200600_302600_NS6detail15normal_iteratorINS9_10device_ptrIiEEEEPS5_jNS1_19radix_merge_compareILb1ELb0EiNS0_19identity_decomposerEEEEE10hipError_tT0_T1_T2_jT3_P12ihipStream_tbPNSt15iterator_traitsISK_E10value_typeEPNSQ_ISL_E10value_typeEPSM_NS1_7vsmem_tEENKUlT_SK_SL_SM_E_clIPiSE_SF_SF_EESJ_SZ_SK_SL_SM_EUlSZ_E_NS1_11comp_targetILNS1_3genE9ELNS1_11target_archE1100ELNS1_3gpuE3ELNS1_3repE0EEENS1_48merge_mergepath_partition_config_static_selectorELNS0_4arch9wavefront6targetE1EEEvSL_,comdat
	.protected	_ZN7rocprim17ROCPRIM_400000_NS6detail17trampoline_kernelINS0_14default_configENS1_38merge_sort_block_merge_config_selectorIiNS0_10empty_typeEEEZZNS1_27merge_sort_block_merge_implIS3_N6thrust23THRUST_200600_302600_NS6detail15normal_iteratorINS9_10device_ptrIiEEEEPS5_jNS1_19radix_merge_compareILb1ELb0EiNS0_19identity_decomposerEEEEE10hipError_tT0_T1_T2_jT3_P12ihipStream_tbPNSt15iterator_traitsISK_E10value_typeEPNSQ_ISL_E10value_typeEPSM_NS1_7vsmem_tEENKUlT_SK_SL_SM_E_clIPiSE_SF_SF_EESJ_SZ_SK_SL_SM_EUlSZ_E_NS1_11comp_targetILNS1_3genE9ELNS1_11target_archE1100ELNS1_3gpuE3ELNS1_3repE0EEENS1_48merge_mergepath_partition_config_static_selectorELNS0_4arch9wavefront6targetE1EEEvSL_ ; -- Begin function _ZN7rocprim17ROCPRIM_400000_NS6detail17trampoline_kernelINS0_14default_configENS1_38merge_sort_block_merge_config_selectorIiNS0_10empty_typeEEEZZNS1_27merge_sort_block_merge_implIS3_N6thrust23THRUST_200600_302600_NS6detail15normal_iteratorINS9_10device_ptrIiEEEEPS5_jNS1_19radix_merge_compareILb1ELb0EiNS0_19identity_decomposerEEEEE10hipError_tT0_T1_T2_jT3_P12ihipStream_tbPNSt15iterator_traitsISK_E10value_typeEPNSQ_ISL_E10value_typeEPSM_NS1_7vsmem_tEENKUlT_SK_SL_SM_E_clIPiSE_SF_SF_EESJ_SZ_SK_SL_SM_EUlSZ_E_NS1_11comp_targetILNS1_3genE9ELNS1_11target_archE1100ELNS1_3gpuE3ELNS1_3repE0EEENS1_48merge_mergepath_partition_config_static_selectorELNS0_4arch9wavefront6targetE1EEEvSL_
	.globl	_ZN7rocprim17ROCPRIM_400000_NS6detail17trampoline_kernelINS0_14default_configENS1_38merge_sort_block_merge_config_selectorIiNS0_10empty_typeEEEZZNS1_27merge_sort_block_merge_implIS3_N6thrust23THRUST_200600_302600_NS6detail15normal_iteratorINS9_10device_ptrIiEEEEPS5_jNS1_19radix_merge_compareILb1ELb0EiNS0_19identity_decomposerEEEEE10hipError_tT0_T1_T2_jT3_P12ihipStream_tbPNSt15iterator_traitsISK_E10value_typeEPNSQ_ISL_E10value_typeEPSM_NS1_7vsmem_tEENKUlT_SK_SL_SM_E_clIPiSE_SF_SF_EESJ_SZ_SK_SL_SM_EUlSZ_E_NS1_11comp_targetILNS1_3genE9ELNS1_11target_archE1100ELNS1_3gpuE3ELNS1_3repE0EEENS1_48merge_mergepath_partition_config_static_selectorELNS0_4arch9wavefront6targetE1EEEvSL_
	.p2align	8
	.type	_ZN7rocprim17ROCPRIM_400000_NS6detail17trampoline_kernelINS0_14default_configENS1_38merge_sort_block_merge_config_selectorIiNS0_10empty_typeEEEZZNS1_27merge_sort_block_merge_implIS3_N6thrust23THRUST_200600_302600_NS6detail15normal_iteratorINS9_10device_ptrIiEEEEPS5_jNS1_19radix_merge_compareILb1ELb0EiNS0_19identity_decomposerEEEEE10hipError_tT0_T1_T2_jT3_P12ihipStream_tbPNSt15iterator_traitsISK_E10value_typeEPNSQ_ISL_E10value_typeEPSM_NS1_7vsmem_tEENKUlT_SK_SL_SM_E_clIPiSE_SF_SF_EESJ_SZ_SK_SL_SM_EUlSZ_E_NS1_11comp_targetILNS1_3genE9ELNS1_11target_archE1100ELNS1_3gpuE3ELNS1_3repE0EEENS1_48merge_mergepath_partition_config_static_selectorELNS0_4arch9wavefront6targetE1EEEvSL_,@function
_ZN7rocprim17ROCPRIM_400000_NS6detail17trampoline_kernelINS0_14default_configENS1_38merge_sort_block_merge_config_selectorIiNS0_10empty_typeEEEZZNS1_27merge_sort_block_merge_implIS3_N6thrust23THRUST_200600_302600_NS6detail15normal_iteratorINS9_10device_ptrIiEEEEPS5_jNS1_19radix_merge_compareILb1ELb0EiNS0_19identity_decomposerEEEEE10hipError_tT0_T1_T2_jT3_P12ihipStream_tbPNSt15iterator_traitsISK_E10value_typeEPNSQ_ISL_E10value_typeEPSM_NS1_7vsmem_tEENKUlT_SK_SL_SM_E_clIPiSE_SF_SF_EESJ_SZ_SK_SL_SM_EUlSZ_E_NS1_11comp_targetILNS1_3genE9ELNS1_11target_archE1100ELNS1_3gpuE3ELNS1_3repE0EEENS1_48merge_mergepath_partition_config_static_selectorELNS0_4arch9wavefront6targetE1EEEvSL_: ; @_ZN7rocprim17ROCPRIM_400000_NS6detail17trampoline_kernelINS0_14default_configENS1_38merge_sort_block_merge_config_selectorIiNS0_10empty_typeEEEZZNS1_27merge_sort_block_merge_implIS3_N6thrust23THRUST_200600_302600_NS6detail15normal_iteratorINS9_10device_ptrIiEEEEPS5_jNS1_19radix_merge_compareILb1ELb0EiNS0_19identity_decomposerEEEEE10hipError_tT0_T1_T2_jT3_P12ihipStream_tbPNSt15iterator_traitsISK_E10value_typeEPNSQ_ISL_E10value_typeEPSM_NS1_7vsmem_tEENKUlT_SK_SL_SM_E_clIPiSE_SF_SF_EESJ_SZ_SK_SL_SM_EUlSZ_E_NS1_11comp_targetILNS1_3genE9ELNS1_11target_archE1100ELNS1_3gpuE3ELNS1_3repE0EEENS1_48merge_mergepath_partition_config_static_selectorELNS0_4arch9wavefront6targetE1EEEvSL_
; %bb.0:
	.section	.rodata,"a",@progbits
	.p2align	6, 0x0
	.amdhsa_kernel _ZN7rocprim17ROCPRIM_400000_NS6detail17trampoline_kernelINS0_14default_configENS1_38merge_sort_block_merge_config_selectorIiNS0_10empty_typeEEEZZNS1_27merge_sort_block_merge_implIS3_N6thrust23THRUST_200600_302600_NS6detail15normal_iteratorINS9_10device_ptrIiEEEEPS5_jNS1_19radix_merge_compareILb1ELb0EiNS0_19identity_decomposerEEEEE10hipError_tT0_T1_T2_jT3_P12ihipStream_tbPNSt15iterator_traitsISK_E10value_typeEPNSQ_ISL_E10value_typeEPSM_NS1_7vsmem_tEENKUlT_SK_SL_SM_E_clIPiSE_SF_SF_EESJ_SZ_SK_SL_SM_EUlSZ_E_NS1_11comp_targetILNS1_3genE9ELNS1_11target_archE1100ELNS1_3gpuE3ELNS1_3repE0EEENS1_48merge_mergepath_partition_config_static_selectorELNS0_4arch9wavefront6targetE1EEEvSL_
		.amdhsa_group_segment_fixed_size 0
		.amdhsa_private_segment_fixed_size 0
		.amdhsa_kernarg_size 40
		.amdhsa_user_sgpr_count 2
		.amdhsa_user_sgpr_dispatch_ptr 0
		.amdhsa_user_sgpr_queue_ptr 0
		.amdhsa_user_sgpr_kernarg_segment_ptr 1
		.amdhsa_user_sgpr_dispatch_id 0
		.amdhsa_user_sgpr_kernarg_preload_length 0
		.amdhsa_user_sgpr_kernarg_preload_offset 0
		.amdhsa_user_sgpr_private_segment_size 0
		.amdhsa_uses_dynamic_stack 0
		.amdhsa_enable_private_segment 0
		.amdhsa_system_sgpr_workgroup_id_x 1
		.amdhsa_system_sgpr_workgroup_id_y 0
		.amdhsa_system_sgpr_workgroup_id_z 0
		.amdhsa_system_sgpr_workgroup_info 0
		.amdhsa_system_vgpr_workitem_id 0
		.amdhsa_next_free_vgpr 1
		.amdhsa_next_free_sgpr 0
		.amdhsa_accum_offset 4
		.amdhsa_reserve_vcc 0
		.amdhsa_float_round_mode_32 0
		.amdhsa_float_round_mode_16_64 0
		.amdhsa_float_denorm_mode_32 3
		.amdhsa_float_denorm_mode_16_64 3
		.amdhsa_dx10_clamp 1
		.amdhsa_ieee_mode 1
		.amdhsa_fp16_overflow 0
		.amdhsa_tg_split 0
		.amdhsa_exception_fp_ieee_invalid_op 0
		.amdhsa_exception_fp_denorm_src 0
		.amdhsa_exception_fp_ieee_div_zero 0
		.amdhsa_exception_fp_ieee_overflow 0
		.amdhsa_exception_fp_ieee_underflow 0
		.amdhsa_exception_fp_ieee_inexact 0
		.amdhsa_exception_int_div_zero 0
	.end_amdhsa_kernel
	.section	.text._ZN7rocprim17ROCPRIM_400000_NS6detail17trampoline_kernelINS0_14default_configENS1_38merge_sort_block_merge_config_selectorIiNS0_10empty_typeEEEZZNS1_27merge_sort_block_merge_implIS3_N6thrust23THRUST_200600_302600_NS6detail15normal_iteratorINS9_10device_ptrIiEEEEPS5_jNS1_19radix_merge_compareILb1ELb0EiNS0_19identity_decomposerEEEEE10hipError_tT0_T1_T2_jT3_P12ihipStream_tbPNSt15iterator_traitsISK_E10value_typeEPNSQ_ISL_E10value_typeEPSM_NS1_7vsmem_tEENKUlT_SK_SL_SM_E_clIPiSE_SF_SF_EESJ_SZ_SK_SL_SM_EUlSZ_E_NS1_11comp_targetILNS1_3genE9ELNS1_11target_archE1100ELNS1_3gpuE3ELNS1_3repE0EEENS1_48merge_mergepath_partition_config_static_selectorELNS0_4arch9wavefront6targetE1EEEvSL_,"axG",@progbits,_ZN7rocprim17ROCPRIM_400000_NS6detail17trampoline_kernelINS0_14default_configENS1_38merge_sort_block_merge_config_selectorIiNS0_10empty_typeEEEZZNS1_27merge_sort_block_merge_implIS3_N6thrust23THRUST_200600_302600_NS6detail15normal_iteratorINS9_10device_ptrIiEEEEPS5_jNS1_19radix_merge_compareILb1ELb0EiNS0_19identity_decomposerEEEEE10hipError_tT0_T1_T2_jT3_P12ihipStream_tbPNSt15iterator_traitsISK_E10value_typeEPNSQ_ISL_E10value_typeEPSM_NS1_7vsmem_tEENKUlT_SK_SL_SM_E_clIPiSE_SF_SF_EESJ_SZ_SK_SL_SM_EUlSZ_E_NS1_11comp_targetILNS1_3genE9ELNS1_11target_archE1100ELNS1_3gpuE3ELNS1_3repE0EEENS1_48merge_mergepath_partition_config_static_selectorELNS0_4arch9wavefront6targetE1EEEvSL_,comdat
.Lfunc_end228:
	.size	_ZN7rocprim17ROCPRIM_400000_NS6detail17trampoline_kernelINS0_14default_configENS1_38merge_sort_block_merge_config_selectorIiNS0_10empty_typeEEEZZNS1_27merge_sort_block_merge_implIS3_N6thrust23THRUST_200600_302600_NS6detail15normal_iteratorINS9_10device_ptrIiEEEEPS5_jNS1_19radix_merge_compareILb1ELb0EiNS0_19identity_decomposerEEEEE10hipError_tT0_T1_T2_jT3_P12ihipStream_tbPNSt15iterator_traitsISK_E10value_typeEPNSQ_ISL_E10value_typeEPSM_NS1_7vsmem_tEENKUlT_SK_SL_SM_E_clIPiSE_SF_SF_EESJ_SZ_SK_SL_SM_EUlSZ_E_NS1_11comp_targetILNS1_3genE9ELNS1_11target_archE1100ELNS1_3gpuE3ELNS1_3repE0EEENS1_48merge_mergepath_partition_config_static_selectorELNS0_4arch9wavefront6targetE1EEEvSL_, .Lfunc_end228-_ZN7rocprim17ROCPRIM_400000_NS6detail17trampoline_kernelINS0_14default_configENS1_38merge_sort_block_merge_config_selectorIiNS0_10empty_typeEEEZZNS1_27merge_sort_block_merge_implIS3_N6thrust23THRUST_200600_302600_NS6detail15normal_iteratorINS9_10device_ptrIiEEEEPS5_jNS1_19radix_merge_compareILb1ELb0EiNS0_19identity_decomposerEEEEE10hipError_tT0_T1_T2_jT3_P12ihipStream_tbPNSt15iterator_traitsISK_E10value_typeEPNSQ_ISL_E10value_typeEPSM_NS1_7vsmem_tEENKUlT_SK_SL_SM_E_clIPiSE_SF_SF_EESJ_SZ_SK_SL_SM_EUlSZ_E_NS1_11comp_targetILNS1_3genE9ELNS1_11target_archE1100ELNS1_3gpuE3ELNS1_3repE0EEENS1_48merge_mergepath_partition_config_static_selectorELNS0_4arch9wavefront6targetE1EEEvSL_
                                        ; -- End function
	.set _ZN7rocprim17ROCPRIM_400000_NS6detail17trampoline_kernelINS0_14default_configENS1_38merge_sort_block_merge_config_selectorIiNS0_10empty_typeEEEZZNS1_27merge_sort_block_merge_implIS3_N6thrust23THRUST_200600_302600_NS6detail15normal_iteratorINS9_10device_ptrIiEEEEPS5_jNS1_19radix_merge_compareILb1ELb0EiNS0_19identity_decomposerEEEEE10hipError_tT0_T1_T2_jT3_P12ihipStream_tbPNSt15iterator_traitsISK_E10value_typeEPNSQ_ISL_E10value_typeEPSM_NS1_7vsmem_tEENKUlT_SK_SL_SM_E_clIPiSE_SF_SF_EESJ_SZ_SK_SL_SM_EUlSZ_E_NS1_11comp_targetILNS1_3genE9ELNS1_11target_archE1100ELNS1_3gpuE3ELNS1_3repE0EEENS1_48merge_mergepath_partition_config_static_selectorELNS0_4arch9wavefront6targetE1EEEvSL_.num_vgpr, 0
	.set _ZN7rocprim17ROCPRIM_400000_NS6detail17trampoline_kernelINS0_14default_configENS1_38merge_sort_block_merge_config_selectorIiNS0_10empty_typeEEEZZNS1_27merge_sort_block_merge_implIS3_N6thrust23THRUST_200600_302600_NS6detail15normal_iteratorINS9_10device_ptrIiEEEEPS5_jNS1_19radix_merge_compareILb1ELb0EiNS0_19identity_decomposerEEEEE10hipError_tT0_T1_T2_jT3_P12ihipStream_tbPNSt15iterator_traitsISK_E10value_typeEPNSQ_ISL_E10value_typeEPSM_NS1_7vsmem_tEENKUlT_SK_SL_SM_E_clIPiSE_SF_SF_EESJ_SZ_SK_SL_SM_EUlSZ_E_NS1_11comp_targetILNS1_3genE9ELNS1_11target_archE1100ELNS1_3gpuE3ELNS1_3repE0EEENS1_48merge_mergepath_partition_config_static_selectorELNS0_4arch9wavefront6targetE1EEEvSL_.num_agpr, 0
	.set _ZN7rocprim17ROCPRIM_400000_NS6detail17trampoline_kernelINS0_14default_configENS1_38merge_sort_block_merge_config_selectorIiNS0_10empty_typeEEEZZNS1_27merge_sort_block_merge_implIS3_N6thrust23THRUST_200600_302600_NS6detail15normal_iteratorINS9_10device_ptrIiEEEEPS5_jNS1_19radix_merge_compareILb1ELb0EiNS0_19identity_decomposerEEEEE10hipError_tT0_T1_T2_jT3_P12ihipStream_tbPNSt15iterator_traitsISK_E10value_typeEPNSQ_ISL_E10value_typeEPSM_NS1_7vsmem_tEENKUlT_SK_SL_SM_E_clIPiSE_SF_SF_EESJ_SZ_SK_SL_SM_EUlSZ_E_NS1_11comp_targetILNS1_3genE9ELNS1_11target_archE1100ELNS1_3gpuE3ELNS1_3repE0EEENS1_48merge_mergepath_partition_config_static_selectorELNS0_4arch9wavefront6targetE1EEEvSL_.numbered_sgpr, 0
	.set _ZN7rocprim17ROCPRIM_400000_NS6detail17trampoline_kernelINS0_14default_configENS1_38merge_sort_block_merge_config_selectorIiNS0_10empty_typeEEEZZNS1_27merge_sort_block_merge_implIS3_N6thrust23THRUST_200600_302600_NS6detail15normal_iteratorINS9_10device_ptrIiEEEEPS5_jNS1_19radix_merge_compareILb1ELb0EiNS0_19identity_decomposerEEEEE10hipError_tT0_T1_T2_jT3_P12ihipStream_tbPNSt15iterator_traitsISK_E10value_typeEPNSQ_ISL_E10value_typeEPSM_NS1_7vsmem_tEENKUlT_SK_SL_SM_E_clIPiSE_SF_SF_EESJ_SZ_SK_SL_SM_EUlSZ_E_NS1_11comp_targetILNS1_3genE9ELNS1_11target_archE1100ELNS1_3gpuE3ELNS1_3repE0EEENS1_48merge_mergepath_partition_config_static_selectorELNS0_4arch9wavefront6targetE1EEEvSL_.num_named_barrier, 0
	.set _ZN7rocprim17ROCPRIM_400000_NS6detail17trampoline_kernelINS0_14default_configENS1_38merge_sort_block_merge_config_selectorIiNS0_10empty_typeEEEZZNS1_27merge_sort_block_merge_implIS3_N6thrust23THRUST_200600_302600_NS6detail15normal_iteratorINS9_10device_ptrIiEEEEPS5_jNS1_19radix_merge_compareILb1ELb0EiNS0_19identity_decomposerEEEEE10hipError_tT0_T1_T2_jT3_P12ihipStream_tbPNSt15iterator_traitsISK_E10value_typeEPNSQ_ISL_E10value_typeEPSM_NS1_7vsmem_tEENKUlT_SK_SL_SM_E_clIPiSE_SF_SF_EESJ_SZ_SK_SL_SM_EUlSZ_E_NS1_11comp_targetILNS1_3genE9ELNS1_11target_archE1100ELNS1_3gpuE3ELNS1_3repE0EEENS1_48merge_mergepath_partition_config_static_selectorELNS0_4arch9wavefront6targetE1EEEvSL_.private_seg_size, 0
	.set _ZN7rocprim17ROCPRIM_400000_NS6detail17trampoline_kernelINS0_14default_configENS1_38merge_sort_block_merge_config_selectorIiNS0_10empty_typeEEEZZNS1_27merge_sort_block_merge_implIS3_N6thrust23THRUST_200600_302600_NS6detail15normal_iteratorINS9_10device_ptrIiEEEEPS5_jNS1_19radix_merge_compareILb1ELb0EiNS0_19identity_decomposerEEEEE10hipError_tT0_T1_T2_jT3_P12ihipStream_tbPNSt15iterator_traitsISK_E10value_typeEPNSQ_ISL_E10value_typeEPSM_NS1_7vsmem_tEENKUlT_SK_SL_SM_E_clIPiSE_SF_SF_EESJ_SZ_SK_SL_SM_EUlSZ_E_NS1_11comp_targetILNS1_3genE9ELNS1_11target_archE1100ELNS1_3gpuE3ELNS1_3repE0EEENS1_48merge_mergepath_partition_config_static_selectorELNS0_4arch9wavefront6targetE1EEEvSL_.uses_vcc, 0
	.set _ZN7rocprim17ROCPRIM_400000_NS6detail17trampoline_kernelINS0_14default_configENS1_38merge_sort_block_merge_config_selectorIiNS0_10empty_typeEEEZZNS1_27merge_sort_block_merge_implIS3_N6thrust23THRUST_200600_302600_NS6detail15normal_iteratorINS9_10device_ptrIiEEEEPS5_jNS1_19radix_merge_compareILb1ELb0EiNS0_19identity_decomposerEEEEE10hipError_tT0_T1_T2_jT3_P12ihipStream_tbPNSt15iterator_traitsISK_E10value_typeEPNSQ_ISL_E10value_typeEPSM_NS1_7vsmem_tEENKUlT_SK_SL_SM_E_clIPiSE_SF_SF_EESJ_SZ_SK_SL_SM_EUlSZ_E_NS1_11comp_targetILNS1_3genE9ELNS1_11target_archE1100ELNS1_3gpuE3ELNS1_3repE0EEENS1_48merge_mergepath_partition_config_static_selectorELNS0_4arch9wavefront6targetE1EEEvSL_.uses_flat_scratch, 0
	.set _ZN7rocprim17ROCPRIM_400000_NS6detail17trampoline_kernelINS0_14default_configENS1_38merge_sort_block_merge_config_selectorIiNS0_10empty_typeEEEZZNS1_27merge_sort_block_merge_implIS3_N6thrust23THRUST_200600_302600_NS6detail15normal_iteratorINS9_10device_ptrIiEEEEPS5_jNS1_19radix_merge_compareILb1ELb0EiNS0_19identity_decomposerEEEEE10hipError_tT0_T1_T2_jT3_P12ihipStream_tbPNSt15iterator_traitsISK_E10value_typeEPNSQ_ISL_E10value_typeEPSM_NS1_7vsmem_tEENKUlT_SK_SL_SM_E_clIPiSE_SF_SF_EESJ_SZ_SK_SL_SM_EUlSZ_E_NS1_11comp_targetILNS1_3genE9ELNS1_11target_archE1100ELNS1_3gpuE3ELNS1_3repE0EEENS1_48merge_mergepath_partition_config_static_selectorELNS0_4arch9wavefront6targetE1EEEvSL_.has_dyn_sized_stack, 0
	.set _ZN7rocprim17ROCPRIM_400000_NS6detail17trampoline_kernelINS0_14default_configENS1_38merge_sort_block_merge_config_selectorIiNS0_10empty_typeEEEZZNS1_27merge_sort_block_merge_implIS3_N6thrust23THRUST_200600_302600_NS6detail15normal_iteratorINS9_10device_ptrIiEEEEPS5_jNS1_19radix_merge_compareILb1ELb0EiNS0_19identity_decomposerEEEEE10hipError_tT0_T1_T2_jT3_P12ihipStream_tbPNSt15iterator_traitsISK_E10value_typeEPNSQ_ISL_E10value_typeEPSM_NS1_7vsmem_tEENKUlT_SK_SL_SM_E_clIPiSE_SF_SF_EESJ_SZ_SK_SL_SM_EUlSZ_E_NS1_11comp_targetILNS1_3genE9ELNS1_11target_archE1100ELNS1_3gpuE3ELNS1_3repE0EEENS1_48merge_mergepath_partition_config_static_selectorELNS0_4arch9wavefront6targetE1EEEvSL_.has_recursion, 0
	.set _ZN7rocprim17ROCPRIM_400000_NS6detail17trampoline_kernelINS0_14default_configENS1_38merge_sort_block_merge_config_selectorIiNS0_10empty_typeEEEZZNS1_27merge_sort_block_merge_implIS3_N6thrust23THRUST_200600_302600_NS6detail15normal_iteratorINS9_10device_ptrIiEEEEPS5_jNS1_19radix_merge_compareILb1ELb0EiNS0_19identity_decomposerEEEEE10hipError_tT0_T1_T2_jT3_P12ihipStream_tbPNSt15iterator_traitsISK_E10value_typeEPNSQ_ISL_E10value_typeEPSM_NS1_7vsmem_tEENKUlT_SK_SL_SM_E_clIPiSE_SF_SF_EESJ_SZ_SK_SL_SM_EUlSZ_E_NS1_11comp_targetILNS1_3genE9ELNS1_11target_archE1100ELNS1_3gpuE3ELNS1_3repE0EEENS1_48merge_mergepath_partition_config_static_selectorELNS0_4arch9wavefront6targetE1EEEvSL_.has_indirect_call, 0
	.section	.AMDGPU.csdata,"",@progbits
; Kernel info:
; codeLenInByte = 0
; TotalNumSgprs: 6
; NumVgprs: 0
; NumAgprs: 0
; TotalNumVgprs: 0
; ScratchSize: 0
; MemoryBound: 0
; FloatMode: 240
; IeeeMode: 1
; LDSByteSize: 0 bytes/workgroup (compile time only)
; SGPRBlocks: 0
; VGPRBlocks: 0
; NumSGPRsForWavesPerEU: 6
; NumVGPRsForWavesPerEU: 1
; AccumOffset: 4
; Occupancy: 8
; WaveLimiterHint : 0
; COMPUTE_PGM_RSRC2:SCRATCH_EN: 0
; COMPUTE_PGM_RSRC2:USER_SGPR: 2
; COMPUTE_PGM_RSRC2:TRAP_HANDLER: 0
; COMPUTE_PGM_RSRC2:TGID_X_EN: 1
; COMPUTE_PGM_RSRC2:TGID_Y_EN: 0
; COMPUTE_PGM_RSRC2:TGID_Z_EN: 0
; COMPUTE_PGM_RSRC2:TIDIG_COMP_CNT: 0
; COMPUTE_PGM_RSRC3_GFX90A:ACCUM_OFFSET: 0
; COMPUTE_PGM_RSRC3_GFX90A:TG_SPLIT: 0
	.section	.text._ZN7rocprim17ROCPRIM_400000_NS6detail17trampoline_kernelINS0_14default_configENS1_38merge_sort_block_merge_config_selectorIiNS0_10empty_typeEEEZZNS1_27merge_sort_block_merge_implIS3_N6thrust23THRUST_200600_302600_NS6detail15normal_iteratorINS9_10device_ptrIiEEEEPS5_jNS1_19radix_merge_compareILb1ELb0EiNS0_19identity_decomposerEEEEE10hipError_tT0_T1_T2_jT3_P12ihipStream_tbPNSt15iterator_traitsISK_E10value_typeEPNSQ_ISL_E10value_typeEPSM_NS1_7vsmem_tEENKUlT_SK_SL_SM_E_clIPiSE_SF_SF_EESJ_SZ_SK_SL_SM_EUlSZ_E_NS1_11comp_targetILNS1_3genE8ELNS1_11target_archE1030ELNS1_3gpuE2ELNS1_3repE0EEENS1_48merge_mergepath_partition_config_static_selectorELNS0_4arch9wavefront6targetE1EEEvSL_,"axG",@progbits,_ZN7rocprim17ROCPRIM_400000_NS6detail17trampoline_kernelINS0_14default_configENS1_38merge_sort_block_merge_config_selectorIiNS0_10empty_typeEEEZZNS1_27merge_sort_block_merge_implIS3_N6thrust23THRUST_200600_302600_NS6detail15normal_iteratorINS9_10device_ptrIiEEEEPS5_jNS1_19radix_merge_compareILb1ELb0EiNS0_19identity_decomposerEEEEE10hipError_tT0_T1_T2_jT3_P12ihipStream_tbPNSt15iterator_traitsISK_E10value_typeEPNSQ_ISL_E10value_typeEPSM_NS1_7vsmem_tEENKUlT_SK_SL_SM_E_clIPiSE_SF_SF_EESJ_SZ_SK_SL_SM_EUlSZ_E_NS1_11comp_targetILNS1_3genE8ELNS1_11target_archE1030ELNS1_3gpuE2ELNS1_3repE0EEENS1_48merge_mergepath_partition_config_static_selectorELNS0_4arch9wavefront6targetE1EEEvSL_,comdat
	.protected	_ZN7rocprim17ROCPRIM_400000_NS6detail17trampoline_kernelINS0_14default_configENS1_38merge_sort_block_merge_config_selectorIiNS0_10empty_typeEEEZZNS1_27merge_sort_block_merge_implIS3_N6thrust23THRUST_200600_302600_NS6detail15normal_iteratorINS9_10device_ptrIiEEEEPS5_jNS1_19radix_merge_compareILb1ELb0EiNS0_19identity_decomposerEEEEE10hipError_tT0_T1_T2_jT3_P12ihipStream_tbPNSt15iterator_traitsISK_E10value_typeEPNSQ_ISL_E10value_typeEPSM_NS1_7vsmem_tEENKUlT_SK_SL_SM_E_clIPiSE_SF_SF_EESJ_SZ_SK_SL_SM_EUlSZ_E_NS1_11comp_targetILNS1_3genE8ELNS1_11target_archE1030ELNS1_3gpuE2ELNS1_3repE0EEENS1_48merge_mergepath_partition_config_static_selectorELNS0_4arch9wavefront6targetE1EEEvSL_ ; -- Begin function _ZN7rocprim17ROCPRIM_400000_NS6detail17trampoline_kernelINS0_14default_configENS1_38merge_sort_block_merge_config_selectorIiNS0_10empty_typeEEEZZNS1_27merge_sort_block_merge_implIS3_N6thrust23THRUST_200600_302600_NS6detail15normal_iteratorINS9_10device_ptrIiEEEEPS5_jNS1_19radix_merge_compareILb1ELb0EiNS0_19identity_decomposerEEEEE10hipError_tT0_T1_T2_jT3_P12ihipStream_tbPNSt15iterator_traitsISK_E10value_typeEPNSQ_ISL_E10value_typeEPSM_NS1_7vsmem_tEENKUlT_SK_SL_SM_E_clIPiSE_SF_SF_EESJ_SZ_SK_SL_SM_EUlSZ_E_NS1_11comp_targetILNS1_3genE8ELNS1_11target_archE1030ELNS1_3gpuE2ELNS1_3repE0EEENS1_48merge_mergepath_partition_config_static_selectorELNS0_4arch9wavefront6targetE1EEEvSL_
	.globl	_ZN7rocprim17ROCPRIM_400000_NS6detail17trampoline_kernelINS0_14default_configENS1_38merge_sort_block_merge_config_selectorIiNS0_10empty_typeEEEZZNS1_27merge_sort_block_merge_implIS3_N6thrust23THRUST_200600_302600_NS6detail15normal_iteratorINS9_10device_ptrIiEEEEPS5_jNS1_19radix_merge_compareILb1ELb0EiNS0_19identity_decomposerEEEEE10hipError_tT0_T1_T2_jT3_P12ihipStream_tbPNSt15iterator_traitsISK_E10value_typeEPNSQ_ISL_E10value_typeEPSM_NS1_7vsmem_tEENKUlT_SK_SL_SM_E_clIPiSE_SF_SF_EESJ_SZ_SK_SL_SM_EUlSZ_E_NS1_11comp_targetILNS1_3genE8ELNS1_11target_archE1030ELNS1_3gpuE2ELNS1_3repE0EEENS1_48merge_mergepath_partition_config_static_selectorELNS0_4arch9wavefront6targetE1EEEvSL_
	.p2align	8
	.type	_ZN7rocprim17ROCPRIM_400000_NS6detail17trampoline_kernelINS0_14default_configENS1_38merge_sort_block_merge_config_selectorIiNS0_10empty_typeEEEZZNS1_27merge_sort_block_merge_implIS3_N6thrust23THRUST_200600_302600_NS6detail15normal_iteratorINS9_10device_ptrIiEEEEPS5_jNS1_19radix_merge_compareILb1ELb0EiNS0_19identity_decomposerEEEEE10hipError_tT0_T1_T2_jT3_P12ihipStream_tbPNSt15iterator_traitsISK_E10value_typeEPNSQ_ISL_E10value_typeEPSM_NS1_7vsmem_tEENKUlT_SK_SL_SM_E_clIPiSE_SF_SF_EESJ_SZ_SK_SL_SM_EUlSZ_E_NS1_11comp_targetILNS1_3genE8ELNS1_11target_archE1030ELNS1_3gpuE2ELNS1_3repE0EEENS1_48merge_mergepath_partition_config_static_selectorELNS0_4arch9wavefront6targetE1EEEvSL_,@function
_ZN7rocprim17ROCPRIM_400000_NS6detail17trampoline_kernelINS0_14default_configENS1_38merge_sort_block_merge_config_selectorIiNS0_10empty_typeEEEZZNS1_27merge_sort_block_merge_implIS3_N6thrust23THRUST_200600_302600_NS6detail15normal_iteratorINS9_10device_ptrIiEEEEPS5_jNS1_19radix_merge_compareILb1ELb0EiNS0_19identity_decomposerEEEEE10hipError_tT0_T1_T2_jT3_P12ihipStream_tbPNSt15iterator_traitsISK_E10value_typeEPNSQ_ISL_E10value_typeEPSM_NS1_7vsmem_tEENKUlT_SK_SL_SM_E_clIPiSE_SF_SF_EESJ_SZ_SK_SL_SM_EUlSZ_E_NS1_11comp_targetILNS1_3genE8ELNS1_11target_archE1030ELNS1_3gpuE2ELNS1_3repE0EEENS1_48merge_mergepath_partition_config_static_selectorELNS0_4arch9wavefront6targetE1EEEvSL_: ; @_ZN7rocprim17ROCPRIM_400000_NS6detail17trampoline_kernelINS0_14default_configENS1_38merge_sort_block_merge_config_selectorIiNS0_10empty_typeEEEZZNS1_27merge_sort_block_merge_implIS3_N6thrust23THRUST_200600_302600_NS6detail15normal_iteratorINS9_10device_ptrIiEEEEPS5_jNS1_19radix_merge_compareILb1ELb0EiNS0_19identity_decomposerEEEEE10hipError_tT0_T1_T2_jT3_P12ihipStream_tbPNSt15iterator_traitsISK_E10value_typeEPNSQ_ISL_E10value_typeEPSM_NS1_7vsmem_tEENKUlT_SK_SL_SM_E_clIPiSE_SF_SF_EESJ_SZ_SK_SL_SM_EUlSZ_E_NS1_11comp_targetILNS1_3genE8ELNS1_11target_archE1030ELNS1_3gpuE2ELNS1_3repE0EEENS1_48merge_mergepath_partition_config_static_selectorELNS0_4arch9wavefront6targetE1EEEvSL_
; %bb.0:
	.section	.rodata,"a",@progbits
	.p2align	6, 0x0
	.amdhsa_kernel _ZN7rocprim17ROCPRIM_400000_NS6detail17trampoline_kernelINS0_14default_configENS1_38merge_sort_block_merge_config_selectorIiNS0_10empty_typeEEEZZNS1_27merge_sort_block_merge_implIS3_N6thrust23THRUST_200600_302600_NS6detail15normal_iteratorINS9_10device_ptrIiEEEEPS5_jNS1_19radix_merge_compareILb1ELb0EiNS0_19identity_decomposerEEEEE10hipError_tT0_T1_T2_jT3_P12ihipStream_tbPNSt15iterator_traitsISK_E10value_typeEPNSQ_ISL_E10value_typeEPSM_NS1_7vsmem_tEENKUlT_SK_SL_SM_E_clIPiSE_SF_SF_EESJ_SZ_SK_SL_SM_EUlSZ_E_NS1_11comp_targetILNS1_3genE8ELNS1_11target_archE1030ELNS1_3gpuE2ELNS1_3repE0EEENS1_48merge_mergepath_partition_config_static_selectorELNS0_4arch9wavefront6targetE1EEEvSL_
		.amdhsa_group_segment_fixed_size 0
		.amdhsa_private_segment_fixed_size 0
		.amdhsa_kernarg_size 40
		.amdhsa_user_sgpr_count 2
		.amdhsa_user_sgpr_dispatch_ptr 0
		.amdhsa_user_sgpr_queue_ptr 0
		.amdhsa_user_sgpr_kernarg_segment_ptr 1
		.amdhsa_user_sgpr_dispatch_id 0
		.amdhsa_user_sgpr_kernarg_preload_length 0
		.amdhsa_user_sgpr_kernarg_preload_offset 0
		.amdhsa_user_sgpr_private_segment_size 0
		.amdhsa_uses_dynamic_stack 0
		.amdhsa_enable_private_segment 0
		.amdhsa_system_sgpr_workgroup_id_x 1
		.amdhsa_system_sgpr_workgroup_id_y 0
		.amdhsa_system_sgpr_workgroup_id_z 0
		.amdhsa_system_sgpr_workgroup_info 0
		.amdhsa_system_vgpr_workitem_id 0
		.amdhsa_next_free_vgpr 1
		.amdhsa_next_free_sgpr 0
		.amdhsa_accum_offset 4
		.amdhsa_reserve_vcc 0
		.amdhsa_float_round_mode_32 0
		.amdhsa_float_round_mode_16_64 0
		.amdhsa_float_denorm_mode_32 3
		.amdhsa_float_denorm_mode_16_64 3
		.amdhsa_dx10_clamp 1
		.amdhsa_ieee_mode 1
		.amdhsa_fp16_overflow 0
		.amdhsa_tg_split 0
		.amdhsa_exception_fp_ieee_invalid_op 0
		.amdhsa_exception_fp_denorm_src 0
		.amdhsa_exception_fp_ieee_div_zero 0
		.amdhsa_exception_fp_ieee_overflow 0
		.amdhsa_exception_fp_ieee_underflow 0
		.amdhsa_exception_fp_ieee_inexact 0
		.amdhsa_exception_int_div_zero 0
	.end_amdhsa_kernel
	.section	.text._ZN7rocprim17ROCPRIM_400000_NS6detail17trampoline_kernelINS0_14default_configENS1_38merge_sort_block_merge_config_selectorIiNS0_10empty_typeEEEZZNS1_27merge_sort_block_merge_implIS3_N6thrust23THRUST_200600_302600_NS6detail15normal_iteratorINS9_10device_ptrIiEEEEPS5_jNS1_19radix_merge_compareILb1ELb0EiNS0_19identity_decomposerEEEEE10hipError_tT0_T1_T2_jT3_P12ihipStream_tbPNSt15iterator_traitsISK_E10value_typeEPNSQ_ISL_E10value_typeEPSM_NS1_7vsmem_tEENKUlT_SK_SL_SM_E_clIPiSE_SF_SF_EESJ_SZ_SK_SL_SM_EUlSZ_E_NS1_11comp_targetILNS1_3genE8ELNS1_11target_archE1030ELNS1_3gpuE2ELNS1_3repE0EEENS1_48merge_mergepath_partition_config_static_selectorELNS0_4arch9wavefront6targetE1EEEvSL_,"axG",@progbits,_ZN7rocprim17ROCPRIM_400000_NS6detail17trampoline_kernelINS0_14default_configENS1_38merge_sort_block_merge_config_selectorIiNS0_10empty_typeEEEZZNS1_27merge_sort_block_merge_implIS3_N6thrust23THRUST_200600_302600_NS6detail15normal_iteratorINS9_10device_ptrIiEEEEPS5_jNS1_19radix_merge_compareILb1ELb0EiNS0_19identity_decomposerEEEEE10hipError_tT0_T1_T2_jT3_P12ihipStream_tbPNSt15iterator_traitsISK_E10value_typeEPNSQ_ISL_E10value_typeEPSM_NS1_7vsmem_tEENKUlT_SK_SL_SM_E_clIPiSE_SF_SF_EESJ_SZ_SK_SL_SM_EUlSZ_E_NS1_11comp_targetILNS1_3genE8ELNS1_11target_archE1030ELNS1_3gpuE2ELNS1_3repE0EEENS1_48merge_mergepath_partition_config_static_selectorELNS0_4arch9wavefront6targetE1EEEvSL_,comdat
.Lfunc_end229:
	.size	_ZN7rocprim17ROCPRIM_400000_NS6detail17trampoline_kernelINS0_14default_configENS1_38merge_sort_block_merge_config_selectorIiNS0_10empty_typeEEEZZNS1_27merge_sort_block_merge_implIS3_N6thrust23THRUST_200600_302600_NS6detail15normal_iteratorINS9_10device_ptrIiEEEEPS5_jNS1_19radix_merge_compareILb1ELb0EiNS0_19identity_decomposerEEEEE10hipError_tT0_T1_T2_jT3_P12ihipStream_tbPNSt15iterator_traitsISK_E10value_typeEPNSQ_ISL_E10value_typeEPSM_NS1_7vsmem_tEENKUlT_SK_SL_SM_E_clIPiSE_SF_SF_EESJ_SZ_SK_SL_SM_EUlSZ_E_NS1_11comp_targetILNS1_3genE8ELNS1_11target_archE1030ELNS1_3gpuE2ELNS1_3repE0EEENS1_48merge_mergepath_partition_config_static_selectorELNS0_4arch9wavefront6targetE1EEEvSL_, .Lfunc_end229-_ZN7rocprim17ROCPRIM_400000_NS6detail17trampoline_kernelINS0_14default_configENS1_38merge_sort_block_merge_config_selectorIiNS0_10empty_typeEEEZZNS1_27merge_sort_block_merge_implIS3_N6thrust23THRUST_200600_302600_NS6detail15normal_iteratorINS9_10device_ptrIiEEEEPS5_jNS1_19radix_merge_compareILb1ELb0EiNS0_19identity_decomposerEEEEE10hipError_tT0_T1_T2_jT3_P12ihipStream_tbPNSt15iterator_traitsISK_E10value_typeEPNSQ_ISL_E10value_typeEPSM_NS1_7vsmem_tEENKUlT_SK_SL_SM_E_clIPiSE_SF_SF_EESJ_SZ_SK_SL_SM_EUlSZ_E_NS1_11comp_targetILNS1_3genE8ELNS1_11target_archE1030ELNS1_3gpuE2ELNS1_3repE0EEENS1_48merge_mergepath_partition_config_static_selectorELNS0_4arch9wavefront6targetE1EEEvSL_
                                        ; -- End function
	.set _ZN7rocprim17ROCPRIM_400000_NS6detail17trampoline_kernelINS0_14default_configENS1_38merge_sort_block_merge_config_selectorIiNS0_10empty_typeEEEZZNS1_27merge_sort_block_merge_implIS3_N6thrust23THRUST_200600_302600_NS6detail15normal_iteratorINS9_10device_ptrIiEEEEPS5_jNS1_19radix_merge_compareILb1ELb0EiNS0_19identity_decomposerEEEEE10hipError_tT0_T1_T2_jT3_P12ihipStream_tbPNSt15iterator_traitsISK_E10value_typeEPNSQ_ISL_E10value_typeEPSM_NS1_7vsmem_tEENKUlT_SK_SL_SM_E_clIPiSE_SF_SF_EESJ_SZ_SK_SL_SM_EUlSZ_E_NS1_11comp_targetILNS1_3genE8ELNS1_11target_archE1030ELNS1_3gpuE2ELNS1_3repE0EEENS1_48merge_mergepath_partition_config_static_selectorELNS0_4arch9wavefront6targetE1EEEvSL_.num_vgpr, 0
	.set _ZN7rocprim17ROCPRIM_400000_NS6detail17trampoline_kernelINS0_14default_configENS1_38merge_sort_block_merge_config_selectorIiNS0_10empty_typeEEEZZNS1_27merge_sort_block_merge_implIS3_N6thrust23THRUST_200600_302600_NS6detail15normal_iteratorINS9_10device_ptrIiEEEEPS5_jNS1_19radix_merge_compareILb1ELb0EiNS0_19identity_decomposerEEEEE10hipError_tT0_T1_T2_jT3_P12ihipStream_tbPNSt15iterator_traitsISK_E10value_typeEPNSQ_ISL_E10value_typeEPSM_NS1_7vsmem_tEENKUlT_SK_SL_SM_E_clIPiSE_SF_SF_EESJ_SZ_SK_SL_SM_EUlSZ_E_NS1_11comp_targetILNS1_3genE8ELNS1_11target_archE1030ELNS1_3gpuE2ELNS1_3repE0EEENS1_48merge_mergepath_partition_config_static_selectorELNS0_4arch9wavefront6targetE1EEEvSL_.num_agpr, 0
	.set _ZN7rocprim17ROCPRIM_400000_NS6detail17trampoline_kernelINS0_14default_configENS1_38merge_sort_block_merge_config_selectorIiNS0_10empty_typeEEEZZNS1_27merge_sort_block_merge_implIS3_N6thrust23THRUST_200600_302600_NS6detail15normal_iteratorINS9_10device_ptrIiEEEEPS5_jNS1_19radix_merge_compareILb1ELb0EiNS0_19identity_decomposerEEEEE10hipError_tT0_T1_T2_jT3_P12ihipStream_tbPNSt15iterator_traitsISK_E10value_typeEPNSQ_ISL_E10value_typeEPSM_NS1_7vsmem_tEENKUlT_SK_SL_SM_E_clIPiSE_SF_SF_EESJ_SZ_SK_SL_SM_EUlSZ_E_NS1_11comp_targetILNS1_3genE8ELNS1_11target_archE1030ELNS1_3gpuE2ELNS1_3repE0EEENS1_48merge_mergepath_partition_config_static_selectorELNS0_4arch9wavefront6targetE1EEEvSL_.numbered_sgpr, 0
	.set _ZN7rocprim17ROCPRIM_400000_NS6detail17trampoline_kernelINS0_14default_configENS1_38merge_sort_block_merge_config_selectorIiNS0_10empty_typeEEEZZNS1_27merge_sort_block_merge_implIS3_N6thrust23THRUST_200600_302600_NS6detail15normal_iteratorINS9_10device_ptrIiEEEEPS5_jNS1_19radix_merge_compareILb1ELb0EiNS0_19identity_decomposerEEEEE10hipError_tT0_T1_T2_jT3_P12ihipStream_tbPNSt15iterator_traitsISK_E10value_typeEPNSQ_ISL_E10value_typeEPSM_NS1_7vsmem_tEENKUlT_SK_SL_SM_E_clIPiSE_SF_SF_EESJ_SZ_SK_SL_SM_EUlSZ_E_NS1_11comp_targetILNS1_3genE8ELNS1_11target_archE1030ELNS1_3gpuE2ELNS1_3repE0EEENS1_48merge_mergepath_partition_config_static_selectorELNS0_4arch9wavefront6targetE1EEEvSL_.num_named_barrier, 0
	.set _ZN7rocprim17ROCPRIM_400000_NS6detail17trampoline_kernelINS0_14default_configENS1_38merge_sort_block_merge_config_selectorIiNS0_10empty_typeEEEZZNS1_27merge_sort_block_merge_implIS3_N6thrust23THRUST_200600_302600_NS6detail15normal_iteratorINS9_10device_ptrIiEEEEPS5_jNS1_19radix_merge_compareILb1ELb0EiNS0_19identity_decomposerEEEEE10hipError_tT0_T1_T2_jT3_P12ihipStream_tbPNSt15iterator_traitsISK_E10value_typeEPNSQ_ISL_E10value_typeEPSM_NS1_7vsmem_tEENKUlT_SK_SL_SM_E_clIPiSE_SF_SF_EESJ_SZ_SK_SL_SM_EUlSZ_E_NS1_11comp_targetILNS1_3genE8ELNS1_11target_archE1030ELNS1_3gpuE2ELNS1_3repE0EEENS1_48merge_mergepath_partition_config_static_selectorELNS0_4arch9wavefront6targetE1EEEvSL_.private_seg_size, 0
	.set _ZN7rocprim17ROCPRIM_400000_NS6detail17trampoline_kernelINS0_14default_configENS1_38merge_sort_block_merge_config_selectorIiNS0_10empty_typeEEEZZNS1_27merge_sort_block_merge_implIS3_N6thrust23THRUST_200600_302600_NS6detail15normal_iteratorINS9_10device_ptrIiEEEEPS5_jNS1_19radix_merge_compareILb1ELb0EiNS0_19identity_decomposerEEEEE10hipError_tT0_T1_T2_jT3_P12ihipStream_tbPNSt15iterator_traitsISK_E10value_typeEPNSQ_ISL_E10value_typeEPSM_NS1_7vsmem_tEENKUlT_SK_SL_SM_E_clIPiSE_SF_SF_EESJ_SZ_SK_SL_SM_EUlSZ_E_NS1_11comp_targetILNS1_3genE8ELNS1_11target_archE1030ELNS1_3gpuE2ELNS1_3repE0EEENS1_48merge_mergepath_partition_config_static_selectorELNS0_4arch9wavefront6targetE1EEEvSL_.uses_vcc, 0
	.set _ZN7rocprim17ROCPRIM_400000_NS6detail17trampoline_kernelINS0_14default_configENS1_38merge_sort_block_merge_config_selectorIiNS0_10empty_typeEEEZZNS1_27merge_sort_block_merge_implIS3_N6thrust23THRUST_200600_302600_NS6detail15normal_iteratorINS9_10device_ptrIiEEEEPS5_jNS1_19radix_merge_compareILb1ELb0EiNS0_19identity_decomposerEEEEE10hipError_tT0_T1_T2_jT3_P12ihipStream_tbPNSt15iterator_traitsISK_E10value_typeEPNSQ_ISL_E10value_typeEPSM_NS1_7vsmem_tEENKUlT_SK_SL_SM_E_clIPiSE_SF_SF_EESJ_SZ_SK_SL_SM_EUlSZ_E_NS1_11comp_targetILNS1_3genE8ELNS1_11target_archE1030ELNS1_3gpuE2ELNS1_3repE0EEENS1_48merge_mergepath_partition_config_static_selectorELNS0_4arch9wavefront6targetE1EEEvSL_.uses_flat_scratch, 0
	.set _ZN7rocprim17ROCPRIM_400000_NS6detail17trampoline_kernelINS0_14default_configENS1_38merge_sort_block_merge_config_selectorIiNS0_10empty_typeEEEZZNS1_27merge_sort_block_merge_implIS3_N6thrust23THRUST_200600_302600_NS6detail15normal_iteratorINS9_10device_ptrIiEEEEPS5_jNS1_19radix_merge_compareILb1ELb0EiNS0_19identity_decomposerEEEEE10hipError_tT0_T1_T2_jT3_P12ihipStream_tbPNSt15iterator_traitsISK_E10value_typeEPNSQ_ISL_E10value_typeEPSM_NS1_7vsmem_tEENKUlT_SK_SL_SM_E_clIPiSE_SF_SF_EESJ_SZ_SK_SL_SM_EUlSZ_E_NS1_11comp_targetILNS1_3genE8ELNS1_11target_archE1030ELNS1_3gpuE2ELNS1_3repE0EEENS1_48merge_mergepath_partition_config_static_selectorELNS0_4arch9wavefront6targetE1EEEvSL_.has_dyn_sized_stack, 0
	.set _ZN7rocprim17ROCPRIM_400000_NS6detail17trampoline_kernelINS0_14default_configENS1_38merge_sort_block_merge_config_selectorIiNS0_10empty_typeEEEZZNS1_27merge_sort_block_merge_implIS3_N6thrust23THRUST_200600_302600_NS6detail15normal_iteratorINS9_10device_ptrIiEEEEPS5_jNS1_19radix_merge_compareILb1ELb0EiNS0_19identity_decomposerEEEEE10hipError_tT0_T1_T2_jT3_P12ihipStream_tbPNSt15iterator_traitsISK_E10value_typeEPNSQ_ISL_E10value_typeEPSM_NS1_7vsmem_tEENKUlT_SK_SL_SM_E_clIPiSE_SF_SF_EESJ_SZ_SK_SL_SM_EUlSZ_E_NS1_11comp_targetILNS1_3genE8ELNS1_11target_archE1030ELNS1_3gpuE2ELNS1_3repE0EEENS1_48merge_mergepath_partition_config_static_selectorELNS0_4arch9wavefront6targetE1EEEvSL_.has_recursion, 0
	.set _ZN7rocprim17ROCPRIM_400000_NS6detail17trampoline_kernelINS0_14default_configENS1_38merge_sort_block_merge_config_selectorIiNS0_10empty_typeEEEZZNS1_27merge_sort_block_merge_implIS3_N6thrust23THRUST_200600_302600_NS6detail15normal_iteratorINS9_10device_ptrIiEEEEPS5_jNS1_19radix_merge_compareILb1ELb0EiNS0_19identity_decomposerEEEEE10hipError_tT0_T1_T2_jT3_P12ihipStream_tbPNSt15iterator_traitsISK_E10value_typeEPNSQ_ISL_E10value_typeEPSM_NS1_7vsmem_tEENKUlT_SK_SL_SM_E_clIPiSE_SF_SF_EESJ_SZ_SK_SL_SM_EUlSZ_E_NS1_11comp_targetILNS1_3genE8ELNS1_11target_archE1030ELNS1_3gpuE2ELNS1_3repE0EEENS1_48merge_mergepath_partition_config_static_selectorELNS0_4arch9wavefront6targetE1EEEvSL_.has_indirect_call, 0
	.section	.AMDGPU.csdata,"",@progbits
; Kernel info:
; codeLenInByte = 0
; TotalNumSgprs: 6
; NumVgprs: 0
; NumAgprs: 0
; TotalNumVgprs: 0
; ScratchSize: 0
; MemoryBound: 0
; FloatMode: 240
; IeeeMode: 1
; LDSByteSize: 0 bytes/workgroup (compile time only)
; SGPRBlocks: 0
; VGPRBlocks: 0
; NumSGPRsForWavesPerEU: 6
; NumVGPRsForWavesPerEU: 1
; AccumOffset: 4
; Occupancy: 8
; WaveLimiterHint : 0
; COMPUTE_PGM_RSRC2:SCRATCH_EN: 0
; COMPUTE_PGM_RSRC2:USER_SGPR: 2
; COMPUTE_PGM_RSRC2:TRAP_HANDLER: 0
; COMPUTE_PGM_RSRC2:TGID_X_EN: 1
; COMPUTE_PGM_RSRC2:TGID_Y_EN: 0
; COMPUTE_PGM_RSRC2:TGID_Z_EN: 0
; COMPUTE_PGM_RSRC2:TIDIG_COMP_CNT: 0
; COMPUTE_PGM_RSRC3_GFX90A:ACCUM_OFFSET: 0
; COMPUTE_PGM_RSRC3_GFX90A:TG_SPLIT: 0
	.section	.text._ZN7rocprim17ROCPRIM_400000_NS6detail17trampoline_kernelINS0_14default_configENS1_38merge_sort_block_merge_config_selectorIiNS0_10empty_typeEEEZZNS1_27merge_sort_block_merge_implIS3_N6thrust23THRUST_200600_302600_NS6detail15normal_iteratorINS9_10device_ptrIiEEEEPS5_jNS1_19radix_merge_compareILb1ELb0EiNS0_19identity_decomposerEEEEE10hipError_tT0_T1_T2_jT3_P12ihipStream_tbPNSt15iterator_traitsISK_E10value_typeEPNSQ_ISL_E10value_typeEPSM_NS1_7vsmem_tEENKUlT_SK_SL_SM_E_clIPiSE_SF_SF_EESJ_SZ_SK_SL_SM_EUlSZ_E0_NS1_11comp_targetILNS1_3genE0ELNS1_11target_archE4294967295ELNS1_3gpuE0ELNS1_3repE0EEENS1_38merge_mergepath_config_static_selectorELNS0_4arch9wavefront6targetE1EEEvSL_,"axG",@progbits,_ZN7rocprim17ROCPRIM_400000_NS6detail17trampoline_kernelINS0_14default_configENS1_38merge_sort_block_merge_config_selectorIiNS0_10empty_typeEEEZZNS1_27merge_sort_block_merge_implIS3_N6thrust23THRUST_200600_302600_NS6detail15normal_iteratorINS9_10device_ptrIiEEEEPS5_jNS1_19radix_merge_compareILb1ELb0EiNS0_19identity_decomposerEEEEE10hipError_tT0_T1_T2_jT3_P12ihipStream_tbPNSt15iterator_traitsISK_E10value_typeEPNSQ_ISL_E10value_typeEPSM_NS1_7vsmem_tEENKUlT_SK_SL_SM_E_clIPiSE_SF_SF_EESJ_SZ_SK_SL_SM_EUlSZ_E0_NS1_11comp_targetILNS1_3genE0ELNS1_11target_archE4294967295ELNS1_3gpuE0ELNS1_3repE0EEENS1_38merge_mergepath_config_static_selectorELNS0_4arch9wavefront6targetE1EEEvSL_,comdat
	.protected	_ZN7rocprim17ROCPRIM_400000_NS6detail17trampoline_kernelINS0_14default_configENS1_38merge_sort_block_merge_config_selectorIiNS0_10empty_typeEEEZZNS1_27merge_sort_block_merge_implIS3_N6thrust23THRUST_200600_302600_NS6detail15normal_iteratorINS9_10device_ptrIiEEEEPS5_jNS1_19radix_merge_compareILb1ELb0EiNS0_19identity_decomposerEEEEE10hipError_tT0_T1_T2_jT3_P12ihipStream_tbPNSt15iterator_traitsISK_E10value_typeEPNSQ_ISL_E10value_typeEPSM_NS1_7vsmem_tEENKUlT_SK_SL_SM_E_clIPiSE_SF_SF_EESJ_SZ_SK_SL_SM_EUlSZ_E0_NS1_11comp_targetILNS1_3genE0ELNS1_11target_archE4294967295ELNS1_3gpuE0ELNS1_3repE0EEENS1_38merge_mergepath_config_static_selectorELNS0_4arch9wavefront6targetE1EEEvSL_ ; -- Begin function _ZN7rocprim17ROCPRIM_400000_NS6detail17trampoline_kernelINS0_14default_configENS1_38merge_sort_block_merge_config_selectorIiNS0_10empty_typeEEEZZNS1_27merge_sort_block_merge_implIS3_N6thrust23THRUST_200600_302600_NS6detail15normal_iteratorINS9_10device_ptrIiEEEEPS5_jNS1_19radix_merge_compareILb1ELb0EiNS0_19identity_decomposerEEEEE10hipError_tT0_T1_T2_jT3_P12ihipStream_tbPNSt15iterator_traitsISK_E10value_typeEPNSQ_ISL_E10value_typeEPSM_NS1_7vsmem_tEENKUlT_SK_SL_SM_E_clIPiSE_SF_SF_EESJ_SZ_SK_SL_SM_EUlSZ_E0_NS1_11comp_targetILNS1_3genE0ELNS1_11target_archE4294967295ELNS1_3gpuE0ELNS1_3repE0EEENS1_38merge_mergepath_config_static_selectorELNS0_4arch9wavefront6targetE1EEEvSL_
	.globl	_ZN7rocprim17ROCPRIM_400000_NS6detail17trampoline_kernelINS0_14default_configENS1_38merge_sort_block_merge_config_selectorIiNS0_10empty_typeEEEZZNS1_27merge_sort_block_merge_implIS3_N6thrust23THRUST_200600_302600_NS6detail15normal_iteratorINS9_10device_ptrIiEEEEPS5_jNS1_19radix_merge_compareILb1ELb0EiNS0_19identity_decomposerEEEEE10hipError_tT0_T1_T2_jT3_P12ihipStream_tbPNSt15iterator_traitsISK_E10value_typeEPNSQ_ISL_E10value_typeEPSM_NS1_7vsmem_tEENKUlT_SK_SL_SM_E_clIPiSE_SF_SF_EESJ_SZ_SK_SL_SM_EUlSZ_E0_NS1_11comp_targetILNS1_3genE0ELNS1_11target_archE4294967295ELNS1_3gpuE0ELNS1_3repE0EEENS1_38merge_mergepath_config_static_selectorELNS0_4arch9wavefront6targetE1EEEvSL_
	.p2align	8
	.type	_ZN7rocprim17ROCPRIM_400000_NS6detail17trampoline_kernelINS0_14default_configENS1_38merge_sort_block_merge_config_selectorIiNS0_10empty_typeEEEZZNS1_27merge_sort_block_merge_implIS3_N6thrust23THRUST_200600_302600_NS6detail15normal_iteratorINS9_10device_ptrIiEEEEPS5_jNS1_19radix_merge_compareILb1ELb0EiNS0_19identity_decomposerEEEEE10hipError_tT0_T1_T2_jT3_P12ihipStream_tbPNSt15iterator_traitsISK_E10value_typeEPNSQ_ISL_E10value_typeEPSM_NS1_7vsmem_tEENKUlT_SK_SL_SM_E_clIPiSE_SF_SF_EESJ_SZ_SK_SL_SM_EUlSZ_E0_NS1_11comp_targetILNS1_3genE0ELNS1_11target_archE4294967295ELNS1_3gpuE0ELNS1_3repE0EEENS1_38merge_mergepath_config_static_selectorELNS0_4arch9wavefront6targetE1EEEvSL_,@function
_ZN7rocprim17ROCPRIM_400000_NS6detail17trampoline_kernelINS0_14default_configENS1_38merge_sort_block_merge_config_selectorIiNS0_10empty_typeEEEZZNS1_27merge_sort_block_merge_implIS3_N6thrust23THRUST_200600_302600_NS6detail15normal_iteratorINS9_10device_ptrIiEEEEPS5_jNS1_19radix_merge_compareILb1ELb0EiNS0_19identity_decomposerEEEEE10hipError_tT0_T1_T2_jT3_P12ihipStream_tbPNSt15iterator_traitsISK_E10value_typeEPNSQ_ISL_E10value_typeEPSM_NS1_7vsmem_tEENKUlT_SK_SL_SM_E_clIPiSE_SF_SF_EESJ_SZ_SK_SL_SM_EUlSZ_E0_NS1_11comp_targetILNS1_3genE0ELNS1_11target_archE4294967295ELNS1_3gpuE0ELNS1_3repE0EEENS1_38merge_mergepath_config_static_selectorELNS0_4arch9wavefront6targetE1EEEvSL_: ; @_ZN7rocprim17ROCPRIM_400000_NS6detail17trampoline_kernelINS0_14default_configENS1_38merge_sort_block_merge_config_selectorIiNS0_10empty_typeEEEZZNS1_27merge_sort_block_merge_implIS3_N6thrust23THRUST_200600_302600_NS6detail15normal_iteratorINS9_10device_ptrIiEEEEPS5_jNS1_19radix_merge_compareILb1ELb0EiNS0_19identity_decomposerEEEEE10hipError_tT0_T1_T2_jT3_P12ihipStream_tbPNSt15iterator_traitsISK_E10value_typeEPNSQ_ISL_E10value_typeEPSM_NS1_7vsmem_tEENKUlT_SK_SL_SM_E_clIPiSE_SF_SF_EESJ_SZ_SK_SL_SM_EUlSZ_E0_NS1_11comp_targetILNS1_3genE0ELNS1_11target_archE4294967295ELNS1_3gpuE0ELNS1_3repE0EEENS1_38merge_mergepath_config_static_selectorELNS0_4arch9wavefront6targetE1EEEvSL_
; %bb.0:
	s_load_dwordx2 s[12:13], s[0:1], 0x40
	s_load_dword s5, s[0:1], 0x30
	s_add_u32 s8, s0, 64
	s_addc_u32 s9, s1, 0
	s_waitcnt lgkmcnt(0)
	s_mul_i32 s4, s13, s4
	s_add_i32 s3, s4, s3
	s_mul_i32 s3, s3, s12
	s_add_i32 s10, s3, s2
	s_cmp_ge_u32 s10, s5
	s_cbranch_scc1 .LBB230_43
; %bb.1:
	s_load_dwordx2 s[14:15], s[0:1], 0x28
	s_load_dwordx2 s[4:5], s[0:1], 0x38
	;; [unrolled: 1-line block ×3, first 2 shown]
	s_mov_b32 s11, 0
	s_mov_b32 s23, s11
	s_waitcnt lgkmcnt(0)
	s_lshr_b32 s24, s14, 10
	s_cmp_lg_u32 s10, s24
	s_cselect_b64 s[18:19], -1, 0
	s_lshl_b64 s[16:17], s[10:11], 2
	s_add_u32 s4, s4, s16
	s_addc_u32 s5, s5, s17
	s_lshr_b32 s3, s15, 9
	s_and_b32 s3, s3, 0x7ffffe
	s_load_dwordx2 s[20:21], s[4:5], 0x0
	s_sub_i32 s3, 0, s3
	s_and_b32 s4, s10, s3
	s_lshl_b32 s5, s4, 10
	s_lshl_b32 s16, s10, 10
	s_lshl_b32 s4, s4, 11
	s_sub_i32 s13, s16, s5
	s_add_i32 s4, s4, s15
	s_add_i32 s13, s4, s13
	s_waitcnt lgkmcnt(0)
	s_sub_i32 s17, s13, s20
	s_sub_i32 s13, s13, s21
	s_sub_i32 s4, s4, s5
	s_min_u32 s22, s14, s17
	s_addk_i32 s13, 0x400
	s_or_b32 s3, s10, s3
	s_min_u32 s5, s14, s4
	s_add_i32 s4, s4, s15
	s_cmp_eq_u32 s3, -1
	s_cselect_b32 s3, s4, s13
	s_cselect_b32 s4, s5, s21
	s_min_u32 s3, s3, s14
	s_mov_b32 s21, s11
	s_sub_i32 s15, s4, s20
	s_sub_i32 s13, s3, s22
	s_lshl_b64 s[4:5], s[20:21], 2
	s_add_u32 s4, s6, s4
	s_addc_u32 s5, s7, s5
	s_lshl_b64 s[20:21], s[22:23], 2
	s_add_u32 s6, s6, s20
	s_addc_u32 s7, s7, s21
	s_cmp_lt_u32 s2, s12
	v_mov_b32_e32 v11, 0
	s_cselect_b32 s2, 12, 18
	global_load_dword v1, v11, s[8:9] offset:14
	s_add_u32 s2, s8, s2
	s_addc_u32 s3, s9, 0
	global_load_ushort v2, v11, s[2:3]
	s_cmp_eq_u32 s10, s24
	v_lshlrev_b32_e32 v10, 2, v0
	s_waitcnt vmcnt(1)
	v_lshrrev_b32_e32 v3, 16, v1
	v_and_b32_e32 v1, 0xffff, v1
	v_mul_lo_u32 v1, v1, v3
	s_waitcnt vmcnt(0)
	v_mul_lo_u32 v1, v1, v2
	v_add_u32_e32 v14, v1, v0
	v_add_u32_e32 v12, v14, v1
	s_cbranch_scc1 .LBB230_3
; %bb.2:
	v_subrev_co_u32_e32 v4, vcc, s15, v0
	v_mov_b32_e32 v5, v11
	v_lshl_add_u64 v[2:3], s[4:5], 0, v[10:11]
	v_lshl_add_u64 v[4:5], v[4:5], 2, s[6:7]
	v_cndmask_b32_e32 v3, v5, v3, vcc
	v_cndmask_b32_e32 v2, v4, v2, vcc
	v_mov_b32_e32 v15, v11
	v_subrev_co_u32_e32 v6, vcc, s15, v14
	v_mov_b32_e32 v7, v11
	v_lshl_add_u64 v[4:5], v[14:15], 2, s[4:5]
	v_lshl_add_u64 v[6:7], v[6:7], 2, s[6:7]
	v_cndmask_b32_e32 v5, v7, v5, vcc
	v_cndmask_b32_e32 v4, v6, v4, vcc
	v_mov_b32_e32 v13, v11
	v_subrev_co_u32_e32 v6, vcc, s15, v12
	v_mov_b32_e32 v7, v11
	global_load_dword v2, v[2:3], off
	v_lshl_add_u64 v[6:7], v[6:7], 2, s[6:7]
	global_load_dword v3, v[4:5], off
	v_lshl_add_u64 v[4:5], v[12:13], 2, s[4:5]
	v_cndmask_b32_e32 v4, v6, v4, vcc
	v_add_u32_e32 v6, v12, v1
	v_cndmask_b32_e32 v5, v7, v5, vcc
	v_mov_b32_e32 v7, v11
	v_subrev_co_u32_e32 v16, vcc, s15, v6
	v_mov_b32_e32 v17, v11
	v_lshl_add_u64 v[8:9], v[6:7], 2, s[4:5]
	v_lshl_add_u64 v[16:17], v[16:17], 2, s[6:7]
	v_cndmask_b32_e32 v9, v17, v9, vcc
	v_cndmask_b32_e32 v8, v16, v8, vcc
	global_load_dword v4, v[4:5], off
	v_mov_b32_e32 v17, v11
	global_load_dword v5, v[8:9], off
	v_add_u32_e32 v8, v6, v1
	v_mov_b32_e32 v9, v11
	v_subrev_co_u32_e32 v16, vcc, s15, v8
	v_lshl_add_u64 v[6:7], v[8:9], 2, s[4:5]
	v_lshl_add_u64 v[16:17], v[16:17], 2, s[6:7]
	v_add_u32_e32 v8, v8, v1
	v_cndmask_b32_e32 v7, v17, v7, vcc
	v_cndmask_b32_e32 v6, v16, v6, vcc
	v_subrev_co_u32_e32 v18, vcc, s15, v8
	v_mov_b32_e32 v19, v11
	v_lshl_add_u64 v[16:17], v[8:9], 2, s[4:5]
	v_lshl_add_u64 v[18:19], v[18:19], 2, s[6:7]
	v_cndmask_b32_e32 v17, v19, v17, vcc
	v_cndmask_b32_e32 v16, v18, v16, vcc
	global_load_dword v6, v[6:7], off
	v_mov_b32_e32 v19, v11
	global_load_dword v7, v[16:17], off
	v_add_u32_e32 v16, v8, v1
	v_mov_b32_e32 v17, v11
	v_subrev_co_u32_e32 v18, vcc, s15, v16
	v_lshl_add_u64 v[8:9], v[16:17], 2, s[4:5]
	v_lshl_add_u64 v[18:19], v[18:19], 2, s[6:7]
	v_add_u32_e32 v16, v16, v1
	v_cndmask_b32_e32 v9, v19, v9, vcc
	v_cndmask_b32_e32 v8, v18, v8, vcc
	v_lshl_add_u64 v[18:19], v[16:17], 2, s[4:5]
	v_subrev_co_u32_e32 v16, vcc, s15, v16
	v_lshl_add_u64 v[16:17], v[16:17], 2, s[6:7]
	s_nop 0
	v_cndmask_b32_e32 v17, v17, v19, vcc
	v_cndmask_b32_e32 v16, v16, v18, vcc
	global_load_dword v8, v[8:9], off
	s_add_i32 s17, s13, s15
	global_load_dword v9, v[16:17], off
	s_load_dwordx2 s[20:21], s[0:1], 0x10
	s_cbranch_execz .LBB230_4
	s_branch .LBB230_19
.LBB230_3:
                                        ; implicit-def: $vgpr2_vgpr3_vgpr4_vgpr5_vgpr6_vgpr7_vgpr8_vgpr9
                                        ; implicit-def: $sgpr17
	s_load_dwordx2 s[20:21], s[0:1], 0x10
.LBB230_4:
	s_add_i32 s17, s13, s15
	s_waitcnt vmcnt(7)
	v_mov_b32_e32 v2, 0
	v_cmp_gt_u32_e32 vcc, s17, v0
	s_waitcnt vmcnt(6)
	v_mov_b32_e32 v3, v2
	s_waitcnt vmcnt(5)
	v_mov_b32_e32 v4, v2
	;; [unrolled: 2-line block ×7, first 2 shown]
	s_and_saveexec_b64 s[0:1], vcc
	s_cbranch_execnz .LBB230_44
; %bb.5:
	s_or_b64 exec, exec, s[0:1]
	v_cmp_gt_u32_e32 vcc, s17, v14
	s_and_saveexec_b64 s[0:1], vcc
	s_cbranch_execnz .LBB230_45
.LBB230_6:
	s_or_b64 exec, exec, s[0:1]
	v_cmp_gt_u32_e32 vcc, s17, v12
	s_and_saveexec_b64 s[0:1], vcc
	s_cbranch_execz .LBB230_8
.LBB230_7:
	v_mov_b32_e32 v13, 0
	v_subrev_co_u32_e32 v16, vcc, s15, v12
	v_mov_b32_e32 v17, v13
	v_lshl_add_u64 v[14:15], v[12:13], 2, s[4:5]
	v_lshl_add_u64 v[16:17], v[16:17], 2, s[6:7]
	v_cndmask_b32_e32 v15, v17, v15, vcc
	v_cndmask_b32_e32 v14, v16, v14, vcc
	global_load_dword v4, v[14:15], off
.LBB230_8:
	s_or_b64 exec, exec, s[0:1]
	v_add_u32_e32 v12, v12, v1
	v_cmp_gt_u32_e32 vcc, s17, v12
	s_and_saveexec_b64 s[0:1], vcc
	s_cbranch_execz .LBB230_10
; %bb.9:
	v_mov_b32_e32 v13, 0
	v_subrev_co_u32_e32 v16, vcc, s15, v12
	v_mov_b32_e32 v17, v13
	v_lshl_add_u64 v[14:15], v[12:13], 2, s[4:5]
	v_lshl_add_u64 v[16:17], v[16:17], 2, s[6:7]
	v_cndmask_b32_e32 v15, v17, v15, vcc
	v_cndmask_b32_e32 v14, v16, v14, vcc
	global_load_dword v5, v[14:15], off
.LBB230_10:
	s_or_b64 exec, exec, s[0:1]
	v_add_u32_e32 v12, v12, v1
	v_cmp_gt_u32_e32 vcc, s17, v12
	s_and_saveexec_b64 s[0:1], vcc
	s_cbranch_execz .LBB230_12
; %bb.11:
	v_mov_b32_e32 v13, 0
	v_subrev_co_u32_e32 v16, vcc, s15, v12
	v_mov_b32_e32 v17, v13
	v_lshl_add_u64 v[14:15], v[12:13], 2, s[4:5]
	v_lshl_add_u64 v[16:17], v[16:17], 2, s[6:7]
	v_cndmask_b32_e32 v15, v17, v15, vcc
	v_cndmask_b32_e32 v14, v16, v14, vcc
	global_load_dword v6, v[14:15], off
.LBB230_12:
	;; [unrolled: 15-line block ×4, first 2 shown]
	s_or_b64 exec, exec, s[0:1]
	v_add_u32_e32 v12, v12, v1
	v_cmp_gt_u32_e32 vcc, s17, v12
	s_and_saveexec_b64 s[0:1], vcc
	s_cbranch_execz .LBB230_18
; %bb.17:
	v_mov_b32_e32 v13, 0
	v_lshl_add_u64 v[14:15], v[12:13], 2, s[4:5]
	v_subrev_co_u32_e32 v12, vcc, s15, v12
	v_lshl_add_u64 v[12:13], v[12:13], 2, s[6:7]
	s_nop 0
	v_cndmask_b32_e32 v13, v13, v15, vcc
	v_cndmask_b32_e32 v12, v12, v14, vcc
	global_load_dword v9, v[12:13], off
.LBB230_18:
	s_or_b64 exec, exec, s[0:1]
.LBB230_19:
	v_lshlrev_b32_e32 v1, 3, v0
	v_min_u32_e32 v12, s17, v1
	v_sub_u32_e64 v11, v12, s13 clamp
	v_min_u32_e32 v13, s15, v12
	v_cmp_lt_u32_e32 vcc, v11, v13
	s_waitcnt vmcnt(0)
	ds_write2st64_b32 v10, v2, v3 offset1:2
	ds_write2st64_b32 v10, v4, v5 offset0:4 offset1:6
	ds_write2st64_b32 v10, v6, v7 offset0:8 offset1:10
	;; [unrolled: 1-line block ×3, first 2 shown]
	s_waitcnt lgkmcnt(0)
	s_barrier
	s_and_saveexec_b64 s[0:1], vcc
	s_cbranch_execz .LBB230_23
; %bb.20:
	v_lshlrev_b32_e32 v14, 2, v12
	v_lshl_add_u32 v14, s15, 2, v14
	s_mov_b64 s[2:3], 0
.LBB230_21:                             ; =>This Inner Loop Header: Depth=1
	v_add_u32_e32 v15, v13, v11
	v_lshrrev_b32_e32 v15, 1, v15
	v_not_b32_e32 v16, v15
	v_lshlrev_b32_e32 v17, 2, v15
	v_lshl_add_u32 v16, v16, 2, v14
	ds_read_b32 v17, v17
	ds_read_b32 v16, v16
	v_add_u32_e32 v18, 1, v15
	s_waitcnt lgkmcnt(0)
	v_cmp_gt_i32_e32 vcc, v16, v17
	s_nop 1
	v_cndmask_b32_e32 v13, v13, v15, vcc
	v_cndmask_b32_e32 v11, v18, v11, vcc
	v_cmp_ge_u32_e32 vcc, v11, v13
	s_or_b64 s[2:3], vcc, s[2:3]
	s_andn2_b64 exec, exec, s[2:3]
	s_cbranch_execnz .LBB230_21
; %bb.22:
	s_or_b64 exec, exec, s[2:3]
.LBB230_23:
	s_or_b64 exec, exec, s[0:1]
	v_sub_u32_e32 v12, v12, v11
	v_add_u32_e32 v12, s15, v12
	v_cmp_ge_u32_e32 vcc, s15, v11
	v_cmp_ge_u32_e64 s[0:1], s17, v12
	s_or_b64 s[0:1], vcc, s[0:1]
	s_and_saveexec_b64 s[22:23], s[0:1]
	s_cbranch_execz .LBB230_29
; %bb.24:
	v_cmp_gt_u32_e32 vcc, s15, v11
                                        ; implicit-def: $vgpr2
	s_and_saveexec_b64 s[0:1], vcc
; %bb.25:
	v_lshlrev_b32_e32 v2, 2, v11
	ds_read_b32 v2, v2
; %bb.26:
	s_or_b64 exec, exec, s[0:1]
	v_cmp_le_u32_e64 s[0:1], s17, v12
	v_cmp_gt_u32_e64 s[2:3], s17, v12
                                        ; implicit-def: $vgpr3
	s_and_saveexec_b64 s[4:5], s[2:3]
; %bb.27:
	v_lshlrev_b32_e32 v3, 2, v12
	ds_read_b32 v3, v3
; %bb.28:
	s_or_b64 exec, exec, s[4:5]
	s_waitcnt lgkmcnt(0)
	v_cmp_le_i32_e64 s[2:3], v3, v2
	s_and_b64 s[2:3], vcc, s[2:3]
	s_or_b64 vcc, s[0:1], s[2:3]
	v_mov_b32_e32 v5, s17
	v_mov_b32_e32 v6, s15
	v_cndmask_b32_e32 v4, v12, v11, vcc
	v_cndmask_b32_e32 v7, v5, v6, vcc
	v_add_u32_e32 v4, 1, v4
	v_add_u32_e32 v7, -1, v7
	v_min_u32_e32 v7, v4, v7
	v_lshlrev_b32_e32 v7, 2, v7
	ds_read_b32 v7, v7
	v_cndmask_b32_e32 v9, v4, v12, vcc
	v_cndmask_b32_e32 v4, v11, v4, vcc
	v_cmp_gt_u32_e64 s[2:3], s15, v4
	v_cmp_le_u32_e64 s[0:1], s17, v9
	s_waitcnt lgkmcnt(0)
	v_cndmask_b32_e32 v8, v7, v3, vcc
	v_cndmask_b32_e32 v7, v2, v7, vcc
	v_cmp_le_i32_e64 s[4:5], v8, v7
	s_and_b64 s[2:3], s[2:3], s[4:5]
	s_or_b64 s[0:1], s[0:1], s[2:3]
	v_cndmask_b32_e64 v11, v9, v4, s[0:1]
	v_cndmask_b32_e64 v12, v5, v6, s[0:1]
	v_add_u32_e32 v11, 1, v11
	v_add_u32_e32 v12, -1, v12
	v_min_u32_e32 v12, v11, v12
	v_lshlrev_b32_e32 v12, 2, v12
	ds_read_b32 v12, v12
	v_cndmask_b32_e64 v4, v4, v11, s[0:1]
	v_cndmask_b32_e64 v9, v11, v9, s[0:1]
	v_cmp_gt_u32_e64 s[4:5], s15, v4
	v_cmp_le_u32_e64 s[2:3], s17, v9
	s_waitcnt lgkmcnt(0)
	v_cndmask_b32_e64 v13, v12, v8, s[0:1]
	v_cndmask_b32_e64 v12, v7, v12, s[0:1]
	v_cmp_le_i32_e64 s[6:7], v13, v12
	s_and_b64 s[4:5], s[4:5], s[6:7]
	s_or_b64 s[2:3], s[2:3], s[4:5]
	v_cndmask_b32_e64 v11, v9, v4, s[2:3]
	v_cndmask_b32_e64 v14, v5, v6, s[2:3]
	v_add_u32_e32 v11, 1, v11
	v_add_u32_e32 v14, -1, v14
	v_min_u32_e32 v14, v11, v14
	v_lshlrev_b32_e32 v14, 2, v14
	ds_read_b32 v14, v14
	v_cndmask_b32_e64 v4, v4, v11, s[2:3]
	v_cndmask_b32_e64 v9, v11, v9, s[2:3]
	v_cmp_gt_u32_e64 s[6:7], s15, v4
	v_cmp_le_u32_e64 s[4:5], s17, v9
	s_waitcnt lgkmcnt(0)
	v_cndmask_b32_e64 v15, v14, v13, s[2:3]
	v_cndmask_b32_e64 v14, v12, v14, s[2:3]
	;; [unrolled: 17-line block ×4, first 2 shown]
	v_cmp_le_i32_e64 s[12:13], v19, v18
	s_and_b64 s[10:11], s[10:11], s[12:13]
	s_or_b64 s[8:9], s[8:9], s[10:11]
	v_cndmask_b32_e64 v4, v9, v11, s[8:9]
	v_cndmask_b32_e64 v20, v5, v6, s[8:9]
	v_add_u32_e32 v21, 1, v4
	v_add_u32_e32 v4, -1, v20
	v_min_u32_e32 v4, v21, v4
	v_lshlrev_b32_e32 v4, 2, v4
	ds_read_b32 v20, v4
	v_cndmask_b32_e64 v4, v13, v12, s[2:3]
	v_cndmask_b32_e64 v11, v11, v21, s[8:9]
	v_cndmask_b32_e32 v2, v3, v2, vcc
	v_cndmask_b32_e64 v3, v8, v7, s[0:1]
	s_waitcnt lgkmcnt(0)
	v_cndmask_b32_e64 v12, v20, v19, s[8:9]
	v_cndmask_b32_e64 v13, v18, v20, s[8:9]
	;; [unrolled: 1-line block ×3, first 2 shown]
	v_cmp_gt_u32_e64 s[0:1], s15, v11
	v_cmp_le_i32_e64 s[2:3], v12, v13
	v_cmp_le_u32_e32 vcc, s17, v9
	s_and_b64 s[0:1], s[0:1], s[2:3]
	s_or_b64 vcc, vcc, s[0:1]
	v_cndmask_b32_e32 v7, v9, v11, vcc
	v_cndmask_b32_e32 v5, v5, v6, vcc
	v_add_u32_e32 v20, 1, v7
	v_add_u32_e32 v5, -1, v5
	v_min_u32_e32 v5, v20, v5
	v_lshlrev_b32_e32 v5, 2, v5
	ds_read_b32 v21, v5
	v_cndmask_b32_e32 v8, v12, v13, vcc
	v_cndmask_b32_e32 v11, v11, v20, vcc
	;; [unrolled: 1-line block ×3, first 2 shown]
	v_cmp_gt_u32_e64 s[0:1], s15, v11
	s_waitcnt lgkmcnt(0)
	v_cndmask_b32_e32 v12, v21, v12, vcc
	v_cndmask_b32_e32 v13, v13, v21, vcc
	v_cmp_le_i32_e64 s[2:3], v12, v13
	v_cmp_le_u32_e32 vcc, s17, v9
	s_and_b64 s[0:1], s[0:1], s[2:3]
	s_or_b64 vcc, vcc, s[0:1]
	v_cndmask_b32_e64 v5, v15, v14, s[4:5]
	v_cndmask_b32_e64 v6, v17, v16, s[6:7]
	;; [unrolled: 1-line block ×3, first 2 shown]
	v_cndmask_b32_e32 v9, v12, v13, vcc
.LBB230_29:
	s_or_b64 exec, exec, s[22:23]
	v_and_b32_e32 v11, 0x7c, v0
	v_lshl_add_u32 v1, v1, 2, v11
	s_barrier
	s_barrier
	ds_write2_b32 v1, v2, v3 offset1:1
	ds_write2_b32 v1, v4, v5 offset0:2 offset1:3
	ds_write2_b32 v1, v6, v7 offset0:4 offset1:5
	;; [unrolled: 1-line block ×3, first 2 shown]
	v_lshrrev_b32_e32 v1, 3, v0
	v_and_b32_e32 v1, 12, v1
	v_or_b32_e32 v9, 0x80, v0
	v_add_u32_e32 v12, v1, v10
	v_lshrrev_b32_e32 v1, 3, v9
	v_and_b32_e32 v1, 28, v1
	v_or_b32_e32 v8, 0x100, v0
	v_add_u32_e32 v13, v1, v10
	;; [unrolled: 4-line block ×6, first 2 shown]
	v_lshrrev_b32_e32 v1, 3, v4
	s_mov_b32 s17, 0
	v_and_b32_e32 v1, 0x6c, v1
	s_lshl_b64 s[0:1], s[16:17], 2
	v_add_u32_e32 v18, v1, v10
	v_or_b32_e32 v1, 0x380, v0
	s_add_u32 s0, s20, s0
	v_lshrrev_b32_e32 v2, 3, v1
	s_addc_u32 s1, s21, s1
	v_and_b32_e32 v2, 0x7c, v2
	v_mov_b32_e32 v11, 0
	v_add_u32_e32 v19, v2, v10
	v_lshl_add_u64 v[2:3], s[0:1], 0, v[10:11]
	s_and_b64 vcc, exec, s[18:19]
	s_waitcnt lgkmcnt(0)
	s_cbranch_vccz .LBB230_31
; %bb.30:
	s_barrier
	ds_read_b32 v10, v12
	ds_read_b32 v11, v13 offset:512
	ds_read_b32 v20, v14 offset:1024
	;; [unrolled: 1-line block ×7, first 2 shown]
	s_waitcnt lgkmcnt(7)
	global_store_dword v[2:3], v10, off
	s_waitcnt lgkmcnt(6)
	global_store_dword v[2:3], v11, off offset:512
	s_waitcnt lgkmcnt(5)
	global_store_dword v[2:3], v20, off offset:1024
	;; [unrolled: 2-line block ×6, first 2 shown]
	s_mov_b64 s[0:1], -1
	s_cbranch_execz .LBB230_32
	s_branch .LBB230_41
.LBB230_31:
	s_mov_b64 s[0:1], 0
                                        ; implicit-def: $vgpr22
.LBB230_32:
	s_barrier
	s_waitcnt lgkmcnt(0)
	ds_read_b32 v21, v13 offset:512
	ds_read_b32 v20, v14 offset:1024
	ds_read_b32 v14, v15 offset:1536
	ds_read_b32 v13, v16 offset:2048
	ds_read_b32 v11, v17 offset:2560
	ds_read_b32 v10, v18 offset:3072
	ds_read_b32 v22, v19 offset:3584
	s_sub_i32 s2, s14, s16
	v_cmp_gt_u32_e32 vcc, s2, v0
	s_and_saveexec_b64 s[0:1], vcc
	s_cbranch_execnz .LBB230_46
; %bb.33:
	s_or_b64 exec, exec, s[0:1]
	v_cmp_gt_u32_e32 vcc, s2, v9
	s_and_saveexec_b64 s[0:1], vcc
	s_cbranch_execnz .LBB230_47
.LBB230_34:
	s_or_b64 exec, exec, s[0:1]
	v_cmp_gt_u32_e32 vcc, s2, v8
	s_and_saveexec_b64 s[0:1], vcc
	s_cbranch_execnz .LBB230_48
.LBB230_35:
	s_or_b64 exec, exec, s[0:1]
	v_cmp_gt_u32_e32 vcc, s2, v7
	s_and_saveexec_b64 s[0:1], vcc
	s_cbranch_execnz .LBB230_49
.LBB230_36:
	s_or_b64 exec, exec, s[0:1]
	v_cmp_gt_u32_e32 vcc, s2, v6
	s_and_saveexec_b64 s[0:1], vcc
	s_cbranch_execnz .LBB230_50
.LBB230_37:
	s_or_b64 exec, exec, s[0:1]
	v_cmp_gt_u32_e32 vcc, s2, v5
	s_and_saveexec_b64 s[0:1], vcc
	s_cbranch_execnz .LBB230_51
.LBB230_38:
	s_or_b64 exec, exec, s[0:1]
	v_cmp_gt_u32_e32 vcc, s2, v4
	s_and_saveexec_b64 s[0:1], vcc
	s_cbranch_execz .LBB230_40
.LBB230_39:
	s_waitcnt lgkmcnt(1)
	global_store_dword v[2:3], v10, off offset:3072
.LBB230_40:
	s_or_b64 exec, exec, s[0:1]
	v_cmp_gt_u32_e64 s[0:1], s2, v1
.LBB230_41:
	s_and_saveexec_b64 s[2:3], s[0:1]
	s_cbranch_execz .LBB230_43
; %bb.42:
	s_waitcnt lgkmcnt(0)
	global_store_dword v[2:3], v22, off offset:3584
.LBB230_43:
	s_endpgm
.LBB230_44:
	v_mov_b32_e32 v11, v2
	v_subrev_co_u32_e32 v6, vcc, s15, v0
	v_mov_b32_e32 v7, v2
	v_lshl_add_u64 v[4:5], s[4:5], 0, v[10:11]
	v_lshl_add_u64 v[6:7], v[6:7], 2, s[6:7]
	v_cndmask_b32_e32 v5, v7, v5, vcc
	v_cndmask_b32_e32 v4, v6, v4, vcc
	global_load_dword v16, v[4:5], off
	v_mov_b32_e32 v17, v2
	v_mov_b32_e32 v18, v2
	;; [unrolled: 1-line block ×7, first 2 shown]
	s_waitcnt vmcnt(0)
	v_mov_b64_e32 v[2:3], v[16:17]
	v_mov_b64_e32 v[4:5], v[18:19]
	;; [unrolled: 1-line block ×4, first 2 shown]
	s_or_b64 exec, exec, s[0:1]
	v_cmp_gt_u32_e32 vcc, s17, v14
	s_and_saveexec_b64 s[0:1], vcc
	s_cbranch_execz .LBB230_6
.LBB230_45:
	v_mov_b32_e32 v15, 0
	v_lshl_add_u64 v[16:17], v[14:15], 2, s[4:5]
	v_subrev_co_u32_e32 v14, vcc, s15, v14
	v_lshl_add_u64 v[14:15], v[14:15], 2, s[6:7]
	s_nop 0
	v_cndmask_b32_e32 v15, v15, v17, vcc
	v_cndmask_b32_e32 v14, v14, v16, vcc
	global_load_dword v3, v[14:15], off
	s_or_b64 exec, exec, s[0:1]
	v_cmp_gt_u32_e32 vcc, s17, v12
	s_and_saveexec_b64 s[0:1], vcc
	s_cbranch_execnz .LBB230_7
	s_branch .LBB230_8
.LBB230_46:
	ds_read_b32 v0, v12
	s_waitcnt lgkmcnt(0)
	global_store_dword v[2:3], v0, off
	s_or_b64 exec, exec, s[0:1]
	v_cmp_gt_u32_e32 vcc, s2, v9
	s_and_saveexec_b64 s[0:1], vcc
	s_cbranch_execz .LBB230_34
.LBB230_47:
	s_waitcnt lgkmcnt(6)
	global_store_dword v[2:3], v21, off offset:512
	s_or_b64 exec, exec, s[0:1]
	v_cmp_gt_u32_e32 vcc, s2, v8
	s_and_saveexec_b64 s[0:1], vcc
	s_cbranch_execz .LBB230_35
.LBB230_48:
	s_waitcnt lgkmcnt(5)
	global_store_dword v[2:3], v20, off offset:1024
	s_or_b64 exec, exec, s[0:1]
	v_cmp_gt_u32_e32 vcc, s2, v7
	s_and_saveexec_b64 s[0:1], vcc
	s_cbranch_execz .LBB230_36
.LBB230_49:
	s_waitcnt lgkmcnt(4)
	global_store_dword v[2:3], v14, off offset:1536
	s_or_b64 exec, exec, s[0:1]
	v_cmp_gt_u32_e32 vcc, s2, v6
	s_and_saveexec_b64 s[0:1], vcc
	s_cbranch_execz .LBB230_37
.LBB230_50:
	s_waitcnt lgkmcnt(3)
	global_store_dword v[2:3], v13, off offset:2048
	s_or_b64 exec, exec, s[0:1]
	v_cmp_gt_u32_e32 vcc, s2, v5
	s_and_saveexec_b64 s[0:1], vcc
	s_cbranch_execz .LBB230_38
.LBB230_51:
	s_waitcnt lgkmcnt(2)
	global_store_dword v[2:3], v11, off offset:2560
	s_or_b64 exec, exec, s[0:1]
	v_cmp_gt_u32_e32 vcc, s2, v4
	s_and_saveexec_b64 s[0:1], vcc
	s_cbranch_execnz .LBB230_39
	s_branch .LBB230_40
	.section	.rodata,"a",@progbits
	.p2align	6, 0x0
	.amdhsa_kernel _ZN7rocprim17ROCPRIM_400000_NS6detail17trampoline_kernelINS0_14default_configENS1_38merge_sort_block_merge_config_selectorIiNS0_10empty_typeEEEZZNS1_27merge_sort_block_merge_implIS3_N6thrust23THRUST_200600_302600_NS6detail15normal_iteratorINS9_10device_ptrIiEEEEPS5_jNS1_19radix_merge_compareILb1ELb0EiNS0_19identity_decomposerEEEEE10hipError_tT0_T1_T2_jT3_P12ihipStream_tbPNSt15iterator_traitsISK_E10value_typeEPNSQ_ISL_E10value_typeEPSM_NS1_7vsmem_tEENKUlT_SK_SL_SM_E_clIPiSE_SF_SF_EESJ_SZ_SK_SL_SM_EUlSZ_E0_NS1_11comp_targetILNS1_3genE0ELNS1_11target_archE4294967295ELNS1_3gpuE0ELNS1_3repE0EEENS1_38merge_mergepath_config_static_selectorELNS0_4arch9wavefront6targetE1EEEvSL_
		.amdhsa_group_segment_fixed_size 4224
		.amdhsa_private_segment_fixed_size 0
		.amdhsa_kernarg_size 320
		.amdhsa_user_sgpr_count 2
		.amdhsa_user_sgpr_dispatch_ptr 0
		.amdhsa_user_sgpr_queue_ptr 0
		.amdhsa_user_sgpr_kernarg_segment_ptr 1
		.amdhsa_user_sgpr_dispatch_id 0
		.amdhsa_user_sgpr_kernarg_preload_length 0
		.amdhsa_user_sgpr_kernarg_preload_offset 0
		.amdhsa_user_sgpr_private_segment_size 0
		.amdhsa_uses_dynamic_stack 0
		.amdhsa_enable_private_segment 0
		.amdhsa_system_sgpr_workgroup_id_x 1
		.amdhsa_system_sgpr_workgroup_id_y 1
		.amdhsa_system_sgpr_workgroup_id_z 1
		.amdhsa_system_sgpr_workgroup_info 0
		.amdhsa_system_vgpr_workitem_id 0
		.amdhsa_next_free_vgpr 26
		.amdhsa_next_free_sgpr 25
		.amdhsa_accum_offset 28
		.amdhsa_reserve_vcc 1
		.amdhsa_float_round_mode_32 0
		.amdhsa_float_round_mode_16_64 0
		.amdhsa_float_denorm_mode_32 3
		.amdhsa_float_denorm_mode_16_64 3
		.amdhsa_dx10_clamp 1
		.amdhsa_ieee_mode 1
		.amdhsa_fp16_overflow 0
		.amdhsa_tg_split 0
		.amdhsa_exception_fp_ieee_invalid_op 0
		.amdhsa_exception_fp_denorm_src 0
		.amdhsa_exception_fp_ieee_div_zero 0
		.amdhsa_exception_fp_ieee_overflow 0
		.amdhsa_exception_fp_ieee_underflow 0
		.amdhsa_exception_fp_ieee_inexact 0
		.amdhsa_exception_int_div_zero 0
	.end_amdhsa_kernel
	.section	.text._ZN7rocprim17ROCPRIM_400000_NS6detail17trampoline_kernelINS0_14default_configENS1_38merge_sort_block_merge_config_selectorIiNS0_10empty_typeEEEZZNS1_27merge_sort_block_merge_implIS3_N6thrust23THRUST_200600_302600_NS6detail15normal_iteratorINS9_10device_ptrIiEEEEPS5_jNS1_19radix_merge_compareILb1ELb0EiNS0_19identity_decomposerEEEEE10hipError_tT0_T1_T2_jT3_P12ihipStream_tbPNSt15iterator_traitsISK_E10value_typeEPNSQ_ISL_E10value_typeEPSM_NS1_7vsmem_tEENKUlT_SK_SL_SM_E_clIPiSE_SF_SF_EESJ_SZ_SK_SL_SM_EUlSZ_E0_NS1_11comp_targetILNS1_3genE0ELNS1_11target_archE4294967295ELNS1_3gpuE0ELNS1_3repE0EEENS1_38merge_mergepath_config_static_selectorELNS0_4arch9wavefront6targetE1EEEvSL_,"axG",@progbits,_ZN7rocprim17ROCPRIM_400000_NS6detail17trampoline_kernelINS0_14default_configENS1_38merge_sort_block_merge_config_selectorIiNS0_10empty_typeEEEZZNS1_27merge_sort_block_merge_implIS3_N6thrust23THRUST_200600_302600_NS6detail15normal_iteratorINS9_10device_ptrIiEEEEPS5_jNS1_19radix_merge_compareILb1ELb0EiNS0_19identity_decomposerEEEEE10hipError_tT0_T1_T2_jT3_P12ihipStream_tbPNSt15iterator_traitsISK_E10value_typeEPNSQ_ISL_E10value_typeEPSM_NS1_7vsmem_tEENKUlT_SK_SL_SM_E_clIPiSE_SF_SF_EESJ_SZ_SK_SL_SM_EUlSZ_E0_NS1_11comp_targetILNS1_3genE0ELNS1_11target_archE4294967295ELNS1_3gpuE0ELNS1_3repE0EEENS1_38merge_mergepath_config_static_selectorELNS0_4arch9wavefront6targetE1EEEvSL_,comdat
.Lfunc_end230:
	.size	_ZN7rocprim17ROCPRIM_400000_NS6detail17trampoline_kernelINS0_14default_configENS1_38merge_sort_block_merge_config_selectorIiNS0_10empty_typeEEEZZNS1_27merge_sort_block_merge_implIS3_N6thrust23THRUST_200600_302600_NS6detail15normal_iteratorINS9_10device_ptrIiEEEEPS5_jNS1_19radix_merge_compareILb1ELb0EiNS0_19identity_decomposerEEEEE10hipError_tT0_T1_T2_jT3_P12ihipStream_tbPNSt15iterator_traitsISK_E10value_typeEPNSQ_ISL_E10value_typeEPSM_NS1_7vsmem_tEENKUlT_SK_SL_SM_E_clIPiSE_SF_SF_EESJ_SZ_SK_SL_SM_EUlSZ_E0_NS1_11comp_targetILNS1_3genE0ELNS1_11target_archE4294967295ELNS1_3gpuE0ELNS1_3repE0EEENS1_38merge_mergepath_config_static_selectorELNS0_4arch9wavefront6targetE1EEEvSL_, .Lfunc_end230-_ZN7rocprim17ROCPRIM_400000_NS6detail17trampoline_kernelINS0_14default_configENS1_38merge_sort_block_merge_config_selectorIiNS0_10empty_typeEEEZZNS1_27merge_sort_block_merge_implIS3_N6thrust23THRUST_200600_302600_NS6detail15normal_iteratorINS9_10device_ptrIiEEEEPS5_jNS1_19radix_merge_compareILb1ELb0EiNS0_19identity_decomposerEEEEE10hipError_tT0_T1_T2_jT3_P12ihipStream_tbPNSt15iterator_traitsISK_E10value_typeEPNSQ_ISL_E10value_typeEPSM_NS1_7vsmem_tEENKUlT_SK_SL_SM_E_clIPiSE_SF_SF_EESJ_SZ_SK_SL_SM_EUlSZ_E0_NS1_11comp_targetILNS1_3genE0ELNS1_11target_archE4294967295ELNS1_3gpuE0ELNS1_3repE0EEENS1_38merge_mergepath_config_static_selectorELNS0_4arch9wavefront6targetE1EEEvSL_
                                        ; -- End function
	.set _ZN7rocprim17ROCPRIM_400000_NS6detail17trampoline_kernelINS0_14default_configENS1_38merge_sort_block_merge_config_selectorIiNS0_10empty_typeEEEZZNS1_27merge_sort_block_merge_implIS3_N6thrust23THRUST_200600_302600_NS6detail15normal_iteratorINS9_10device_ptrIiEEEEPS5_jNS1_19radix_merge_compareILb1ELb0EiNS0_19identity_decomposerEEEEE10hipError_tT0_T1_T2_jT3_P12ihipStream_tbPNSt15iterator_traitsISK_E10value_typeEPNSQ_ISL_E10value_typeEPSM_NS1_7vsmem_tEENKUlT_SK_SL_SM_E_clIPiSE_SF_SF_EESJ_SZ_SK_SL_SM_EUlSZ_E0_NS1_11comp_targetILNS1_3genE0ELNS1_11target_archE4294967295ELNS1_3gpuE0ELNS1_3repE0EEENS1_38merge_mergepath_config_static_selectorELNS0_4arch9wavefront6targetE1EEEvSL_.num_vgpr, 26
	.set _ZN7rocprim17ROCPRIM_400000_NS6detail17trampoline_kernelINS0_14default_configENS1_38merge_sort_block_merge_config_selectorIiNS0_10empty_typeEEEZZNS1_27merge_sort_block_merge_implIS3_N6thrust23THRUST_200600_302600_NS6detail15normal_iteratorINS9_10device_ptrIiEEEEPS5_jNS1_19radix_merge_compareILb1ELb0EiNS0_19identity_decomposerEEEEE10hipError_tT0_T1_T2_jT3_P12ihipStream_tbPNSt15iterator_traitsISK_E10value_typeEPNSQ_ISL_E10value_typeEPSM_NS1_7vsmem_tEENKUlT_SK_SL_SM_E_clIPiSE_SF_SF_EESJ_SZ_SK_SL_SM_EUlSZ_E0_NS1_11comp_targetILNS1_3genE0ELNS1_11target_archE4294967295ELNS1_3gpuE0ELNS1_3repE0EEENS1_38merge_mergepath_config_static_selectorELNS0_4arch9wavefront6targetE1EEEvSL_.num_agpr, 0
	.set _ZN7rocprim17ROCPRIM_400000_NS6detail17trampoline_kernelINS0_14default_configENS1_38merge_sort_block_merge_config_selectorIiNS0_10empty_typeEEEZZNS1_27merge_sort_block_merge_implIS3_N6thrust23THRUST_200600_302600_NS6detail15normal_iteratorINS9_10device_ptrIiEEEEPS5_jNS1_19radix_merge_compareILb1ELb0EiNS0_19identity_decomposerEEEEE10hipError_tT0_T1_T2_jT3_P12ihipStream_tbPNSt15iterator_traitsISK_E10value_typeEPNSQ_ISL_E10value_typeEPSM_NS1_7vsmem_tEENKUlT_SK_SL_SM_E_clIPiSE_SF_SF_EESJ_SZ_SK_SL_SM_EUlSZ_E0_NS1_11comp_targetILNS1_3genE0ELNS1_11target_archE4294967295ELNS1_3gpuE0ELNS1_3repE0EEENS1_38merge_mergepath_config_static_selectorELNS0_4arch9wavefront6targetE1EEEvSL_.numbered_sgpr, 25
	.set _ZN7rocprim17ROCPRIM_400000_NS6detail17trampoline_kernelINS0_14default_configENS1_38merge_sort_block_merge_config_selectorIiNS0_10empty_typeEEEZZNS1_27merge_sort_block_merge_implIS3_N6thrust23THRUST_200600_302600_NS6detail15normal_iteratorINS9_10device_ptrIiEEEEPS5_jNS1_19radix_merge_compareILb1ELb0EiNS0_19identity_decomposerEEEEE10hipError_tT0_T1_T2_jT3_P12ihipStream_tbPNSt15iterator_traitsISK_E10value_typeEPNSQ_ISL_E10value_typeEPSM_NS1_7vsmem_tEENKUlT_SK_SL_SM_E_clIPiSE_SF_SF_EESJ_SZ_SK_SL_SM_EUlSZ_E0_NS1_11comp_targetILNS1_3genE0ELNS1_11target_archE4294967295ELNS1_3gpuE0ELNS1_3repE0EEENS1_38merge_mergepath_config_static_selectorELNS0_4arch9wavefront6targetE1EEEvSL_.num_named_barrier, 0
	.set _ZN7rocprim17ROCPRIM_400000_NS6detail17trampoline_kernelINS0_14default_configENS1_38merge_sort_block_merge_config_selectorIiNS0_10empty_typeEEEZZNS1_27merge_sort_block_merge_implIS3_N6thrust23THRUST_200600_302600_NS6detail15normal_iteratorINS9_10device_ptrIiEEEEPS5_jNS1_19radix_merge_compareILb1ELb0EiNS0_19identity_decomposerEEEEE10hipError_tT0_T1_T2_jT3_P12ihipStream_tbPNSt15iterator_traitsISK_E10value_typeEPNSQ_ISL_E10value_typeEPSM_NS1_7vsmem_tEENKUlT_SK_SL_SM_E_clIPiSE_SF_SF_EESJ_SZ_SK_SL_SM_EUlSZ_E0_NS1_11comp_targetILNS1_3genE0ELNS1_11target_archE4294967295ELNS1_3gpuE0ELNS1_3repE0EEENS1_38merge_mergepath_config_static_selectorELNS0_4arch9wavefront6targetE1EEEvSL_.private_seg_size, 0
	.set _ZN7rocprim17ROCPRIM_400000_NS6detail17trampoline_kernelINS0_14default_configENS1_38merge_sort_block_merge_config_selectorIiNS0_10empty_typeEEEZZNS1_27merge_sort_block_merge_implIS3_N6thrust23THRUST_200600_302600_NS6detail15normal_iteratorINS9_10device_ptrIiEEEEPS5_jNS1_19radix_merge_compareILb1ELb0EiNS0_19identity_decomposerEEEEE10hipError_tT0_T1_T2_jT3_P12ihipStream_tbPNSt15iterator_traitsISK_E10value_typeEPNSQ_ISL_E10value_typeEPSM_NS1_7vsmem_tEENKUlT_SK_SL_SM_E_clIPiSE_SF_SF_EESJ_SZ_SK_SL_SM_EUlSZ_E0_NS1_11comp_targetILNS1_3genE0ELNS1_11target_archE4294967295ELNS1_3gpuE0ELNS1_3repE0EEENS1_38merge_mergepath_config_static_selectorELNS0_4arch9wavefront6targetE1EEEvSL_.uses_vcc, 1
	.set _ZN7rocprim17ROCPRIM_400000_NS6detail17trampoline_kernelINS0_14default_configENS1_38merge_sort_block_merge_config_selectorIiNS0_10empty_typeEEEZZNS1_27merge_sort_block_merge_implIS3_N6thrust23THRUST_200600_302600_NS6detail15normal_iteratorINS9_10device_ptrIiEEEEPS5_jNS1_19radix_merge_compareILb1ELb0EiNS0_19identity_decomposerEEEEE10hipError_tT0_T1_T2_jT3_P12ihipStream_tbPNSt15iterator_traitsISK_E10value_typeEPNSQ_ISL_E10value_typeEPSM_NS1_7vsmem_tEENKUlT_SK_SL_SM_E_clIPiSE_SF_SF_EESJ_SZ_SK_SL_SM_EUlSZ_E0_NS1_11comp_targetILNS1_3genE0ELNS1_11target_archE4294967295ELNS1_3gpuE0ELNS1_3repE0EEENS1_38merge_mergepath_config_static_selectorELNS0_4arch9wavefront6targetE1EEEvSL_.uses_flat_scratch, 0
	.set _ZN7rocprim17ROCPRIM_400000_NS6detail17trampoline_kernelINS0_14default_configENS1_38merge_sort_block_merge_config_selectorIiNS0_10empty_typeEEEZZNS1_27merge_sort_block_merge_implIS3_N6thrust23THRUST_200600_302600_NS6detail15normal_iteratorINS9_10device_ptrIiEEEEPS5_jNS1_19radix_merge_compareILb1ELb0EiNS0_19identity_decomposerEEEEE10hipError_tT0_T1_T2_jT3_P12ihipStream_tbPNSt15iterator_traitsISK_E10value_typeEPNSQ_ISL_E10value_typeEPSM_NS1_7vsmem_tEENKUlT_SK_SL_SM_E_clIPiSE_SF_SF_EESJ_SZ_SK_SL_SM_EUlSZ_E0_NS1_11comp_targetILNS1_3genE0ELNS1_11target_archE4294967295ELNS1_3gpuE0ELNS1_3repE0EEENS1_38merge_mergepath_config_static_selectorELNS0_4arch9wavefront6targetE1EEEvSL_.has_dyn_sized_stack, 0
	.set _ZN7rocprim17ROCPRIM_400000_NS6detail17trampoline_kernelINS0_14default_configENS1_38merge_sort_block_merge_config_selectorIiNS0_10empty_typeEEEZZNS1_27merge_sort_block_merge_implIS3_N6thrust23THRUST_200600_302600_NS6detail15normal_iteratorINS9_10device_ptrIiEEEEPS5_jNS1_19radix_merge_compareILb1ELb0EiNS0_19identity_decomposerEEEEE10hipError_tT0_T1_T2_jT3_P12ihipStream_tbPNSt15iterator_traitsISK_E10value_typeEPNSQ_ISL_E10value_typeEPSM_NS1_7vsmem_tEENKUlT_SK_SL_SM_E_clIPiSE_SF_SF_EESJ_SZ_SK_SL_SM_EUlSZ_E0_NS1_11comp_targetILNS1_3genE0ELNS1_11target_archE4294967295ELNS1_3gpuE0ELNS1_3repE0EEENS1_38merge_mergepath_config_static_selectorELNS0_4arch9wavefront6targetE1EEEvSL_.has_recursion, 0
	.set _ZN7rocprim17ROCPRIM_400000_NS6detail17trampoline_kernelINS0_14default_configENS1_38merge_sort_block_merge_config_selectorIiNS0_10empty_typeEEEZZNS1_27merge_sort_block_merge_implIS3_N6thrust23THRUST_200600_302600_NS6detail15normal_iteratorINS9_10device_ptrIiEEEEPS5_jNS1_19radix_merge_compareILb1ELb0EiNS0_19identity_decomposerEEEEE10hipError_tT0_T1_T2_jT3_P12ihipStream_tbPNSt15iterator_traitsISK_E10value_typeEPNSQ_ISL_E10value_typeEPSM_NS1_7vsmem_tEENKUlT_SK_SL_SM_E_clIPiSE_SF_SF_EESJ_SZ_SK_SL_SM_EUlSZ_E0_NS1_11comp_targetILNS1_3genE0ELNS1_11target_archE4294967295ELNS1_3gpuE0ELNS1_3repE0EEENS1_38merge_mergepath_config_static_selectorELNS0_4arch9wavefront6targetE1EEEvSL_.has_indirect_call, 0
	.section	.AMDGPU.csdata,"",@progbits
; Kernel info:
; codeLenInByte = 3276
; TotalNumSgprs: 31
; NumVgprs: 26
; NumAgprs: 0
; TotalNumVgprs: 26
; ScratchSize: 0
; MemoryBound: 0
; FloatMode: 240
; IeeeMode: 1
; LDSByteSize: 4224 bytes/workgroup (compile time only)
; SGPRBlocks: 3
; VGPRBlocks: 3
; NumSGPRsForWavesPerEU: 31
; NumVGPRsForWavesPerEU: 26
; AccumOffset: 28
; Occupancy: 8
; WaveLimiterHint : 1
; COMPUTE_PGM_RSRC2:SCRATCH_EN: 0
; COMPUTE_PGM_RSRC2:USER_SGPR: 2
; COMPUTE_PGM_RSRC2:TRAP_HANDLER: 0
; COMPUTE_PGM_RSRC2:TGID_X_EN: 1
; COMPUTE_PGM_RSRC2:TGID_Y_EN: 1
; COMPUTE_PGM_RSRC2:TGID_Z_EN: 1
; COMPUTE_PGM_RSRC2:TIDIG_COMP_CNT: 0
; COMPUTE_PGM_RSRC3_GFX90A:ACCUM_OFFSET: 6
; COMPUTE_PGM_RSRC3_GFX90A:TG_SPLIT: 0
	.section	.text._ZN7rocprim17ROCPRIM_400000_NS6detail17trampoline_kernelINS0_14default_configENS1_38merge_sort_block_merge_config_selectorIiNS0_10empty_typeEEEZZNS1_27merge_sort_block_merge_implIS3_N6thrust23THRUST_200600_302600_NS6detail15normal_iteratorINS9_10device_ptrIiEEEEPS5_jNS1_19radix_merge_compareILb1ELb0EiNS0_19identity_decomposerEEEEE10hipError_tT0_T1_T2_jT3_P12ihipStream_tbPNSt15iterator_traitsISK_E10value_typeEPNSQ_ISL_E10value_typeEPSM_NS1_7vsmem_tEENKUlT_SK_SL_SM_E_clIPiSE_SF_SF_EESJ_SZ_SK_SL_SM_EUlSZ_E0_NS1_11comp_targetILNS1_3genE10ELNS1_11target_archE1201ELNS1_3gpuE5ELNS1_3repE0EEENS1_38merge_mergepath_config_static_selectorELNS0_4arch9wavefront6targetE1EEEvSL_,"axG",@progbits,_ZN7rocprim17ROCPRIM_400000_NS6detail17trampoline_kernelINS0_14default_configENS1_38merge_sort_block_merge_config_selectorIiNS0_10empty_typeEEEZZNS1_27merge_sort_block_merge_implIS3_N6thrust23THRUST_200600_302600_NS6detail15normal_iteratorINS9_10device_ptrIiEEEEPS5_jNS1_19radix_merge_compareILb1ELb0EiNS0_19identity_decomposerEEEEE10hipError_tT0_T1_T2_jT3_P12ihipStream_tbPNSt15iterator_traitsISK_E10value_typeEPNSQ_ISL_E10value_typeEPSM_NS1_7vsmem_tEENKUlT_SK_SL_SM_E_clIPiSE_SF_SF_EESJ_SZ_SK_SL_SM_EUlSZ_E0_NS1_11comp_targetILNS1_3genE10ELNS1_11target_archE1201ELNS1_3gpuE5ELNS1_3repE0EEENS1_38merge_mergepath_config_static_selectorELNS0_4arch9wavefront6targetE1EEEvSL_,comdat
	.protected	_ZN7rocprim17ROCPRIM_400000_NS6detail17trampoline_kernelINS0_14default_configENS1_38merge_sort_block_merge_config_selectorIiNS0_10empty_typeEEEZZNS1_27merge_sort_block_merge_implIS3_N6thrust23THRUST_200600_302600_NS6detail15normal_iteratorINS9_10device_ptrIiEEEEPS5_jNS1_19radix_merge_compareILb1ELb0EiNS0_19identity_decomposerEEEEE10hipError_tT0_T1_T2_jT3_P12ihipStream_tbPNSt15iterator_traitsISK_E10value_typeEPNSQ_ISL_E10value_typeEPSM_NS1_7vsmem_tEENKUlT_SK_SL_SM_E_clIPiSE_SF_SF_EESJ_SZ_SK_SL_SM_EUlSZ_E0_NS1_11comp_targetILNS1_3genE10ELNS1_11target_archE1201ELNS1_3gpuE5ELNS1_3repE0EEENS1_38merge_mergepath_config_static_selectorELNS0_4arch9wavefront6targetE1EEEvSL_ ; -- Begin function _ZN7rocprim17ROCPRIM_400000_NS6detail17trampoline_kernelINS0_14default_configENS1_38merge_sort_block_merge_config_selectorIiNS0_10empty_typeEEEZZNS1_27merge_sort_block_merge_implIS3_N6thrust23THRUST_200600_302600_NS6detail15normal_iteratorINS9_10device_ptrIiEEEEPS5_jNS1_19radix_merge_compareILb1ELb0EiNS0_19identity_decomposerEEEEE10hipError_tT0_T1_T2_jT3_P12ihipStream_tbPNSt15iterator_traitsISK_E10value_typeEPNSQ_ISL_E10value_typeEPSM_NS1_7vsmem_tEENKUlT_SK_SL_SM_E_clIPiSE_SF_SF_EESJ_SZ_SK_SL_SM_EUlSZ_E0_NS1_11comp_targetILNS1_3genE10ELNS1_11target_archE1201ELNS1_3gpuE5ELNS1_3repE0EEENS1_38merge_mergepath_config_static_selectorELNS0_4arch9wavefront6targetE1EEEvSL_
	.globl	_ZN7rocprim17ROCPRIM_400000_NS6detail17trampoline_kernelINS0_14default_configENS1_38merge_sort_block_merge_config_selectorIiNS0_10empty_typeEEEZZNS1_27merge_sort_block_merge_implIS3_N6thrust23THRUST_200600_302600_NS6detail15normal_iteratorINS9_10device_ptrIiEEEEPS5_jNS1_19radix_merge_compareILb1ELb0EiNS0_19identity_decomposerEEEEE10hipError_tT0_T1_T2_jT3_P12ihipStream_tbPNSt15iterator_traitsISK_E10value_typeEPNSQ_ISL_E10value_typeEPSM_NS1_7vsmem_tEENKUlT_SK_SL_SM_E_clIPiSE_SF_SF_EESJ_SZ_SK_SL_SM_EUlSZ_E0_NS1_11comp_targetILNS1_3genE10ELNS1_11target_archE1201ELNS1_3gpuE5ELNS1_3repE0EEENS1_38merge_mergepath_config_static_selectorELNS0_4arch9wavefront6targetE1EEEvSL_
	.p2align	8
	.type	_ZN7rocprim17ROCPRIM_400000_NS6detail17trampoline_kernelINS0_14default_configENS1_38merge_sort_block_merge_config_selectorIiNS0_10empty_typeEEEZZNS1_27merge_sort_block_merge_implIS3_N6thrust23THRUST_200600_302600_NS6detail15normal_iteratorINS9_10device_ptrIiEEEEPS5_jNS1_19radix_merge_compareILb1ELb0EiNS0_19identity_decomposerEEEEE10hipError_tT0_T1_T2_jT3_P12ihipStream_tbPNSt15iterator_traitsISK_E10value_typeEPNSQ_ISL_E10value_typeEPSM_NS1_7vsmem_tEENKUlT_SK_SL_SM_E_clIPiSE_SF_SF_EESJ_SZ_SK_SL_SM_EUlSZ_E0_NS1_11comp_targetILNS1_3genE10ELNS1_11target_archE1201ELNS1_3gpuE5ELNS1_3repE0EEENS1_38merge_mergepath_config_static_selectorELNS0_4arch9wavefront6targetE1EEEvSL_,@function
_ZN7rocprim17ROCPRIM_400000_NS6detail17trampoline_kernelINS0_14default_configENS1_38merge_sort_block_merge_config_selectorIiNS0_10empty_typeEEEZZNS1_27merge_sort_block_merge_implIS3_N6thrust23THRUST_200600_302600_NS6detail15normal_iteratorINS9_10device_ptrIiEEEEPS5_jNS1_19radix_merge_compareILb1ELb0EiNS0_19identity_decomposerEEEEE10hipError_tT0_T1_T2_jT3_P12ihipStream_tbPNSt15iterator_traitsISK_E10value_typeEPNSQ_ISL_E10value_typeEPSM_NS1_7vsmem_tEENKUlT_SK_SL_SM_E_clIPiSE_SF_SF_EESJ_SZ_SK_SL_SM_EUlSZ_E0_NS1_11comp_targetILNS1_3genE10ELNS1_11target_archE1201ELNS1_3gpuE5ELNS1_3repE0EEENS1_38merge_mergepath_config_static_selectorELNS0_4arch9wavefront6targetE1EEEvSL_: ; @_ZN7rocprim17ROCPRIM_400000_NS6detail17trampoline_kernelINS0_14default_configENS1_38merge_sort_block_merge_config_selectorIiNS0_10empty_typeEEEZZNS1_27merge_sort_block_merge_implIS3_N6thrust23THRUST_200600_302600_NS6detail15normal_iteratorINS9_10device_ptrIiEEEEPS5_jNS1_19radix_merge_compareILb1ELb0EiNS0_19identity_decomposerEEEEE10hipError_tT0_T1_T2_jT3_P12ihipStream_tbPNSt15iterator_traitsISK_E10value_typeEPNSQ_ISL_E10value_typeEPSM_NS1_7vsmem_tEENKUlT_SK_SL_SM_E_clIPiSE_SF_SF_EESJ_SZ_SK_SL_SM_EUlSZ_E0_NS1_11comp_targetILNS1_3genE10ELNS1_11target_archE1201ELNS1_3gpuE5ELNS1_3repE0EEENS1_38merge_mergepath_config_static_selectorELNS0_4arch9wavefront6targetE1EEEvSL_
; %bb.0:
	.section	.rodata,"a",@progbits
	.p2align	6, 0x0
	.amdhsa_kernel _ZN7rocprim17ROCPRIM_400000_NS6detail17trampoline_kernelINS0_14default_configENS1_38merge_sort_block_merge_config_selectorIiNS0_10empty_typeEEEZZNS1_27merge_sort_block_merge_implIS3_N6thrust23THRUST_200600_302600_NS6detail15normal_iteratorINS9_10device_ptrIiEEEEPS5_jNS1_19radix_merge_compareILb1ELb0EiNS0_19identity_decomposerEEEEE10hipError_tT0_T1_T2_jT3_P12ihipStream_tbPNSt15iterator_traitsISK_E10value_typeEPNSQ_ISL_E10value_typeEPSM_NS1_7vsmem_tEENKUlT_SK_SL_SM_E_clIPiSE_SF_SF_EESJ_SZ_SK_SL_SM_EUlSZ_E0_NS1_11comp_targetILNS1_3genE10ELNS1_11target_archE1201ELNS1_3gpuE5ELNS1_3repE0EEENS1_38merge_mergepath_config_static_selectorELNS0_4arch9wavefront6targetE1EEEvSL_
		.amdhsa_group_segment_fixed_size 0
		.amdhsa_private_segment_fixed_size 0
		.amdhsa_kernarg_size 64
		.amdhsa_user_sgpr_count 2
		.amdhsa_user_sgpr_dispatch_ptr 0
		.amdhsa_user_sgpr_queue_ptr 0
		.amdhsa_user_sgpr_kernarg_segment_ptr 1
		.amdhsa_user_sgpr_dispatch_id 0
		.amdhsa_user_sgpr_kernarg_preload_length 0
		.amdhsa_user_sgpr_kernarg_preload_offset 0
		.amdhsa_user_sgpr_private_segment_size 0
		.amdhsa_uses_dynamic_stack 0
		.amdhsa_enable_private_segment 0
		.amdhsa_system_sgpr_workgroup_id_x 1
		.amdhsa_system_sgpr_workgroup_id_y 0
		.amdhsa_system_sgpr_workgroup_id_z 0
		.amdhsa_system_sgpr_workgroup_info 0
		.amdhsa_system_vgpr_workitem_id 0
		.amdhsa_next_free_vgpr 1
		.amdhsa_next_free_sgpr 0
		.amdhsa_accum_offset 4
		.amdhsa_reserve_vcc 0
		.amdhsa_float_round_mode_32 0
		.amdhsa_float_round_mode_16_64 0
		.amdhsa_float_denorm_mode_32 3
		.amdhsa_float_denorm_mode_16_64 3
		.amdhsa_dx10_clamp 1
		.amdhsa_ieee_mode 1
		.amdhsa_fp16_overflow 0
		.amdhsa_tg_split 0
		.amdhsa_exception_fp_ieee_invalid_op 0
		.amdhsa_exception_fp_denorm_src 0
		.amdhsa_exception_fp_ieee_div_zero 0
		.amdhsa_exception_fp_ieee_overflow 0
		.amdhsa_exception_fp_ieee_underflow 0
		.amdhsa_exception_fp_ieee_inexact 0
		.amdhsa_exception_int_div_zero 0
	.end_amdhsa_kernel
	.section	.text._ZN7rocprim17ROCPRIM_400000_NS6detail17trampoline_kernelINS0_14default_configENS1_38merge_sort_block_merge_config_selectorIiNS0_10empty_typeEEEZZNS1_27merge_sort_block_merge_implIS3_N6thrust23THRUST_200600_302600_NS6detail15normal_iteratorINS9_10device_ptrIiEEEEPS5_jNS1_19radix_merge_compareILb1ELb0EiNS0_19identity_decomposerEEEEE10hipError_tT0_T1_T2_jT3_P12ihipStream_tbPNSt15iterator_traitsISK_E10value_typeEPNSQ_ISL_E10value_typeEPSM_NS1_7vsmem_tEENKUlT_SK_SL_SM_E_clIPiSE_SF_SF_EESJ_SZ_SK_SL_SM_EUlSZ_E0_NS1_11comp_targetILNS1_3genE10ELNS1_11target_archE1201ELNS1_3gpuE5ELNS1_3repE0EEENS1_38merge_mergepath_config_static_selectorELNS0_4arch9wavefront6targetE1EEEvSL_,"axG",@progbits,_ZN7rocprim17ROCPRIM_400000_NS6detail17trampoline_kernelINS0_14default_configENS1_38merge_sort_block_merge_config_selectorIiNS0_10empty_typeEEEZZNS1_27merge_sort_block_merge_implIS3_N6thrust23THRUST_200600_302600_NS6detail15normal_iteratorINS9_10device_ptrIiEEEEPS5_jNS1_19radix_merge_compareILb1ELb0EiNS0_19identity_decomposerEEEEE10hipError_tT0_T1_T2_jT3_P12ihipStream_tbPNSt15iterator_traitsISK_E10value_typeEPNSQ_ISL_E10value_typeEPSM_NS1_7vsmem_tEENKUlT_SK_SL_SM_E_clIPiSE_SF_SF_EESJ_SZ_SK_SL_SM_EUlSZ_E0_NS1_11comp_targetILNS1_3genE10ELNS1_11target_archE1201ELNS1_3gpuE5ELNS1_3repE0EEENS1_38merge_mergepath_config_static_selectorELNS0_4arch9wavefront6targetE1EEEvSL_,comdat
.Lfunc_end231:
	.size	_ZN7rocprim17ROCPRIM_400000_NS6detail17trampoline_kernelINS0_14default_configENS1_38merge_sort_block_merge_config_selectorIiNS0_10empty_typeEEEZZNS1_27merge_sort_block_merge_implIS3_N6thrust23THRUST_200600_302600_NS6detail15normal_iteratorINS9_10device_ptrIiEEEEPS5_jNS1_19radix_merge_compareILb1ELb0EiNS0_19identity_decomposerEEEEE10hipError_tT0_T1_T2_jT3_P12ihipStream_tbPNSt15iterator_traitsISK_E10value_typeEPNSQ_ISL_E10value_typeEPSM_NS1_7vsmem_tEENKUlT_SK_SL_SM_E_clIPiSE_SF_SF_EESJ_SZ_SK_SL_SM_EUlSZ_E0_NS1_11comp_targetILNS1_3genE10ELNS1_11target_archE1201ELNS1_3gpuE5ELNS1_3repE0EEENS1_38merge_mergepath_config_static_selectorELNS0_4arch9wavefront6targetE1EEEvSL_, .Lfunc_end231-_ZN7rocprim17ROCPRIM_400000_NS6detail17trampoline_kernelINS0_14default_configENS1_38merge_sort_block_merge_config_selectorIiNS0_10empty_typeEEEZZNS1_27merge_sort_block_merge_implIS3_N6thrust23THRUST_200600_302600_NS6detail15normal_iteratorINS9_10device_ptrIiEEEEPS5_jNS1_19radix_merge_compareILb1ELb0EiNS0_19identity_decomposerEEEEE10hipError_tT0_T1_T2_jT3_P12ihipStream_tbPNSt15iterator_traitsISK_E10value_typeEPNSQ_ISL_E10value_typeEPSM_NS1_7vsmem_tEENKUlT_SK_SL_SM_E_clIPiSE_SF_SF_EESJ_SZ_SK_SL_SM_EUlSZ_E0_NS1_11comp_targetILNS1_3genE10ELNS1_11target_archE1201ELNS1_3gpuE5ELNS1_3repE0EEENS1_38merge_mergepath_config_static_selectorELNS0_4arch9wavefront6targetE1EEEvSL_
                                        ; -- End function
	.set _ZN7rocprim17ROCPRIM_400000_NS6detail17trampoline_kernelINS0_14default_configENS1_38merge_sort_block_merge_config_selectorIiNS0_10empty_typeEEEZZNS1_27merge_sort_block_merge_implIS3_N6thrust23THRUST_200600_302600_NS6detail15normal_iteratorINS9_10device_ptrIiEEEEPS5_jNS1_19radix_merge_compareILb1ELb0EiNS0_19identity_decomposerEEEEE10hipError_tT0_T1_T2_jT3_P12ihipStream_tbPNSt15iterator_traitsISK_E10value_typeEPNSQ_ISL_E10value_typeEPSM_NS1_7vsmem_tEENKUlT_SK_SL_SM_E_clIPiSE_SF_SF_EESJ_SZ_SK_SL_SM_EUlSZ_E0_NS1_11comp_targetILNS1_3genE10ELNS1_11target_archE1201ELNS1_3gpuE5ELNS1_3repE0EEENS1_38merge_mergepath_config_static_selectorELNS0_4arch9wavefront6targetE1EEEvSL_.num_vgpr, 0
	.set _ZN7rocprim17ROCPRIM_400000_NS6detail17trampoline_kernelINS0_14default_configENS1_38merge_sort_block_merge_config_selectorIiNS0_10empty_typeEEEZZNS1_27merge_sort_block_merge_implIS3_N6thrust23THRUST_200600_302600_NS6detail15normal_iteratorINS9_10device_ptrIiEEEEPS5_jNS1_19radix_merge_compareILb1ELb0EiNS0_19identity_decomposerEEEEE10hipError_tT0_T1_T2_jT3_P12ihipStream_tbPNSt15iterator_traitsISK_E10value_typeEPNSQ_ISL_E10value_typeEPSM_NS1_7vsmem_tEENKUlT_SK_SL_SM_E_clIPiSE_SF_SF_EESJ_SZ_SK_SL_SM_EUlSZ_E0_NS1_11comp_targetILNS1_3genE10ELNS1_11target_archE1201ELNS1_3gpuE5ELNS1_3repE0EEENS1_38merge_mergepath_config_static_selectorELNS0_4arch9wavefront6targetE1EEEvSL_.num_agpr, 0
	.set _ZN7rocprim17ROCPRIM_400000_NS6detail17trampoline_kernelINS0_14default_configENS1_38merge_sort_block_merge_config_selectorIiNS0_10empty_typeEEEZZNS1_27merge_sort_block_merge_implIS3_N6thrust23THRUST_200600_302600_NS6detail15normal_iteratorINS9_10device_ptrIiEEEEPS5_jNS1_19radix_merge_compareILb1ELb0EiNS0_19identity_decomposerEEEEE10hipError_tT0_T1_T2_jT3_P12ihipStream_tbPNSt15iterator_traitsISK_E10value_typeEPNSQ_ISL_E10value_typeEPSM_NS1_7vsmem_tEENKUlT_SK_SL_SM_E_clIPiSE_SF_SF_EESJ_SZ_SK_SL_SM_EUlSZ_E0_NS1_11comp_targetILNS1_3genE10ELNS1_11target_archE1201ELNS1_3gpuE5ELNS1_3repE0EEENS1_38merge_mergepath_config_static_selectorELNS0_4arch9wavefront6targetE1EEEvSL_.numbered_sgpr, 0
	.set _ZN7rocprim17ROCPRIM_400000_NS6detail17trampoline_kernelINS0_14default_configENS1_38merge_sort_block_merge_config_selectorIiNS0_10empty_typeEEEZZNS1_27merge_sort_block_merge_implIS3_N6thrust23THRUST_200600_302600_NS6detail15normal_iteratorINS9_10device_ptrIiEEEEPS5_jNS1_19radix_merge_compareILb1ELb0EiNS0_19identity_decomposerEEEEE10hipError_tT0_T1_T2_jT3_P12ihipStream_tbPNSt15iterator_traitsISK_E10value_typeEPNSQ_ISL_E10value_typeEPSM_NS1_7vsmem_tEENKUlT_SK_SL_SM_E_clIPiSE_SF_SF_EESJ_SZ_SK_SL_SM_EUlSZ_E0_NS1_11comp_targetILNS1_3genE10ELNS1_11target_archE1201ELNS1_3gpuE5ELNS1_3repE0EEENS1_38merge_mergepath_config_static_selectorELNS0_4arch9wavefront6targetE1EEEvSL_.num_named_barrier, 0
	.set _ZN7rocprim17ROCPRIM_400000_NS6detail17trampoline_kernelINS0_14default_configENS1_38merge_sort_block_merge_config_selectorIiNS0_10empty_typeEEEZZNS1_27merge_sort_block_merge_implIS3_N6thrust23THRUST_200600_302600_NS6detail15normal_iteratorINS9_10device_ptrIiEEEEPS5_jNS1_19radix_merge_compareILb1ELb0EiNS0_19identity_decomposerEEEEE10hipError_tT0_T1_T2_jT3_P12ihipStream_tbPNSt15iterator_traitsISK_E10value_typeEPNSQ_ISL_E10value_typeEPSM_NS1_7vsmem_tEENKUlT_SK_SL_SM_E_clIPiSE_SF_SF_EESJ_SZ_SK_SL_SM_EUlSZ_E0_NS1_11comp_targetILNS1_3genE10ELNS1_11target_archE1201ELNS1_3gpuE5ELNS1_3repE0EEENS1_38merge_mergepath_config_static_selectorELNS0_4arch9wavefront6targetE1EEEvSL_.private_seg_size, 0
	.set _ZN7rocprim17ROCPRIM_400000_NS6detail17trampoline_kernelINS0_14default_configENS1_38merge_sort_block_merge_config_selectorIiNS0_10empty_typeEEEZZNS1_27merge_sort_block_merge_implIS3_N6thrust23THRUST_200600_302600_NS6detail15normal_iteratorINS9_10device_ptrIiEEEEPS5_jNS1_19radix_merge_compareILb1ELb0EiNS0_19identity_decomposerEEEEE10hipError_tT0_T1_T2_jT3_P12ihipStream_tbPNSt15iterator_traitsISK_E10value_typeEPNSQ_ISL_E10value_typeEPSM_NS1_7vsmem_tEENKUlT_SK_SL_SM_E_clIPiSE_SF_SF_EESJ_SZ_SK_SL_SM_EUlSZ_E0_NS1_11comp_targetILNS1_3genE10ELNS1_11target_archE1201ELNS1_3gpuE5ELNS1_3repE0EEENS1_38merge_mergepath_config_static_selectorELNS0_4arch9wavefront6targetE1EEEvSL_.uses_vcc, 0
	.set _ZN7rocprim17ROCPRIM_400000_NS6detail17trampoline_kernelINS0_14default_configENS1_38merge_sort_block_merge_config_selectorIiNS0_10empty_typeEEEZZNS1_27merge_sort_block_merge_implIS3_N6thrust23THRUST_200600_302600_NS6detail15normal_iteratorINS9_10device_ptrIiEEEEPS5_jNS1_19radix_merge_compareILb1ELb0EiNS0_19identity_decomposerEEEEE10hipError_tT0_T1_T2_jT3_P12ihipStream_tbPNSt15iterator_traitsISK_E10value_typeEPNSQ_ISL_E10value_typeEPSM_NS1_7vsmem_tEENKUlT_SK_SL_SM_E_clIPiSE_SF_SF_EESJ_SZ_SK_SL_SM_EUlSZ_E0_NS1_11comp_targetILNS1_3genE10ELNS1_11target_archE1201ELNS1_3gpuE5ELNS1_3repE0EEENS1_38merge_mergepath_config_static_selectorELNS0_4arch9wavefront6targetE1EEEvSL_.uses_flat_scratch, 0
	.set _ZN7rocprim17ROCPRIM_400000_NS6detail17trampoline_kernelINS0_14default_configENS1_38merge_sort_block_merge_config_selectorIiNS0_10empty_typeEEEZZNS1_27merge_sort_block_merge_implIS3_N6thrust23THRUST_200600_302600_NS6detail15normal_iteratorINS9_10device_ptrIiEEEEPS5_jNS1_19radix_merge_compareILb1ELb0EiNS0_19identity_decomposerEEEEE10hipError_tT0_T1_T2_jT3_P12ihipStream_tbPNSt15iterator_traitsISK_E10value_typeEPNSQ_ISL_E10value_typeEPSM_NS1_7vsmem_tEENKUlT_SK_SL_SM_E_clIPiSE_SF_SF_EESJ_SZ_SK_SL_SM_EUlSZ_E0_NS1_11comp_targetILNS1_3genE10ELNS1_11target_archE1201ELNS1_3gpuE5ELNS1_3repE0EEENS1_38merge_mergepath_config_static_selectorELNS0_4arch9wavefront6targetE1EEEvSL_.has_dyn_sized_stack, 0
	.set _ZN7rocprim17ROCPRIM_400000_NS6detail17trampoline_kernelINS0_14default_configENS1_38merge_sort_block_merge_config_selectorIiNS0_10empty_typeEEEZZNS1_27merge_sort_block_merge_implIS3_N6thrust23THRUST_200600_302600_NS6detail15normal_iteratorINS9_10device_ptrIiEEEEPS5_jNS1_19radix_merge_compareILb1ELb0EiNS0_19identity_decomposerEEEEE10hipError_tT0_T1_T2_jT3_P12ihipStream_tbPNSt15iterator_traitsISK_E10value_typeEPNSQ_ISL_E10value_typeEPSM_NS1_7vsmem_tEENKUlT_SK_SL_SM_E_clIPiSE_SF_SF_EESJ_SZ_SK_SL_SM_EUlSZ_E0_NS1_11comp_targetILNS1_3genE10ELNS1_11target_archE1201ELNS1_3gpuE5ELNS1_3repE0EEENS1_38merge_mergepath_config_static_selectorELNS0_4arch9wavefront6targetE1EEEvSL_.has_recursion, 0
	.set _ZN7rocprim17ROCPRIM_400000_NS6detail17trampoline_kernelINS0_14default_configENS1_38merge_sort_block_merge_config_selectorIiNS0_10empty_typeEEEZZNS1_27merge_sort_block_merge_implIS3_N6thrust23THRUST_200600_302600_NS6detail15normal_iteratorINS9_10device_ptrIiEEEEPS5_jNS1_19radix_merge_compareILb1ELb0EiNS0_19identity_decomposerEEEEE10hipError_tT0_T1_T2_jT3_P12ihipStream_tbPNSt15iterator_traitsISK_E10value_typeEPNSQ_ISL_E10value_typeEPSM_NS1_7vsmem_tEENKUlT_SK_SL_SM_E_clIPiSE_SF_SF_EESJ_SZ_SK_SL_SM_EUlSZ_E0_NS1_11comp_targetILNS1_3genE10ELNS1_11target_archE1201ELNS1_3gpuE5ELNS1_3repE0EEENS1_38merge_mergepath_config_static_selectorELNS0_4arch9wavefront6targetE1EEEvSL_.has_indirect_call, 0
	.section	.AMDGPU.csdata,"",@progbits
; Kernel info:
; codeLenInByte = 0
; TotalNumSgprs: 6
; NumVgprs: 0
; NumAgprs: 0
; TotalNumVgprs: 0
; ScratchSize: 0
; MemoryBound: 0
; FloatMode: 240
; IeeeMode: 1
; LDSByteSize: 0 bytes/workgroup (compile time only)
; SGPRBlocks: 0
; VGPRBlocks: 0
; NumSGPRsForWavesPerEU: 6
; NumVGPRsForWavesPerEU: 1
; AccumOffset: 4
; Occupancy: 8
; WaveLimiterHint : 0
; COMPUTE_PGM_RSRC2:SCRATCH_EN: 0
; COMPUTE_PGM_RSRC2:USER_SGPR: 2
; COMPUTE_PGM_RSRC2:TRAP_HANDLER: 0
; COMPUTE_PGM_RSRC2:TGID_X_EN: 1
; COMPUTE_PGM_RSRC2:TGID_Y_EN: 0
; COMPUTE_PGM_RSRC2:TGID_Z_EN: 0
; COMPUTE_PGM_RSRC2:TIDIG_COMP_CNT: 0
; COMPUTE_PGM_RSRC3_GFX90A:ACCUM_OFFSET: 0
; COMPUTE_PGM_RSRC3_GFX90A:TG_SPLIT: 0
	.section	.text._ZN7rocprim17ROCPRIM_400000_NS6detail17trampoline_kernelINS0_14default_configENS1_38merge_sort_block_merge_config_selectorIiNS0_10empty_typeEEEZZNS1_27merge_sort_block_merge_implIS3_N6thrust23THRUST_200600_302600_NS6detail15normal_iteratorINS9_10device_ptrIiEEEEPS5_jNS1_19radix_merge_compareILb1ELb0EiNS0_19identity_decomposerEEEEE10hipError_tT0_T1_T2_jT3_P12ihipStream_tbPNSt15iterator_traitsISK_E10value_typeEPNSQ_ISL_E10value_typeEPSM_NS1_7vsmem_tEENKUlT_SK_SL_SM_E_clIPiSE_SF_SF_EESJ_SZ_SK_SL_SM_EUlSZ_E0_NS1_11comp_targetILNS1_3genE5ELNS1_11target_archE942ELNS1_3gpuE9ELNS1_3repE0EEENS1_38merge_mergepath_config_static_selectorELNS0_4arch9wavefront6targetE1EEEvSL_,"axG",@progbits,_ZN7rocprim17ROCPRIM_400000_NS6detail17trampoline_kernelINS0_14default_configENS1_38merge_sort_block_merge_config_selectorIiNS0_10empty_typeEEEZZNS1_27merge_sort_block_merge_implIS3_N6thrust23THRUST_200600_302600_NS6detail15normal_iteratorINS9_10device_ptrIiEEEEPS5_jNS1_19radix_merge_compareILb1ELb0EiNS0_19identity_decomposerEEEEE10hipError_tT0_T1_T2_jT3_P12ihipStream_tbPNSt15iterator_traitsISK_E10value_typeEPNSQ_ISL_E10value_typeEPSM_NS1_7vsmem_tEENKUlT_SK_SL_SM_E_clIPiSE_SF_SF_EESJ_SZ_SK_SL_SM_EUlSZ_E0_NS1_11comp_targetILNS1_3genE5ELNS1_11target_archE942ELNS1_3gpuE9ELNS1_3repE0EEENS1_38merge_mergepath_config_static_selectorELNS0_4arch9wavefront6targetE1EEEvSL_,comdat
	.protected	_ZN7rocprim17ROCPRIM_400000_NS6detail17trampoline_kernelINS0_14default_configENS1_38merge_sort_block_merge_config_selectorIiNS0_10empty_typeEEEZZNS1_27merge_sort_block_merge_implIS3_N6thrust23THRUST_200600_302600_NS6detail15normal_iteratorINS9_10device_ptrIiEEEEPS5_jNS1_19radix_merge_compareILb1ELb0EiNS0_19identity_decomposerEEEEE10hipError_tT0_T1_T2_jT3_P12ihipStream_tbPNSt15iterator_traitsISK_E10value_typeEPNSQ_ISL_E10value_typeEPSM_NS1_7vsmem_tEENKUlT_SK_SL_SM_E_clIPiSE_SF_SF_EESJ_SZ_SK_SL_SM_EUlSZ_E0_NS1_11comp_targetILNS1_3genE5ELNS1_11target_archE942ELNS1_3gpuE9ELNS1_3repE0EEENS1_38merge_mergepath_config_static_selectorELNS0_4arch9wavefront6targetE1EEEvSL_ ; -- Begin function _ZN7rocprim17ROCPRIM_400000_NS6detail17trampoline_kernelINS0_14default_configENS1_38merge_sort_block_merge_config_selectorIiNS0_10empty_typeEEEZZNS1_27merge_sort_block_merge_implIS3_N6thrust23THRUST_200600_302600_NS6detail15normal_iteratorINS9_10device_ptrIiEEEEPS5_jNS1_19radix_merge_compareILb1ELb0EiNS0_19identity_decomposerEEEEE10hipError_tT0_T1_T2_jT3_P12ihipStream_tbPNSt15iterator_traitsISK_E10value_typeEPNSQ_ISL_E10value_typeEPSM_NS1_7vsmem_tEENKUlT_SK_SL_SM_E_clIPiSE_SF_SF_EESJ_SZ_SK_SL_SM_EUlSZ_E0_NS1_11comp_targetILNS1_3genE5ELNS1_11target_archE942ELNS1_3gpuE9ELNS1_3repE0EEENS1_38merge_mergepath_config_static_selectorELNS0_4arch9wavefront6targetE1EEEvSL_
	.globl	_ZN7rocprim17ROCPRIM_400000_NS6detail17trampoline_kernelINS0_14default_configENS1_38merge_sort_block_merge_config_selectorIiNS0_10empty_typeEEEZZNS1_27merge_sort_block_merge_implIS3_N6thrust23THRUST_200600_302600_NS6detail15normal_iteratorINS9_10device_ptrIiEEEEPS5_jNS1_19radix_merge_compareILb1ELb0EiNS0_19identity_decomposerEEEEE10hipError_tT0_T1_T2_jT3_P12ihipStream_tbPNSt15iterator_traitsISK_E10value_typeEPNSQ_ISL_E10value_typeEPSM_NS1_7vsmem_tEENKUlT_SK_SL_SM_E_clIPiSE_SF_SF_EESJ_SZ_SK_SL_SM_EUlSZ_E0_NS1_11comp_targetILNS1_3genE5ELNS1_11target_archE942ELNS1_3gpuE9ELNS1_3repE0EEENS1_38merge_mergepath_config_static_selectorELNS0_4arch9wavefront6targetE1EEEvSL_
	.p2align	8
	.type	_ZN7rocprim17ROCPRIM_400000_NS6detail17trampoline_kernelINS0_14default_configENS1_38merge_sort_block_merge_config_selectorIiNS0_10empty_typeEEEZZNS1_27merge_sort_block_merge_implIS3_N6thrust23THRUST_200600_302600_NS6detail15normal_iteratorINS9_10device_ptrIiEEEEPS5_jNS1_19radix_merge_compareILb1ELb0EiNS0_19identity_decomposerEEEEE10hipError_tT0_T1_T2_jT3_P12ihipStream_tbPNSt15iterator_traitsISK_E10value_typeEPNSQ_ISL_E10value_typeEPSM_NS1_7vsmem_tEENKUlT_SK_SL_SM_E_clIPiSE_SF_SF_EESJ_SZ_SK_SL_SM_EUlSZ_E0_NS1_11comp_targetILNS1_3genE5ELNS1_11target_archE942ELNS1_3gpuE9ELNS1_3repE0EEENS1_38merge_mergepath_config_static_selectorELNS0_4arch9wavefront6targetE1EEEvSL_,@function
_ZN7rocprim17ROCPRIM_400000_NS6detail17trampoline_kernelINS0_14default_configENS1_38merge_sort_block_merge_config_selectorIiNS0_10empty_typeEEEZZNS1_27merge_sort_block_merge_implIS3_N6thrust23THRUST_200600_302600_NS6detail15normal_iteratorINS9_10device_ptrIiEEEEPS5_jNS1_19radix_merge_compareILb1ELb0EiNS0_19identity_decomposerEEEEE10hipError_tT0_T1_T2_jT3_P12ihipStream_tbPNSt15iterator_traitsISK_E10value_typeEPNSQ_ISL_E10value_typeEPSM_NS1_7vsmem_tEENKUlT_SK_SL_SM_E_clIPiSE_SF_SF_EESJ_SZ_SK_SL_SM_EUlSZ_E0_NS1_11comp_targetILNS1_3genE5ELNS1_11target_archE942ELNS1_3gpuE9ELNS1_3repE0EEENS1_38merge_mergepath_config_static_selectorELNS0_4arch9wavefront6targetE1EEEvSL_: ; @_ZN7rocprim17ROCPRIM_400000_NS6detail17trampoline_kernelINS0_14default_configENS1_38merge_sort_block_merge_config_selectorIiNS0_10empty_typeEEEZZNS1_27merge_sort_block_merge_implIS3_N6thrust23THRUST_200600_302600_NS6detail15normal_iteratorINS9_10device_ptrIiEEEEPS5_jNS1_19radix_merge_compareILb1ELb0EiNS0_19identity_decomposerEEEEE10hipError_tT0_T1_T2_jT3_P12ihipStream_tbPNSt15iterator_traitsISK_E10value_typeEPNSQ_ISL_E10value_typeEPSM_NS1_7vsmem_tEENKUlT_SK_SL_SM_E_clIPiSE_SF_SF_EESJ_SZ_SK_SL_SM_EUlSZ_E0_NS1_11comp_targetILNS1_3genE5ELNS1_11target_archE942ELNS1_3gpuE9ELNS1_3repE0EEENS1_38merge_mergepath_config_static_selectorELNS0_4arch9wavefront6targetE1EEEvSL_
; %bb.0:
	.section	.rodata,"a",@progbits
	.p2align	6, 0x0
	.amdhsa_kernel _ZN7rocprim17ROCPRIM_400000_NS6detail17trampoline_kernelINS0_14default_configENS1_38merge_sort_block_merge_config_selectorIiNS0_10empty_typeEEEZZNS1_27merge_sort_block_merge_implIS3_N6thrust23THRUST_200600_302600_NS6detail15normal_iteratorINS9_10device_ptrIiEEEEPS5_jNS1_19radix_merge_compareILb1ELb0EiNS0_19identity_decomposerEEEEE10hipError_tT0_T1_T2_jT3_P12ihipStream_tbPNSt15iterator_traitsISK_E10value_typeEPNSQ_ISL_E10value_typeEPSM_NS1_7vsmem_tEENKUlT_SK_SL_SM_E_clIPiSE_SF_SF_EESJ_SZ_SK_SL_SM_EUlSZ_E0_NS1_11comp_targetILNS1_3genE5ELNS1_11target_archE942ELNS1_3gpuE9ELNS1_3repE0EEENS1_38merge_mergepath_config_static_selectorELNS0_4arch9wavefront6targetE1EEEvSL_
		.amdhsa_group_segment_fixed_size 0
		.amdhsa_private_segment_fixed_size 0
		.amdhsa_kernarg_size 64
		.amdhsa_user_sgpr_count 2
		.amdhsa_user_sgpr_dispatch_ptr 0
		.amdhsa_user_sgpr_queue_ptr 0
		.amdhsa_user_sgpr_kernarg_segment_ptr 1
		.amdhsa_user_sgpr_dispatch_id 0
		.amdhsa_user_sgpr_kernarg_preload_length 0
		.amdhsa_user_sgpr_kernarg_preload_offset 0
		.amdhsa_user_sgpr_private_segment_size 0
		.amdhsa_uses_dynamic_stack 0
		.amdhsa_enable_private_segment 0
		.amdhsa_system_sgpr_workgroup_id_x 1
		.amdhsa_system_sgpr_workgroup_id_y 0
		.amdhsa_system_sgpr_workgroup_id_z 0
		.amdhsa_system_sgpr_workgroup_info 0
		.amdhsa_system_vgpr_workitem_id 0
		.amdhsa_next_free_vgpr 1
		.amdhsa_next_free_sgpr 0
		.amdhsa_accum_offset 4
		.amdhsa_reserve_vcc 0
		.amdhsa_float_round_mode_32 0
		.amdhsa_float_round_mode_16_64 0
		.amdhsa_float_denorm_mode_32 3
		.amdhsa_float_denorm_mode_16_64 3
		.amdhsa_dx10_clamp 1
		.amdhsa_ieee_mode 1
		.amdhsa_fp16_overflow 0
		.amdhsa_tg_split 0
		.amdhsa_exception_fp_ieee_invalid_op 0
		.amdhsa_exception_fp_denorm_src 0
		.amdhsa_exception_fp_ieee_div_zero 0
		.amdhsa_exception_fp_ieee_overflow 0
		.amdhsa_exception_fp_ieee_underflow 0
		.amdhsa_exception_fp_ieee_inexact 0
		.amdhsa_exception_int_div_zero 0
	.end_amdhsa_kernel
	.section	.text._ZN7rocprim17ROCPRIM_400000_NS6detail17trampoline_kernelINS0_14default_configENS1_38merge_sort_block_merge_config_selectorIiNS0_10empty_typeEEEZZNS1_27merge_sort_block_merge_implIS3_N6thrust23THRUST_200600_302600_NS6detail15normal_iteratorINS9_10device_ptrIiEEEEPS5_jNS1_19radix_merge_compareILb1ELb0EiNS0_19identity_decomposerEEEEE10hipError_tT0_T1_T2_jT3_P12ihipStream_tbPNSt15iterator_traitsISK_E10value_typeEPNSQ_ISL_E10value_typeEPSM_NS1_7vsmem_tEENKUlT_SK_SL_SM_E_clIPiSE_SF_SF_EESJ_SZ_SK_SL_SM_EUlSZ_E0_NS1_11comp_targetILNS1_3genE5ELNS1_11target_archE942ELNS1_3gpuE9ELNS1_3repE0EEENS1_38merge_mergepath_config_static_selectorELNS0_4arch9wavefront6targetE1EEEvSL_,"axG",@progbits,_ZN7rocprim17ROCPRIM_400000_NS6detail17trampoline_kernelINS0_14default_configENS1_38merge_sort_block_merge_config_selectorIiNS0_10empty_typeEEEZZNS1_27merge_sort_block_merge_implIS3_N6thrust23THRUST_200600_302600_NS6detail15normal_iteratorINS9_10device_ptrIiEEEEPS5_jNS1_19radix_merge_compareILb1ELb0EiNS0_19identity_decomposerEEEEE10hipError_tT0_T1_T2_jT3_P12ihipStream_tbPNSt15iterator_traitsISK_E10value_typeEPNSQ_ISL_E10value_typeEPSM_NS1_7vsmem_tEENKUlT_SK_SL_SM_E_clIPiSE_SF_SF_EESJ_SZ_SK_SL_SM_EUlSZ_E0_NS1_11comp_targetILNS1_3genE5ELNS1_11target_archE942ELNS1_3gpuE9ELNS1_3repE0EEENS1_38merge_mergepath_config_static_selectorELNS0_4arch9wavefront6targetE1EEEvSL_,comdat
.Lfunc_end232:
	.size	_ZN7rocprim17ROCPRIM_400000_NS6detail17trampoline_kernelINS0_14default_configENS1_38merge_sort_block_merge_config_selectorIiNS0_10empty_typeEEEZZNS1_27merge_sort_block_merge_implIS3_N6thrust23THRUST_200600_302600_NS6detail15normal_iteratorINS9_10device_ptrIiEEEEPS5_jNS1_19radix_merge_compareILb1ELb0EiNS0_19identity_decomposerEEEEE10hipError_tT0_T1_T2_jT3_P12ihipStream_tbPNSt15iterator_traitsISK_E10value_typeEPNSQ_ISL_E10value_typeEPSM_NS1_7vsmem_tEENKUlT_SK_SL_SM_E_clIPiSE_SF_SF_EESJ_SZ_SK_SL_SM_EUlSZ_E0_NS1_11comp_targetILNS1_3genE5ELNS1_11target_archE942ELNS1_3gpuE9ELNS1_3repE0EEENS1_38merge_mergepath_config_static_selectorELNS0_4arch9wavefront6targetE1EEEvSL_, .Lfunc_end232-_ZN7rocprim17ROCPRIM_400000_NS6detail17trampoline_kernelINS0_14default_configENS1_38merge_sort_block_merge_config_selectorIiNS0_10empty_typeEEEZZNS1_27merge_sort_block_merge_implIS3_N6thrust23THRUST_200600_302600_NS6detail15normal_iteratorINS9_10device_ptrIiEEEEPS5_jNS1_19radix_merge_compareILb1ELb0EiNS0_19identity_decomposerEEEEE10hipError_tT0_T1_T2_jT3_P12ihipStream_tbPNSt15iterator_traitsISK_E10value_typeEPNSQ_ISL_E10value_typeEPSM_NS1_7vsmem_tEENKUlT_SK_SL_SM_E_clIPiSE_SF_SF_EESJ_SZ_SK_SL_SM_EUlSZ_E0_NS1_11comp_targetILNS1_3genE5ELNS1_11target_archE942ELNS1_3gpuE9ELNS1_3repE0EEENS1_38merge_mergepath_config_static_selectorELNS0_4arch9wavefront6targetE1EEEvSL_
                                        ; -- End function
	.set _ZN7rocprim17ROCPRIM_400000_NS6detail17trampoline_kernelINS0_14default_configENS1_38merge_sort_block_merge_config_selectorIiNS0_10empty_typeEEEZZNS1_27merge_sort_block_merge_implIS3_N6thrust23THRUST_200600_302600_NS6detail15normal_iteratorINS9_10device_ptrIiEEEEPS5_jNS1_19radix_merge_compareILb1ELb0EiNS0_19identity_decomposerEEEEE10hipError_tT0_T1_T2_jT3_P12ihipStream_tbPNSt15iterator_traitsISK_E10value_typeEPNSQ_ISL_E10value_typeEPSM_NS1_7vsmem_tEENKUlT_SK_SL_SM_E_clIPiSE_SF_SF_EESJ_SZ_SK_SL_SM_EUlSZ_E0_NS1_11comp_targetILNS1_3genE5ELNS1_11target_archE942ELNS1_3gpuE9ELNS1_3repE0EEENS1_38merge_mergepath_config_static_selectorELNS0_4arch9wavefront6targetE1EEEvSL_.num_vgpr, 0
	.set _ZN7rocprim17ROCPRIM_400000_NS6detail17trampoline_kernelINS0_14default_configENS1_38merge_sort_block_merge_config_selectorIiNS0_10empty_typeEEEZZNS1_27merge_sort_block_merge_implIS3_N6thrust23THRUST_200600_302600_NS6detail15normal_iteratorINS9_10device_ptrIiEEEEPS5_jNS1_19radix_merge_compareILb1ELb0EiNS0_19identity_decomposerEEEEE10hipError_tT0_T1_T2_jT3_P12ihipStream_tbPNSt15iterator_traitsISK_E10value_typeEPNSQ_ISL_E10value_typeEPSM_NS1_7vsmem_tEENKUlT_SK_SL_SM_E_clIPiSE_SF_SF_EESJ_SZ_SK_SL_SM_EUlSZ_E0_NS1_11comp_targetILNS1_3genE5ELNS1_11target_archE942ELNS1_3gpuE9ELNS1_3repE0EEENS1_38merge_mergepath_config_static_selectorELNS0_4arch9wavefront6targetE1EEEvSL_.num_agpr, 0
	.set _ZN7rocprim17ROCPRIM_400000_NS6detail17trampoline_kernelINS0_14default_configENS1_38merge_sort_block_merge_config_selectorIiNS0_10empty_typeEEEZZNS1_27merge_sort_block_merge_implIS3_N6thrust23THRUST_200600_302600_NS6detail15normal_iteratorINS9_10device_ptrIiEEEEPS5_jNS1_19radix_merge_compareILb1ELb0EiNS0_19identity_decomposerEEEEE10hipError_tT0_T1_T2_jT3_P12ihipStream_tbPNSt15iterator_traitsISK_E10value_typeEPNSQ_ISL_E10value_typeEPSM_NS1_7vsmem_tEENKUlT_SK_SL_SM_E_clIPiSE_SF_SF_EESJ_SZ_SK_SL_SM_EUlSZ_E0_NS1_11comp_targetILNS1_3genE5ELNS1_11target_archE942ELNS1_3gpuE9ELNS1_3repE0EEENS1_38merge_mergepath_config_static_selectorELNS0_4arch9wavefront6targetE1EEEvSL_.numbered_sgpr, 0
	.set _ZN7rocprim17ROCPRIM_400000_NS6detail17trampoline_kernelINS0_14default_configENS1_38merge_sort_block_merge_config_selectorIiNS0_10empty_typeEEEZZNS1_27merge_sort_block_merge_implIS3_N6thrust23THRUST_200600_302600_NS6detail15normal_iteratorINS9_10device_ptrIiEEEEPS5_jNS1_19radix_merge_compareILb1ELb0EiNS0_19identity_decomposerEEEEE10hipError_tT0_T1_T2_jT3_P12ihipStream_tbPNSt15iterator_traitsISK_E10value_typeEPNSQ_ISL_E10value_typeEPSM_NS1_7vsmem_tEENKUlT_SK_SL_SM_E_clIPiSE_SF_SF_EESJ_SZ_SK_SL_SM_EUlSZ_E0_NS1_11comp_targetILNS1_3genE5ELNS1_11target_archE942ELNS1_3gpuE9ELNS1_3repE0EEENS1_38merge_mergepath_config_static_selectorELNS0_4arch9wavefront6targetE1EEEvSL_.num_named_barrier, 0
	.set _ZN7rocprim17ROCPRIM_400000_NS6detail17trampoline_kernelINS0_14default_configENS1_38merge_sort_block_merge_config_selectorIiNS0_10empty_typeEEEZZNS1_27merge_sort_block_merge_implIS3_N6thrust23THRUST_200600_302600_NS6detail15normal_iteratorINS9_10device_ptrIiEEEEPS5_jNS1_19radix_merge_compareILb1ELb0EiNS0_19identity_decomposerEEEEE10hipError_tT0_T1_T2_jT3_P12ihipStream_tbPNSt15iterator_traitsISK_E10value_typeEPNSQ_ISL_E10value_typeEPSM_NS1_7vsmem_tEENKUlT_SK_SL_SM_E_clIPiSE_SF_SF_EESJ_SZ_SK_SL_SM_EUlSZ_E0_NS1_11comp_targetILNS1_3genE5ELNS1_11target_archE942ELNS1_3gpuE9ELNS1_3repE0EEENS1_38merge_mergepath_config_static_selectorELNS0_4arch9wavefront6targetE1EEEvSL_.private_seg_size, 0
	.set _ZN7rocprim17ROCPRIM_400000_NS6detail17trampoline_kernelINS0_14default_configENS1_38merge_sort_block_merge_config_selectorIiNS0_10empty_typeEEEZZNS1_27merge_sort_block_merge_implIS3_N6thrust23THRUST_200600_302600_NS6detail15normal_iteratorINS9_10device_ptrIiEEEEPS5_jNS1_19radix_merge_compareILb1ELb0EiNS0_19identity_decomposerEEEEE10hipError_tT0_T1_T2_jT3_P12ihipStream_tbPNSt15iterator_traitsISK_E10value_typeEPNSQ_ISL_E10value_typeEPSM_NS1_7vsmem_tEENKUlT_SK_SL_SM_E_clIPiSE_SF_SF_EESJ_SZ_SK_SL_SM_EUlSZ_E0_NS1_11comp_targetILNS1_3genE5ELNS1_11target_archE942ELNS1_3gpuE9ELNS1_3repE0EEENS1_38merge_mergepath_config_static_selectorELNS0_4arch9wavefront6targetE1EEEvSL_.uses_vcc, 0
	.set _ZN7rocprim17ROCPRIM_400000_NS6detail17trampoline_kernelINS0_14default_configENS1_38merge_sort_block_merge_config_selectorIiNS0_10empty_typeEEEZZNS1_27merge_sort_block_merge_implIS3_N6thrust23THRUST_200600_302600_NS6detail15normal_iteratorINS9_10device_ptrIiEEEEPS5_jNS1_19radix_merge_compareILb1ELb0EiNS0_19identity_decomposerEEEEE10hipError_tT0_T1_T2_jT3_P12ihipStream_tbPNSt15iterator_traitsISK_E10value_typeEPNSQ_ISL_E10value_typeEPSM_NS1_7vsmem_tEENKUlT_SK_SL_SM_E_clIPiSE_SF_SF_EESJ_SZ_SK_SL_SM_EUlSZ_E0_NS1_11comp_targetILNS1_3genE5ELNS1_11target_archE942ELNS1_3gpuE9ELNS1_3repE0EEENS1_38merge_mergepath_config_static_selectorELNS0_4arch9wavefront6targetE1EEEvSL_.uses_flat_scratch, 0
	.set _ZN7rocprim17ROCPRIM_400000_NS6detail17trampoline_kernelINS0_14default_configENS1_38merge_sort_block_merge_config_selectorIiNS0_10empty_typeEEEZZNS1_27merge_sort_block_merge_implIS3_N6thrust23THRUST_200600_302600_NS6detail15normal_iteratorINS9_10device_ptrIiEEEEPS5_jNS1_19radix_merge_compareILb1ELb0EiNS0_19identity_decomposerEEEEE10hipError_tT0_T1_T2_jT3_P12ihipStream_tbPNSt15iterator_traitsISK_E10value_typeEPNSQ_ISL_E10value_typeEPSM_NS1_7vsmem_tEENKUlT_SK_SL_SM_E_clIPiSE_SF_SF_EESJ_SZ_SK_SL_SM_EUlSZ_E0_NS1_11comp_targetILNS1_3genE5ELNS1_11target_archE942ELNS1_3gpuE9ELNS1_3repE0EEENS1_38merge_mergepath_config_static_selectorELNS0_4arch9wavefront6targetE1EEEvSL_.has_dyn_sized_stack, 0
	.set _ZN7rocprim17ROCPRIM_400000_NS6detail17trampoline_kernelINS0_14default_configENS1_38merge_sort_block_merge_config_selectorIiNS0_10empty_typeEEEZZNS1_27merge_sort_block_merge_implIS3_N6thrust23THRUST_200600_302600_NS6detail15normal_iteratorINS9_10device_ptrIiEEEEPS5_jNS1_19radix_merge_compareILb1ELb0EiNS0_19identity_decomposerEEEEE10hipError_tT0_T1_T2_jT3_P12ihipStream_tbPNSt15iterator_traitsISK_E10value_typeEPNSQ_ISL_E10value_typeEPSM_NS1_7vsmem_tEENKUlT_SK_SL_SM_E_clIPiSE_SF_SF_EESJ_SZ_SK_SL_SM_EUlSZ_E0_NS1_11comp_targetILNS1_3genE5ELNS1_11target_archE942ELNS1_3gpuE9ELNS1_3repE0EEENS1_38merge_mergepath_config_static_selectorELNS0_4arch9wavefront6targetE1EEEvSL_.has_recursion, 0
	.set _ZN7rocprim17ROCPRIM_400000_NS6detail17trampoline_kernelINS0_14default_configENS1_38merge_sort_block_merge_config_selectorIiNS0_10empty_typeEEEZZNS1_27merge_sort_block_merge_implIS3_N6thrust23THRUST_200600_302600_NS6detail15normal_iteratorINS9_10device_ptrIiEEEEPS5_jNS1_19radix_merge_compareILb1ELb0EiNS0_19identity_decomposerEEEEE10hipError_tT0_T1_T2_jT3_P12ihipStream_tbPNSt15iterator_traitsISK_E10value_typeEPNSQ_ISL_E10value_typeEPSM_NS1_7vsmem_tEENKUlT_SK_SL_SM_E_clIPiSE_SF_SF_EESJ_SZ_SK_SL_SM_EUlSZ_E0_NS1_11comp_targetILNS1_3genE5ELNS1_11target_archE942ELNS1_3gpuE9ELNS1_3repE0EEENS1_38merge_mergepath_config_static_selectorELNS0_4arch9wavefront6targetE1EEEvSL_.has_indirect_call, 0
	.section	.AMDGPU.csdata,"",@progbits
; Kernel info:
; codeLenInByte = 0
; TotalNumSgprs: 6
; NumVgprs: 0
; NumAgprs: 0
; TotalNumVgprs: 0
; ScratchSize: 0
; MemoryBound: 0
; FloatMode: 240
; IeeeMode: 1
; LDSByteSize: 0 bytes/workgroup (compile time only)
; SGPRBlocks: 0
; VGPRBlocks: 0
; NumSGPRsForWavesPerEU: 6
; NumVGPRsForWavesPerEU: 1
; AccumOffset: 4
; Occupancy: 8
; WaveLimiterHint : 0
; COMPUTE_PGM_RSRC2:SCRATCH_EN: 0
; COMPUTE_PGM_RSRC2:USER_SGPR: 2
; COMPUTE_PGM_RSRC2:TRAP_HANDLER: 0
; COMPUTE_PGM_RSRC2:TGID_X_EN: 1
; COMPUTE_PGM_RSRC2:TGID_Y_EN: 0
; COMPUTE_PGM_RSRC2:TGID_Z_EN: 0
; COMPUTE_PGM_RSRC2:TIDIG_COMP_CNT: 0
; COMPUTE_PGM_RSRC3_GFX90A:ACCUM_OFFSET: 0
; COMPUTE_PGM_RSRC3_GFX90A:TG_SPLIT: 0
	.section	.text._ZN7rocprim17ROCPRIM_400000_NS6detail17trampoline_kernelINS0_14default_configENS1_38merge_sort_block_merge_config_selectorIiNS0_10empty_typeEEEZZNS1_27merge_sort_block_merge_implIS3_N6thrust23THRUST_200600_302600_NS6detail15normal_iteratorINS9_10device_ptrIiEEEEPS5_jNS1_19radix_merge_compareILb1ELb0EiNS0_19identity_decomposerEEEEE10hipError_tT0_T1_T2_jT3_P12ihipStream_tbPNSt15iterator_traitsISK_E10value_typeEPNSQ_ISL_E10value_typeEPSM_NS1_7vsmem_tEENKUlT_SK_SL_SM_E_clIPiSE_SF_SF_EESJ_SZ_SK_SL_SM_EUlSZ_E0_NS1_11comp_targetILNS1_3genE4ELNS1_11target_archE910ELNS1_3gpuE8ELNS1_3repE0EEENS1_38merge_mergepath_config_static_selectorELNS0_4arch9wavefront6targetE1EEEvSL_,"axG",@progbits,_ZN7rocprim17ROCPRIM_400000_NS6detail17trampoline_kernelINS0_14default_configENS1_38merge_sort_block_merge_config_selectorIiNS0_10empty_typeEEEZZNS1_27merge_sort_block_merge_implIS3_N6thrust23THRUST_200600_302600_NS6detail15normal_iteratorINS9_10device_ptrIiEEEEPS5_jNS1_19radix_merge_compareILb1ELb0EiNS0_19identity_decomposerEEEEE10hipError_tT0_T1_T2_jT3_P12ihipStream_tbPNSt15iterator_traitsISK_E10value_typeEPNSQ_ISL_E10value_typeEPSM_NS1_7vsmem_tEENKUlT_SK_SL_SM_E_clIPiSE_SF_SF_EESJ_SZ_SK_SL_SM_EUlSZ_E0_NS1_11comp_targetILNS1_3genE4ELNS1_11target_archE910ELNS1_3gpuE8ELNS1_3repE0EEENS1_38merge_mergepath_config_static_selectorELNS0_4arch9wavefront6targetE1EEEvSL_,comdat
	.protected	_ZN7rocprim17ROCPRIM_400000_NS6detail17trampoline_kernelINS0_14default_configENS1_38merge_sort_block_merge_config_selectorIiNS0_10empty_typeEEEZZNS1_27merge_sort_block_merge_implIS3_N6thrust23THRUST_200600_302600_NS6detail15normal_iteratorINS9_10device_ptrIiEEEEPS5_jNS1_19radix_merge_compareILb1ELb0EiNS0_19identity_decomposerEEEEE10hipError_tT0_T1_T2_jT3_P12ihipStream_tbPNSt15iterator_traitsISK_E10value_typeEPNSQ_ISL_E10value_typeEPSM_NS1_7vsmem_tEENKUlT_SK_SL_SM_E_clIPiSE_SF_SF_EESJ_SZ_SK_SL_SM_EUlSZ_E0_NS1_11comp_targetILNS1_3genE4ELNS1_11target_archE910ELNS1_3gpuE8ELNS1_3repE0EEENS1_38merge_mergepath_config_static_selectorELNS0_4arch9wavefront6targetE1EEEvSL_ ; -- Begin function _ZN7rocprim17ROCPRIM_400000_NS6detail17trampoline_kernelINS0_14default_configENS1_38merge_sort_block_merge_config_selectorIiNS0_10empty_typeEEEZZNS1_27merge_sort_block_merge_implIS3_N6thrust23THRUST_200600_302600_NS6detail15normal_iteratorINS9_10device_ptrIiEEEEPS5_jNS1_19radix_merge_compareILb1ELb0EiNS0_19identity_decomposerEEEEE10hipError_tT0_T1_T2_jT3_P12ihipStream_tbPNSt15iterator_traitsISK_E10value_typeEPNSQ_ISL_E10value_typeEPSM_NS1_7vsmem_tEENKUlT_SK_SL_SM_E_clIPiSE_SF_SF_EESJ_SZ_SK_SL_SM_EUlSZ_E0_NS1_11comp_targetILNS1_3genE4ELNS1_11target_archE910ELNS1_3gpuE8ELNS1_3repE0EEENS1_38merge_mergepath_config_static_selectorELNS0_4arch9wavefront6targetE1EEEvSL_
	.globl	_ZN7rocprim17ROCPRIM_400000_NS6detail17trampoline_kernelINS0_14default_configENS1_38merge_sort_block_merge_config_selectorIiNS0_10empty_typeEEEZZNS1_27merge_sort_block_merge_implIS3_N6thrust23THRUST_200600_302600_NS6detail15normal_iteratorINS9_10device_ptrIiEEEEPS5_jNS1_19radix_merge_compareILb1ELb0EiNS0_19identity_decomposerEEEEE10hipError_tT0_T1_T2_jT3_P12ihipStream_tbPNSt15iterator_traitsISK_E10value_typeEPNSQ_ISL_E10value_typeEPSM_NS1_7vsmem_tEENKUlT_SK_SL_SM_E_clIPiSE_SF_SF_EESJ_SZ_SK_SL_SM_EUlSZ_E0_NS1_11comp_targetILNS1_3genE4ELNS1_11target_archE910ELNS1_3gpuE8ELNS1_3repE0EEENS1_38merge_mergepath_config_static_selectorELNS0_4arch9wavefront6targetE1EEEvSL_
	.p2align	8
	.type	_ZN7rocprim17ROCPRIM_400000_NS6detail17trampoline_kernelINS0_14default_configENS1_38merge_sort_block_merge_config_selectorIiNS0_10empty_typeEEEZZNS1_27merge_sort_block_merge_implIS3_N6thrust23THRUST_200600_302600_NS6detail15normal_iteratorINS9_10device_ptrIiEEEEPS5_jNS1_19radix_merge_compareILb1ELb0EiNS0_19identity_decomposerEEEEE10hipError_tT0_T1_T2_jT3_P12ihipStream_tbPNSt15iterator_traitsISK_E10value_typeEPNSQ_ISL_E10value_typeEPSM_NS1_7vsmem_tEENKUlT_SK_SL_SM_E_clIPiSE_SF_SF_EESJ_SZ_SK_SL_SM_EUlSZ_E0_NS1_11comp_targetILNS1_3genE4ELNS1_11target_archE910ELNS1_3gpuE8ELNS1_3repE0EEENS1_38merge_mergepath_config_static_selectorELNS0_4arch9wavefront6targetE1EEEvSL_,@function
_ZN7rocprim17ROCPRIM_400000_NS6detail17trampoline_kernelINS0_14default_configENS1_38merge_sort_block_merge_config_selectorIiNS0_10empty_typeEEEZZNS1_27merge_sort_block_merge_implIS3_N6thrust23THRUST_200600_302600_NS6detail15normal_iteratorINS9_10device_ptrIiEEEEPS5_jNS1_19radix_merge_compareILb1ELb0EiNS0_19identity_decomposerEEEEE10hipError_tT0_T1_T2_jT3_P12ihipStream_tbPNSt15iterator_traitsISK_E10value_typeEPNSQ_ISL_E10value_typeEPSM_NS1_7vsmem_tEENKUlT_SK_SL_SM_E_clIPiSE_SF_SF_EESJ_SZ_SK_SL_SM_EUlSZ_E0_NS1_11comp_targetILNS1_3genE4ELNS1_11target_archE910ELNS1_3gpuE8ELNS1_3repE0EEENS1_38merge_mergepath_config_static_selectorELNS0_4arch9wavefront6targetE1EEEvSL_: ; @_ZN7rocprim17ROCPRIM_400000_NS6detail17trampoline_kernelINS0_14default_configENS1_38merge_sort_block_merge_config_selectorIiNS0_10empty_typeEEEZZNS1_27merge_sort_block_merge_implIS3_N6thrust23THRUST_200600_302600_NS6detail15normal_iteratorINS9_10device_ptrIiEEEEPS5_jNS1_19radix_merge_compareILb1ELb0EiNS0_19identity_decomposerEEEEE10hipError_tT0_T1_T2_jT3_P12ihipStream_tbPNSt15iterator_traitsISK_E10value_typeEPNSQ_ISL_E10value_typeEPSM_NS1_7vsmem_tEENKUlT_SK_SL_SM_E_clIPiSE_SF_SF_EESJ_SZ_SK_SL_SM_EUlSZ_E0_NS1_11comp_targetILNS1_3genE4ELNS1_11target_archE910ELNS1_3gpuE8ELNS1_3repE0EEENS1_38merge_mergepath_config_static_selectorELNS0_4arch9wavefront6targetE1EEEvSL_
; %bb.0:
	.section	.rodata,"a",@progbits
	.p2align	6, 0x0
	.amdhsa_kernel _ZN7rocprim17ROCPRIM_400000_NS6detail17trampoline_kernelINS0_14default_configENS1_38merge_sort_block_merge_config_selectorIiNS0_10empty_typeEEEZZNS1_27merge_sort_block_merge_implIS3_N6thrust23THRUST_200600_302600_NS6detail15normal_iteratorINS9_10device_ptrIiEEEEPS5_jNS1_19radix_merge_compareILb1ELb0EiNS0_19identity_decomposerEEEEE10hipError_tT0_T1_T2_jT3_P12ihipStream_tbPNSt15iterator_traitsISK_E10value_typeEPNSQ_ISL_E10value_typeEPSM_NS1_7vsmem_tEENKUlT_SK_SL_SM_E_clIPiSE_SF_SF_EESJ_SZ_SK_SL_SM_EUlSZ_E0_NS1_11comp_targetILNS1_3genE4ELNS1_11target_archE910ELNS1_3gpuE8ELNS1_3repE0EEENS1_38merge_mergepath_config_static_selectorELNS0_4arch9wavefront6targetE1EEEvSL_
		.amdhsa_group_segment_fixed_size 0
		.amdhsa_private_segment_fixed_size 0
		.amdhsa_kernarg_size 64
		.amdhsa_user_sgpr_count 2
		.amdhsa_user_sgpr_dispatch_ptr 0
		.amdhsa_user_sgpr_queue_ptr 0
		.amdhsa_user_sgpr_kernarg_segment_ptr 1
		.amdhsa_user_sgpr_dispatch_id 0
		.amdhsa_user_sgpr_kernarg_preload_length 0
		.amdhsa_user_sgpr_kernarg_preload_offset 0
		.amdhsa_user_sgpr_private_segment_size 0
		.amdhsa_uses_dynamic_stack 0
		.amdhsa_enable_private_segment 0
		.amdhsa_system_sgpr_workgroup_id_x 1
		.amdhsa_system_sgpr_workgroup_id_y 0
		.amdhsa_system_sgpr_workgroup_id_z 0
		.amdhsa_system_sgpr_workgroup_info 0
		.amdhsa_system_vgpr_workitem_id 0
		.amdhsa_next_free_vgpr 1
		.amdhsa_next_free_sgpr 0
		.amdhsa_accum_offset 4
		.amdhsa_reserve_vcc 0
		.amdhsa_float_round_mode_32 0
		.amdhsa_float_round_mode_16_64 0
		.amdhsa_float_denorm_mode_32 3
		.amdhsa_float_denorm_mode_16_64 3
		.amdhsa_dx10_clamp 1
		.amdhsa_ieee_mode 1
		.amdhsa_fp16_overflow 0
		.amdhsa_tg_split 0
		.amdhsa_exception_fp_ieee_invalid_op 0
		.amdhsa_exception_fp_denorm_src 0
		.amdhsa_exception_fp_ieee_div_zero 0
		.amdhsa_exception_fp_ieee_overflow 0
		.amdhsa_exception_fp_ieee_underflow 0
		.amdhsa_exception_fp_ieee_inexact 0
		.amdhsa_exception_int_div_zero 0
	.end_amdhsa_kernel
	.section	.text._ZN7rocprim17ROCPRIM_400000_NS6detail17trampoline_kernelINS0_14default_configENS1_38merge_sort_block_merge_config_selectorIiNS0_10empty_typeEEEZZNS1_27merge_sort_block_merge_implIS3_N6thrust23THRUST_200600_302600_NS6detail15normal_iteratorINS9_10device_ptrIiEEEEPS5_jNS1_19radix_merge_compareILb1ELb0EiNS0_19identity_decomposerEEEEE10hipError_tT0_T1_T2_jT3_P12ihipStream_tbPNSt15iterator_traitsISK_E10value_typeEPNSQ_ISL_E10value_typeEPSM_NS1_7vsmem_tEENKUlT_SK_SL_SM_E_clIPiSE_SF_SF_EESJ_SZ_SK_SL_SM_EUlSZ_E0_NS1_11comp_targetILNS1_3genE4ELNS1_11target_archE910ELNS1_3gpuE8ELNS1_3repE0EEENS1_38merge_mergepath_config_static_selectorELNS0_4arch9wavefront6targetE1EEEvSL_,"axG",@progbits,_ZN7rocprim17ROCPRIM_400000_NS6detail17trampoline_kernelINS0_14default_configENS1_38merge_sort_block_merge_config_selectorIiNS0_10empty_typeEEEZZNS1_27merge_sort_block_merge_implIS3_N6thrust23THRUST_200600_302600_NS6detail15normal_iteratorINS9_10device_ptrIiEEEEPS5_jNS1_19radix_merge_compareILb1ELb0EiNS0_19identity_decomposerEEEEE10hipError_tT0_T1_T2_jT3_P12ihipStream_tbPNSt15iterator_traitsISK_E10value_typeEPNSQ_ISL_E10value_typeEPSM_NS1_7vsmem_tEENKUlT_SK_SL_SM_E_clIPiSE_SF_SF_EESJ_SZ_SK_SL_SM_EUlSZ_E0_NS1_11comp_targetILNS1_3genE4ELNS1_11target_archE910ELNS1_3gpuE8ELNS1_3repE0EEENS1_38merge_mergepath_config_static_selectorELNS0_4arch9wavefront6targetE1EEEvSL_,comdat
.Lfunc_end233:
	.size	_ZN7rocprim17ROCPRIM_400000_NS6detail17trampoline_kernelINS0_14default_configENS1_38merge_sort_block_merge_config_selectorIiNS0_10empty_typeEEEZZNS1_27merge_sort_block_merge_implIS3_N6thrust23THRUST_200600_302600_NS6detail15normal_iteratorINS9_10device_ptrIiEEEEPS5_jNS1_19radix_merge_compareILb1ELb0EiNS0_19identity_decomposerEEEEE10hipError_tT0_T1_T2_jT3_P12ihipStream_tbPNSt15iterator_traitsISK_E10value_typeEPNSQ_ISL_E10value_typeEPSM_NS1_7vsmem_tEENKUlT_SK_SL_SM_E_clIPiSE_SF_SF_EESJ_SZ_SK_SL_SM_EUlSZ_E0_NS1_11comp_targetILNS1_3genE4ELNS1_11target_archE910ELNS1_3gpuE8ELNS1_3repE0EEENS1_38merge_mergepath_config_static_selectorELNS0_4arch9wavefront6targetE1EEEvSL_, .Lfunc_end233-_ZN7rocprim17ROCPRIM_400000_NS6detail17trampoline_kernelINS0_14default_configENS1_38merge_sort_block_merge_config_selectorIiNS0_10empty_typeEEEZZNS1_27merge_sort_block_merge_implIS3_N6thrust23THRUST_200600_302600_NS6detail15normal_iteratorINS9_10device_ptrIiEEEEPS5_jNS1_19radix_merge_compareILb1ELb0EiNS0_19identity_decomposerEEEEE10hipError_tT0_T1_T2_jT3_P12ihipStream_tbPNSt15iterator_traitsISK_E10value_typeEPNSQ_ISL_E10value_typeEPSM_NS1_7vsmem_tEENKUlT_SK_SL_SM_E_clIPiSE_SF_SF_EESJ_SZ_SK_SL_SM_EUlSZ_E0_NS1_11comp_targetILNS1_3genE4ELNS1_11target_archE910ELNS1_3gpuE8ELNS1_3repE0EEENS1_38merge_mergepath_config_static_selectorELNS0_4arch9wavefront6targetE1EEEvSL_
                                        ; -- End function
	.set _ZN7rocprim17ROCPRIM_400000_NS6detail17trampoline_kernelINS0_14default_configENS1_38merge_sort_block_merge_config_selectorIiNS0_10empty_typeEEEZZNS1_27merge_sort_block_merge_implIS3_N6thrust23THRUST_200600_302600_NS6detail15normal_iteratorINS9_10device_ptrIiEEEEPS5_jNS1_19radix_merge_compareILb1ELb0EiNS0_19identity_decomposerEEEEE10hipError_tT0_T1_T2_jT3_P12ihipStream_tbPNSt15iterator_traitsISK_E10value_typeEPNSQ_ISL_E10value_typeEPSM_NS1_7vsmem_tEENKUlT_SK_SL_SM_E_clIPiSE_SF_SF_EESJ_SZ_SK_SL_SM_EUlSZ_E0_NS1_11comp_targetILNS1_3genE4ELNS1_11target_archE910ELNS1_3gpuE8ELNS1_3repE0EEENS1_38merge_mergepath_config_static_selectorELNS0_4arch9wavefront6targetE1EEEvSL_.num_vgpr, 0
	.set _ZN7rocprim17ROCPRIM_400000_NS6detail17trampoline_kernelINS0_14default_configENS1_38merge_sort_block_merge_config_selectorIiNS0_10empty_typeEEEZZNS1_27merge_sort_block_merge_implIS3_N6thrust23THRUST_200600_302600_NS6detail15normal_iteratorINS9_10device_ptrIiEEEEPS5_jNS1_19radix_merge_compareILb1ELb0EiNS0_19identity_decomposerEEEEE10hipError_tT0_T1_T2_jT3_P12ihipStream_tbPNSt15iterator_traitsISK_E10value_typeEPNSQ_ISL_E10value_typeEPSM_NS1_7vsmem_tEENKUlT_SK_SL_SM_E_clIPiSE_SF_SF_EESJ_SZ_SK_SL_SM_EUlSZ_E0_NS1_11comp_targetILNS1_3genE4ELNS1_11target_archE910ELNS1_3gpuE8ELNS1_3repE0EEENS1_38merge_mergepath_config_static_selectorELNS0_4arch9wavefront6targetE1EEEvSL_.num_agpr, 0
	.set _ZN7rocprim17ROCPRIM_400000_NS6detail17trampoline_kernelINS0_14default_configENS1_38merge_sort_block_merge_config_selectorIiNS0_10empty_typeEEEZZNS1_27merge_sort_block_merge_implIS3_N6thrust23THRUST_200600_302600_NS6detail15normal_iteratorINS9_10device_ptrIiEEEEPS5_jNS1_19radix_merge_compareILb1ELb0EiNS0_19identity_decomposerEEEEE10hipError_tT0_T1_T2_jT3_P12ihipStream_tbPNSt15iterator_traitsISK_E10value_typeEPNSQ_ISL_E10value_typeEPSM_NS1_7vsmem_tEENKUlT_SK_SL_SM_E_clIPiSE_SF_SF_EESJ_SZ_SK_SL_SM_EUlSZ_E0_NS1_11comp_targetILNS1_3genE4ELNS1_11target_archE910ELNS1_3gpuE8ELNS1_3repE0EEENS1_38merge_mergepath_config_static_selectorELNS0_4arch9wavefront6targetE1EEEvSL_.numbered_sgpr, 0
	.set _ZN7rocprim17ROCPRIM_400000_NS6detail17trampoline_kernelINS0_14default_configENS1_38merge_sort_block_merge_config_selectorIiNS0_10empty_typeEEEZZNS1_27merge_sort_block_merge_implIS3_N6thrust23THRUST_200600_302600_NS6detail15normal_iteratorINS9_10device_ptrIiEEEEPS5_jNS1_19radix_merge_compareILb1ELb0EiNS0_19identity_decomposerEEEEE10hipError_tT0_T1_T2_jT3_P12ihipStream_tbPNSt15iterator_traitsISK_E10value_typeEPNSQ_ISL_E10value_typeEPSM_NS1_7vsmem_tEENKUlT_SK_SL_SM_E_clIPiSE_SF_SF_EESJ_SZ_SK_SL_SM_EUlSZ_E0_NS1_11comp_targetILNS1_3genE4ELNS1_11target_archE910ELNS1_3gpuE8ELNS1_3repE0EEENS1_38merge_mergepath_config_static_selectorELNS0_4arch9wavefront6targetE1EEEvSL_.num_named_barrier, 0
	.set _ZN7rocprim17ROCPRIM_400000_NS6detail17trampoline_kernelINS0_14default_configENS1_38merge_sort_block_merge_config_selectorIiNS0_10empty_typeEEEZZNS1_27merge_sort_block_merge_implIS3_N6thrust23THRUST_200600_302600_NS6detail15normal_iteratorINS9_10device_ptrIiEEEEPS5_jNS1_19radix_merge_compareILb1ELb0EiNS0_19identity_decomposerEEEEE10hipError_tT0_T1_T2_jT3_P12ihipStream_tbPNSt15iterator_traitsISK_E10value_typeEPNSQ_ISL_E10value_typeEPSM_NS1_7vsmem_tEENKUlT_SK_SL_SM_E_clIPiSE_SF_SF_EESJ_SZ_SK_SL_SM_EUlSZ_E0_NS1_11comp_targetILNS1_3genE4ELNS1_11target_archE910ELNS1_3gpuE8ELNS1_3repE0EEENS1_38merge_mergepath_config_static_selectorELNS0_4arch9wavefront6targetE1EEEvSL_.private_seg_size, 0
	.set _ZN7rocprim17ROCPRIM_400000_NS6detail17trampoline_kernelINS0_14default_configENS1_38merge_sort_block_merge_config_selectorIiNS0_10empty_typeEEEZZNS1_27merge_sort_block_merge_implIS3_N6thrust23THRUST_200600_302600_NS6detail15normal_iteratorINS9_10device_ptrIiEEEEPS5_jNS1_19radix_merge_compareILb1ELb0EiNS0_19identity_decomposerEEEEE10hipError_tT0_T1_T2_jT3_P12ihipStream_tbPNSt15iterator_traitsISK_E10value_typeEPNSQ_ISL_E10value_typeEPSM_NS1_7vsmem_tEENKUlT_SK_SL_SM_E_clIPiSE_SF_SF_EESJ_SZ_SK_SL_SM_EUlSZ_E0_NS1_11comp_targetILNS1_3genE4ELNS1_11target_archE910ELNS1_3gpuE8ELNS1_3repE0EEENS1_38merge_mergepath_config_static_selectorELNS0_4arch9wavefront6targetE1EEEvSL_.uses_vcc, 0
	.set _ZN7rocprim17ROCPRIM_400000_NS6detail17trampoline_kernelINS0_14default_configENS1_38merge_sort_block_merge_config_selectorIiNS0_10empty_typeEEEZZNS1_27merge_sort_block_merge_implIS3_N6thrust23THRUST_200600_302600_NS6detail15normal_iteratorINS9_10device_ptrIiEEEEPS5_jNS1_19radix_merge_compareILb1ELb0EiNS0_19identity_decomposerEEEEE10hipError_tT0_T1_T2_jT3_P12ihipStream_tbPNSt15iterator_traitsISK_E10value_typeEPNSQ_ISL_E10value_typeEPSM_NS1_7vsmem_tEENKUlT_SK_SL_SM_E_clIPiSE_SF_SF_EESJ_SZ_SK_SL_SM_EUlSZ_E0_NS1_11comp_targetILNS1_3genE4ELNS1_11target_archE910ELNS1_3gpuE8ELNS1_3repE0EEENS1_38merge_mergepath_config_static_selectorELNS0_4arch9wavefront6targetE1EEEvSL_.uses_flat_scratch, 0
	.set _ZN7rocprim17ROCPRIM_400000_NS6detail17trampoline_kernelINS0_14default_configENS1_38merge_sort_block_merge_config_selectorIiNS0_10empty_typeEEEZZNS1_27merge_sort_block_merge_implIS3_N6thrust23THRUST_200600_302600_NS6detail15normal_iteratorINS9_10device_ptrIiEEEEPS5_jNS1_19radix_merge_compareILb1ELb0EiNS0_19identity_decomposerEEEEE10hipError_tT0_T1_T2_jT3_P12ihipStream_tbPNSt15iterator_traitsISK_E10value_typeEPNSQ_ISL_E10value_typeEPSM_NS1_7vsmem_tEENKUlT_SK_SL_SM_E_clIPiSE_SF_SF_EESJ_SZ_SK_SL_SM_EUlSZ_E0_NS1_11comp_targetILNS1_3genE4ELNS1_11target_archE910ELNS1_3gpuE8ELNS1_3repE0EEENS1_38merge_mergepath_config_static_selectorELNS0_4arch9wavefront6targetE1EEEvSL_.has_dyn_sized_stack, 0
	.set _ZN7rocprim17ROCPRIM_400000_NS6detail17trampoline_kernelINS0_14default_configENS1_38merge_sort_block_merge_config_selectorIiNS0_10empty_typeEEEZZNS1_27merge_sort_block_merge_implIS3_N6thrust23THRUST_200600_302600_NS6detail15normal_iteratorINS9_10device_ptrIiEEEEPS5_jNS1_19radix_merge_compareILb1ELb0EiNS0_19identity_decomposerEEEEE10hipError_tT0_T1_T2_jT3_P12ihipStream_tbPNSt15iterator_traitsISK_E10value_typeEPNSQ_ISL_E10value_typeEPSM_NS1_7vsmem_tEENKUlT_SK_SL_SM_E_clIPiSE_SF_SF_EESJ_SZ_SK_SL_SM_EUlSZ_E0_NS1_11comp_targetILNS1_3genE4ELNS1_11target_archE910ELNS1_3gpuE8ELNS1_3repE0EEENS1_38merge_mergepath_config_static_selectorELNS0_4arch9wavefront6targetE1EEEvSL_.has_recursion, 0
	.set _ZN7rocprim17ROCPRIM_400000_NS6detail17trampoline_kernelINS0_14default_configENS1_38merge_sort_block_merge_config_selectorIiNS0_10empty_typeEEEZZNS1_27merge_sort_block_merge_implIS3_N6thrust23THRUST_200600_302600_NS6detail15normal_iteratorINS9_10device_ptrIiEEEEPS5_jNS1_19radix_merge_compareILb1ELb0EiNS0_19identity_decomposerEEEEE10hipError_tT0_T1_T2_jT3_P12ihipStream_tbPNSt15iterator_traitsISK_E10value_typeEPNSQ_ISL_E10value_typeEPSM_NS1_7vsmem_tEENKUlT_SK_SL_SM_E_clIPiSE_SF_SF_EESJ_SZ_SK_SL_SM_EUlSZ_E0_NS1_11comp_targetILNS1_3genE4ELNS1_11target_archE910ELNS1_3gpuE8ELNS1_3repE0EEENS1_38merge_mergepath_config_static_selectorELNS0_4arch9wavefront6targetE1EEEvSL_.has_indirect_call, 0
	.section	.AMDGPU.csdata,"",@progbits
; Kernel info:
; codeLenInByte = 0
; TotalNumSgprs: 6
; NumVgprs: 0
; NumAgprs: 0
; TotalNumVgprs: 0
; ScratchSize: 0
; MemoryBound: 0
; FloatMode: 240
; IeeeMode: 1
; LDSByteSize: 0 bytes/workgroup (compile time only)
; SGPRBlocks: 0
; VGPRBlocks: 0
; NumSGPRsForWavesPerEU: 6
; NumVGPRsForWavesPerEU: 1
; AccumOffset: 4
; Occupancy: 8
; WaveLimiterHint : 0
; COMPUTE_PGM_RSRC2:SCRATCH_EN: 0
; COMPUTE_PGM_RSRC2:USER_SGPR: 2
; COMPUTE_PGM_RSRC2:TRAP_HANDLER: 0
; COMPUTE_PGM_RSRC2:TGID_X_EN: 1
; COMPUTE_PGM_RSRC2:TGID_Y_EN: 0
; COMPUTE_PGM_RSRC2:TGID_Z_EN: 0
; COMPUTE_PGM_RSRC2:TIDIG_COMP_CNT: 0
; COMPUTE_PGM_RSRC3_GFX90A:ACCUM_OFFSET: 0
; COMPUTE_PGM_RSRC3_GFX90A:TG_SPLIT: 0
	.section	.text._ZN7rocprim17ROCPRIM_400000_NS6detail17trampoline_kernelINS0_14default_configENS1_38merge_sort_block_merge_config_selectorIiNS0_10empty_typeEEEZZNS1_27merge_sort_block_merge_implIS3_N6thrust23THRUST_200600_302600_NS6detail15normal_iteratorINS9_10device_ptrIiEEEEPS5_jNS1_19radix_merge_compareILb1ELb0EiNS0_19identity_decomposerEEEEE10hipError_tT0_T1_T2_jT3_P12ihipStream_tbPNSt15iterator_traitsISK_E10value_typeEPNSQ_ISL_E10value_typeEPSM_NS1_7vsmem_tEENKUlT_SK_SL_SM_E_clIPiSE_SF_SF_EESJ_SZ_SK_SL_SM_EUlSZ_E0_NS1_11comp_targetILNS1_3genE3ELNS1_11target_archE908ELNS1_3gpuE7ELNS1_3repE0EEENS1_38merge_mergepath_config_static_selectorELNS0_4arch9wavefront6targetE1EEEvSL_,"axG",@progbits,_ZN7rocprim17ROCPRIM_400000_NS6detail17trampoline_kernelINS0_14default_configENS1_38merge_sort_block_merge_config_selectorIiNS0_10empty_typeEEEZZNS1_27merge_sort_block_merge_implIS3_N6thrust23THRUST_200600_302600_NS6detail15normal_iteratorINS9_10device_ptrIiEEEEPS5_jNS1_19radix_merge_compareILb1ELb0EiNS0_19identity_decomposerEEEEE10hipError_tT0_T1_T2_jT3_P12ihipStream_tbPNSt15iterator_traitsISK_E10value_typeEPNSQ_ISL_E10value_typeEPSM_NS1_7vsmem_tEENKUlT_SK_SL_SM_E_clIPiSE_SF_SF_EESJ_SZ_SK_SL_SM_EUlSZ_E0_NS1_11comp_targetILNS1_3genE3ELNS1_11target_archE908ELNS1_3gpuE7ELNS1_3repE0EEENS1_38merge_mergepath_config_static_selectorELNS0_4arch9wavefront6targetE1EEEvSL_,comdat
	.protected	_ZN7rocprim17ROCPRIM_400000_NS6detail17trampoline_kernelINS0_14default_configENS1_38merge_sort_block_merge_config_selectorIiNS0_10empty_typeEEEZZNS1_27merge_sort_block_merge_implIS3_N6thrust23THRUST_200600_302600_NS6detail15normal_iteratorINS9_10device_ptrIiEEEEPS5_jNS1_19radix_merge_compareILb1ELb0EiNS0_19identity_decomposerEEEEE10hipError_tT0_T1_T2_jT3_P12ihipStream_tbPNSt15iterator_traitsISK_E10value_typeEPNSQ_ISL_E10value_typeEPSM_NS1_7vsmem_tEENKUlT_SK_SL_SM_E_clIPiSE_SF_SF_EESJ_SZ_SK_SL_SM_EUlSZ_E0_NS1_11comp_targetILNS1_3genE3ELNS1_11target_archE908ELNS1_3gpuE7ELNS1_3repE0EEENS1_38merge_mergepath_config_static_selectorELNS0_4arch9wavefront6targetE1EEEvSL_ ; -- Begin function _ZN7rocprim17ROCPRIM_400000_NS6detail17trampoline_kernelINS0_14default_configENS1_38merge_sort_block_merge_config_selectorIiNS0_10empty_typeEEEZZNS1_27merge_sort_block_merge_implIS3_N6thrust23THRUST_200600_302600_NS6detail15normal_iteratorINS9_10device_ptrIiEEEEPS5_jNS1_19radix_merge_compareILb1ELb0EiNS0_19identity_decomposerEEEEE10hipError_tT0_T1_T2_jT3_P12ihipStream_tbPNSt15iterator_traitsISK_E10value_typeEPNSQ_ISL_E10value_typeEPSM_NS1_7vsmem_tEENKUlT_SK_SL_SM_E_clIPiSE_SF_SF_EESJ_SZ_SK_SL_SM_EUlSZ_E0_NS1_11comp_targetILNS1_3genE3ELNS1_11target_archE908ELNS1_3gpuE7ELNS1_3repE0EEENS1_38merge_mergepath_config_static_selectorELNS0_4arch9wavefront6targetE1EEEvSL_
	.globl	_ZN7rocprim17ROCPRIM_400000_NS6detail17trampoline_kernelINS0_14default_configENS1_38merge_sort_block_merge_config_selectorIiNS0_10empty_typeEEEZZNS1_27merge_sort_block_merge_implIS3_N6thrust23THRUST_200600_302600_NS6detail15normal_iteratorINS9_10device_ptrIiEEEEPS5_jNS1_19radix_merge_compareILb1ELb0EiNS0_19identity_decomposerEEEEE10hipError_tT0_T1_T2_jT3_P12ihipStream_tbPNSt15iterator_traitsISK_E10value_typeEPNSQ_ISL_E10value_typeEPSM_NS1_7vsmem_tEENKUlT_SK_SL_SM_E_clIPiSE_SF_SF_EESJ_SZ_SK_SL_SM_EUlSZ_E0_NS1_11comp_targetILNS1_3genE3ELNS1_11target_archE908ELNS1_3gpuE7ELNS1_3repE0EEENS1_38merge_mergepath_config_static_selectorELNS0_4arch9wavefront6targetE1EEEvSL_
	.p2align	8
	.type	_ZN7rocprim17ROCPRIM_400000_NS6detail17trampoline_kernelINS0_14default_configENS1_38merge_sort_block_merge_config_selectorIiNS0_10empty_typeEEEZZNS1_27merge_sort_block_merge_implIS3_N6thrust23THRUST_200600_302600_NS6detail15normal_iteratorINS9_10device_ptrIiEEEEPS5_jNS1_19radix_merge_compareILb1ELb0EiNS0_19identity_decomposerEEEEE10hipError_tT0_T1_T2_jT3_P12ihipStream_tbPNSt15iterator_traitsISK_E10value_typeEPNSQ_ISL_E10value_typeEPSM_NS1_7vsmem_tEENKUlT_SK_SL_SM_E_clIPiSE_SF_SF_EESJ_SZ_SK_SL_SM_EUlSZ_E0_NS1_11comp_targetILNS1_3genE3ELNS1_11target_archE908ELNS1_3gpuE7ELNS1_3repE0EEENS1_38merge_mergepath_config_static_selectorELNS0_4arch9wavefront6targetE1EEEvSL_,@function
_ZN7rocprim17ROCPRIM_400000_NS6detail17trampoline_kernelINS0_14default_configENS1_38merge_sort_block_merge_config_selectorIiNS0_10empty_typeEEEZZNS1_27merge_sort_block_merge_implIS3_N6thrust23THRUST_200600_302600_NS6detail15normal_iteratorINS9_10device_ptrIiEEEEPS5_jNS1_19radix_merge_compareILb1ELb0EiNS0_19identity_decomposerEEEEE10hipError_tT0_T1_T2_jT3_P12ihipStream_tbPNSt15iterator_traitsISK_E10value_typeEPNSQ_ISL_E10value_typeEPSM_NS1_7vsmem_tEENKUlT_SK_SL_SM_E_clIPiSE_SF_SF_EESJ_SZ_SK_SL_SM_EUlSZ_E0_NS1_11comp_targetILNS1_3genE3ELNS1_11target_archE908ELNS1_3gpuE7ELNS1_3repE0EEENS1_38merge_mergepath_config_static_selectorELNS0_4arch9wavefront6targetE1EEEvSL_: ; @_ZN7rocprim17ROCPRIM_400000_NS6detail17trampoline_kernelINS0_14default_configENS1_38merge_sort_block_merge_config_selectorIiNS0_10empty_typeEEEZZNS1_27merge_sort_block_merge_implIS3_N6thrust23THRUST_200600_302600_NS6detail15normal_iteratorINS9_10device_ptrIiEEEEPS5_jNS1_19radix_merge_compareILb1ELb0EiNS0_19identity_decomposerEEEEE10hipError_tT0_T1_T2_jT3_P12ihipStream_tbPNSt15iterator_traitsISK_E10value_typeEPNSQ_ISL_E10value_typeEPSM_NS1_7vsmem_tEENKUlT_SK_SL_SM_E_clIPiSE_SF_SF_EESJ_SZ_SK_SL_SM_EUlSZ_E0_NS1_11comp_targetILNS1_3genE3ELNS1_11target_archE908ELNS1_3gpuE7ELNS1_3repE0EEENS1_38merge_mergepath_config_static_selectorELNS0_4arch9wavefront6targetE1EEEvSL_
; %bb.0:
	.section	.rodata,"a",@progbits
	.p2align	6, 0x0
	.amdhsa_kernel _ZN7rocprim17ROCPRIM_400000_NS6detail17trampoline_kernelINS0_14default_configENS1_38merge_sort_block_merge_config_selectorIiNS0_10empty_typeEEEZZNS1_27merge_sort_block_merge_implIS3_N6thrust23THRUST_200600_302600_NS6detail15normal_iteratorINS9_10device_ptrIiEEEEPS5_jNS1_19radix_merge_compareILb1ELb0EiNS0_19identity_decomposerEEEEE10hipError_tT0_T1_T2_jT3_P12ihipStream_tbPNSt15iterator_traitsISK_E10value_typeEPNSQ_ISL_E10value_typeEPSM_NS1_7vsmem_tEENKUlT_SK_SL_SM_E_clIPiSE_SF_SF_EESJ_SZ_SK_SL_SM_EUlSZ_E0_NS1_11comp_targetILNS1_3genE3ELNS1_11target_archE908ELNS1_3gpuE7ELNS1_3repE0EEENS1_38merge_mergepath_config_static_selectorELNS0_4arch9wavefront6targetE1EEEvSL_
		.amdhsa_group_segment_fixed_size 0
		.amdhsa_private_segment_fixed_size 0
		.amdhsa_kernarg_size 64
		.amdhsa_user_sgpr_count 2
		.amdhsa_user_sgpr_dispatch_ptr 0
		.amdhsa_user_sgpr_queue_ptr 0
		.amdhsa_user_sgpr_kernarg_segment_ptr 1
		.amdhsa_user_sgpr_dispatch_id 0
		.amdhsa_user_sgpr_kernarg_preload_length 0
		.amdhsa_user_sgpr_kernarg_preload_offset 0
		.amdhsa_user_sgpr_private_segment_size 0
		.amdhsa_uses_dynamic_stack 0
		.amdhsa_enable_private_segment 0
		.amdhsa_system_sgpr_workgroup_id_x 1
		.amdhsa_system_sgpr_workgroup_id_y 0
		.amdhsa_system_sgpr_workgroup_id_z 0
		.amdhsa_system_sgpr_workgroup_info 0
		.amdhsa_system_vgpr_workitem_id 0
		.amdhsa_next_free_vgpr 1
		.amdhsa_next_free_sgpr 0
		.amdhsa_accum_offset 4
		.amdhsa_reserve_vcc 0
		.amdhsa_float_round_mode_32 0
		.amdhsa_float_round_mode_16_64 0
		.amdhsa_float_denorm_mode_32 3
		.amdhsa_float_denorm_mode_16_64 3
		.amdhsa_dx10_clamp 1
		.amdhsa_ieee_mode 1
		.amdhsa_fp16_overflow 0
		.amdhsa_tg_split 0
		.amdhsa_exception_fp_ieee_invalid_op 0
		.amdhsa_exception_fp_denorm_src 0
		.amdhsa_exception_fp_ieee_div_zero 0
		.amdhsa_exception_fp_ieee_overflow 0
		.amdhsa_exception_fp_ieee_underflow 0
		.amdhsa_exception_fp_ieee_inexact 0
		.amdhsa_exception_int_div_zero 0
	.end_amdhsa_kernel
	.section	.text._ZN7rocprim17ROCPRIM_400000_NS6detail17trampoline_kernelINS0_14default_configENS1_38merge_sort_block_merge_config_selectorIiNS0_10empty_typeEEEZZNS1_27merge_sort_block_merge_implIS3_N6thrust23THRUST_200600_302600_NS6detail15normal_iteratorINS9_10device_ptrIiEEEEPS5_jNS1_19radix_merge_compareILb1ELb0EiNS0_19identity_decomposerEEEEE10hipError_tT0_T1_T2_jT3_P12ihipStream_tbPNSt15iterator_traitsISK_E10value_typeEPNSQ_ISL_E10value_typeEPSM_NS1_7vsmem_tEENKUlT_SK_SL_SM_E_clIPiSE_SF_SF_EESJ_SZ_SK_SL_SM_EUlSZ_E0_NS1_11comp_targetILNS1_3genE3ELNS1_11target_archE908ELNS1_3gpuE7ELNS1_3repE0EEENS1_38merge_mergepath_config_static_selectorELNS0_4arch9wavefront6targetE1EEEvSL_,"axG",@progbits,_ZN7rocprim17ROCPRIM_400000_NS6detail17trampoline_kernelINS0_14default_configENS1_38merge_sort_block_merge_config_selectorIiNS0_10empty_typeEEEZZNS1_27merge_sort_block_merge_implIS3_N6thrust23THRUST_200600_302600_NS6detail15normal_iteratorINS9_10device_ptrIiEEEEPS5_jNS1_19radix_merge_compareILb1ELb0EiNS0_19identity_decomposerEEEEE10hipError_tT0_T1_T2_jT3_P12ihipStream_tbPNSt15iterator_traitsISK_E10value_typeEPNSQ_ISL_E10value_typeEPSM_NS1_7vsmem_tEENKUlT_SK_SL_SM_E_clIPiSE_SF_SF_EESJ_SZ_SK_SL_SM_EUlSZ_E0_NS1_11comp_targetILNS1_3genE3ELNS1_11target_archE908ELNS1_3gpuE7ELNS1_3repE0EEENS1_38merge_mergepath_config_static_selectorELNS0_4arch9wavefront6targetE1EEEvSL_,comdat
.Lfunc_end234:
	.size	_ZN7rocprim17ROCPRIM_400000_NS6detail17trampoline_kernelINS0_14default_configENS1_38merge_sort_block_merge_config_selectorIiNS0_10empty_typeEEEZZNS1_27merge_sort_block_merge_implIS3_N6thrust23THRUST_200600_302600_NS6detail15normal_iteratorINS9_10device_ptrIiEEEEPS5_jNS1_19radix_merge_compareILb1ELb0EiNS0_19identity_decomposerEEEEE10hipError_tT0_T1_T2_jT3_P12ihipStream_tbPNSt15iterator_traitsISK_E10value_typeEPNSQ_ISL_E10value_typeEPSM_NS1_7vsmem_tEENKUlT_SK_SL_SM_E_clIPiSE_SF_SF_EESJ_SZ_SK_SL_SM_EUlSZ_E0_NS1_11comp_targetILNS1_3genE3ELNS1_11target_archE908ELNS1_3gpuE7ELNS1_3repE0EEENS1_38merge_mergepath_config_static_selectorELNS0_4arch9wavefront6targetE1EEEvSL_, .Lfunc_end234-_ZN7rocprim17ROCPRIM_400000_NS6detail17trampoline_kernelINS0_14default_configENS1_38merge_sort_block_merge_config_selectorIiNS0_10empty_typeEEEZZNS1_27merge_sort_block_merge_implIS3_N6thrust23THRUST_200600_302600_NS6detail15normal_iteratorINS9_10device_ptrIiEEEEPS5_jNS1_19radix_merge_compareILb1ELb0EiNS0_19identity_decomposerEEEEE10hipError_tT0_T1_T2_jT3_P12ihipStream_tbPNSt15iterator_traitsISK_E10value_typeEPNSQ_ISL_E10value_typeEPSM_NS1_7vsmem_tEENKUlT_SK_SL_SM_E_clIPiSE_SF_SF_EESJ_SZ_SK_SL_SM_EUlSZ_E0_NS1_11comp_targetILNS1_3genE3ELNS1_11target_archE908ELNS1_3gpuE7ELNS1_3repE0EEENS1_38merge_mergepath_config_static_selectorELNS0_4arch9wavefront6targetE1EEEvSL_
                                        ; -- End function
	.set _ZN7rocprim17ROCPRIM_400000_NS6detail17trampoline_kernelINS0_14default_configENS1_38merge_sort_block_merge_config_selectorIiNS0_10empty_typeEEEZZNS1_27merge_sort_block_merge_implIS3_N6thrust23THRUST_200600_302600_NS6detail15normal_iteratorINS9_10device_ptrIiEEEEPS5_jNS1_19radix_merge_compareILb1ELb0EiNS0_19identity_decomposerEEEEE10hipError_tT0_T1_T2_jT3_P12ihipStream_tbPNSt15iterator_traitsISK_E10value_typeEPNSQ_ISL_E10value_typeEPSM_NS1_7vsmem_tEENKUlT_SK_SL_SM_E_clIPiSE_SF_SF_EESJ_SZ_SK_SL_SM_EUlSZ_E0_NS1_11comp_targetILNS1_3genE3ELNS1_11target_archE908ELNS1_3gpuE7ELNS1_3repE0EEENS1_38merge_mergepath_config_static_selectorELNS0_4arch9wavefront6targetE1EEEvSL_.num_vgpr, 0
	.set _ZN7rocprim17ROCPRIM_400000_NS6detail17trampoline_kernelINS0_14default_configENS1_38merge_sort_block_merge_config_selectorIiNS0_10empty_typeEEEZZNS1_27merge_sort_block_merge_implIS3_N6thrust23THRUST_200600_302600_NS6detail15normal_iteratorINS9_10device_ptrIiEEEEPS5_jNS1_19radix_merge_compareILb1ELb0EiNS0_19identity_decomposerEEEEE10hipError_tT0_T1_T2_jT3_P12ihipStream_tbPNSt15iterator_traitsISK_E10value_typeEPNSQ_ISL_E10value_typeEPSM_NS1_7vsmem_tEENKUlT_SK_SL_SM_E_clIPiSE_SF_SF_EESJ_SZ_SK_SL_SM_EUlSZ_E0_NS1_11comp_targetILNS1_3genE3ELNS1_11target_archE908ELNS1_3gpuE7ELNS1_3repE0EEENS1_38merge_mergepath_config_static_selectorELNS0_4arch9wavefront6targetE1EEEvSL_.num_agpr, 0
	.set _ZN7rocprim17ROCPRIM_400000_NS6detail17trampoline_kernelINS0_14default_configENS1_38merge_sort_block_merge_config_selectorIiNS0_10empty_typeEEEZZNS1_27merge_sort_block_merge_implIS3_N6thrust23THRUST_200600_302600_NS6detail15normal_iteratorINS9_10device_ptrIiEEEEPS5_jNS1_19radix_merge_compareILb1ELb0EiNS0_19identity_decomposerEEEEE10hipError_tT0_T1_T2_jT3_P12ihipStream_tbPNSt15iterator_traitsISK_E10value_typeEPNSQ_ISL_E10value_typeEPSM_NS1_7vsmem_tEENKUlT_SK_SL_SM_E_clIPiSE_SF_SF_EESJ_SZ_SK_SL_SM_EUlSZ_E0_NS1_11comp_targetILNS1_3genE3ELNS1_11target_archE908ELNS1_3gpuE7ELNS1_3repE0EEENS1_38merge_mergepath_config_static_selectorELNS0_4arch9wavefront6targetE1EEEvSL_.numbered_sgpr, 0
	.set _ZN7rocprim17ROCPRIM_400000_NS6detail17trampoline_kernelINS0_14default_configENS1_38merge_sort_block_merge_config_selectorIiNS0_10empty_typeEEEZZNS1_27merge_sort_block_merge_implIS3_N6thrust23THRUST_200600_302600_NS6detail15normal_iteratorINS9_10device_ptrIiEEEEPS5_jNS1_19radix_merge_compareILb1ELb0EiNS0_19identity_decomposerEEEEE10hipError_tT0_T1_T2_jT3_P12ihipStream_tbPNSt15iterator_traitsISK_E10value_typeEPNSQ_ISL_E10value_typeEPSM_NS1_7vsmem_tEENKUlT_SK_SL_SM_E_clIPiSE_SF_SF_EESJ_SZ_SK_SL_SM_EUlSZ_E0_NS1_11comp_targetILNS1_3genE3ELNS1_11target_archE908ELNS1_3gpuE7ELNS1_3repE0EEENS1_38merge_mergepath_config_static_selectorELNS0_4arch9wavefront6targetE1EEEvSL_.num_named_barrier, 0
	.set _ZN7rocprim17ROCPRIM_400000_NS6detail17trampoline_kernelINS0_14default_configENS1_38merge_sort_block_merge_config_selectorIiNS0_10empty_typeEEEZZNS1_27merge_sort_block_merge_implIS3_N6thrust23THRUST_200600_302600_NS6detail15normal_iteratorINS9_10device_ptrIiEEEEPS5_jNS1_19radix_merge_compareILb1ELb0EiNS0_19identity_decomposerEEEEE10hipError_tT0_T1_T2_jT3_P12ihipStream_tbPNSt15iterator_traitsISK_E10value_typeEPNSQ_ISL_E10value_typeEPSM_NS1_7vsmem_tEENKUlT_SK_SL_SM_E_clIPiSE_SF_SF_EESJ_SZ_SK_SL_SM_EUlSZ_E0_NS1_11comp_targetILNS1_3genE3ELNS1_11target_archE908ELNS1_3gpuE7ELNS1_3repE0EEENS1_38merge_mergepath_config_static_selectorELNS0_4arch9wavefront6targetE1EEEvSL_.private_seg_size, 0
	.set _ZN7rocprim17ROCPRIM_400000_NS6detail17trampoline_kernelINS0_14default_configENS1_38merge_sort_block_merge_config_selectorIiNS0_10empty_typeEEEZZNS1_27merge_sort_block_merge_implIS3_N6thrust23THRUST_200600_302600_NS6detail15normal_iteratorINS9_10device_ptrIiEEEEPS5_jNS1_19radix_merge_compareILb1ELb0EiNS0_19identity_decomposerEEEEE10hipError_tT0_T1_T2_jT3_P12ihipStream_tbPNSt15iterator_traitsISK_E10value_typeEPNSQ_ISL_E10value_typeEPSM_NS1_7vsmem_tEENKUlT_SK_SL_SM_E_clIPiSE_SF_SF_EESJ_SZ_SK_SL_SM_EUlSZ_E0_NS1_11comp_targetILNS1_3genE3ELNS1_11target_archE908ELNS1_3gpuE7ELNS1_3repE0EEENS1_38merge_mergepath_config_static_selectorELNS0_4arch9wavefront6targetE1EEEvSL_.uses_vcc, 0
	.set _ZN7rocprim17ROCPRIM_400000_NS6detail17trampoline_kernelINS0_14default_configENS1_38merge_sort_block_merge_config_selectorIiNS0_10empty_typeEEEZZNS1_27merge_sort_block_merge_implIS3_N6thrust23THRUST_200600_302600_NS6detail15normal_iteratorINS9_10device_ptrIiEEEEPS5_jNS1_19radix_merge_compareILb1ELb0EiNS0_19identity_decomposerEEEEE10hipError_tT0_T1_T2_jT3_P12ihipStream_tbPNSt15iterator_traitsISK_E10value_typeEPNSQ_ISL_E10value_typeEPSM_NS1_7vsmem_tEENKUlT_SK_SL_SM_E_clIPiSE_SF_SF_EESJ_SZ_SK_SL_SM_EUlSZ_E0_NS1_11comp_targetILNS1_3genE3ELNS1_11target_archE908ELNS1_3gpuE7ELNS1_3repE0EEENS1_38merge_mergepath_config_static_selectorELNS0_4arch9wavefront6targetE1EEEvSL_.uses_flat_scratch, 0
	.set _ZN7rocprim17ROCPRIM_400000_NS6detail17trampoline_kernelINS0_14default_configENS1_38merge_sort_block_merge_config_selectorIiNS0_10empty_typeEEEZZNS1_27merge_sort_block_merge_implIS3_N6thrust23THRUST_200600_302600_NS6detail15normal_iteratorINS9_10device_ptrIiEEEEPS5_jNS1_19radix_merge_compareILb1ELb0EiNS0_19identity_decomposerEEEEE10hipError_tT0_T1_T2_jT3_P12ihipStream_tbPNSt15iterator_traitsISK_E10value_typeEPNSQ_ISL_E10value_typeEPSM_NS1_7vsmem_tEENKUlT_SK_SL_SM_E_clIPiSE_SF_SF_EESJ_SZ_SK_SL_SM_EUlSZ_E0_NS1_11comp_targetILNS1_3genE3ELNS1_11target_archE908ELNS1_3gpuE7ELNS1_3repE0EEENS1_38merge_mergepath_config_static_selectorELNS0_4arch9wavefront6targetE1EEEvSL_.has_dyn_sized_stack, 0
	.set _ZN7rocprim17ROCPRIM_400000_NS6detail17trampoline_kernelINS0_14default_configENS1_38merge_sort_block_merge_config_selectorIiNS0_10empty_typeEEEZZNS1_27merge_sort_block_merge_implIS3_N6thrust23THRUST_200600_302600_NS6detail15normal_iteratorINS9_10device_ptrIiEEEEPS5_jNS1_19radix_merge_compareILb1ELb0EiNS0_19identity_decomposerEEEEE10hipError_tT0_T1_T2_jT3_P12ihipStream_tbPNSt15iterator_traitsISK_E10value_typeEPNSQ_ISL_E10value_typeEPSM_NS1_7vsmem_tEENKUlT_SK_SL_SM_E_clIPiSE_SF_SF_EESJ_SZ_SK_SL_SM_EUlSZ_E0_NS1_11comp_targetILNS1_3genE3ELNS1_11target_archE908ELNS1_3gpuE7ELNS1_3repE0EEENS1_38merge_mergepath_config_static_selectorELNS0_4arch9wavefront6targetE1EEEvSL_.has_recursion, 0
	.set _ZN7rocprim17ROCPRIM_400000_NS6detail17trampoline_kernelINS0_14default_configENS1_38merge_sort_block_merge_config_selectorIiNS0_10empty_typeEEEZZNS1_27merge_sort_block_merge_implIS3_N6thrust23THRUST_200600_302600_NS6detail15normal_iteratorINS9_10device_ptrIiEEEEPS5_jNS1_19radix_merge_compareILb1ELb0EiNS0_19identity_decomposerEEEEE10hipError_tT0_T1_T2_jT3_P12ihipStream_tbPNSt15iterator_traitsISK_E10value_typeEPNSQ_ISL_E10value_typeEPSM_NS1_7vsmem_tEENKUlT_SK_SL_SM_E_clIPiSE_SF_SF_EESJ_SZ_SK_SL_SM_EUlSZ_E0_NS1_11comp_targetILNS1_3genE3ELNS1_11target_archE908ELNS1_3gpuE7ELNS1_3repE0EEENS1_38merge_mergepath_config_static_selectorELNS0_4arch9wavefront6targetE1EEEvSL_.has_indirect_call, 0
	.section	.AMDGPU.csdata,"",@progbits
; Kernel info:
; codeLenInByte = 0
; TotalNumSgprs: 6
; NumVgprs: 0
; NumAgprs: 0
; TotalNumVgprs: 0
; ScratchSize: 0
; MemoryBound: 0
; FloatMode: 240
; IeeeMode: 1
; LDSByteSize: 0 bytes/workgroup (compile time only)
; SGPRBlocks: 0
; VGPRBlocks: 0
; NumSGPRsForWavesPerEU: 6
; NumVGPRsForWavesPerEU: 1
; AccumOffset: 4
; Occupancy: 8
; WaveLimiterHint : 0
; COMPUTE_PGM_RSRC2:SCRATCH_EN: 0
; COMPUTE_PGM_RSRC2:USER_SGPR: 2
; COMPUTE_PGM_RSRC2:TRAP_HANDLER: 0
; COMPUTE_PGM_RSRC2:TGID_X_EN: 1
; COMPUTE_PGM_RSRC2:TGID_Y_EN: 0
; COMPUTE_PGM_RSRC2:TGID_Z_EN: 0
; COMPUTE_PGM_RSRC2:TIDIG_COMP_CNT: 0
; COMPUTE_PGM_RSRC3_GFX90A:ACCUM_OFFSET: 0
; COMPUTE_PGM_RSRC3_GFX90A:TG_SPLIT: 0
	.section	.text._ZN7rocprim17ROCPRIM_400000_NS6detail17trampoline_kernelINS0_14default_configENS1_38merge_sort_block_merge_config_selectorIiNS0_10empty_typeEEEZZNS1_27merge_sort_block_merge_implIS3_N6thrust23THRUST_200600_302600_NS6detail15normal_iteratorINS9_10device_ptrIiEEEEPS5_jNS1_19radix_merge_compareILb1ELb0EiNS0_19identity_decomposerEEEEE10hipError_tT0_T1_T2_jT3_P12ihipStream_tbPNSt15iterator_traitsISK_E10value_typeEPNSQ_ISL_E10value_typeEPSM_NS1_7vsmem_tEENKUlT_SK_SL_SM_E_clIPiSE_SF_SF_EESJ_SZ_SK_SL_SM_EUlSZ_E0_NS1_11comp_targetILNS1_3genE2ELNS1_11target_archE906ELNS1_3gpuE6ELNS1_3repE0EEENS1_38merge_mergepath_config_static_selectorELNS0_4arch9wavefront6targetE1EEEvSL_,"axG",@progbits,_ZN7rocprim17ROCPRIM_400000_NS6detail17trampoline_kernelINS0_14default_configENS1_38merge_sort_block_merge_config_selectorIiNS0_10empty_typeEEEZZNS1_27merge_sort_block_merge_implIS3_N6thrust23THRUST_200600_302600_NS6detail15normal_iteratorINS9_10device_ptrIiEEEEPS5_jNS1_19radix_merge_compareILb1ELb0EiNS0_19identity_decomposerEEEEE10hipError_tT0_T1_T2_jT3_P12ihipStream_tbPNSt15iterator_traitsISK_E10value_typeEPNSQ_ISL_E10value_typeEPSM_NS1_7vsmem_tEENKUlT_SK_SL_SM_E_clIPiSE_SF_SF_EESJ_SZ_SK_SL_SM_EUlSZ_E0_NS1_11comp_targetILNS1_3genE2ELNS1_11target_archE906ELNS1_3gpuE6ELNS1_3repE0EEENS1_38merge_mergepath_config_static_selectorELNS0_4arch9wavefront6targetE1EEEvSL_,comdat
	.protected	_ZN7rocprim17ROCPRIM_400000_NS6detail17trampoline_kernelINS0_14default_configENS1_38merge_sort_block_merge_config_selectorIiNS0_10empty_typeEEEZZNS1_27merge_sort_block_merge_implIS3_N6thrust23THRUST_200600_302600_NS6detail15normal_iteratorINS9_10device_ptrIiEEEEPS5_jNS1_19radix_merge_compareILb1ELb0EiNS0_19identity_decomposerEEEEE10hipError_tT0_T1_T2_jT3_P12ihipStream_tbPNSt15iterator_traitsISK_E10value_typeEPNSQ_ISL_E10value_typeEPSM_NS1_7vsmem_tEENKUlT_SK_SL_SM_E_clIPiSE_SF_SF_EESJ_SZ_SK_SL_SM_EUlSZ_E0_NS1_11comp_targetILNS1_3genE2ELNS1_11target_archE906ELNS1_3gpuE6ELNS1_3repE0EEENS1_38merge_mergepath_config_static_selectorELNS0_4arch9wavefront6targetE1EEEvSL_ ; -- Begin function _ZN7rocprim17ROCPRIM_400000_NS6detail17trampoline_kernelINS0_14default_configENS1_38merge_sort_block_merge_config_selectorIiNS0_10empty_typeEEEZZNS1_27merge_sort_block_merge_implIS3_N6thrust23THRUST_200600_302600_NS6detail15normal_iteratorINS9_10device_ptrIiEEEEPS5_jNS1_19radix_merge_compareILb1ELb0EiNS0_19identity_decomposerEEEEE10hipError_tT0_T1_T2_jT3_P12ihipStream_tbPNSt15iterator_traitsISK_E10value_typeEPNSQ_ISL_E10value_typeEPSM_NS1_7vsmem_tEENKUlT_SK_SL_SM_E_clIPiSE_SF_SF_EESJ_SZ_SK_SL_SM_EUlSZ_E0_NS1_11comp_targetILNS1_3genE2ELNS1_11target_archE906ELNS1_3gpuE6ELNS1_3repE0EEENS1_38merge_mergepath_config_static_selectorELNS0_4arch9wavefront6targetE1EEEvSL_
	.globl	_ZN7rocprim17ROCPRIM_400000_NS6detail17trampoline_kernelINS0_14default_configENS1_38merge_sort_block_merge_config_selectorIiNS0_10empty_typeEEEZZNS1_27merge_sort_block_merge_implIS3_N6thrust23THRUST_200600_302600_NS6detail15normal_iteratorINS9_10device_ptrIiEEEEPS5_jNS1_19radix_merge_compareILb1ELb0EiNS0_19identity_decomposerEEEEE10hipError_tT0_T1_T2_jT3_P12ihipStream_tbPNSt15iterator_traitsISK_E10value_typeEPNSQ_ISL_E10value_typeEPSM_NS1_7vsmem_tEENKUlT_SK_SL_SM_E_clIPiSE_SF_SF_EESJ_SZ_SK_SL_SM_EUlSZ_E0_NS1_11comp_targetILNS1_3genE2ELNS1_11target_archE906ELNS1_3gpuE6ELNS1_3repE0EEENS1_38merge_mergepath_config_static_selectorELNS0_4arch9wavefront6targetE1EEEvSL_
	.p2align	8
	.type	_ZN7rocprim17ROCPRIM_400000_NS6detail17trampoline_kernelINS0_14default_configENS1_38merge_sort_block_merge_config_selectorIiNS0_10empty_typeEEEZZNS1_27merge_sort_block_merge_implIS3_N6thrust23THRUST_200600_302600_NS6detail15normal_iteratorINS9_10device_ptrIiEEEEPS5_jNS1_19radix_merge_compareILb1ELb0EiNS0_19identity_decomposerEEEEE10hipError_tT0_T1_T2_jT3_P12ihipStream_tbPNSt15iterator_traitsISK_E10value_typeEPNSQ_ISL_E10value_typeEPSM_NS1_7vsmem_tEENKUlT_SK_SL_SM_E_clIPiSE_SF_SF_EESJ_SZ_SK_SL_SM_EUlSZ_E0_NS1_11comp_targetILNS1_3genE2ELNS1_11target_archE906ELNS1_3gpuE6ELNS1_3repE0EEENS1_38merge_mergepath_config_static_selectorELNS0_4arch9wavefront6targetE1EEEvSL_,@function
_ZN7rocprim17ROCPRIM_400000_NS6detail17trampoline_kernelINS0_14default_configENS1_38merge_sort_block_merge_config_selectorIiNS0_10empty_typeEEEZZNS1_27merge_sort_block_merge_implIS3_N6thrust23THRUST_200600_302600_NS6detail15normal_iteratorINS9_10device_ptrIiEEEEPS5_jNS1_19radix_merge_compareILb1ELb0EiNS0_19identity_decomposerEEEEE10hipError_tT0_T1_T2_jT3_P12ihipStream_tbPNSt15iterator_traitsISK_E10value_typeEPNSQ_ISL_E10value_typeEPSM_NS1_7vsmem_tEENKUlT_SK_SL_SM_E_clIPiSE_SF_SF_EESJ_SZ_SK_SL_SM_EUlSZ_E0_NS1_11comp_targetILNS1_3genE2ELNS1_11target_archE906ELNS1_3gpuE6ELNS1_3repE0EEENS1_38merge_mergepath_config_static_selectorELNS0_4arch9wavefront6targetE1EEEvSL_: ; @_ZN7rocprim17ROCPRIM_400000_NS6detail17trampoline_kernelINS0_14default_configENS1_38merge_sort_block_merge_config_selectorIiNS0_10empty_typeEEEZZNS1_27merge_sort_block_merge_implIS3_N6thrust23THRUST_200600_302600_NS6detail15normal_iteratorINS9_10device_ptrIiEEEEPS5_jNS1_19radix_merge_compareILb1ELb0EiNS0_19identity_decomposerEEEEE10hipError_tT0_T1_T2_jT3_P12ihipStream_tbPNSt15iterator_traitsISK_E10value_typeEPNSQ_ISL_E10value_typeEPSM_NS1_7vsmem_tEENKUlT_SK_SL_SM_E_clIPiSE_SF_SF_EESJ_SZ_SK_SL_SM_EUlSZ_E0_NS1_11comp_targetILNS1_3genE2ELNS1_11target_archE906ELNS1_3gpuE6ELNS1_3repE0EEENS1_38merge_mergepath_config_static_selectorELNS0_4arch9wavefront6targetE1EEEvSL_
; %bb.0:
	.section	.rodata,"a",@progbits
	.p2align	6, 0x0
	.amdhsa_kernel _ZN7rocprim17ROCPRIM_400000_NS6detail17trampoline_kernelINS0_14default_configENS1_38merge_sort_block_merge_config_selectorIiNS0_10empty_typeEEEZZNS1_27merge_sort_block_merge_implIS3_N6thrust23THRUST_200600_302600_NS6detail15normal_iteratorINS9_10device_ptrIiEEEEPS5_jNS1_19radix_merge_compareILb1ELb0EiNS0_19identity_decomposerEEEEE10hipError_tT0_T1_T2_jT3_P12ihipStream_tbPNSt15iterator_traitsISK_E10value_typeEPNSQ_ISL_E10value_typeEPSM_NS1_7vsmem_tEENKUlT_SK_SL_SM_E_clIPiSE_SF_SF_EESJ_SZ_SK_SL_SM_EUlSZ_E0_NS1_11comp_targetILNS1_3genE2ELNS1_11target_archE906ELNS1_3gpuE6ELNS1_3repE0EEENS1_38merge_mergepath_config_static_selectorELNS0_4arch9wavefront6targetE1EEEvSL_
		.amdhsa_group_segment_fixed_size 0
		.amdhsa_private_segment_fixed_size 0
		.amdhsa_kernarg_size 64
		.amdhsa_user_sgpr_count 2
		.amdhsa_user_sgpr_dispatch_ptr 0
		.amdhsa_user_sgpr_queue_ptr 0
		.amdhsa_user_sgpr_kernarg_segment_ptr 1
		.amdhsa_user_sgpr_dispatch_id 0
		.amdhsa_user_sgpr_kernarg_preload_length 0
		.amdhsa_user_sgpr_kernarg_preload_offset 0
		.amdhsa_user_sgpr_private_segment_size 0
		.amdhsa_uses_dynamic_stack 0
		.amdhsa_enable_private_segment 0
		.amdhsa_system_sgpr_workgroup_id_x 1
		.amdhsa_system_sgpr_workgroup_id_y 0
		.amdhsa_system_sgpr_workgroup_id_z 0
		.amdhsa_system_sgpr_workgroup_info 0
		.amdhsa_system_vgpr_workitem_id 0
		.amdhsa_next_free_vgpr 1
		.amdhsa_next_free_sgpr 0
		.amdhsa_accum_offset 4
		.amdhsa_reserve_vcc 0
		.amdhsa_float_round_mode_32 0
		.amdhsa_float_round_mode_16_64 0
		.amdhsa_float_denorm_mode_32 3
		.amdhsa_float_denorm_mode_16_64 3
		.amdhsa_dx10_clamp 1
		.amdhsa_ieee_mode 1
		.amdhsa_fp16_overflow 0
		.amdhsa_tg_split 0
		.amdhsa_exception_fp_ieee_invalid_op 0
		.amdhsa_exception_fp_denorm_src 0
		.amdhsa_exception_fp_ieee_div_zero 0
		.amdhsa_exception_fp_ieee_overflow 0
		.amdhsa_exception_fp_ieee_underflow 0
		.amdhsa_exception_fp_ieee_inexact 0
		.amdhsa_exception_int_div_zero 0
	.end_amdhsa_kernel
	.section	.text._ZN7rocprim17ROCPRIM_400000_NS6detail17trampoline_kernelINS0_14default_configENS1_38merge_sort_block_merge_config_selectorIiNS0_10empty_typeEEEZZNS1_27merge_sort_block_merge_implIS3_N6thrust23THRUST_200600_302600_NS6detail15normal_iteratorINS9_10device_ptrIiEEEEPS5_jNS1_19radix_merge_compareILb1ELb0EiNS0_19identity_decomposerEEEEE10hipError_tT0_T1_T2_jT3_P12ihipStream_tbPNSt15iterator_traitsISK_E10value_typeEPNSQ_ISL_E10value_typeEPSM_NS1_7vsmem_tEENKUlT_SK_SL_SM_E_clIPiSE_SF_SF_EESJ_SZ_SK_SL_SM_EUlSZ_E0_NS1_11comp_targetILNS1_3genE2ELNS1_11target_archE906ELNS1_3gpuE6ELNS1_3repE0EEENS1_38merge_mergepath_config_static_selectorELNS0_4arch9wavefront6targetE1EEEvSL_,"axG",@progbits,_ZN7rocprim17ROCPRIM_400000_NS6detail17trampoline_kernelINS0_14default_configENS1_38merge_sort_block_merge_config_selectorIiNS0_10empty_typeEEEZZNS1_27merge_sort_block_merge_implIS3_N6thrust23THRUST_200600_302600_NS6detail15normal_iteratorINS9_10device_ptrIiEEEEPS5_jNS1_19radix_merge_compareILb1ELb0EiNS0_19identity_decomposerEEEEE10hipError_tT0_T1_T2_jT3_P12ihipStream_tbPNSt15iterator_traitsISK_E10value_typeEPNSQ_ISL_E10value_typeEPSM_NS1_7vsmem_tEENKUlT_SK_SL_SM_E_clIPiSE_SF_SF_EESJ_SZ_SK_SL_SM_EUlSZ_E0_NS1_11comp_targetILNS1_3genE2ELNS1_11target_archE906ELNS1_3gpuE6ELNS1_3repE0EEENS1_38merge_mergepath_config_static_selectorELNS0_4arch9wavefront6targetE1EEEvSL_,comdat
.Lfunc_end235:
	.size	_ZN7rocprim17ROCPRIM_400000_NS6detail17trampoline_kernelINS0_14default_configENS1_38merge_sort_block_merge_config_selectorIiNS0_10empty_typeEEEZZNS1_27merge_sort_block_merge_implIS3_N6thrust23THRUST_200600_302600_NS6detail15normal_iteratorINS9_10device_ptrIiEEEEPS5_jNS1_19radix_merge_compareILb1ELb0EiNS0_19identity_decomposerEEEEE10hipError_tT0_T1_T2_jT3_P12ihipStream_tbPNSt15iterator_traitsISK_E10value_typeEPNSQ_ISL_E10value_typeEPSM_NS1_7vsmem_tEENKUlT_SK_SL_SM_E_clIPiSE_SF_SF_EESJ_SZ_SK_SL_SM_EUlSZ_E0_NS1_11comp_targetILNS1_3genE2ELNS1_11target_archE906ELNS1_3gpuE6ELNS1_3repE0EEENS1_38merge_mergepath_config_static_selectorELNS0_4arch9wavefront6targetE1EEEvSL_, .Lfunc_end235-_ZN7rocprim17ROCPRIM_400000_NS6detail17trampoline_kernelINS0_14default_configENS1_38merge_sort_block_merge_config_selectorIiNS0_10empty_typeEEEZZNS1_27merge_sort_block_merge_implIS3_N6thrust23THRUST_200600_302600_NS6detail15normal_iteratorINS9_10device_ptrIiEEEEPS5_jNS1_19radix_merge_compareILb1ELb0EiNS0_19identity_decomposerEEEEE10hipError_tT0_T1_T2_jT3_P12ihipStream_tbPNSt15iterator_traitsISK_E10value_typeEPNSQ_ISL_E10value_typeEPSM_NS1_7vsmem_tEENKUlT_SK_SL_SM_E_clIPiSE_SF_SF_EESJ_SZ_SK_SL_SM_EUlSZ_E0_NS1_11comp_targetILNS1_3genE2ELNS1_11target_archE906ELNS1_3gpuE6ELNS1_3repE0EEENS1_38merge_mergepath_config_static_selectorELNS0_4arch9wavefront6targetE1EEEvSL_
                                        ; -- End function
	.set _ZN7rocprim17ROCPRIM_400000_NS6detail17trampoline_kernelINS0_14default_configENS1_38merge_sort_block_merge_config_selectorIiNS0_10empty_typeEEEZZNS1_27merge_sort_block_merge_implIS3_N6thrust23THRUST_200600_302600_NS6detail15normal_iteratorINS9_10device_ptrIiEEEEPS5_jNS1_19radix_merge_compareILb1ELb0EiNS0_19identity_decomposerEEEEE10hipError_tT0_T1_T2_jT3_P12ihipStream_tbPNSt15iterator_traitsISK_E10value_typeEPNSQ_ISL_E10value_typeEPSM_NS1_7vsmem_tEENKUlT_SK_SL_SM_E_clIPiSE_SF_SF_EESJ_SZ_SK_SL_SM_EUlSZ_E0_NS1_11comp_targetILNS1_3genE2ELNS1_11target_archE906ELNS1_3gpuE6ELNS1_3repE0EEENS1_38merge_mergepath_config_static_selectorELNS0_4arch9wavefront6targetE1EEEvSL_.num_vgpr, 0
	.set _ZN7rocprim17ROCPRIM_400000_NS6detail17trampoline_kernelINS0_14default_configENS1_38merge_sort_block_merge_config_selectorIiNS0_10empty_typeEEEZZNS1_27merge_sort_block_merge_implIS3_N6thrust23THRUST_200600_302600_NS6detail15normal_iteratorINS9_10device_ptrIiEEEEPS5_jNS1_19radix_merge_compareILb1ELb0EiNS0_19identity_decomposerEEEEE10hipError_tT0_T1_T2_jT3_P12ihipStream_tbPNSt15iterator_traitsISK_E10value_typeEPNSQ_ISL_E10value_typeEPSM_NS1_7vsmem_tEENKUlT_SK_SL_SM_E_clIPiSE_SF_SF_EESJ_SZ_SK_SL_SM_EUlSZ_E0_NS1_11comp_targetILNS1_3genE2ELNS1_11target_archE906ELNS1_3gpuE6ELNS1_3repE0EEENS1_38merge_mergepath_config_static_selectorELNS0_4arch9wavefront6targetE1EEEvSL_.num_agpr, 0
	.set _ZN7rocprim17ROCPRIM_400000_NS6detail17trampoline_kernelINS0_14default_configENS1_38merge_sort_block_merge_config_selectorIiNS0_10empty_typeEEEZZNS1_27merge_sort_block_merge_implIS3_N6thrust23THRUST_200600_302600_NS6detail15normal_iteratorINS9_10device_ptrIiEEEEPS5_jNS1_19radix_merge_compareILb1ELb0EiNS0_19identity_decomposerEEEEE10hipError_tT0_T1_T2_jT3_P12ihipStream_tbPNSt15iterator_traitsISK_E10value_typeEPNSQ_ISL_E10value_typeEPSM_NS1_7vsmem_tEENKUlT_SK_SL_SM_E_clIPiSE_SF_SF_EESJ_SZ_SK_SL_SM_EUlSZ_E0_NS1_11comp_targetILNS1_3genE2ELNS1_11target_archE906ELNS1_3gpuE6ELNS1_3repE0EEENS1_38merge_mergepath_config_static_selectorELNS0_4arch9wavefront6targetE1EEEvSL_.numbered_sgpr, 0
	.set _ZN7rocprim17ROCPRIM_400000_NS6detail17trampoline_kernelINS0_14default_configENS1_38merge_sort_block_merge_config_selectorIiNS0_10empty_typeEEEZZNS1_27merge_sort_block_merge_implIS3_N6thrust23THRUST_200600_302600_NS6detail15normal_iteratorINS9_10device_ptrIiEEEEPS5_jNS1_19radix_merge_compareILb1ELb0EiNS0_19identity_decomposerEEEEE10hipError_tT0_T1_T2_jT3_P12ihipStream_tbPNSt15iterator_traitsISK_E10value_typeEPNSQ_ISL_E10value_typeEPSM_NS1_7vsmem_tEENKUlT_SK_SL_SM_E_clIPiSE_SF_SF_EESJ_SZ_SK_SL_SM_EUlSZ_E0_NS1_11comp_targetILNS1_3genE2ELNS1_11target_archE906ELNS1_3gpuE6ELNS1_3repE0EEENS1_38merge_mergepath_config_static_selectorELNS0_4arch9wavefront6targetE1EEEvSL_.num_named_barrier, 0
	.set _ZN7rocprim17ROCPRIM_400000_NS6detail17trampoline_kernelINS0_14default_configENS1_38merge_sort_block_merge_config_selectorIiNS0_10empty_typeEEEZZNS1_27merge_sort_block_merge_implIS3_N6thrust23THRUST_200600_302600_NS6detail15normal_iteratorINS9_10device_ptrIiEEEEPS5_jNS1_19radix_merge_compareILb1ELb0EiNS0_19identity_decomposerEEEEE10hipError_tT0_T1_T2_jT3_P12ihipStream_tbPNSt15iterator_traitsISK_E10value_typeEPNSQ_ISL_E10value_typeEPSM_NS1_7vsmem_tEENKUlT_SK_SL_SM_E_clIPiSE_SF_SF_EESJ_SZ_SK_SL_SM_EUlSZ_E0_NS1_11comp_targetILNS1_3genE2ELNS1_11target_archE906ELNS1_3gpuE6ELNS1_3repE0EEENS1_38merge_mergepath_config_static_selectorELNS0_4arch9wavefront6targetE1EEEvSL_.private_seg_size, 0
	.set _ZN7rocprim17ROCPRIM_400000_NS6detail17trampoline_kernelINS0_14default_configENS1_38merge_sort_block_merge_config_selectorIiNS0_10empty_typeEEEZZNS1_27merge_sort_block_merge_implIS3_N6thrust23THRUST_200600_302600_NS6detail15normal_iteratorINS9_10device_ptrIiEEEEPS5_jNS1_19radix_merge_compareILb1ELb0EiNS0_19identity_decomposerEEEEE10hipError_tT0_T1_T2_jT3_P12ihipStream_tbPNSt15iterator_traitsISK_E10value_typeEPNSQ_ISL_E10value_typeEPSM_NS1_7vsmem_tEENKUlT_SK_SL_SM_E_clIPiSE_SF_SF_EESJ_SZ_SK_SL_SM_EUlSZ_E0_NS1_11comp_targetILNS1_3genE2ELNS1_11target_archE906ELNS1_3gpuE6ELNS1_3repE0EEENS1_38merge_mergepath_config_static_selectorELNS0_4arch9wavefront6targetE1EEEvSL_.uses_vcc, 0
	.set _ZN7rocprim17ROCPRIM_400000_NS6detail17trampoline_kernelINS0_14default_configENS1_38merge_sort_block_merge_config_selectorIiNS0_10empty_typeEEEZZNS1_27merge_sort_block_merge_implIS3_N6thrust23THRUST_200600_302600_NS6detail15normal_iteratorINS9_10device_ptrIiEEEEPS5_jNS1_19radix_merge_compareILb1ELb0EiNS0_19identity_decomposerEEEEE10hipError_tT0_T1_T2_jT3_P12ihipStream_tbPNSt15iterator_traitsISK_E10value_typeEPNSQ_ISL_E10value_typeEPSM_NS1_7vsmem_tEENKUlT_SK_SL_SM_E_clIPiSE_SF_SF_EESJ_SZ_SK_SL_SM_EUlSZ_E0_NS1_11comp_targetILNS1_3genE2ELNS1_11target_archE906ELNS1_3gpuE6ELNS1_3repE0EEENS1_38merge_mergepath_config_static_selectorELNS0_4arch9wavefront6targetE1EEEvSL_.uses_flat_scratch, 0
	.set _ZN7rocprim17ROCPRIM_400000_NS6detail17trampoline_kernelINS0_14default_configENS1_38merge_sort_block_merge_config_selectorIiNS0_10empty_typeEEEZZNS1_27merge_sort_block_merge_implIS3_N6thrust23THRUST_200600_302600_NS6detail15normal_iteratorINS9_10device_ptrIiEEEEPS5_jNS1_19radix_merge_compareILb1ELb0EiNS0_19identity_decomposerEEEEE10hipError_tT0_T1_T2_jT3_P12ihipStream_tbPNSt15iterator_traitsISK_E10value_typeEPNSQ_ISL_E10value_typeEPSM_NS1_7vsmem_tEENKUlT_SK_SL_SM_E_clIPiSE_SF_SF_EESJ_SZ_SK_SL_SM_EUlSZ_E0_NS1_11comp_targetILNS1_3genE2ELNS1_11target_archE906ELNS1_3gpuE6ELNS1_3repE0EEENS1_38merge_mergepath_config_static_selectorELNS0_4arch9wavefront6targetE1EEEvSL_.has_dyn_sized_stack, 0
	.set _ZN7rocprim17ROCPRIM_400000_NS6detail17trampoline_kernelINS0_14default_configENS1_38merge_sort_block_merge_config_selectorIiNS0_10empty_typeEEEZZNS1_27merge_sort_block_merge_implIS3_N6thrust23THRUST_200600_302600_NS6detail15normal_iteratorINS9_10device_ptrIiEEEEPS5_jNS1_19radix_merge_compareILb1ELb0EiNS0_19identity_decomposerEEEEE10hipError_tT0_T1_T2_jT3_P12ihipStream_tbPNSt15iterator_traitsISK_E10value_typeEPNSQ_ISL_E10value_typeEPSM_NS1_7vsmem_tEENKUlT_SK_SL_SM_E_clIPiSE_SF_SF_EESJ_SZ_SK_SL_SM_EUlSZ_E0_NS1_11comp_targetILNS1_3genE2ELNS1_11target_archE906ELNS1_3gpuE6ELNS1_3repE0EEENS1_38merge_mergepath_config_static_selectorELNS0_4arch9wavefront6targetE1EEEvSL_.has_recursion, 0
	.set _ZN7rocprim17ROCPRIM_400000_NS6detail17trampoline_kernelINS0_14default_configENS1_38merge_sort_block_merge_config_selectorIiNS0_10empty_typeEEEZZNS1_27merge_sort_block_merge_implIS3_N6thrust23THRUST_200600_302600_NS6detail15normal_iteratorINS9_10device_ptrIiEEEEPS5_jNS1_19radix_merge_compareILb1ELb0EiNS0_19identity_decomposerEEEEE10hipError_tT0_T1_T2_jT3_P12ihipStream_tbPNSt15iterator_traitsISK_E10value_typeEPNSQ_ISL_E10value_typeEPSM_NS1_7vsmem_tEENKUlT_SK_SL_SM_E_clIPiSE_SF_SF_EESJ_SZ_SK_SL_SM_EUlSZ_E0_NS1_11comp_targetILNS1_3genE2ELNS1_11target_archE906ELNS1_3gpuE6ELNS1_3repE0EEENS1_38merge_mergepath_config_static_selectorELNS0_4arch9wavefront6targetE1EEEvSL_.has_indirect_call, 0
	.section	.AMDGPU.csdata,"",@progbits
; Kernel info:
; codeLenInByte = 0
; TotalNumSgprs: 6
; NumVgprs: 0
; NumAgprs: 0
; TotalNumVgprs: 0
; ScratchSize: 0
; MemoryBound: 0
; FloatMode: 240
; IeeeMode: 1
; LDSByteSize: 0 bytes/workgroup (compile time only)
; SGPRBlocks: 0
; VGPRBlocks: 0
; NumSGPRsForWavesPerEU: 6
; NumVGPRsForWavesPerEU: 1
; AccumOffset: 4
; Occupancy: 8
; WaveLimiterHint : 0
; COMPUTE_PGM_RSRC2:SCRATCH_EN: 0
; COMPUTE_PGM_RSRC2:USER_SGPR: 2
; COMPUTE_PGM_RSRC2:TRAP_HANDLER: 0
; COMPUTE_PGM_RSRC2:TGID_X_EN: 1
; COMPUTE_PGM_RSRC2:TGID_Y_EN: 0
; COMPUTE_PGM_RSRC2:TGID_Z_EN: 0
; COMPUTE_PGM_RSRC2:TIDIG_COMP_CNT: 0
; COMPUTE_PGM_RSRC3_GFX90A:ACCUM_OFFSET: 0
; COMPUTE_PGM_RSRC3_GFX90A:TG_SPLIT: 0
	.section	.text._ZN7rocprim17ROCPRIM_400000_NS6detail17trampoline_kernelINS0_14default_configENS1_38merge_sort_block_merge_config_selectorIiNS0_10empty_typeEEEZZNS1_27merge_sort_block_merge_implIS3_N6thrust23THRUST_200600_302600_NS6detail15normal_iteratorINS9_10device_ptrIiEEEEPS5_jNS1_19radix_merge_compareILb1ELb0EiNS0_19identity_decomposerEEEEE10hipError_tT0_T1_T2_jT3_P12ihipStream_tbPNSt15iterator_traitsISK_E10value_typeEPNSQ_ISL_E10value_typeEPSM_NS1_7vsmem_tEENKUlT_SK_SL_SM_E_clIPiSE_SF_SF_EESJ_SZ_SK_SL_SM_EUlSZ_E0_NS1_11comp_targetILNS1_3genE9ELNS1_11target_archE1100ELNS1_3gpuE3ELNS1_3repE0EEENS1_38merge_mergepath_config_static_selectorELNS0_4arch9wavefront6targetE1EEEvSL_,"axG",@progbits,_ZN7rocprim17ROCPRIM_400000_NS6detail17trampoline_kernelINS0_14default_configENS1_38merge_sort_block_merge_config_selectorIiNS0_10empty_typeEEEZZNS1_27merge_sort_block_merge_implIS3_N6thrust23THRUST_200600_302600_NS6detail15normal_iteratorINS9_10device_ptrIiEEEEPS5_jNS1_19radix_merge_compareILb1ELb0EiNS0_19identity_decomposerEEEEE10hipError_tT0_T1_T2_jT3_P12ihipStream_tbPNSt15iterator_traitsISK_E10value_typeEPNSQ_ISL_E10value_typeEPSM_NS1_7vsmem_tEENKUlT_SK_SL_SM_E_clIPiSE_SF_SF_EESJ_SZ_SK_SL_SM_EUlSZ_E0_NS1_11comp_targetILNS1_3genE9ELNS1_11target_archE1100ELNS1_3gpuE3ELNS1_3repE0EEENS1_38merge_mergepath_config_static_selectorELNS0_4arch9wavefront6targetE1EEEvSL_,comdat
	.protected	_ZN7rocprim17ROCPRIM_400000_NS6detail17trampoline_kernelINS0_14default_configENS1_38merge_sort_block_merge_config_selectorIiNS0_10empty_typeEEEZZNS1_27merge_sort_block_merge_implIS3_N6thrust23THRUST_200600_302600_NS6detail15normal_iteratorINS9_10device_ptrIiEEEEPS5_jNS1_19radix_merge_compareILb1ELb0EiNS0_19identity_decomposerEEEEE10hipError_tT0_T1_T2_jT3_P12ihipStream_tbPNSt15iterator_traitsISK_E10value_typeEPNSQ_ISL_E10value_typeEPSM_NS1_7vsmem_tEENKUlT_SK_SL_SM_E_clIPiSE_SF_SF_EESJ_SZ_SK_SL_SM_EUlSZ_E0_NS1_11comp_targetILNS1_3genE9ELNS1_11target_archE1100ELNS1_3gpuE3ELNS1_3repE0EEENS1_38merge_mergepath_config_static_selectorELNS0_4arch9wavefront6targetE1EEEvSL_ ; -- Begin function _ZN7rocprim17ROCPRIM_400000_NS6detail17trampoline_kernelINS0_14default_configENS1_38merge_sort_block_merge_config_selectorIiNS0_10empty_typeEEEZZNS1_27merge_sort_block_merge_implIS3_N6thrust23THRUST_200600_302600_NS6detail15normal_iteratorINS9_10device_ptrIiEEEEPS5_jNS1_19radix_merge_compareILb1ELb0EiNS0_19identity_decomposerEEEEE10hipError_tT0_T1_T2_jT3_P12ihipStream_tbPNSt15iterator_traitsISK_E10value_typeEPNSQ_ISL_E10value_typeEPSM_NS1_7vsmem_tEENKUlT_SK_SL_SM_E_clIPiSE_SF_SF_EESJ_SZ_SK_SL_SM_EUlSZ_E0_NS1_11comp_targetILNS1_3genE9ELNS1_11target_archE1100ELNS1_3gpuE3ELNS1_3repE0EEENS1_38merge_mergepath_config_static_selectorELNS0_4arch9wavefront6targetE1EEEvSL_
	.globl	_ZN7rocprim17ROCPRIM_400000_NS6detail17trampoline_kernelINS0_14default_configENS1_38merge_sort_block_merge_config_selectorIiNS0_10empty_typeEEEZZNS1_27merge_sort_block_merge_implIS3_N6thrust23THRUST_200600_302600_NS6detail15normal_iteratorINS9_10device_ptrIiEEEEPS5_jNS1_19radix_merge_compareILb1ELb0EiNS0_19identity_decomposerEEEEE10hipError_tT0_T1_T2_jT3_P12ihipStream_tbPNSt15iterator_traitsISK_E10value_typeEPNSQ_ISL_E10value_typeEPSM_NS1_7vsmem_tEENKUlT_SK_SL_SM_E_clIPiSE_SF_SF_EESJ_SZ_SK_SL_SM_EUlSZ_E0_NS1_11comp_targetILNS1_3genE9ELNS1_11target_archE1100ELNS1_3gpuE3ELNS1_3repE0EEENS1_38merge_mergepath_config_static_selectorELNS0_4arch9wavefront6targetE1EEEvSL_
	.p2align	8
	.type	_ZN7rocprim17ROCPRIM_400000_NS6detail17trampoline_kernelINS0_14default_configENS1_38merge_sort_block_merge_config_selectorIiNS0_10empty_typeEEEZZNS1_27merge_sort_block_merge_implIS3_N6thrust23THRUST_200600_302600_NS6detail15normal_iteratorINS9_10device_ptrIiEEEEPS5_jNS1_19radix_merge_compareILb1ELb0EiNS0_19identity_decomposerEEEEE10hipError_tT0_T1_T2_jT3_P12ihipStream_tbPNSt15iterator_traitsISK_E10value_typeEPNSQ_ISL_E10value_typeEPSM_NS1_7vsmem_tEENKUlT_SK_SL_SM_E_clIPiSE_SF_SF_EESJ_SZ_SK_SL_SM_EUlSZ_E0_NS1_11comp_targetILNS1_3genE9ELNS1_11target_archE1100ELNS1_3gpuE3ELNS1_3repE0EEENS1_38merge_mergepath_config_static_selectorELNS0_4arch9wavefront6targetE1EEEvSL_,@function
_ZN7rocprim17ROCPRIM_400000_NS6detail17trampoline_kernelINS0_14default_configENS1_38merge_sort_block_merge_config_selectorIiNS0_10empty_typeEEEZZNS1_27merge_sort_block_merge_implIS3_N6thrust23THRUST_200600_302600_NS6detail15normal_iteratorINS9_10device_ptrIiEEEEPS5_jNS1_19radix_merge_compareILb1ELb0EiNS0_19identity_decomposerEEEEE10hipError_tT0_T1_T2_jT3_P12ihipStream_tbPNSt15iterator_traitsISK_E10value_typeEPNSQ_ISL_E10value_typeEPSM_NS1_7vsmem_tEENKUlT_SK_SL_SM_E_clIPiSE_SF_SF_EESJ_SZ_SK_SL_SM_EUlSZ_E0_NS1_11comp_targetILNS1_3genE9ELNS1_11target_archE1100ELNS1_3gpuE3ELNS1_3repE0EEENS1_38merge_mergepath_config_static_selectorELNS0_4arch9wavefront6targetE1EEEvSL_: ; @_ZN7rocprim17ROCPRIM_400000_NS6detail17trampoline_kernelINS0_14default_configENS1_38merge_sort_block_merge_config_selectorIiNS0_10empty_typeEEEZZNS1_27merge_sort_block_merge_implIS3_N6thrust23THRUST_200600_302600_NS6detail15normal_iteratorINS9_10device_ptrIiEEEEPS5_jNS1_19radix_merge_compareILb1ELb0EiNS0_19identity_decomposerEEEEE10hipError_tT0_T1_T2_jT3_P12ihipStream_tbPNSt15iterator_traitsISK_E10value_typeEPNSQ_ISL_E10value_typeEPSM_NS1_7vsmem_tEENKUlT_SK_SL_SM_E_clIPiSE_SF_SF_EESJ_SZ_SK_SL_SM_EUlSZ_E0_NS1_11comp_targetILNS1_3genE9ELNS1_11target_archE1100ELNS1_3gpuE3ELNS1_3repE0EEENS1_38merge_mergepath_config_static_selectorELNS0_4arch9wavefront6targetE1EEEvSL_
; %bb.0:
	.section	.rodata,"a",@progbits
	.p2align	6, 0x0
	.amdhsa_kernel _ZN7rocprim17ROCPRIM_400000_NS6detail17trampoline_kernelINS0_14default_configENS1_38merge_sort_block_merge_config_selectorIiNS0_10empty_typeEEEZZNS1_27merge_sort_block_merge_implIS3_N6thrust23THRUST_200600_302600_NS6detail15normal_iteratorINS9_10device_ptrIiEEEEPS5_jNS1_19radix_merge_compareILb1ELb0EiNS0_19identity_decomposerEEEEE10hipError_tT0_T1_T2_jT3_P12ihipStream_tbPNSt15iterator_traitsISK_E10value_typeEPNSQ_ISL_E10value_typeEPSM_NS1_7vsmem_tEENKUlT_SK_SL_SM_E_clIPiSE_SF_SF_EESJ_SZ_SK_SL_SM_EUlSZ_E0_NS1_11comp_targetILNS1_3genE9ELNS1_11target_archE1100ELNS1_3gpuE3ELNS1_3repE0EEENS1_38merge_mergepath_config_static_selectorELNS0_4arch9wavefront6targetE1EEEvSL_
		.amdhsa_group_segment_fixed_size 0
		.amdhsa_private_segment_fixed_size 0
		.amdhsa_kernarg_size 64
		.amdhsa_user_sgpr_count 2
		.amdhsa_user_sgpr_dispatch_ptr 0
		.amdhsa_user_sgpr_queue_ptr 0
		.amdhsa_user_sgpr_kernarg_segment_ptr 1
		.amdhsa_user_sgpr_dispatch_id 0
		.amdhsa_user_sgpr_kernarg_preload_length 0
		.amdhsa_user_sgpr_kernarg_preload_offset 0
		.amdhsa_user_sgpr_private_segment_size 0
		.amdhsa_uses_dynamic_stack 0
		.amdhsa_enable_private_segment 0
		.amdhsa_system_sgpr_workgroup_id_x 1
		.amdhsa_system_sgpr_workgroup_id_y 0
		.amdhsa_system_sgpr_workgroup_id_z 0
		.amdhsa_system_sgpr_workgroup_info 0
		.amdhsa_system_vgpr_workitem_id 0
		.amdhsa_next_free_vgpr 1
		.amdhsa_next_free_sgpr 0
		.amdhsa_accum_offset 4
		.amdhsa_reserve_vcc 0
		.amdhsa_float_round_mode_32 0
		.amdhsa_float_round_mode_16_64 0
		.amdhsa_float_denorm_mode_32 3
		.amdhsa_float_denorm_mode_16_64 3
		.amdhsa_dx10_clamp 1
		.amdhsa_ieee_mode 1
		.amdhsa_fp16_overflow 0
		.amdhsa_tg_split 0
		.amdhsa_exception_fp_ieee_invalid_op 0
		.amdhsa_exception_fp_denorm_src 0
		.amdhsa_exception_fp_ieee_div_zero 0
		.amdhsa_exception_fp_ieee_overflow 0
		.amdhsa_exception_fp_ieee_underflow 0
		.amdhsa_exception_fp_ieee_inexact 0
		.amdhsa_exception_int_div_zero 0
	.end_amdhsa_kernel
	.section	.text._ZN7rocprim17ROCPRIM_400000_NS6detail17trampoline_kernelINS0_14default_configENS1_38merge_sort_block_merge_config_selectorIiNS0_10empty_typeEEEZZNS1_27merge_sort_block_merge_implIS3_N6thrust23THRUST_200600_302600_NS6detail15normal_iteratorINS9_10device_ptrIiEEEEPS5_jNS1_19radix_merge_compareILb1ELb0EiNS0_19identity_decomposerEEEEE10hipError_tT0_T1_T2_jT3_P12ihipStream_tbPNSt15iterator_traitsISK_E10value_typeEPNSQ_ISL_E10value_typeEPSM_NS1_7vsmem_tEENKUlT_SK_SL_SM_E_clIPiSE_SF_SF_EESJ_SZ_SK_SL_SM_EUlSZ_E0_NS1_11comp_targetILNS1_3genE9ELNS1_11target_archE1100ELNS1_3gpuE3ELNS1_3repE0EEENS1_38merge_mergepath_config_static_selectorELNS0_4arch9wavefront6targetE1EEEvSL_,"axG",@progbits,_ZN7rocprim17ROCPRIM_400000_NS6detail17trampoline_kernelINS0_14default_configENS1_38merge_sort_block_merge_config_selectorIiNS0_10empty_typeEEEZZNS1_27merge_sort_block_merge_implIS3_N6thrust23THRUST_200600_302600_NS6detail15normal_iteratorINS9_10device_ptrIiEEEEPS5_jNS1_19radix_merge_compareILb1ELb0EiNS0_19identity_decomposerEEEEE10hipError_tT0_T1_T2_jT3_P12ihipStream_tbPNSt15iterator_traitsISK_E10value_typeEPNSQ_ISL_E10value_typeEPSM_NS1_7vsmem_tEENKUlT_SK_SL_SM_E_clIPiSE_SF_SF_EESJ_SZ_SK_SL_SM_EUlSZ_E0_NS1_11comp_targetILNS1_3genE9ELNS1_11target_archE1100ELNS1_3gpuE3ELNS1_3repE0EEENS1_38merge_mergepath_config_static_selectorELNS0_4arch9wavefront6targetE1EEEvSL_,comdat
.Lfunc_end236:
	.size	_ZN7rocprim17ROCPRIM_400000_NS6detail17trampoline_kernelINS0_14default_configENS1_38merge_sort_block_merge_config_selectorIiNS0_10empty_typeEEEZZNS1_27merge_sort_block_merge_implIS3_N6thrust23THRUST_200600_302600_NS6detail15normal_iteratorINS9_10device_ptrIiEEEEPS5_jNS1_19radix_merge_compareILb1ELb0EiNS0_19identity_decomposerEEEEE10hipError_tT0_T1_T2_jT3_P12ihipStream_tbPNSt15iterator_traitsISK_E10value_typeEPNSQ_ISL_E10value_typeEPSM_NS1_7vsmem_tEENKUlT_SK_SL_SM_E_clIPiSE_SF_SF_EESJ_SZ_SK_SL_SM_EUlSZ_E0_NS1_11comp_targetILNS1_3genE9ELNS1_11target_archE1100ELNS1_3gpuE3ELNS1_3repE0EEENS1_38merge_mergepath_config_static_selectorELNS0_4arch9wavefront6targetE1EEEvSL_, .Lfunc_end236-_ZN7rocprim17ROCPRIM_400000_NS6detail17trampoline_kernelINS0_14default_configENS1_38merge_sort_block_merge_config_selectorIiNS0_10empty_typeEEEZZNS1_27merge_sort_block_merge_implIS3_N6thrust23THRUST_200600_302600_NS6detail15normal_iteratorINS9_10device_ptrIiEEEEPS5_jNS1_19radix_merge_compareILb1ELb0EiNS0_19identity_decomposerEEEEE10hipError_tT0_T1_T2_jT3_P12ihipStream_tbPNSt15iterator_traitsISK_E10value_typeEPNSQ_ISL_E10value_typeEPSM_NS1_7vsmem_tEENKUlT_SK_SL_SM_E_clIPiSE_SF_SF_EESJ_SZ_SK_SL_SM_EUlSZ_E0_NS1_11comp_targetILNS1_3genE9ELNS1_11target_archE1100ELNS1_3gpuE3ELNS1_3repE0EEENS1_38merge_mergepath_config_static_selectorELNS0_4arch9wavefront6targetE1EEEvSL_
                                        ; -- End function
	.set _ZN7rocprim17ROCPRIM_400000_NS6detail17trampoline_kernelINS0_14default_configENS1_38merge_sort_block_merge_config_selectorIiNS0_10empty_typeEEEZZNS1_27merge_sort_block_merge_implIS3_N6thrust23THRUST_200600_302600_NS6detail15normal_iteratorINS9_10device_ptrIiEEEEPS5_jNS1_19radix_merge_compareILb1ELb0EiNS0_19identity_decomposerEEEEE10hipError_tT0_T1_T2_jT3_P12ihipStream_tbPNSt15iterator_traitsISK_E10value_typeEPNSQ_ISL_E10value_typeEPSM_NS1_7vsmem_tEENKUlT_SK_SL_SM_E_clIPiSE_SF_SF_EESJ_SZ_SK_SL_SM_EUlSZ_E0_NS1_11comp_targetILNS1_3genE9ELNS1_11target_archE1100ELNS1_3gpuE3ELNS1_3repE0EEENS1_38merge_mergepath_config_static_selectorELNS0_4arch9wavefront6targetE1EEEvSL_.num_vgpr, 0
	.set _ZN7rocprim17ROCPRIM_400000_NS6detail17trampoline_kernelINS0_14default_configENS1_38merge_sort_block_merge_config_selectorIiNS0_10empty_typeEEEZZNS1_27merge_sort_block_merge_implIS3_N6thrust23THRUST_200600_302600_NS6detail15normal_iteratorINS9_10device_ptrIiEEEEPS5_jNS1_19radix_merge_compareILb1ELb0EiNS0_19identity_decomposerEEEEE10hipError_tT0_T1_T2_jT3_P12ihipStream_tbPNSt15iterator_traitsISK_E10value_typeEPNSQ_ISL_E10value_typeEPSM_NS1_7vsmem_tEENKUlT_SK_SL_SM_E_clIPiSE_SF_SF_EESJ_SZ_SK_SL_SM_EUlSZ_E0_NS1_11comp_targetILNS1_3genE9ELNS1_11target_archE1100ELNS1_3gpuE3ELNS1_3repE0EEENS1_38merge_mergepath_config_static_selectorELNS0_4arch9wavefront6targetE1EEEvSL_.num_agpr, 0
	.set _ZN7rocprim17ROCPRIM_400000_NS6detail17trampoline_kernelINS0_14default_configENS1_38merge_sort_block_merge_config_selectorIiNS0_10empty_typeEEEZZNS1_27merge_sort_block_merge_implIS3_N6thrust23THRUST_200600_302600_NS6detail15normal_iteratorINS9_10device_ptrIiEEEEPS5_jNS1_19radix_merge_compareILb1ELb0EiNS0_19identity_decomposerEEEEE10hipError_tT0_T1_T2_jT3_P12ihipStream_tbPNSt15iterator_traitsISK_E10value_typeEPNSQ_ISL_E10value_typeEPSM_NS1_7vsmem_tEENKUlT_SK_SL_SM_E_clIPiSE_SF_SF_EESJ_SZ_SK_SL_SM_EUlSZ_E0_NS1_11comp_targetILNS1_3genE9ELNS1_11target_archE1100ELNS1_3gpuE3ELNS1_3repE0EEENS1_38merge_mergepath_config_static_selectorELNS0_4arch9wavefront6targetE1EEEvSL_.numbered_sgpr, 0
	.set _ZN7rocprim17ROCPRIM_400000_NS6detail17trampoline_kernelINS0_14default_configENS1_38merge_sort_block_merge_config_selectorIiNS0_10empty_typeEEEZZNS1_27merge_sort_block_merge_implIS3_N6thrust23THRUST_200600_302600_NS6detail15normal_iteratorINS9_10device_ptrIiEEEEPS5_jNS1_19radix_merge_compareILb1ELb0EiNS0_19identity_decomposerEEEEE10hipError_tT0_T1_T2_jT3_P12ihipStream_tbPNSt15iterator_traitsISK_E10value_typeEPNSQ_ISL_E10value_typeEPSM_NS1_7vsmem_tEENKUlT_SK_SL_SM_E_clIPiSE_SF_SF_EESJ_SZ_SK_SL_SM_EUlSZ_E0_NS1_11comp_targetILNS1_3genE9ELNS1_11target_archE1100ELNS1_3gpuE3ELNS1_3repE0EEENS1_38merge_mergepath_config_static_selectorELNS0_4arch9wavefront6targetE1EEEvSL_.num_named_barrier, 0
	.set _ZN7rocprim17ROCPRIM_400000_NS6detail17trampoline_kernelINS0_14default_configENS1_38merge_sort_block_merge_config_selectorIiNS0_10empty_typeEEEZZNS1_27merge_sort_block_merge_implIS3_N6thrust23THRUST_200600_302600_NS6detail15normal_iteratorINS9_10device_ptrIiEEEEPS5_jNS1_19radix_merge_compareILb1ELb0EiNS0_19identity_decomposerEEEEE10hipError_tT0_T1_T2_jT3_P12ihipStream_tbPNSt15iterator_traitsISK_E10value_typeEPNSQ_ISL_E10value_typeEPSM_NS1_7vsmem_tEENKUlT_SK_SL_SM_E_clIPiSE_SF_SF_EESJ_SZ_SK_SL_SM_EUlSZ_E0_NS1_11comp_targetILNS1_3genE9ELNS1_11target_archE1100ELNS1_3gpuE3ELNS1_3repE0EEENS1_38merge_mergepath_config_static_selectorELNS0_4arch9wavefront6targetE1EEEvSL_.private_seg_size, 0
	.set _ZN7rocprim17ROCPRIM_400000_NS6detail17trampoline_kernelINS0_14default_configENS1_38merge_sort_block_merge_config_selectorIiNS0_10empty_typeEEEZZNS1_27merge_sort_block_merge_implIS3_N6thrust23THRUST_200600_302600_NS6detail15normal_iteratorINS9_10device_ptrIiEEEEPS5_jNS1_19radix_merge_compareILb1ELb0EiNS0_19identity_decomposerEEEEE10hipError_tT0_T1_T2_jT3_P12ihipStream_tbPNSt15iterator_traitsISK_E10value_typeEPNSQ_ISL_E10value_typeEPSM_NS1_7vsmem_tEENKUlT_SK_SL_SM_E_clIPiSE_SF_SF_EESJ_SZ_SK_SL_SM_EUlSZ_E0_NS1_11comp_targetILNS1_3genE9ELNS1_11target_archE1100ELNS1_3gpuE3ELNS1_3repE0EEENS1_38merge_mergepath_config_static_selectorELNS0_4arch9wavefront6targetE1EEEvSL_.uses_vcc, 0
	.set _ZN7rocprim17ROCPRIM_400000_NS6detail17trampoline_kernelINS0_14default_configENS1_38merge_sort_block_merge_config_selectorIiNS0_10empty_typeEEEZZNS1_27merge_sort_block_merge_implIS3_N6thrust23THRUST_200600_302600_NS6detail15normal_iteratorINS9_10device_ptrIiEEEEPS5_jNS1_19radix_merge_compareILb1ELb0EiNS0_19identity_decomposerEEEEE10hipError_tT0_T1_T2_jT3_P12ihipStream_tbPNSt15iterator_traitsISK_E10value_typeEPNSQ_ISL_E10value_typeEPSM_NS1_7vsmem_tEENKUlT_SK_SL_SM_E_clIPiSE_SF_SF_EESJ_SZ_SK_SL_SM_EUlSZ_E0_NS1_11comp_targetILNS1_3genE9ELNS1_11target_archE1100ELNS1_3gpuE3ELNS1_3repE0EEENS1_38merge_mergepath_config_static_selectorELNS0_4arch9wavefront6targetE1EEEvSL_.uses_flat_scratch, 0
	.set _ZN7rocprim17ROCPRIM_400000_NS6detail17trampoline_kernelINS0_14default_configENS1_38merge_sort_block_merge_config_selectorIiNS0_10empty_typeEEEZZNS1_27merge_sort_block_merge_implIS3_N6thrust23THRUST_200600_302600_NS6detail15normal_iteratorINS9_10device_ptrIiEEEEPS5_jNS1_19radix_merge_compareILb1ELb0EiNS0_19identity_decomposerEEEEE10hipError_tT0_T1_T2_jT3_P12ihipStream_tbPNSt15iterator_traitsISK_E10value_typeEPNSQ_ISL_E10value_typeEPSM_NS1_7vsmem_tEENKUlT_SK_SL_SM_E_clIPiSE_SF_SF_EESJ_SZ_SK_SL_SM_EUlSZ_E0_NS1_11comp_targetILNS1_3genE9ELNS1_11target_archE1100ELNS1_3gpuE3ELNS1_3repE0EEENS1_38merge_mergepath_config_static_selectorELNS0_4arch9wavefront6targetE1EEEvSL_.has_dyn_sized_stack, 0
	.set _ZN7rocprim17ROCPRIM_400000_NS6detail17trampoline_kernelINS0_14default_configENS1_38merge_sort_block_merge_config_selectorIiNS0_10empty_typeEEEZZNS1_27merge_sort_block_merge_implIS3_N6thrust23THRUST_200600_302600_NS6detail15normal_iteratorINS9_10device_ptrIiEEEEPS5_jNS1_19radix_merge_compareILb1ELb0EiNS0_19identity_decomposerEEEEE10hipError_tT0_T1_T2_jT3_P12ihipStream_tbPNSt15iterator_traitsISK_E10value_typeEPNSQ_ISL_E10value_typeEPSM_NS1_7vsmem_tEENKUlT_SK_SL_SM_E_clIPiSE_SF_SF_EESJ_SZ_SK_SL_SM_EUlSZ_E0_NS1_11comp_targetILNS1_3genE9ELNS1_11target_archE1100ELNS1_3gpuE3ELNS1_3repE0EEENS1_38merge_mergepath_config_static_selectorELNS0_4arch9wavefront6targetE1EEEvSL_.has_recursion, 0
	.set _ZN7rocprim17ROCPRIM_400000_NS6detail17trampoline_kernelINS0_14default_configENS1_38merge_sort_block_merge_config_selectorIiNS0_10empty_typeEEEZZNS1_27merge_sort_block_merge_implIS3_N6thrust23THRUST_200600_302600_NS6detail15normal_iteratorINS9_10device_ptrIiEEEEPS5_jNS1_19radix_merge_compareILb1ELb0EiNS0_19identity_decomposerEEEEE10hipError_tT0_T1_T2_jT3_P12ihipStream_tbPNSt15iterator_traitsISK_E10value_typeEPNSQ_ISL_E10value_typeEPSM_NS1_7vsmem_tEENKUlT_SK_SL_SM_E_clIPiSE_SF_SF_EESJ_SZ_SK_SL_SM_EUlSZ_E0_NS1_11comp_targetILNS1_3genE9ELNS1_11target_archE1100ELNS1_3gpuE3ELNS1_3repE0EEENS1_38merge_mergepath_config_static_selectorELNS0_4arch9wavefront6targetE1EEEvSL_.has_indirect_call, 0
	.section	.AMDGPU.csdata,"",@progbits
; Kernel info:
; codeLenInByte = 0
; TotalNumSgprs: 6
; NumVgprs: 0
; NumAgprs: 0
; TotalNumVgprs: 0
; ScratchSize: 0
; MemoryBound: 0
; FloatMode: 240
; IeeeMode: 1
; LDSByteSize: 0 bytes/workgroup (compile time only)
; SGPRBlocks: 0
; VGPRBlocks: 0
; NumSGPRsForWavesPerEU: 6
; NumVGPRsForWavesPerEU: 1
; AccumOffset: 4
; Occupancy: 8
; WaveLimiterHint : 0
; COMPUTE_PGM_RSRC2:SCRATCH_EN: 0
; COMPUTE_PGM_RSRC2:USER_SGPR: 2
; COMPUTE_PGM_RSRC2:TRAP_HANDLER: 0
; COMPUTE_PGM_RSRC2:TGID_X_EN: 1
; COMPUTE_PGM_RSRC2:TGID_Y_EN: 0
; COMPUTE_PGM_RSRC2:TGID_Z_EN: 0
; COMPUTE_PGM_RSRC2:TIDIG_COMP_CNT: 0
; COMPUTE_PGM_RSRC3_GFX90A:ACCUM_OFFSET: 0
; COMPUTE_PGM_RSRC3_GFX90A:TG_SPLIT: 0
	.section	.text._ZN7rocprim17ROCPRIM_400000_NS6detail17trampoline_kernelINS0_14default_configENS1_38merge_sort_block_merge_config_selectorIiNS0_10empty_typeEEEZZNS1_27merge_sort_block_merge_implIS3_N6thrust23THRUST_200600_302600_NS6detail15normal_iteratorINS9_10device_ptrIiEEEEPS5_jNS1_19radix_merge_compareILb1ELb0EiNS0_19identity_decomposerEEEEE10hipError_tT0_T1_T2_jT3_P12ihipStream_tbPNSt15iterator_traitsISK_E10value_typeEPNSQ_ISL_E10value_typeEPSM_NS1_7vsmem_tEENKUlT_SK_SL_SM_E_clIPiSE_SF_SF_EESJ_SZ_SK_SL_SM_EUlSZ_E0_NS1_11comp_targetILNS1_3genE8ELNS1_11target_archE1030ELNS1_3gpuE2ELNS1_3repE0EEENS1_38merge_mergepath_config_static_selectorELNS0_4arch9wavefront6targetE1EEEvSL_,"axG",@progbits,_ZN7rocprim17ROCPRIM_400000_NS6detail17trampoline_kernelINS0_14default_configENS1_38merge_sort_block_merge_config_selectorIiNS0_10empty_typeEEEZZNS1_27merge_sort_block_merge_implIS3_N6thrust23THRUST_200600_302600_NS6detail15normal_iteratorINS9_10device_ptrIiEEEEPS5_jNS1_19radix_merge_compareILb1ELb0EiNS0_19identity_decomposerEEEEE10hipError_tT0_T1_T2_jT3_P12ihipStream_tbPNSt15iterator_traitsISK_E10value_typeEPNSQ_ISL_E10value_typeEPSM_NS1_7vsmem_tEENKUlT_SK_SL_SM_E_clIPiSE_SF_SF_EESJ_SZ_SK_SL_SM_EUlSZ_E0_NS1_11comp_targetILNS1_3genE8ELNS1_11target_archE1030ELNS1_3gpuE2ELNS1_3repE0EEENS1_38merge_mergepath_config_static_selectorELNS0_4arch9wavefront6targetE1EEEvSL_,comdat
	.protected	_ZN7rocprim17ROCPRIM_400000_NS6detail17trampoline_kernelINS0_14default_configENS1_38merge_sort_block_merge_config_selectorIiNS0_10empty_typeEEEZZNS1_27merge_sort_block_merge_implIS3_N6thrust23THRUST_200600_302600_NS6detail15normal_iteratorINS9_10device_ptrIiEEEEPS5_jNS1_19radix_merge_compareILb1ELb0EiNS0_19identity_decomposerEEEEE10hipError_tT0_T1_T2_jT3_P12ihipStream_tbPNSt15iterator_traitsISK_E10value_typeEPNSQ_ISL_E10value_typeEPSM_NS1_7vsmem_tEENKUlT_SK_SL_SM_E_clIPiSE_SF_SF_EESJ_SZ_SK_SL_SM_EUlSZ_E0_NS1_11comp_targetILNS1_3genE8ELNS1_11target_archE1030ELNS1_3gpuE2ELNS1_3repE0EEENS1_38merge_mergepath_config_static_selectorELNS0_4arch9wavefront6targetE1EEEvSL_ ; -- Begin function _ZN7rocprim17ROCPRIM_400000_NS6detail17trampoline_kernelINS0_14default_configENS1_38merge_sort_block_merge_config_selectorIiNS0_10empty_typeEEEZZNS1_27merge_sort_block_merge_implIS3_N6thrust23THRUST_200600_302600_NS6detail15normal_iteratorINS9_10device_ptrIiEEEEPS5_jNS1_19radix_merge_compareILb1ELb0EiNS0_19identity_decomposerEEEEE10hipError_tT0_T1_T2_jT3_P12ihipStream_tbPNSt15iterator_traitsISK_E10value_typeEPNSQ_ISL_E10value_typeEPSM_NS1_7vsmem_tEENKUlT_SK_SL_SM_E_clIPiSE_SF_SF_EESJ_SZ_SK_SL_SM_EUlSZ_E0_NS1_11comp_targetILNS1_3genE8ELNS1_11target_archE1030ELNS1_3gpuE2ELNS1_3repE0EEENS1_38merge_mergepath_config_static_selectorELNS0_4arch9wavefront6targetE1EEEvSL_
	.globl	_ZN7rocprim17ROCPRIM_400000_NS6detail17trampoline_kernelINS0_14default_configENS1_38merge_sort_block_merge_config_selectorIiNS0_10empty_typeEEEZZNS1_27merge_sort_block_merge_implIS3_N6thrust23THRUST_200600_302600_NS6detail15normal_iteratorINS9_10device_ptrIiEEEEPS5_jNS1_19radix_merge_compareILb1ELb0EiNS0_19identity_decomposerEEEEE10hipError_tT0_T1_T2_jT3_P12ihipStream_tbPNSt15iterator_traitsISK_E10value_typeEPNSQ_ISL_E10value_typeEPSM_NS1_7vsmem_tEENKUlT_SK_SL_SM_E_clIPiSE_SF_SF_EESJ_SZ_SK_SL_SM_EUlSZ_E0_NS1_11comp_targetILNS1_3genE8ELNS1_11target_archE1030ELNS1_3gpuE2ELNS1_3repE0EEENS1_38merge_mergepath_config_static_selectorELNS0_4arch9wavefront6targetE1EEEvSL_
	.p2align	8
	.type	_ZN7rocprim17ROCPRIM_400000_NS6detail17trampoline_kernelINS0_14default_configENS1_38merge_sort_block_merge_config_selectorIiNS0_10empty_typeEEEZZNS1_27merge_sort_block_merge_implIS3_N6thrust23THRUST_200600_302600_NS6detail15normal_iteratorINS9_10device_ptrIiEEEEPS5_jNS1_19radix_merge_compareILb1ELb0EiNS0_19identity_decomposerEEEEE10hipError_tT0_T1_T2_jT3_P12ihipStream_tbPNSt15iterator_traitsISK_E10value_typeEPNSQ_ISL_E10value_typeEPSM_NS1_7vsmem_tEENKUlT_SK_SL_SM_E_clIPiSE_SF_SF_EESJ_SZ_SK_SL_SM_EUlSZ_E0_NS1_11comp_targetILNS1_3genE8ELNS1_11target_archE1030ELNS1_3gpuE2ELNS1_3repE0EEENS1_38merge_mergepath_config_static_selectorELNS0_4arch9wavefront6targetE1EEEvSL_,@function
_ZN7rocprim17ROCPRIM_400000_NS6detail17trampoline_kernelINS0_14default_configENS1_38merge_sort_block_merge_config_selectorIiNS0_10empty_typeEEEZZNS1_27merge_sort_block_merge_implIS3_N6thrust23THRUST_200600_302600_NS6detail15normal_iteratorINS9_10device_ptrIiEEEEPS5_jNS1_19radix_merge_compareILb1ELb0EiNS0_19identity_decomposerEEEEE10hipError_tT0_T1_T2_jT3_P12ihipStream_tbPNSt15iterator_traitsISK_E10value_typeEPNSQ_ISL_E10value_typeEPSM_NS1_7vsmem_tEENKUlT_SK_SL_SM_E_clIPiSE_SF_SF_EESJ_SZ_SK_SL_SM_EUlSZ_E0_NS1_11comp_targetILNS1_3genE8ELNS1_11target_archE1030ELNS1_3gpuE2ELNS1_3repE0EEENS1_38merge_mergepath_config_static_selectorELNS0_4arch9wavefront6targetE1EEEvSL_: ; @_ZN7rocprim17ROCPRIM_400000_NS6detail17trampoline_kernelINS0_14default_configENS1_38merge_sort_block_merge_config_selectorIiNS0_10empty_typeEEEZZNS1_27merge_sort_block_merge_implIS3_N6thrust23THRUST_200600_302600_NS6detail15normal_iteratorINS9_10device_ptrIiEEEEPS5_jNS1_19radix_merge_compareILb1ELb0EiNS0_19identity_decomposerEEEEE10hipError_tT0_T1_T2_jT3_P12ihipStream_tbPNSt15iterator_traitsISK_E10value_typeEPNSQ_ISL_E10value_typeEPSM_NS1_7vsmem_tEENKUlT_SK_SL_SM_E_clIPiSE_SF_SF_EESJ_SZ_SK_SL_SM_EUlSZ_E0_NS1_11comp_targetILNS1_3genE8ELNS1_11target_archE1030ELNS1_3gpuE2ELNS1_3repE0EEENS1_38merge_mergepath_config_static_selectorELNS0_4arch9wavefront6targetE1EEEvSL_
; %bb.0:
	.section	.rodata,"a",@progbits
	.p2align	6, 0x0
	.amdhsa_kernel _ZN7rocprim17ROCPRIM_400000_NS6detail17trampoline_kernelINS0_14default_configENS1_38merge_sort_block_merge_config_selectorIiNS0_10empty_typeEEEZZNS1_27merge_sort_block_merge_implIS3_N6thrust23THRUST_200600_302600_NS6detail15normal_iteratorINS9_10device_ptrIiEEEEPS5_jNS1_19radix_merge_compareILb1ELb0EiNS0_19identity_decomposerEEEEE10hipError_tT0_T1_T2_jT3_P12ihipStream_tbPNSt15iterator_traitsISK_E10value_typeEPNSQ_ISL_E10value_typeEPSM_NS1_7vsmem_tEENKUlT_SK_SL_SM_E_clIPiSE_SF_SF_EESJ_SZ_SK_SL_SM_EUlSZ_E0_NS1_11comp_targetILNS1_3genE8ELNS1_11target_archE1030ELNS1_3gpuE2ELNS1_3repE0EEENS1_38merge_mergepath_config_static_selectorELNS0_4arch9wavefront6targetE1EEEvSL_
		.amdhsa_group_segment_fixed_size 0
		.amdhsa_private_segment_fixed_size 0
		.amdhsa_kernarg_size 64
		.amdhsa_user_sgpr_count 2
		.amdhsa_user_sgpr_dispatch_ptr 0
		.amdhsa_user_sgpr_queue_ptr 0
		.amdhsa_user_sgpr_kernarg_segment_ptr 1
		.amdhsa_user_sgpr_dispatch_id 0
		.amdhsa_user_sgpr_kernarg_preload_length 0
		.amdhsa_user_sgpr_kernarg_preload_offset 0
		.amdhsa_user_sgpr_private_segment_size 0
		.amdhsa_uses_dynamic_stack 0
		.amdhsa_enable_private_segment 0
		.amdhsa_system_sgpr_workgroup_id_x 1
		.amdhsa_system_sgpr_workgroup_id_y 0
		.amdhsa_system_sgpr_workgroup_id_z 0
		.amdhsa_system_sgpr_workgroup_info 0
		.amdhsa_system_vgpr_workitem_id 0
		.amdhsa_next_free_vgpr 1
		.amdhsa_next_free_sgpr 0
		.amdhsa_accum_offset 4
		.amdhsa_reserve_vcc 0
		.amdhsa_float_round_mode_32 0
		.amdhsa_float_round_mode_16_64 0
		.amdhsa_float_denorm_mode_32 3
		.amdhsa_float_denorm_mode_16_64 3
		.amdhsa_dx10_clamp 1
		.amdhsa_ieee_mode 1
		.amdhsa_fp16_overflow 0
		.amdhsa_tg_split 0
		.amdhsa_exception_fp_ieee_invalid_op 0
		.amdhsa_exception_fp_denorm_src 0
		.amdhsa_exception_fp_ieee_div_zero 0
		.amdhsa_exception_fp_ieee_overflow 0
		.amdhsa_exception_fp_ieee_underflow 0
		.amdhsa_exception_fp_ieee_inexact 0
		.amdhsa_exception_int_div_zero 0
	.end_amdhsa_kernel
	.section	.text._ZN7rocprim17ROCPRIM_400000_NS6detail17trampoline_kernelINS0_14default_configENS1_38merge_sort_block_merge_config_selectorIiNS0_10empty_typeEEEZZNS1_27merge_sort_block_merge_implIS3_N6thrust23THRUST_200600_302600_NS6detail15normal_iteratorINS9_10device_ptrIiEEEEPS5_jNS1_19radix_merge_compareILb1ELb0EiNS0_19identity_decomposerEEEEE10hipError_tT0_T1_T2_jT3_P12ihipStream_tbPNSt15iterator_traitsISK_E10value_typeEPNSQ_ISL_E10value_typeEPSM_NS1_7vsmem_tEENKUlT_SK_SL_SM_E_clIPiSE_SF_SF_EESJ_SZ_SK_SL_SM_EUlSZ_E0_NS1_11comp_targetILNS1_3genE8ELNS1_11target_archE1030ELNS1_3gpuE2ELNS1_3repE0EEENS1_38merge_mergepath_config_static_selectorELNS0_4arch9wavefront6targetE1EEEvSL_,"axG",@progbits,_ZN7rocprim17ROCPRIM_400000_NS6detail17trampoline_kernelINS0_14default_configENS1_38merge_sort_block_merge_config_selectorIiNS0_10empty_typeEEEZZNS1_27merge_sort_block_merge_implIS3_N6thrust23THRUST_200600_302600_NS6detail15normal_iteratorINS9_10device_ptrIiEEEEPS5_jNS1_19radix_merge_compareILb1ELb0EiNS0_19identity_decomposerEEEEE10hipError_tT0_T1_T2_jT3_P12ihipStream_tbPNSt15iterator_traitsISK_E10value_typeEPNSQ_ISL_E10value_typeEPSM_NS1_7vsmem_tEENKUlT_SK_SL_SM_E_clIPiSE_SF_SF_EESJ_SZ_SK_SL_SM_EUlSZ_E0_NS1_11comp_targetILNS1_3genE8ELNS1_11target_archE1030ELNS1_3gpuE2ELNS1_3repE0EEENS1_38merge_mergepath_config_static_selectorELNS0_4arch9wavefront6targetE1EEEvSL_,comdat
.Lfunc_end237:
	.size	_ZN7rocprim17ROCPRIM_400000_NS6detail17trampoline_kernelINS0_14default_configENS1_38merge_sort_block_merge_config_selectorIiNS0_10empty_typeEEEZZNS1_27merge_sort_block_merge_implIS3_N6thrust23THRUST_200600_302600_NS6detail15normal_iteratorINS9_10device_ptrIiEEEEPS5_jNS1_19radix_merge_compareILb1ELb0EiNS0_19identity_decomposerEEEEE10hipError_tT0_T1_T2_jT3_P12ihipStream_tbPNSt15iterator_traitsISK_E10value_typeEPNSQ_ISL_E10value_typeEPSM_NS1_7vsmem_tEENKUlT_SK_SL_SM_E_clIPiSE_SF_SF_EESJ_SZ_SK_SL_SM_EUlSZ_E0_NS1_11comp_targetILNS1_3genE8ELNS1_11target_archE1030ELNS1_3gpuE2ELNS1_3repE0EEENS1_38merge_mergepath_config_static_selectorELNS0_4arch9wavefront6targetE1EEEvSL_, .Lfunc_end237-_ZN7rocprim17ROCPRIM_400000_NS6detail17trampoline_kernelINS0_14default_configENS1_38merge_sort_block_merge_config_selectorIiNS0_10empty_typeEEEZZNS1_27merge_sort_block_merge_implIS3_N6thrust23THRUST_200600_302600_NS6detail15normal_iteratorINS9_10device_ptrIiEEEEPS5_jNS1_19radix_merge_compareILb1ELb0EiNS0_19identity_decomposerEEEEE10hipError_tT0_T1_T2_jT3_P12ihipStream_tbPNSt15iterator_traitsISK_E10value_typeEPNSQ_ISL_E10value_typeEPSM_NS1_7vsmem_tEENKUlT_SK_SL_SM_E_clIPiSE_SF_SF_EESJ_SZ_SK_SL_SM_EUlSZ_E0_NS1_11comp_targetILNS1_3genE8ELNS1_11target_archE1030ELNS1_3gpuE2ELNS1_3repE0EEENS1_38merge_mergepath_config_static_selectorELNS0_4arch9wavefront6targetE1EEEvSL_
                                        ; -- End function
	.set _ZN7rocprim17ROCPRIM_400000_NS6detail17trampoline_kernelINS0_14default_configENS1_38merge_sort_block_merge_config_selectorIiNS0_10empty_typeEEEZZNS1_27merge_sort_block_merge_implIS3_N6thrust23THRUST_200600_302600_NS6detail15normal_iteratorINS9_10device_ptrIiEEEEPS5_jNS1_19radix_merge_compareILb1ELb0EiNS0_19identity_decomposerEEEEE10hipError_tT0_T1_T2_jT3_P12ihipStream_tbPNSt15iterator_traitsISK_E10value_typeEPNSQ_ISL_E10value_typeEPSM_NS1_7vsmem_tEENKUlT_SK_SL_SM_E_clIPiSE_SF_SF_EESJ_SZ_SK_SL_SM_EUlSZ_E0_NS1_11comp_targetILNS1_3genE8ELNS1_11target_archE1030ELNS1_3gpuE2ELNS1_3repE0EEENS1_38merge_mergepath_config_static_selectorELNS0_4arch9wavefront6targetE1EEEvSL_.num_vgpr, 0
	.set _ZN7rocprim17ROCPRIM_400000_NS6detail17trampoline_kernelINS0_14default_configENS1_38merge_sort_block_merge_config_selectorIiNS0_10empty_typeEEEZZNS1_27merge_sort_block_merge_implIS3_N6thrust23THRUST_200600_302600_NS6detail15normal_iteratorINS9_10device_ptrIiEEEEPS5_jNS1_19radix_merge_compareILb1ELb0EiNS0_19identity_decomposerEEEEE10hipError_tT0_T1_T2_jT3_P12ihipStream_tbPNSt15iterator_traitsISK_E10value_typeEPNSQ_ISL_E10value_typeEPSM_NS1_7vsmem_tEENKUlT_SK_SL_SM_E_clIPiSE_SF_SF_EESJ_SZ_SK_SL_SM_EUlSZ_E0_NS1_11comp_targetILNS1_3genE8ELNS1_11target_archE1030ELNS1_3gpuE2ELNS1_3repE0EEENS1_38merge_mergepath_config_static_selectorELNS0_4arch9wavefront6targetE1EEEvSL_.num_agpr, 0
	.set _ZN7rocprim17ROCPRIM_400000_NS6detail17trampoline_kernelINS0_14default_configENS1_38merge_sort_block_merge_config_selectorIiNS0_10empty_typeEEEZZNS1_27merge_sort_block_merge_implIS3_N6thrust23THRUST_200600_302600_NS6detail15normal_iteratorINS9_10device_ptrIiEEEEPS5_jNS1_19radix_merge_compareILb1ELb0EiNS0_19identity_decomposerEEEEE10hipError_tT0_T1_T2_jT3_P12ihipStream_tbPNSt15iterator_traitsISK_E10value_typeEPNSQ_ISL_E10value_typeEPSM_NS1_7vsmem_tEENKUlT_SK_SL_SM_E_clIPiSE_SF_SF_EESJ_SZ_SK_SL_SM_EUlSZ_E0_NS1_11comp_targetILNS1_3genE8ELNS1_11target_archE1030ELNS1_3gpuE2ELNS1_3repE0EEENS1_38merge_mergepath_config_static_selectorELNS0_4arch9wavefront6targetE1EEEvSL_.numbered_sgpr, 0
	.set _ZN7rocprim17ROCPRIM_400000_NS6detail17trampoline_kernelINS0_14default_configENS1_38merge_sort_block_merge_config_selectorIiNS0_10empty_typeEEEZZNS1_27merge_sort_block_merge_implIS3_N6thrust23THRUST_200600_302600_NS6detail15normal_iteratorINS9_10device_ptrIiEEEEPS5_jNS1_19radix_merge_compareILb1ELb0EiNS0_19identity_decomposerEEEEE10hipError_tT0_T1_T2_jT3_P12ihipStream_tbPNSt15iterator_traitsISK_E10value_typeEPNSQ_ISL_E10value_typeEPSM_NS1_7vsmem_tEENKUlT_SK_SL_SM_E_clIPiSE_SF_SF_EESJ_SZ_SK_SL_SM_EUlSZ_E0_NS1_11comp_targetILNS1_3genE8ELNS1_11target_archE1030ELNS1_3gpuE2ELNS1_3repE0EEENS1_38merge_mergepath_config_static_selectorELNS0_4arch9wavefront6targetE1EEEvSL_.num_named_barrier, 0
	.set _ZN7rocprim17ROCPRIM_400000_NS6detail17trampoline_kernelINS0_14default_configENS1_38merge_sort_block_merge_config_selectorIiNS0_10empty_typeEEEZZNS1_27merge_sort_block_merge_implIS3_N6thrust23THRUST_200600_302600_NS6detail15normal_iteratorINS9_10device_ptrIiEEEEPS5_jNS1_19radix_merge_compareILb1ELb0EiNS0_19identity_decomposerEEEEE10hipError_tT0_T1_T2_jT3_P12ihipStream_tbPNSt15iterator_traitsISK_E10value_typeEPNSQ_ISL_E10value_typeEPSM_NS1_7vsmem_tEENKUlT_SK_SL_SM_E_clIPiSE_SF_SF_EESJ_SZ_SK_SL_SM_EUlSZ_E0_NS1_11comp_targetILNS1_3genE8ELNS1_11target_archE1030ELNS1_3gpuE2ELNS1_3repE0EEENS1_38merge_mergepath_config_static_selectorELNS0_4arch9wavefront6targetE1EEEvSL_.private_seg_size, 0
	.set _ZN7rocprim17ROCPRIM_400000_NS6detail17trampoline_kernelINS0_14default_configENS1_38merge_sort_block_merge_config_selectorIiNS0_10empty_typeEEEZZNS1_27merge_sort_block_merge_implIS3_N6thrust23THRUST_200600_302600_NS6detail15normal_iteratorINS9_10device_ptrIiEEEEPS5_jNS1_19radix_merge_compareILb1ELb0EiNS0_19identity_decomposerEEEEE10hipError_tT0_T1_T2_jT3_P12ihipStream_tbPNSt15iterator_traitsISK_E10value_typeEPNSQ_ISL_E10value_typeEPSM_NS1_7vsmem_tEENKUlT_SK_SL_SM_E_clIPiSE_SF_SF_EESJ_SZ_SK_SL_SM_EUlSZ_E0_NS1_11comp_targetILNS1_3genE8ELNS1_11target_archE1030ELNS1_3gpuE2ELNS1_3repE0EEENS1_38merge_mergepath_config_static_selectorELNS0_4arch9wavefront6targetE1EEEvSL_.uses_vcc, 0
	.set _ZN7rocprim17ROCPRIM_400000_NS6detail17trampoline_kernelINS0_14default_configENS1_38merge_sort_block_merge_config_selectorIiNS0_10empty_typeEEEZZNS1_27merge_sort_block_merge_implIS3_N6thrust23THRUST_200600_302600_NS6detail15normal_iteratorINS9_10device_ptrIiEEEEPS5_jNS1_19radix_merge_compareILb1ELb0EiNS0_19identity_decomposerEEEEE10hipError_tT0_T1_T2_jT3_P12ihipStream_tbPNSt15iterator_traitsISK_E10value_typeEPNSQ_ISL_E10value_typeEPSM_NS1_7vsmem_tEENKUlT_SK_SL_SM_E_clIPiSE_SF_SF_EESJ_SZ_SK_SL_SM_EUlSZ_E0_NS1_11comp_targetILNS1_3genE8ELNS1_11target_archE1030ELNS1_3gpuE2ELNS1_3repE0EEENS1_38merge_mergepath_config_static_selectorELNS0_4arch9wavefront6targetE1EEEvSL_.uses_flat_scratch, 0
	.set _ZN7rocprim17ROCPRIM_400000_NS6detail17trampoline_kernelINS0_14default_configENS1_38merge_sort_block_merge_config_selectorIiNS0_10empty_typeEEEZZNS1_27merge_sort_block_merge_implIS3_N6thrust23THRUST_200600_302600_NS6detail15normal_iteratorINS9_10device_ptrIiEEEEPS5_jNS1_19radix_merge_compareILb1ELb0EiNS0_19identity_decomposerEEEEE10hipError_tT0_T1_T2_jT3_P12ihipStream_tbPNSt15iterator_traitsISK_E10value_typeEPNSQ_ISL_E10value_typeEPSM_NS1_7vsmem_tEENKUlT_SK_SL_SM_E_clIPiSE_SF_SF_EESJ_SZ_SK_SL_SM_EUlSZ_E0_NS1_11comp_targetILNS1_3genE8ELNS1_11target_archE1030ELNS1_3gpuE2ELNS1_3repE0EEENS1_38merge_mergepath_config_static_selectorELNS0_4arch9wavefront6targetE1EEEvSL_.has_dyn_sized_stack, 0
	.set _ZN7rocprim17ROCPRIM_400000_NS6detail17trampoline_kernelINS0_14default_configENS1_38merge_sort_block_merge_config_selectorIiNS0_10empty_typeEEEZZNS1_27merge_sort_block_merge_implIS3_N6thrust23THRUST_200600_302600_NS6detail15normal_iteratorINS9_10device_ptrIiEEEEPS5_jNS1_19radix_merge_compareILb1ELb0EiNS0_19identity_decomposerEEEEE10hipError_tT0_T1_T2_jT3_P12ihipStream_tbPNSt15iterator_traitsISK_E10value_typeEPNSQ_ISL_E10value_typeEPSM_NS1_7vsmem_tEENKUlT_SK_SL_SM_E_clIPiSE_SF_SF_EESJ_SZ_SK_SL_SM_EUlSZ_E0_NS1_11comp_targetILNS1_3genE8ELNS1_11target_archE1030ELNS1_3gpuE2ELNS1_3repE0EEENS1_38merge_mergepath_config_static_selectorELNS0_4arch9wavefront6targetE1EEEvSL_.has_recursion, 0
	.set _ZN7rocprim17ROCPRIM_400000_NS6detail17trampoline_kernelINS0_14default_configENS1_38merge_sort_block_merge_config_selectorIiNS0_10empty_typeEEEZZNS1_27merge_sort_block_merge_implIS3_N6thrust23THRUST_200600_302600_NS6detail15normal_iteratorINS9_10device_ptrIiEEEEPS5_jNS1_19radix_merge_compareILb1ELb0EiNS0_19identity_decomposerEEEEE10hipError_tT0_T1_T2_jT3_P12ihipStream_tbPNSt15iterator_traitsISK_E10value_typeEPNSQ_ISL_E10value_typeEPSM_NS1_7vsmem_tEENKUlT_SK_SL_SM_E_clIPiSE_SF_SF_EESJ_SZ_SK_SL_SM_EUlSZ_E0_NS1_11comp_targetILNS1_3genE8ELNS1_11target_archE1030ELNS1_3gpuE2ELNS1_3repE0EEENS1_38merge_mergepath_config_static_selectorELNS0_4arch9wavefront6targetE1EEEvSL_.has_indirect_call, 0
	.section	.AMDGPU.csdata,"",@progbits
; Kernel info:
; codeLenInByte = 0
; TotalNumSgprs: 6
; NumVgprs: 0
; NumAgprs: 0
; TotalNumVgprs: 0
; ScratchSize: 0
; MemoryBound: 0
; FloatMode: 240
; IeeeMode: 1
; LDSByteSize: 0 bytes/workgroup (compile time only)
; SGPRBlocks: 0
; VGPRBlocks: 0
; NumSGPRsForWavesPerEU: 6
; NumVGPRsForWavesPerEU: 1
; AccumOffset: 4
; Occupancy: 8
; WaveLimiterHint : 0
; COMPUTE_PGM_RSRC2:SCRATCH_EN: 0
; COMPUTE_PGM_RSRC2:USER_SGPR: 2
; COMPUTE_PGM_RSRC2:TRAP_HANDLER: 0
; COMPUTE_PGM_RSRC2:TGID_X_EN: 1
; COMPUTE_PGM_RSRC2:TGID_Y_EN: 0
; COMPUTE_PGM_RSRC2:TGID_Z_EN: 0
; COMPUTE_PGM_RSRC2:TIDIG_COMP_CNT: 0
; COMPUTE_PGM_RSRC3_GFX90A:ACCUM_OFFSET: 0
; COMPUTE_PGM_RSRC3_GFX90A:TG_SPLIT: 0
	.section	.text._ZN7rocprim17ROCPRIM_400000_NS6detail17trampoline_kernelINS0_14default_configENS1_38merge_sort_block_merge_config_selectorIiNS0_10empty_typeEEEZZNS1_27merge_sort_block_merge_implIS3_N6thrust23THRUST_200600_302600_NS6detail15normal_iteratorINS9_10device_ptrIiEEEEPS5_jNS1_19radix_merge_compareILb1ELb0EiNS0_19identity_decomposerEEEEE10hipError_tT0_T1_T2_jT3_P12ihipStream_tbPNSt15iterator_traitsISK_E10value_typeEPNSQ_ISL_E10value_typeEPSM_NS1_7vsmem_tEENKUlT_SK_SL_SM_E_clIPiSE_SF_SF_EESJ_SZ_SK_SL_SM_EUlSZ_E1_NS1_11comp_targetILNS1_3genE0ELNS1_11target_archE4294967295ELNS1_3gpuE0ELNS1_3repE0EEENS1_36merge_oddeven_config_static_selectorELNS0_4arch9wavefront6targetE1EEEvSL_,"axG",@progbits,_ZN7rocprim17ROCPRIM_400000_NS6detail17trampoline_kernelINS0_14default_configENS1_38merge_sort_block_merge_config_selectorIiNS0_10empty_typeEEEZZNS1_27merge_sort_block_merge_implIS3_N6thrust23THRUST_200600_302600_NS6detail15normal_iteratorINS9_10device_ptrIiEEEEPS5_jNS1_19radix_merge_compareILb1ELb0EiNS0_19identity_decomposerEEEEE10hipError_tT0_T1_T2_jT3_P12ihipStream_tbPNSt15iterator_traitsISK_E10value_typeEPNSQ_ISL_E10value_typeEPSM_NS1_7vsmem_tEENKUlT_SK_SL_SM_E_clIPiSE_SF_SF_EESJ_SZ_SK_SL_SM_EUlSZ_E1_NS1_11comp_targetILNS1_3genE0ELNS1_11target_archE4294967295ELNS1_3gpuE0ELNS1_3repE0EEENS1_36merge_oddeven_config_static_selectorELNS0_4arch9wavefront6targetE1EEEvSL_,comdat
	.protected	_ZN7rocprim17ROCPRIM_400000_NS6detail17trampoline_kernelINS0_14default_configENS1_38merge_sort_block_merge_config_selectorIiNS0_10empty_typeEEEZZNS1_27merge_sort_block_merge_implIS3_N6thrust23THRUST_200600_302600_NS6detail15normal_iteratorINS9_10device_ptrIiEEEEPS5_jNS1_19radix_merge_compareILb1ELb0EiNS0_19identity_decomposerEEEEE10hipError_tT0_T1_T2_jT3_P12ihipStream_tbPNSt15iterator_traitsISK_E10value_typeEPNSQ_ISL_E10value_typeEPSM_NS1_7vsmem_tEENKUlT_SK_SL_SM_E_clIPiSE_SF_SF_EESJ_SZ_SK_SL_SM_EUlSZ_E1_NS1_11comp_targetILNS1_3genE0ELNS1_11target_archE4294967295ELNS1_3gpuE0ELNS1_3repE0EEENS1_36merge_oddeven_config_static_selectorELNS0_4arch9wavefront6targetE1EEEvSL_ ; -- Begin function _ZN7rocprim17ROCPRIM_400000_NS6detail17trampoline_kernelINS0_14default_configENS1_38merge_sort_block_merge_config_selectorIiNS0_10empty_typeEEEZZNS1_27merge_sort_block_merge_implIS3_N6thrust23THRUST_200600_302600_NS6detail15normal_iteratorINS9_10device_ptrIiEEEEPS5_jNS1_19radix_merge_compareILb1ELb0EiNS0_19identity_decomposerEEEEE10hipError_tT0_T1_T2_jT3_P12ihipStream_tbPNSt15iterator_traitsISK_E10value_typeEPNSQ_ISL_E10value_typeEPSM_NS1_7vsmem_tEENKUlT_SK_SL_SM_E_clIPiSE_SF_SF_EESJ_SZ_SK_SL_SM_EUlSZ_E1_NS1_11comp_targetILNS1_3genE0ELNS1_11target_archE4294967295ELNS1_3gpuE0ELNS1_3repE0EEENS1_36merge_oddeven_config_static_selectorELNS0_4arch9wavefront6targetE1EEEvSL_
	.globl	_ZN7rocprim17ROCPRIM_400000_NS6detail17trampoline_kernelINS0_14default_configENS1_38merge_sort_block_merge_config_selectorIiNS0_10empty_typeEEEZZNS1_27merge_sort_block_merge_implIS3_N6thrust23THRUST_200600_302600_NS6detail15normal_iteratorINS9_10device_ptrIiEEEEPS5_jNS1_19radix_merge_compareILb1ELb0EiNS0_19identity_decomposerEEEEE10hipError_tT0_T1_T2_jT3_P12ihipStream_tbPNSt15iterator_traitsISK_E10value_typeEPNSQ_ISL_E10value_typeEPSM_NS1_7vsmem_tEENKUlT_SK_SL_SM_E_clIPiSE_SF_SF_EESJ_SZ_SK_SL_SM_EUlSZ_E1_NS1_11comp_targetILNS1_3genE0ELNS1_11target_archE4294967295ELNS1_3gpuE0ELNS1_3repE0EEENS1_36merge_oddeven_config_static_selectorELNS0_4arch9wavefront6targetE1EEEvSL_
	.p2align	8
	.type	_ZN7rocprim17ROCPRIM_400000_NS6detail17trampoline_kernelINS0_14default_configENS1_38merge_sort_block_merge_config_selectorIiNS0_10empty_typeEEEZZNS1_27merge_sort_block_merge_implIS3_N6thrust23THRUST_200600_302600_NS6detail15normal_iteratorINS9_10device_ptrIiEEEEPS5_jNS1_19radix_merge_compareILb1ELb0EiNS0_19identity_decomposerEEEEE10hipError_tT0_T1_T2_jT3_P12ihipStream_tbPNSt15iterator_traitsISK_E10value_typeEPNSQ_ISL_E10value_typeEPSM_NS1_7vsmem_tEENKUlT_SK_SL_SM_E_clIPiSE_SF_SF_EESJ_SZ_SK_SL_SM_EUlSZ_E1_NS1_11comp_targetILNS1_3genE0ELNS1_11target_archE4294967295ELNS1_3gpuE0ELNS1_3repE0EEENS1_36merge_oddeven_config_static_selectorELNS0_4arch9wavefront6targetE1EEEvSL_,@function
_ZN7rocprim17ROCPRIM_400000_NS6detail17trampoline_kernelINS0_14default_configENS1_38merge_sort_block_merge_config_selectorIiNS0_10empty_typeEEEZZNS1_27merge_sort_block_merge_implIS3_N6thrust23THRUST_200600_302600_NS6detail15normal_iteratorINS9_10device_ptrIiEEEEPS5_jNS1_19radix_merge_compareILb1ELb0EiNS0_19identity_decomposerEEEEE10hipError_tT0_T1_T2_jT3_P12ihipStream_tbPNSt15iterator_traitsISK_E10value_typeEPNSQ_ISL_E10value_typeEPSM_NS1_7vsmem_tEENKUlT_SK_SL_SM_E_clIPiSE_SF_SF_EESJ_SZ_SK_SL_SM_EUlSZ_E1_NS1_11comp_targetILNS1_3genE0ELNS1_11target_archE4294967295ELNS1_3gpuE0ELNS1_3repE0EEENS1_36merge_oddeven_config_static_selectorELNS0_4arch9wavefront6targetE1EEEvSL_: ; @_ZN7rocprim17ROCPRIM_400000_NS6detail17trampoline_kernelINS0_14default_configENS1_38merge_sort_block_merge_config_selectorIiNS0_10empty_typeEEEZZNS1_27merge_sort_block_merge_implIS3_N6thrust23THRUST_200600_302600_NS6detail15normal_iteratorINS9_10device_ptrIiEEEEPS5_jNS1_19radix_merge_compareILb1ELb0EiNS0_19identity_decomposerEEEEE10hipError_tT0_T1_T2_jT3_P12ihipStream_tbPNSt15iterator_traitsISK_E10value_typeEPNSQ_ISL_E10value_typeEPSM_NS1_7vsmem_tEENKUlT_SK_SL_SM_E_clIPiSE_SF_SF_EESJ_SZ_SK_SL_SM_EUlSZ_E1_NS1_11comp_targetILNS1_3genE0ELNS1_11target_archE4294967295ELNS1_3gpuE0ELNS1_3repE0EEENS1_36merge_oddeven_config_static_selectorELNS0_4arch9wavefront6targetE1EEEvSL_
; %bb.0:
	s_load_dword s16, s[0:1], 0x20
	s_waitcnt lgkmcnt(0)
	s_lshr_b32 s3, s16, 8
	s_cmp_lg_u32 s2, s3
	s_cselect_b64 s[12:13], -1, 0
	s_cmp_eq_u32 s2, s3
	s_cselect_b64 s[6:7], -1, 0
	s_lshl_b32 s14, s2, 8
	s_sub_i32 s3, s16, s14
	v_cmp_gt_u32_e64 s[4:5], s3, v0
	s_or_b64 s[8:9], s[12:13], s[4:5]
	s_and_saveexec_b64 s[10:11], s[8:9]
	s_cbranch_execz .LBB238_20
; %bb.1:
	s_load_dwordx4 s[8:11], s[0:1], 0x0
	s_load_dword s17, s[0:1], 0x24
	s_mov_b32 s15, 0
	s_lshl_b64 s[0:1], s[14:15], 2
	v_lshlrev_b32_e32 v1, 2, v0
	s_waitcnt lgkmcnt(0)
	s_add_u32 s0, s8, s0
	s_addc_u32 s1, s9, s1
	global_load_dword v2, v1, s[0:1]
	s_lshr_b32 s0, s17, 8
	s_sub_i32 s1, 0, s0
	s_and_b32 s1, s2, s1
	s_and_b32 s0, s1, s0
	s_lshl_b32 s18, s1, 8
	s_sub_i32 s15, 0, s17
	s_cmp_eq_u32 s0, 0
	s_cselect_b64 s[0:1], -1, 0
	s_and_b64 s[2:3], s[0:1], exec
	s_cselect_b32 s15, s17, s15
	s_add_i32 s15, s15, s18
	s_cmp_gt_u32 s16, s15
	v_add_u32_e32 v0, s14, v0
	s_cbranch_scc1 .LBB238_3
; %bb.2:
	v_cmp_gt_u32_e32 vcc, s16, v0
	s_or_b64 s[2:3], vcc, s[12:13]
	s_and_b64 s[2:3], s[2:3], exec
	s_cbranch_execz .LBB238_4
	s_branch .LBB238_18
.LBB238_3:
	s_mov_b64 s[2:3], 0
.LBB238_4:
	s_min_u32 s12, s15, s16
	s_min_u32 s14, s18, s12
	s_add_i32 s18, s18, s12
	s_add_i32 s13, s12, s17
	v_subrev_u32_e32 v0, s18, v0
	s_min_u32 s13, s13, s16
	v_add_u32_e32 v3, s14, v0
	s_and_b64 vcc, exec, s[6:7]
	s_cbranch_vccz .LBB238_12
; %bb.5:
                                        ; implicit-def: $vgpr0
	s_and_saveexec_b64 s[6:7], s[4:5]
	s_cbranch_execz .LBB238_11
; %bb.6:
	s_cmp_ge_u32 s15, s13
	v_mov_b32_e32 v4, s12
	s_cbranch_scc1 .LBB238_10
; %bb.7:
	s_mov_b64 s[4:5], 0
	v_mov_b32_e32 v5, s13
	v_mov_b32_e32 v4, s12
	;; [unrolled: 1-line block ×3, first 2 shown]
.LBB238_8:                              ; =>This Inner Loop Header: Depth=1
	v_add_u32_e32 v0, v4, v5
	v_lshrrev_b32_e32 v0, 1, v0
	v_lshl_add_u64 v[6:7], v[0:1], 2, s[8:9]
	global_load_dword v6, v[6:7], off
	v_add_u32_e32 v7, 1, v0
	s_waitcnt vmcnt(0)
	v_cmp_gt_i32_e32 vcc, v6, v2
	s_nop 1
	v_cndmask_b32_e64 v8, 0, 1, vcc
	v_cmp_le_i32_e32 vcc, v2, v6
	s_nop 1
	v_cndmask_b32_e64 v6, 0, 1, vcc
	v_cndmask_b32_e64 v6, v6, v8, s[0:1]
	v_and_b32_e32 v6, 1, v6
	v_cmp_eq_u32_e32 vcc, 1, v6
	s_nop 1
	v_cndmask_b32_e32 v5, v0, v5, vcc
	v_cndmask_b32_e32 v4, v4, v7, vcc
	v_cmp_ge_u32_e32 vcc, v4, v5
	s_or_b64 s[4:5], vcc, s[4:5]
	s_andn2_b64 exec, exec, s[4:5]
	s_cbranch_execnz .LBB238_8
; %bb.9:
	s_or_b64 exec, exec, s[4:5]
.LBB238_10:
	v_add_u32_e32 v0, v4, v3
	s_or_b64 s[2:3], s[2:3], exec
.LBB238_11:
	s_or_b64 exec, exec, s[6:7]
	s_branch .LBB238_18
.LBB238_12:
                                        ; implicit-def: $vgpr0
	s_cbranch_execz .LBB238_18
; %bb.13:
	s_cmp_ge_u32 s15, s13
	v_mov_b32_e32 v4, s12
	s_cbranch_scc1 .LBB238_17
; %bb.14:
	s_mov_b64 s[2:3], 0
	v_mov_b32_e32 v5, s13
	v_mov_b32_e32 v4, s12
	v_mov_b32_e32 v1, 0
.LBB238_15:                             ; =>This Inner Loop Header: Depth=1
	v_add_u32_e32 v0, v4, v5
	v_lshrrev_b32_e32 v0, 1, v0
	v_lshl_add_u64 v[6:7], v[0:1], 2, s[8:9]
	global_load_dword v6, v[6:7], off
	v_add_u32_e32 v7, 1, v0
	s_waitcnt vmcnt(0)
	v_cmp_gt_i32_e32 vcc, v6, v2
	s_nop 1
	v_cndmask_b32_e64 v8, 0, 1, vcc
	v_cmp_le_i32_e32 vcc, v2, v6
	s_nop 1
	v_cndmask_b32_e64 v6, 0, 1, vcc
	v_cndmask_b32_e64 v6, v6, v8, s[0:1]
	v_and_b32_e32 v6, 1, v6
	v_cmp_eq_u32_e32 vcc, 1, v6
	s_nop 1
	v_cndmask_b32_e32 v5, v0, v5, vcc
	v_cndmask_b32_e32 v4, v4, v7, vcc
	v_cmp_ge_u32_e32 vcc, v4, v5
	s_or_b64 s[2:3], vcc, s[2:3]
	s_andn2_b64 exec, exec, s[2:3]
	s_cbranch_execnz .LBB238_15
; %bb.16:
	s_or_b64 exec, exec, s[2:3]
.LBB238_17:
	v_add_u32_e32 v0, v4, v3
	s_mov_b64 s[2:3], -1
.LBB238_18:
	s_and_b64 exec, exec, s[2:3]
	s_cbranch_execz .LBB238_20
; %bb.19:
	v_mov_b32_e32 v4, s10
	v_mov_b32_e32 v5, s11
	;; [unrolled: 1-line block ×3, first 2 shown]
	v_lshl_add_u64 v[0:1], v[0:1], 2, v[4:5]
	s_waitcnt vmcnt(0)
	global_store_dword v[0:1], v2, off
.LBB238_20:
	s_endpgm
	.section	.rodata,"a",@progbits
	.p2align	6, 0x0
	.amdhsa_kernel _ZN7rocprim17ROCPRIM_400000_NS6detail17trampoline_kernelINS0_14default_configENS1_38merge_sort_block_merge_config_selectorIiNS0_10empty_typeEEEZZNS1_27merge_sort_block_merge_implIS3_N6thrust23THRUST_200600_302600_NS6detail15normal_iteratorINS9_10device_ptrIiEEEEPS5_jNS1_19radix_merge_compareILb1ELb0EiNS0_19identity_decomposerEEEEE10hipError_tT0_T1_T2_jT3_P12ihipStream_tbPNSt15iterator_traitsISK_E10value_typeEPNSQ_ISL_E10value_typeEPSM_NS1_7vsmem_tEENKUlT_SK_SL_SM_E_clIPiSE_SF_SF_EESJ_SZ_SK_SL_SM_EUlSZ_E1_NS1_11comp_targetILNS1_3genE0ELNS1_11target_archE4294967295ELNS1_3gpuE0ELNS1_3repE0EEENS1_36merge_oddeven_config_static_selectorELNS0_4arch9wavefront6targetE1EEEvSL_
		.amdhsa_group_segment_fixed_size 0
		.amdhsa_private_segment_fixed_size 0
		.amdhsa_kernarg_size 48
		.amdhsa_user_sgpr_count 2
		.amdhsa_user_sgpr_dispatch_ptr 0
		.amdhsa_user_sgpr_queue_ptr 0
		.amdhsa_user_sgpr_kernarg_segment_ptr 1
		.amdhsa_user_sgpr_dispatch_id 0
		.amdhsa_user_sgpr_kernarg_preload_length 0
		.amdhsa_user_sgpr_kernarg_preload_offset 0
		.amdhsa_user_sgpr_private_segment_size 0
		.amdhsa_uses_dynamic_stack 0
		.amdhsa_enable_private_segment 0
		.amdhsa_system_sgpr_workgroup_id_x 1
		.amdhsa_system_sgpr_workgroup_id_y 0
		.amdhsa_system_sgpr_workgroup_id_z 0
		.amdhsa_system_sgpr_workgroup_info 0
		.amdhsa_system_vgpr_workitem_id 0
		.amdhsa_next_free_vgpr 9
		.amdhsa_next_free_sgpr 19
		.amdhsa_accum_offset 12
		.amdhsa_reserve_vcc 1
		.amdhsa_float_round_mode_32 0
		.amdhsa_float_round_mode_16_64 0
		.amdhsa_float_denorm_mode_32 3
		.amdhsa_float_denorm_mode_16_64 3
		.amdhsa_dx10_clamp 1
		.amdhsa_ieee_mode 1
		.amdhsa_fp16_overflow 0
		.amdhsa_tg_split 0
		.amdhsa_exception_fp_ieee_invalid_op 0
		.amdhsa_exception_fp_denorm_src 0
		.amdhsa_exception_fp_ieee_div_zero 0
		.amdhsa_exception_fp_ieee_overflow 0
		.amdhsa_exception_fp_ieee_underflow 0
		.amdhsa_exception_fp_ieee_inexact 0
		.amdhsa_exception_int_div_zero 0
	.end_amdhsa_kernel
	.section	.text._ZN7rocprim17ROCPRIM_400000_NS6detail17trampoline_kernelINS0_14default_configENS1_38merge_sort_block_merge_config_selectorIiNS0_10empty_typeEEEZZNS1_27merge_sort_block_merge_implIS3_N6thrust23THRUST_200600_302600_NS6detail15normal_iteratorINS9_10device_ptrIiEEEEPS5_jNS1_19radix_merge_compareILb1ELb0EiNS0_19identity_decomposerEEEEE10hipError_tT0_T1_T2_jT3_P12ihipStream_tbPNSt15iterator_traitsISK_E10value_typeEPNSQ_ISL_E10value_typeEPSM_NS1_7vsmem_tEENKUlT_SK_SL_SM_E_clIPiSE_SF_SF_EESJ_SZ_SK_SL_SM_EUlSZ_E1_NS1_11comp_targetILNS1_3genE0ELNS1_11target_archE4294967295ELNS1_3gpuE0ELNS1_3repE0EEENS1_36merge_oddeven_config_static_selectorELNS0_4arch9wavefront6targetE1EEEvSL_,"axG",@progbits,_ZN7rocprim17ROCPRIM_400000_NS6detail17trampoline_kernelINS0_14default_configENS1_38merge_sort_block_merge_config_selectorIiNS0_10empty_typeEEEZZNS1_27merge_sort_block_merge_implIS3_N6thrust23THRUST_200600_302600_NS6detail15normal_iteratorINS9_10device_ptrIiEEEEPS5_jNS1_19radix_merge_compareILb1ELb0EiNS0_19identity_decomposerEEEEE10hipError_tT0_T1_T2_jT3_P12ihipStream_tbPNSt15iterator_traitsISK_E10value_typeEPNSQ_ISL_E10value_typeEPSM_NS1_7vsmem_tEENKUlT_SK_SL_SM_E_clIPiSE_SF_SF_EESJ_SZ_SK_SL_SM_EUlSZ_E1_NS1_11comp_targetILNS1_3genE0ELNS1_11target_archE4294967295ELNS1_3gpuE0ELNS1_3repE0EEENS1_36merge_oddeven_config_static_selectorELNS0_4arch9wavefront6targetE1EEEvSL_,comdat
.Lfunc_end238:
	.size	_ZN7rocprim17ROCPRIM_400000_NS6detail17trampoline_kernelINS0_14default_configENS1_38merge_sort_block_merge_config_selectorIiNS0_10empty_typeEEEZZNS1_27merge_sort_block_merge_implIS3_N6thrust23THRUST_200600_302600_NS6detail15normal_iteratorINS9_10device_ptrIiEEEEPS5_jNS1_19radix_merge_compareILb1ELb0EiNS0_19identity_decomposerEEEEE10hipError_tT0_T1_T2_jT3_P12ihipStream_tbPNSt15iterator_traitsISK_E10value_typeEPNSQ_ISL_E10value_typeEPSM_NS1_7vsmem_tEENKUlT_SK_SL_SM_E_clIPiSE_SF_SF_EESJ_SZ_SK_SL_SM_EUlSZ_E1_NS1_11comp_targetILNS1_3genE0ELNS1_11target_archE4294967295ELNS1_3gpuE0ELNS1_3repE0EEENS1_36merge_oddeven_config_static_selectorELNS0_4arch9wavefront6targetE1EEEvSL_, .Lfunc_end238-_ZN7rocprim17ROCPRIM_400000_NS6detail17trampoline_kernelINS0_14default_configENS1_38merge_sort_block_merge_config_selectorIiNS0_10empty_typeEEEZZNS1_27merge_sort_block_merge_implIS3_N6thrust23THRUST_200600_302600_NS6detail15normal_iteratorINS9_10device_ptrIiEEEEPS5_jNS1_19radix_merge_compareILb1ELb0EiNS0_19identity_decomposerEEEEE10hipError_tT0_T1_T2_jT3_P12ihipStream_tbPNSt15iterator_traitsISK_E10value_typeEPNSQ_ISL_E10value_typeEPSM_NS1_7vsmem_tEENKUlT_SK_SL_SM_E_clIPiSE_SF_SF_EESJ_SZ_SK_SL_SM_EUlSZ_E1_NS1_11comp_targetILNS1_3genE0ELNS1_11target_archE4294967295ELNS1_3gpuE0ELNS1_3repE0EEENS1_36merge_oddeven_config_static_selectorELNS0_4arch9wavefront6targetE1EEEvSL_
                                        ; -- End function
	.set _ZN7rocprim17ROCPRIM_400000_NS6detail17trampoline_kernelINS0_14default_configENS1_38merge_sort_block_merge_config_selectorIiNS0_10empty_typeEEEZZNS1_27merge_sort_block_merge_implIS3_N6thrust23THRUST_200600_302600_NS6detail15normal_iteratorINS9_10device_ptrIiEEEEPS5_jNS1_19radix_merge_compareILb1ELb0EiNS0_19identity_decomposerEEEEE10hipError_tT0_T1_T2_jT3_P12ihipStream_tbPNSt15iterator_traitsISK_E10value_typeEPNSQ_ISL_E10value_typeEPSM_NS1_7vsmem_tEENKUlT_SK_SL_SM_E_clIPiSE_SF_SF_EESJ_SZ_SK_SL_SM_EUlSZ_E1_NS1_11comp_targetILNS1_3genE0ELNS1_11target_archE4294967295ELNS1_3gpuE0ELNS1_3repE0EEENS1_36merge_oddeven_config_static_selectorELNS0_4arch9wavefront6targetE1EEEvSL_.num_vgpr, 9
	.set _ZN7rocprim17ROCPRIM_400000_NS6detail17trampoline_kernelINS0_14default_configENS1_38merge_sort_block_merge_config_selectorIiNS0_10empty_typeEEEZZNS1_27merge_sort_block_merge_implIS3_N6thrust23THRUST_200600_302600_NS6detail15normal_iteratorINS9_10device_ptrIiEEEEPS5_jNS1_19radix_merge_compareILb1ELb0EiNS0_19identity_decomposerEEEEE10hipError_tT0_T1_T2_jT3_P12ihipStream_tbPNSt15iterator_traitsISK_E10value_typeEPNSQ_ISL_E10value_typeEPSM_NS1_7vsmem_tEENKUlT_SK_SL_SM_E_clIPiSE_SF_SF_EESJ_SZ_SK_SL_SM_EUlSZ_E1_NS1_11comp_targetILNS1_3genE0ELNS1_11target_archE4294967295ELNS1_3gpuE0ELNS1_3repE0EEENS1_36merge_oddeven_config_static_selectorELNS0_4arch9wavefront6targetE1EEEvSL_.num_agpr, 0
	.set _ZN7rocprim17ROCPRIM_400000_NS6detail17trampoline_kernelINS0_14default_configENS1_38merge_sort_block_merge_config_selectorIiNS0_10empty_typeEEEZZNS1_27merge_sort_block_merge_implIS3_N6thrust23THRUST_200600_302600_NS6detail15normal_iteratorINS9_10device_ptrIiEEEEPS5_jNS1_19radix_merge_compareILb1ELb0EiNS0_19identity_decomposerEEEEE10hipError_tT0_T1_T2_jT3_P12ihipStream_tbPNSt15iterator_traitsISK_E10value_typeEPNSQ_ISL_E10value_typeEPSM_NS1_7vsmem_tEENKUlT_SK_SL_SM_E_clIPiSE_SF_SF_EESJ_SZ_SK_SL_SM_EUlSZ_E1_NS1_11comp_targetILNS1_3genE0ELNS1_11target_archE4294967295ELNS1_3gpuE0ELNS1_3repE0EEENS1_36merge_oddeven_config_static_selectorELNS0_4arch9wavefront6targetE1EEEvSL_.numbered_sgpr, 19
	.set _ZN7rocprim17ROCPRIM_400000_NS6detail17trampoline_kernelINS0_14default_configENS1_38merge_sort_block_merge_config_selectorIiNS0_10empty_typeEEEZZNS1_27merge_sort_block_merge_implIS3_N6thrust23THRUST_200600_302600_NS6detail15normal_iteratorINS9_10device_ptrIiEEEEPS5_jNS1_19radix_merge_compareILb1ELb0EiNS0_19identity_decomposerEEEEE10hipError_tT0_T1_T2_jT3_P12ihipStream_tbPNSt15iterator_traitsISK_E10value_typeEPNSQ_ISL_E10value_typeEPSM_NS1_7vsmem_tEENKUlT_SK_SL_SM_E_clIPiSE_SF_SF_EESJ_SZ_SK_SL_SM_EUlSZ_E1_NS1_11comp_targetILNS1_3genE0ELNS1_11target_archE4294967295ELNS1_3gpuE0ELNS1_3repE0EEENS1_36merge_oddeven_config_static_selectorELNS0_4arch9wavefront6targetE1EEEvSL_.num_named_barrier, 0
	.set _ZN7rocprim17ROCPRIM_400000_NS6detail17trampoline_kernelINS0_14default_configENS1_38merge_sort_block_merge_config_selectorIiNS0_10empty_typeEEEZZNS1_27merge_sort_block_merge_implIS3_N6thrust23THRUST_200600_302600_NS6detail15normal_iteratorINS9_10device_ptrIiEEEEPS5_jNS1_19radix_merge_compareILb1ELb0EiNS0_19identity_decomposerEEEEE10hipError_tT0_T1_T2_jT3_P12ihipStream_tbPNSt15iterator_traitsISK_E10value_typeEPNSQ_ISL_E10value_typeEPSM_NS1_7vsmem_tEENKUlT_SK_SL_SM_E_clIPiSE_SF_SF_EESJ_SZ_SK_SL_SM_EUlSZ_E1_NS1_11comp_targetILNS1_3genE0ELNS1_11target_archE4294967295ELNS1_3gpuE0ELNS1_3repE0EEENS1_36merge_oddeven_config_static_selectorELNS0_4arch9wavefront6targetE1EEEvSL_.private_seg_size, 0
	.set _ZN7rocprim17ROCPRIM_400000_NS6detail17trampoline_kernelINS0_14default_configENS1_38merge_sort_block_merge_config_selectorIiNS0_10empty_typeEEEZZNS1_27merge_sort_block_merge_implIS3_N6thrust23THRUST_200600_302600_NS6detail15normal_iteratorINS9_10device_ptrIiEEEEPS5_jNS1_19radix_merge_compareILb1ELb0EiNS0_19identity_decomposerEEEEE10hipError_tT0_T1_T2_jT3_P12ihipStream_tbPNSt15iterator_traitsISK_E10value_typeEPNSQ_ISL_E10value_typeEPSM_NS1_7vsmem_tEENKUlT_SK_SL_SM_E_clIPiSE_SF_SF_EESJ_SZ_SK_SL_SM_EUlSZ_E1_NS1_11comp_targetILNS1_3genE0ELNS1_11target_archE4294967295ELNS1_3gpuE0ELNS1_3repE0EEENS1_36merge_oddeven_config_static_selectorELNS0_4arch9wavefront6targetE1EEEvSL_.uses_vcc, 1
	.set _ZN7rocprim17ROCPRIM_400000_NS6detail17trampoline_kernelINS0_14default_configENS1_38merge_sort_block_merge_config_selectorIiNS0_10empty_typeEEEZZNS1_27merge_sort_block_merge_implIS3_N6thrust23THRUST_200600_302600_NS6detail15normal_iteratorINS9_10device_ptrIiEEEEPS5_jNS1_19radix_merge_compareILb1ELb0EiNS0_19identity_decomposerEEEEE10hipError_tT0_T1_T2_jT3_P12ihipStream_tbPNSt15iterator_traitsISK_E10value_typeEPNSQ_ISL_E10value_typeEPSM_NS1_7vsmem_tEENKUlT_SK_SL_SM_E_clIPiSE_SF_SF_EESJ_SZ_SK_SL_SM_EUlSZ_E1_NS1_11comp_targetILNS1_3genE0ELNS1_11target_archE4294967295ELNS1_3gpuE0ELNS1_3repE0EEENS1_36merge_oddeven_config_static_selectorELNS0_4arch9wavefront6targetE1EEEvSL_.uses_flat_scratch, 0
	.set _ZN7rocprim17ROCPRIM_400000_NS6detail17trampoline_kernelINS0_14default_configENS1_38merge_sort_block_merge_config_selectorIiNS0_10empty_typeEEEZZNS1_27merge_sort_block_merge_implIS3_N6thrust23THRUST_200600_302600_NS6detail15normal_iteratorINS9_10device_ptrIiEEEEPS5_jNS1_19radix_merge_compareILb1ELb0EiNS0_19identity_decomposerEEEEE10hipError_tT0_T1_T2_jT3_P12ihipStream_tbPNSt15iterator_traitsISK_E10value_typeEPNSQ_ISL_E10value_typeEPSM_NS1_7vsmem_tEENKUlT_SK_SL_SM_E_clIPiSE_SF_SF_EESJ_SZ_SK_SL_SM_EUlSZ_E1_NS1_11comp_targetILNS1_3genE0ELNS1_11target_archE4294967295ELNS1_3gpuE0ELNS1_3repE0EEENS1_36merge_oddeven_config_static_selectorELNS0_4arch9wavefront6targetE1EEEvSL_.has_dyn_sized_stack, 0
	.set _ZN7rocprim17ROCPRIM_400000_NS6detail17trampoline_kernelINS0_14default_configENS1_38merge_sort_block_merge_config_selectorIiNS0_10empty_typeEEEZZNS1_27merge_sort_block_merge_implIS3_N6thrust23THRUST_200600_302600_NS6detail15normal_iteratorINS9_10device_ptrIiEEEEPS5_jNS1_19radix_merge_compareILb1ELb0EiNS0_19identity_decomposerEEEEE10hipError_tT0_T1_T2_jT3_P12ihipStream_tbPNSt15iterator_traitsISK_E10value_typeEPNSQ_ISL_E10value_typeEPSM_NS1_7vsmem_tEENKUlT_SK_SL_SM_E_clIPiSE_SF_SF_EESJ_SZ_SK_SL_SM_EUlSZ_E1_NS1_11comp_targetILNS1_3genE0ELNS1_11target_archE4294967295ELNS1_3gpuE0ELNS1_3repE0EEENS1_36merge_oddeven_config_static_selectorELNS0_4arch9wavefront6targetE1EEEvSL_.has_recursion, 0
	.set _ZN7rocprim17ROCPRIM_400000_NS6detail17trampoline_kernelINS0_14default_configENS1_38merge_sort_block_merge_config_selectorIiNS0_10empty_typeEEEZZNS1_27merge_sort_block_merge_implIS3_N6thrust23THRUST_200600_302600_NS6detail15normal_iteratorINS9_10device_ptrIiEEEEPS5_jNS1_19radix_merge_compareILb1ELb0EiNS0_19identity_decomposerEEEEE10hipError_tT0_T1_T2_jT3_P12ihipStream_tbPNSt15iterator_traitsISK_E10value_typeEPNSQ_ISL_E10value_typeEPSM_NS1_7vsmem_tEENKUlT_SK_SL_SM_E_clIPiSE_SF_SF_EESJ_SZ_SK_SL_SM_EUlSZ_E1_NS1_11comp_targetILNS1_3genE0ELNS1_11target_archE4294967295ELNS1_3gpuE0ELNS1_3repE0EEENS1_36merge_oddeven_config_static_selectorELNS0_4arch9wavefront6targetE1EEEvSL_.has_indirect_call, 0
	.section	.AMDGPU.csdata,"",@progbits
; Kernel info:
; codeLenInByte = 584
; TotalNumSgprs: 25
; NumVgprs: 9
; NumAgprs: 0
; TotalNumVgprs: 9
; ScratchSize: 0
; MemoryBound: 0
; FloatMode: 240
; IeeeMode: 1
; LDSByteSize: 0 bytes/workgroup (compile time only)
; SGPRBlocks: 3
; VGPRBlocks: 1
; NumSGPRsForWavesPerEU: 25
; NumVGPRsForWavesPerEU: 9
; AccumOffset: 12
; Occupancy: 8
; WaveLimiterHint : 0
; COMPUTE_PGM_RSRC2:SCRATCH_EN: 0
; COMPUTE_PGM_RSRC2:USER_SGPR: 2
; COMPUTE_PGM_RSRC2:TRAP_HANDLER: 0
; COMPUTE_PGM_RSRC2:TGID_X_EN: 1
; COMPUTE_PGM_RSRC2:TGID_Y_EN: 0
; COMPUTE_PGM_RSRC2:TGID_Z_EN: 0
; COMPUTE_PGM_RSRC2:TIDIG_COMP_CNT: 0
; COMPUTE_PGM_RSRC3_GFX90A:ACCUM_OFFSET: 2
; COMPUTE_PGM_RSRC3_GFX90A:TG_SPLIT: 0
	.section	.text._ZN7rocprim17ROCPRIM_400000_NS6detail17trampoline_kernelINS0_14default_configENS1_38merge_sort_block_merge_config_selectorIiNS0_10empty_typeEEEZZNS1_27merge_sort_block_merge_implIS3_N6thrust23THRUST_200600_302600_NS6detail15normal_iteratorINS9_10device_ptrIiEEEEPS5_jNS1_19radix_merge_compareILb1ELb0EiNS0_19identity_decomposerEEEEE10hipError_tT0_T1_T2_jT3_P12ihipStream_tbPNSt15iterator_traitsISK_E10value_typeEPNSQ_ISL_E10value_typeEPSM_NS1_7vsmem_tEENKUlT_SK_SL_SM_E_clIPiSE_SF_SF_EESJ_SZ_SK_SL_SM_EUlSZ_E1_NS1_11comp_targetILNS1_3genE10ELNS1_11target_archE1201ELNS1_3gpuE5ELNS1_3repE0EEENS1_36merge_oddeven_config_static_selectorELNS0_4arch9wavefront6targetE1EEEvSL_,"axG",@progbits,_ZN7rocprim17ROCPRIM_400000_NS6detail17trampoline_kernelINS0_14default_configENS1_38merge_sort_block_merge_config_selectorIiNS0_10empty_typeEEEZZNS1_27merge_sort_block_merge_implIS3_N6thrust23THRUST_200600_302600_NS6detail15normal_iteratorINS9_10device_ptrIiEEEEPS5_jNS1_19radix_merge_compareILb1ELb0EiNS0_19identity_decomposerEEEEE10hipError_tT0_T1_T2_jT3_P12ihipStream_tbPNSt15iterator_traitsISK_E10value_typeEPNSQ_ISL_E10value_typeEPSM_NS1_7vsmem_tEENKUlT_SK_SL_SM_E_clIPiSE_SF_SF_EESJ_SZ_SK_SL_SM_EUlSZ_E1_NS1_11comp_targetILNS1_3genE10ELNS1_11target_archE1201ELNS1_3gpuE5ELNS1_3repE0EEENS1_36merge_oddeven_config_static_selectorELNS0_4arch9wavefront6targetE1EEEvSL_,comdat
	.protected	_ZN7rocprim17ROCPRIM_400000_NS6detail17trampoline_kernelINS0_14default_configENS1_38merge_sort_block_merge_config_selectorIiNS0_10empty_typeEEEZZNS1_27merge_sort_block_merge_implIS3_N6thrust23THRUST_200600_302600_NS6detail15normal_iteratorINS9_10device_ptrIiEEEEPS5_jNS1_19radix_merge_compareILb1ELb0EiNS0_19identity_decomposerEEEEE10hipError_tT0_T1_T2_jT3_P12ihipStream_tbPNSt15iterator_traitsISK_E10value_typeEPNSQ_ISL_E10value_typeEPSM_NS1_7vsmem_tEENKUlT_SK_SL_SM_E_clIPiSE_SF_SF_EESJ_SZ_SK_SL_SM_EUlSZ_E1_NS1_11comp_targetILNS1_3genE10ELNS1_11target_archE1201ELNS1_3gpuE5ELNS1_3repE0EEENS1_36merge_oddeven_config_static_selectorELNS0_4arch9wavefront6targetE1EEEvSL_ ; -- Begin function _ZN7rocprim17ROCPRIM_400000_NS6detail17trampoline_kernelINS0_14default_configENS1_38merge_sort_block_merge_config_selectorIiNS0_10empty_typeEEEZZNS1_27merge_sort_block_merge_implIS3_N6thrust23THRUST_200600_302600_NS6detail15normal_iteratorINS9_10device_ptrIiEEEEPS5_jNS1_19radix_merge_compareILb1ELb0EiNS0_19identity_decomposerEEEEE10hipError_tT0_T1_T2_jT3_P12ihipStream_tbPNSt15iterator_traitsISK_E10value_typeEPNSQ_ISL_E10value_typeEPSM_NS1_7vsmem_tEENKUlT_SK_SL_SM_E_clIPiSE_SF_SF_EESJ_SZ_SK_SL_SM_EUlSZ_E1_NS1_11comp_targetILNS1_3genE10ELNS1_11target_archE1201ELNS1_3gpuE5ELNS1_3repE0EEENS1_36merge_oddeven_config_static_selectorELNS0_4arch9wavefront6targetE1EEEvSL_
	.globl	_ZN7rocprim17ROCPRIM_400000_NS6detail17trampoline_kernelINS0_14default_configENS1_38merge_sort_block_merge_config_selectorIiNS0_10empty_typeEEEZZNS1_27merge_sort_block_merge_implIS3_N6thrust23THRUST_200600_302600_NS6detail15normal_iteratorINS9_10device_ptrIiEEEEPS5_jNS1_19radix_merge_compareILb1ELb0EiNS0_19identity_decomposerEEEEE10hipError_tT0_T1_T2_jT3_P12ihipStream_tbPNSt15iterator_traitsISK_E10value_typeEPNSQ_ISL_E10value_typeEPSM_NS1_7vsmem_tEENKUlT_SK_SL_SM_E_clIPiSE_SF_SF_EESJ_SZ_SK_SL_SM_EUlSZ_E1_NS1_11comp_targetILNS1_3genE10ELNS1_11target_archE1201ELNS1_3gpuE5ELNS1_3repE0EEENS1_36merge_oddeven_config_static_selectorELNS0_4arch9wavefront6targetE1EEEvSL_
	.p2align	8
	.type	_ZN7rocprim17ROCPRIM_400000_NS6detail17trampoline_kernelINS0_14default_configENS1_38merge_sort_block_merge_config_selectorIiNS0_10empty_typeEEEZZNS1_27merge_sort_block_merge_implIS3_N6thrust23THRUST_200600_302600_NS6detail15normal_iteratorINS9_10device_ptrIiEEEEPS5_jNS1_19radix_merge_compareILb1ELb0EiNS0_19identity_decomposerEEEEE10hipError_tT0_T1_T2_jT3_P12ihipStream_tbPNSt15iterator_traitsISK_E10value_typeEPNSQ_ISL_E10value_typeEPSM_NS1_7vsmem_tEENKUlT_SK_SL_SM_E_clIPiSE_SF_SF_EESJ_SZ_SK_SL_SM_EUlSZ_E1_NS1_11comp_targetILNS1_3genE10ELNS1_11target_archE1201ELNS1_3gpuE5ELNS1_3repE0EEENS1_36merge_oddeven_config_static_selectorELNS0_4arch9wavefront6targetE1EEEvSL_,@function
_ZN7rocprim17ROCPRIM_400000_NS6detail17trampoline_kernelINS0_14default_configENS1_38merge_sort_block_merge_config_selectorIiNS0_10empty_typeEEEZZNS1_27merge_sort_block_merge_implIS3_N6thrust23THRUST_200600_302600_NS6detail15normal_iteratorINS9_10device_ptrIiEEEEPS5_jNS1_19radix_merge_compareILb1ELb0EiNS0_19identity_decomposerEEEEE10hipError_tT0_T1_T2_jT3_P12ihipStream_tbPNSt15iterator_traitsISK_E10value_typeEPNSQ_ISL_E10value_typeEPSM_NS1_7vsmem_tEENKUlT_SK_SL_SM_E_clIPiSE_SF_SF_EESJ_SZ_SK_SL_SM_EUlSZ_E1_NS1_11comp_targetILNS1_3genE10ELNS1_11target_archE1201ELNS1_3gpuE5ELNS1_3repE0EEENS1_36merge_oddeven_config_static_selectorELNS0_4arch9wavefront6targetE1EEEvSL_: ; @_ZN7rocprim17ROCPRIM_400000_NS6detail17trampoline_kernelINS0_14default_configENS1_38merge_sort_block_merge_config_selectorIiNS0_10empty_typeEEEZZNS1_27merge_sort_block_merge_implIS3_N6thrust23THRUST_200600_302600_NS6detail15normal_iteratorINS9_10device_ptrIiEEEEPS5_jNS1_19radix_merge_compareILb1ELb0EiNS0_19identity_decomposerEEEEE10hipError_tT0_T1_T2_jT3_P12ihipStream_tbPNSt15iterator_traitsISK_E10value_typeEPNSQ_ISL_E10value_typeEPSM_NS1_7vsmem_tEENKUlT_SK_SL_SM_E_clIPiSE_SF_SF_EESJ_SZ_SK_SL_SM_EUlSZ_E1_NS1_11comp_targetILNS1_3genE10ELNS1_11target_archE1201ELNS1_3gpuE5ELNS1_3repE0EEENS1_36merge_oddeven_config_static_selectorELNS0_4arch9wavefront6targetE1EEEvSL_
; %bb.0:
	.section	.rodata,"a",@progbits
	.p2align	6, 0x0
	.amdhsa_kernel _ZN7rocprim17ROCPRIM_400000_NS6detail17trampoline_kernelINS0_14default_configENS1_38merge_sort_block_merge_config_selectorIiNS0_10empty_typeEEEZZNS1_27merge_sort_block_merge_implIS3_N6thrust23THRUST_200600_302600_NS6detail15normal_iteratorINS9_10device_ptrIiEEEEPS5_jNS1_19radix_merge_compareILb1ELb0EiNS0_19identity_decomposerEEEEE10hipError_tT0_T1_T2_jT3_P12ihipStream_tbPNSt15iterator_traitsISK_E10value_typeEPNSQ_ISL_E10value_typeEPSM_NS1_7vsmem_tEENKUlT_SK_SL_SM_E_clIPiSE_SF_SF_EESJ_SZ_SK_SL_SM_EUlSZ_E1_NS1_11comp_targetILNS1_3genE10ELNS1_11target_archE1201ELNS1_3gpuE5ELNS1_3repE0EEENS1_36merge_oddeven_config_static_selectorELNS0_4arch9wavefront6targetE1EEEvSL_
		.amdhsa_group_segment_fixed_size 0
		.amdhsa_private_segment_fixed_size 0
		.amdhsa_kernarg_size 48
		.amdhsa_user_sgpr_count 2
		.amdhsa_user_sgpr_dispatch_ptr 0
		.amdhsa_user_sgpr_queue_ptr 0
		.amdhsa_user_sgpr_kernarg_segment_ptr 1
		.amdhsa_user_sgpr_dispatch_id 0
		.amdhsa_user_sgpr_kernarg_preload_length 0
		.amdhsa_user_sgpr_kernarg_preload_offset 0
		.amdhsa_user_sgpr_private_segment_size 0
		.amdhsa_uses_dynamic_stack 0
		.amdhsa_enable_private_segment 0
		.amdhsa_system_sgpr_workgroup_id_x 1
		.amdhsa_system_sgpr_workgroup_id_y 0
		.amdhsa_system_sgpr_workgroup_id_z 0
		.amdhsa_system_sgpr_workgroup_info 0
		.amdhsa_system_vgpr_workitem_id 0
		.amdhsa_next_free_vgpr 1
		.amdhsa_next_free_sgpr 0
		.amdhsa_accum_offset 4
		.amdhsa_reserve_vcc 0
		.amdhsa_float_round_mode_32 0
		.amdhsa_float_round_mode_16_64 0
		.amdhsa_float_denorm_mode_32 3
		.amdhsa_float_denorm_mode_16_64 3
		.amdhsa_dx10_clamp 1
		.amdhsa_ieee_mode 1
		.amdhsa_fp16_overflow 0
		.amdhsa_tg_split 0
		.amdhsa_exception_fp_ieee_invalid_op 0
		.amdhsa_exception_fp_denorm_src 0
		.amdhsa_exception_fp_ieee_div_zero 0
		.amdhsa_exception_fp_ieee_overflow 0
		.amdhsa_exception_fp_ieee_underflow 0
		.amdhsa_exception_fp_ieee_inexact 0
		.amdhsa_exception_int_div_zero 0
	.end_amdhsa_kernel
	.section	.text._ZN7rocprim17ROCPRIM_400000_NS6detail17trampoline_kernelINS0_14default_configENS1_38merge_sort_block_merge_config_selectorIiNS0_10empty_typeEEEZZNS1_27merge_sort_block_merge_implIS3_N6thrust23THRUST_200600_302600_NS6detail15normal_iteratorINS9_10device_ptrIiEEEEPS5_jNS1_19radix_merge_compareILb1ELb0EiNS0_19identity_decomposerEEEEE10hipError_tT0_T1_T2_jT3_P12ihipStream_tbPNSt15iterator_traitsISK_E10value_typeEPNSQ_ISL_E10value_typeEPSM_NS1_7vsmem_tEENKUlT_SK_SL_SM_E_clIPiSE_SF_SF_EESJ_SZ_SK_SL_SM_EUlSZ_E1_NS1_11comp_targetILNS1_3genE10ELNS1_11target_archE1201ELNS1_3gpuE5ELNS1_3repE0EEENS1_36merge_oddeven_config_static_selectorELNS0_4arch9wavefront6targetE1EEEvSL_,"axG",@progbits,_ZN7rocprim17ROCPRIM_400000_NS6detail17trampoline_kernelINS0_14default_configENS1_38merge_sort_block_merge_config_selectorIiNS0_10empty_typeEEEZZNS1_27merge_sort_block_merge_implIS3_N6thrust23THRUST_200600_302600_NS6detail15normal_iteratorINS9_10device_ptrIiEEEEPS5_jNS1_19radix_merge_compareILb1ELb0EiNS0_19identity_decomposerEEEEE10hipError_tT0_T1_T2_jT3_P12ihipStream_tbPNSt15iterator_traitsISK_E10value_typeEPNSQ_ISL_E10value_typeEPSM_NS1_7vsmem_tEENKUlT_SK_SL_SM_E_clIPiSE_SF_SF_EESJ_SZ_SK_SL_SM_EUlSZ_E1_NS1_11comp_targetILNS1_3genE10ELNS1_11target_archE1201ELNS1_3gpuE5ELNS1_3repE0EEENS1_36merge_oddeven_config_static_selectorELNS0_4arch9wavefront6targetE1EEEvSL_,comdat
.Lfunc_end239:
	.size	_ZN7rocprim17ROCPRIM_400000_NS6detail17trampoline_kernelINS0_14default_configENS1_38merge_sort_block_merge_config_selectorIiNS0_10empty_typeEEEZZNS1_27merge_sort_block_merge_implIS3_N6thrust23THRUST_200600_302600_NS6detail15normal_iteratorINS9_10device_ptrIiEEEEPS5_jNS1_19radix_merge_compareILb1ELb0EiNS0_19identity_decomposerEEEEE10hipError_tT0_T1_T2_jT3_P12ihipStream_tbPNSt15iterator_traitsISK_E10value_typeEPNSQ_ISL_E10value_typeEPSM_NS1_7vsmem_tEENKUlT_SK_SL_SM_E_clIPiSE_SF_SF_EESJ_SZ_SK_SL_SM_EUlSZ_E1_NS1_11comp_targetILNS1_3genE10ELNS1_11target_archE1201ELNS1_3gpuE5ELNS1_3repE0EEENS1_36merge_oddeven_config_static_selectorELNS0_4arch9wavefront6targetE1EEEvSL_, .Lfunc_end239-_ZN7rocprim17ROCPRIM_400000_NS6detail17trampoline_kernelINS0_14default_configENS1_38merge_sort_block_merge_config_selectorIiNS0_10empty_typeEEEZZNS1_27merge_sort_block_merge_implIS3_N6thrust23THRUST_200600_302600_NS6detail15normal_iteratorINS9_10device_ptrIiEEEEPS5_jNS1_19radix_merge_compareILb1ELb0EiNS0_19identity_decomposerEEEEE10hipError_tT0_T1_T2_jT3_P12ihipStream_tbPNSt15iterator_traitsISK_E10value_typeEPNSQ_ISL_E10value_typeEPSM_NS1_7vsmem_tEENKUlT_SK_SL_SM_E_clIPiSE_SF_SF_EESJ_SZ_SK_SL_SM_EUlSZ_E1_NS1_11comp_targetILNS1_3genE10ELNS1_11target_archE1201ELNS1_3gpuE5ELNS1_3repE0EEENS1_36merge_oddeven_config_static_selectorELNS0_4arch9wavefront6targetE1EEEvSL_
                                        ; -- End function
	.set _ZN7rocprim17ROCPRIM_400000_NS6detail17trampoline_kernelINS0_14default_configENS1_38merge_sort_block_merge_config_selectorIiNS0_10empty_typeEEEZZNS1_27merge_sort_block_merge_implIS3_N6thrust23THRUST_200600_302600_NS6detail15normal_iteratorINS9_10device_ptrIiEEEEPS5_jNS1_19radix_merge_compareILb1ELb0EiNS0_19identity_decomposerEEEEE10hipError_tT0_T1_T2_jT3_P12ihipStream_tbPNSt15iterator_traitsISK_E10value_typeEPNSQ_ISL_E10value_typeEPSM_NS1_7vsmem_tEENKUlT_SK_SL_SM_E_clIPiSE_SF_SF_EESJ_SZ_SK_SL_SM_EUlSZ_E1_NS1_11comp_targetILNS1_3genE10ELNS1_11target_archE1201ELNS1_3gpuE5ELNS1_3repE0EEENS1_36merge_oddeven_config_static_selectorELNS0_4arch9wavefront6targetE1EEEvSL_.num_vgpr, 0
	.set _ZN7rocprim17ROCPRIM_400000_NS6detail17trampoline_kernelINS0_14default_configENS1_38merge_sort_block_merge_config_selectorIiNS0_10empty_typeEEEZZNS1_27merge_sort_block_merge_implIS3_N6thrust23THRUST_200600_302600_NS6detail15normal_iteratorINS9_10device_ptrIiEEEEPS5_jNS1_19radix_merge_compareILb1ELb0EiNS0_19identity_decomposerEEEEE10hipError_tT0_T1_T2_jT3_P12ihipStream_tbPNSt15iterator_traitsISK_E10value_typeEPNSQ_ISL_E10value_typeEPSM_NS1_7vsmem_tEENKUlT_SK_SL_SM_E_clIPiSE_SF_SF_EESJ_SZ_SK_SL_SM_EUlSZ_E1_NS1_11comp_targetILNS1_3genE10ELNS1_11target_archE1201ELNS1_3gpuE5ELNS1_3repE0EEENS1_36merge_oddeven_config_static_selectorELNS0_4arch9wavefront6targetE1EEEvSL_.num_agpr, 0
	.set _ZN7rocprim17ROCPRIM_400000_NS6detail17trampoline_kernelINS0_14default_configENS1_38merge_sort_block_merge_config_selectorIiNS0_10empty_typeEEEZZNS1_27merge_sort_block_merge_implIS3_N6thrust23THRUST_200600_302600_NS6detail15normal_iteratorINS9_10device_ptrIiEEEEPS5_jNS1_19radix_merge_compareILb1ELb0EiNS0_19identity_decomposerEEEEE10hipError_tT0_T1_T2_jT3_P12ihipStream_tbPNSt15iterator_traitsISK_E10value_typeEPNSQ_ISL_E10value_typeEPSM_NS1_7vsmem_tEENKUlT_SK_SL_SM_E_clIPiSE_SF_SF_EESJ_SZ_SK_SL_SM_EUlSZ_E1_NS1_11comp_targetILNS1_3genE10ELNS1_11target_archE1201ELNS1_3gpuE5ELNS1_3repE0EEENS1_36merge_oddeven_config_static_selectorELNS0_4arch9wavefront6targetE1EEEvSL_.numbered_sgpr, 0
	.set _ZN7rocprim17ROCPRIM_400000_NS6detail17trampoline_kernelINS0_14default_configENS1_38merge_sort_block_merge_config_selectorIiNS0_10empty_typeEEEZZNS1_27merge_sort_block_merge_implIS3_N6thrust23THRUST_200600_302600_NS6detail15normal_iteratorINS9_10device_ptrIiEEEEPS5_jNS1_19radix_merge_compareILb1ELb0EiNS0_19identity_decomposerEEEEE10hipError_tT0_T1_T2_jT3_P12ihipStream_tbPNSt15iterator_traitsISK_E10value_typeEPNSQ_ISL_E10value_typeEPSM_NS1_7vsmem_tEENKUlT_SK_SL_SM_E_clIPiSE_SF_SF_EESJ_SZ_SK_SL_SM_EUlSZ_E1_NS1_11comp_targetILNS1_3genE10ELNS1_11target_archE1201ELNS1_3gpuE5ELNS1_3repE0EEENS1_36merge_oddeven_config_static_selectorELNS0_4arch9wavefront6targetE1EEEvSL_.num_named_barrier, 0
	.set _ZN7rocprim17ROCPRIM_400000_NS6detail17trampoline_kernelINS0_14default_configENS1_38merge_sort_block_merge_config_selectorIiNS0_10empty_typeEEEZZNS1_27merge_sort_block_merge_implIS3_N6thrust23THRUST_200600_302600_NS6detail15normal_iteratorINS9_10device_ptrIiEEEEPS5_jNS1_19radix_merge_compareILb1ELb0EiNS0_19identity_decomposerEEEEE10hipError_tT0_T1_T2_jT3_P12ihipStream_tbPNSt15iterator_traitsISK_E10value_typeEPNSQ_ISL_E10value_typeEPSM_NS1_7vsmem_tEENKUlT_SK_SL_SM_E_clIPiSE_SF_SF_EESJ_SZ_SK_SL_SM_EUlSZ_E1_NS1_11comp_targetILNS1_3genE10ELNS1_11target_archE1201ELNS1_3gpuE5ELNS1_3repE0EEENS1_36merge_oddeven_config_static_selectorELNS0_4arch9wavefront6targetE1EEEvSL_.private_seg_size, 0
	.set _ZN7rocprim17ROCPRIM_400000_NS6detail17trampoline_kernelINS0_14default_configENS1_38merge_sort_block_merge_config_selectorIiNS0_10empty_typeEEEZZNS1_27merge_sort_block_merge_implIS3_N6thrust23THRUST_200600_302600_NS6detail15normal_iteratorINS9_10device_ptrIiEEEEPS5_jNS1_19radix_merge_compareILb1ELb0EiNS0_19identity_decomposerEEEEE10hipError_tT0_T1_T2_jT3_P12ihipStream_tbPNSt15iterator_traitsISK_E10value_typeEPNSQ_ISL_E10value_typeEPSM_NS1_7vsmem_tEENKUlT_SK_SL_SM_E_clIPiSE_SF_SF_EESJ_SZ_SK_SL_SM_EUlSZ_E1_NS1_11comp_targetILNS1_3genE10ELNS1_11target_archE1201ELNS1_3gpuE5ELNS1_3repE0EEENS1_36merge_oddeven_config_static_selectorELNS0_4arch9wavefront6targetE1EEEvSL_.uses_vcc, 0
	.set _ZN7rocprim17ROCPRIM_400000_NS6detail17trampoline_kernelINS0_14default_configENS1_38merge_sort_block_merge_config_selectorIiNS0_10empty_typeEEEZZNS1_27merge_sort_block_merge_implIS3_N6thrust23THRUST_200600_302600_NS6detail15normal_iteratorINS9_10device_ptrIiEEEEPS5_jNS1_19radix_merge_compareILb1ELb0EiNS0_19identity_decomposerEEEEE10hipError_tT0_T1_T2_jT3_P12ihipStream_tbPNSt15iterator_traitsISK_E10value_typeEPNSQ_ISL_E10value_typeEPSM_NS1_7vsmem_tEENKUlT_SK_SL_SM_E_clIPiSE_SF_SF_EESJ_SZ_SK_SL_SM_EUlSZ_E1_NS1_11comp_targetILNS1_3genE10ELNS1_11target_archE1201ELNS1_3gpuE5ELNS1_3repE0EEENS1_36merge_oddeven_config_static_selectorELNS0_4arch9wavefront6targetE1EEEvSL_.uses_flat_scratch, 0
	.set _ZN7rocprim17ROCPRIM_400000_NS6detail17trampoline_kernelINS0_14default_configENS1_38merge_sort_block_merge_config_selectorIiNS0_10empty_typeEEEZZNS1_27merge_sort_block_merge_implIS3_N6thrust23THRUST_200600_302600_NS6detail15normal_iteratorINS9_10device_ptrIiEEEEPS5_jNS1_19radix_merge_compareILb1ELb0EiNS0_19identity_decomposerEEEEE10hipError_tT0_T1_T2_jT3_P12ihipStream_tbPNSt15iterator_traitsISK_E10value_typeEPNSQ_ISL_E10value_typeEPSM_NS1_7vsmem_tEENKUlT_SK_SL_SM_E_clIPiSE_SF_SF_EESJ_SZ_SK_SL_SM_EUlSZ_E1_NS1_11comp_targetILNS1_3genE10ELNS1_11target_archE1201ELNS1_3gpuE5ELNS1_3repE0EEENS1_36merge_oddeven_config_static_selectorELNS0_4arch9wavefront6targetE1EEEvSL_.has_dyn_sized_stack, 0
	.set _ZN7rocprim17ROCPRIM_400000_NS6detail17trampoline_kernelINS0_14default_configENS1_38merge_sort_block_merge_config_selectorIiNS0_10empty_typeEEEZZNS1_27merge_sort_block_merge_implIS3_N6thrust23THRUST_200600_302600_NS6detail15normal_iteratorINS9_10device_ptrIiEEEEPS5_jNS1_19radix_merge_compareILb1ELb0EiNS0_19identity_decomposerEEEEE10hipError_tT0_T1_T2_jT3_P12ihipStream_tbPNSt15iterator_traitsISK_E10value_typeEPNSQ_ISL_E10value_typeEPSM_NS1_7vsmem_tEENKUlT_SK_SL_SM_E_clIPiSE_SF_SF_EESJ_SZ_SK_SL_SM_EUlSZ_E1_NS1_11comp_targetILNS1_3genE10ELNS1_11target_archE1201ELNS1_3gpuE5ELNS1_3repE0EEENS1_36merge_oddeven_config_static_selectorELNS0_4arch9wavefront6targetE1EEEvSL_.has_recursion, 0
	.set _ZN7rocprim17ROCPRIM_400000_NS6detail17trampoline_kernelINS0_14default_configENS1_38merge_sort_block_merge_config_selectorIiNS0_10empty_typeEEEZZNS1_27merge_sort_block_merge_implIS3_N6thrust23THRUST_200600_302600_NS6detail15normal_iteratorINS9_10device_ptrIiEEEEPS5_jNS1_19radix_merge_compareILb1ELb0EiNS0_19identity_decomposerEEEEE10hipError_tT0_T1_T2_jT3_P12ihipStream_tbPNSt15iterator_traitsISK_E10value_typeEPNSQ_ISL_E10value_typeEPSM_NS1_7vsmem_tEENKUlT_SK_SL_SM_E_clIPiSE_SF_SF_EESJ_SZ_SK_SL_SM_EUlSZ_E1_NS1_11comp_targetILNS1_3genE10ELNS1_11target_archE1201ELNS1_3gpuE5ELNS1_3repE0EEENS1_36merge_oddeven_config_static_selectorELNS0_4arch9wavefront6targetE1EEEvSL_.has_indirect_call, 0
	.section	.AMDGPU.csdata,"",@progbits
; Kernel info:
; codeLenInByte = 0
; TotalNumSgprs: 6
; NumVgprs: 0
; NumAgprs: 0
; TotalNumVgprs: 0
; ScratchSize: 0
; MemoryBound: 0
; FloatMode: 240
; IeeeMode: 1
; LDSByteSize: 0 bytes/workgroup (compile time only)
; SGPRBlocks: 0
; VGPRBlocks: 0
; NumSGPRsForWavesPerEU: 6
; NumVGPRsForWavesPerEU: 1
; AccumOffset: 4
; Occupancy: 8
; WaveLimiterHint : 0
; COMPUTE_PGM_RSRC2:SCRATCH_EN: 0
; COMPUTE_PGM_RSRC2:USER_SGPR: 2
; COMPUTE_PGM_RSRC2:TRAP_HANDLER: 0
; COMPUTE_PGM_RSRC2:TGID_X_EN: 1
; COMPUTE_PGM_RSRC2:TGID_Y_EN: 0
; COMPUTE_PGM_RSRC2:TGID_Z_EN: 0
; COMPUTE_PGM_RSRC2:TIDIG_COMP_CNT: 0
; COMPUTE_PGM_RSRC3_GFX90A:ACCUM_OFFSET: 0
; COMPUTE_PGM_RSRC3_GFX90A:TG_SPLIT: 0
	.section	.text._ZN7rocprim17ROCPRIM_400000_NS6detail17trampoline_kernelINS0_14default_configENS1_38merge_sort_block_merge_config_selectorIiNS0_10empty_typeEEEZZNS1_27merge_sort_block_merge_implIS3_N6thrust23THRUST_200600_302600_NS6detail15normal_iteratorINS9_10device_ptrIiEEEEPS5_jNS1_19radix_merge_compareILb1ELb0EiNS0_19identity_decomposerEEEEE10hipError_tT0_T1_T2_jT3_P12ihipStream_tbPNSt15iterator_traitsISK_E10value_typeEPNSQ_ISL_E10value_typeEPSM_NS1_7vsmem_tEENKUlT_SK_SL_SM_E_clIPiSE_SF_SF_EESJ_SZ_SK_SL_SM_EUlSZ_E1_NS1_11comp_targetILNS1_3genE5ELNS1_11target_archE942ELNS1_3gpuE9ELNS1_3repE0EEENS1_36merge_oddeven_config_static_selectorELNS0_4arch9wavefront6targetE1EEEvSL_,"axG",@progbits,_ZN7rocprim17ROCPRIM_400000_NS6detail17trampoline_kernelINS0_14default_configENS1_38merge_sort_block_merge_config_selectorIiNS0_10empty_typeEEEZZNS1_27merge_sort_block_merge_implIS3_N6thrust23THRUST_200600_302600_NS6detail15normal_iteratorINS9_10device_ptrIiEEEEPS5_jNS1_19radix_merge_compareILb1ELb0EiNS0_19identity_decomposerEEEEE10hipError_tT0_T1_T2_jT3_P12ihipStream_tbPNSt15iterator_traitsISK_E10value_typeEPNSQ_ISL_E10value_typeEPSM_NS1_7vsmem_tEENKUlT_SK_SL_SM_E_clIPiSE_SF_SF_EESJ_SZ_SK_SL_SM_EUlSZ_E1_NS1_11comp_targetILNS1_3genE5ELNS1_11target_archE942ELNS1_3gpuE9ELNS1_3repE0EEENS1_36merge_oddeven_config_static_selectorELNS0_4arch9wavefront6targetE1EEEvSL_,comdat
	.protected	_ZN7rocprim17ROCPRIM_400000_NS6detail17trampoline_kernelINS0_14default_configENS1_38merge_sort_block_merge_config_selectorIiNS0_10empty_typeEEEZZNS1_27merge_sort_block_merge_implIS3_N6thrust23THRUST_200600_302600_NS6detail15normal_iteratorINS9_10device_ptrIiEEEEPS5_jNS1_19radix_merge_compareILb1ELb0EiNS0_19identity_decomposerEEEEE10hipError_tT0_T1_T2_jT3_P12ihipStream_tbPNSt15iterator_traitsISK_E10value_typeEPNSQ_ISL_E10value_typeEPSM_NS1_7vsmem_tEENKUlT_SK_SL_SM_E_clIPiSE_SF_SF_EESJ_SZ_SK_SL_SM_EUlSZ_E1_NS1_11comp_targetILNS1_3genE5ELNS1_11target_archE942ELNS1_3gpuE9ELNS1_3repE0EEENS1_36merge_oddeven_config_static_selectorELNS0_4arch9wavefront6targetE1EEEvSL_ ; -- Begin function _ZN7rocprim17ROCPRIM_400000_NS6detail17trampoline_kernelINS0_14default_configENS1_38merge_sort_block_merge_config_selectorIiNS0_10empty_typeEEEZZNS1_27merge_sort_block_merge_implIS3_N6thrust23THRUST_200600_302600_NS6detail15normal_iteratorINS9_10device_ptrIiEEEEPS5_jNS1_19radix_merge_compareILb1ELb0EiNS0_19identity_decomposerEEEEE10hipError_tT0_T1_T2_jT3_P12ihipStream_tbPNSt15iterator_traitsISK_E10value_typeEPNSQ_ISL_E10value_typeEPSM_NS1_7vsmem_tEENKUlT_SK_SL_SM_E_clIPiSE_SF_SF_EESJ_SZ_SK_SL_SM_EUlSZ_E1_NS1_11comp_targetILNS1_3genE5ELNS1_11target_archE942ELNS1_3gpuE9ELNS1_3repE0EEENS1_36merge_oddeven_config_static_selectorELNS0_4arch9wavefront6targetE1EEEvSL_
	.globl	_ZN7rocprim17ROCPRIM_400000_NS6detail17trampoline_kernelINS0_14default_configENS1_38merge_sort_block_merge_config_selectorIiNS0_10empty_typeEEEZZNS1_27merge_sort_block_merge_implIS3_N6thrust23THRUST_200600_302600_NS6detail15normal_iteratorINS9_10device_ptrIiEEEEPS5_jNS1_19radix_merge_compareILb1ELb0EiNS0_19identity_decomposerEEEEE10hipError_tT0_T1_T2_jT3_P12ihipStream_tbPNSt15iterator_traitsISK_E10value_typeEPNSQ_ISL_E10value_typeEPSM_NS1_7vsmem_tEENKUlT_SK_SL_SM_E_clIPiSE_SF_SF_EESJ_SZ_SK_SL_SM_EUlSZ_E1_NS1_11comp_targetILNS1_3genE5ELNS1_11target_archE942ELNS1_3gpuE9ELNS1_3repE0EEENS1_36merge_oddeven_config_static_selectorELNS0_4arch9wavefront6targetE1EEEvSL_
	.p2align	8
	.type	_ZN7rocprim17ROCPRIM_400000_NS6detail17trampoline_kernelINS0_14default_configENS1_38merge_sort_block_merge_config_selectorIiNS0_10empty_typeEEEZZNS1_27merge_sort_block_merge_implIS3_N6thrust23THRUST_200600_302600_NS6detail15normal_iteratorINS9_10device_ptrIiEEEEPS5_jNS1_19radix_merge_compareILb1ELb0EiNS0_19identity_decomposerEEEEE10hipError_tT0_T1_T2_jT3_P12ihipStream_tbPNSt15iterator_traitsISK_E10value_typeEPNSQ_ISL_E10value_typeEPSM_NS1_7vsmem_tEENKUlT_SK_SL_SM_E_clIPiSE_SF_SF_EESJ_SZ_SK_SL_SM_EUlSZ_E1_NS1_11comp_targetILNS1_3genE5ELNS1_11target_archE942ELNS1_3gpuE9ELNS1_3repE0EEENS1_36merge_oddeven_config_static_selectorELNS0_4arch9wavefront6targetE1EEEvSL_,@function
_ZN7rocprim17ROCPRIM_400000_NS6detail17trampoline_kernelINS0_14default_configENS1_38merge_sort_block_merge_config_selectorIiNS0_10empty_typeEEEZZNS1_27merge_sort_block_merge_implIS3_N6thrust23THRUST_200600_302600_NS6detail15normal_iteratorINS9_10device_ptrIiEEEEPS5_jNS1_19radix_merge_compareILb1ELb0EiNS0_19identity_decomposerEEEEE10hipError_tT0_T1_T2_jT3_P12ihipStream_tbPNSt15iterator_traitsISK_E10value_typeEPNSQ_ISL_E10value_typeEPSM_NS1_7vsmem_tEENKUlT_SK_SL_SM_E_clIPiSE_SF_SF_EESJ_SZ_SK_SL_SM_EUlSZ_E1_NS1_11comp_targetILNS1_3genE5ELNS1_11target_archE942ELNS1_3gpuE9ELNS1_3repE0EEENS1_36merge_oddeven_config_static_selectorELNS0_4arch9wavefront6targetE1EEEvSL_: ; @_ZN7rocprim17ROCPRIM_400000_NS6detail17trampoline_kernelINS0_14default_configENS1_38merge_sort_block_merge_config_selectorIiNS0_10empty_typeEEEZZNS1_27merge_sort_block_merge_implIS3_N6thrust23THRUST_200600_302600_NS6detail15normal_iteratorINS9_10device_ptrIiEEEEPS5_jNS1_19radix_merge_compareILb1ELb0EiNS0_19identity_decomposerEEEEE10hipError_tT0_T1_T2_jT3_P12ihipStream_tbPNSt15iterator_traitsISK_E10value_typeEPNSQ_ISL_E10value_typeEPSM_NS1_7vsmem_tEENKUlT_SK_SL_SM_E_clIPiSE_SF_SF_EESJ_SZ_SK_SL_SM_EUlSZ_E1_NS1_11comp_targetILNS1_3genE5ELNS1_11target_archE942ELNS1_3gpuE9ELNS1_3repE0EEENS1_36merge_oddeven_config_static_selectorELNS0_4arch9wavefront6targetE1EEEvSL_
; %bb.0:
	.section	.rodata,"a",@progbits
	.p2align	6, 0x0
	.amdhsa_kernel _ZN7rocprim17ROCPRIM_400000_NS6detail17trampoline_kernelINS0_14default_configENS1_38merge_sort_block_merge_config_selectorIiNS0_10empty_typeEEEZZNS1_27merge_sort_block_merge_implIS3_N6thrust23THRUST_200600_302600_NS6detail15normal_iteratorINS9_10device_ptrIiEEEEPS5_jNS1_19radix_merge_compareILb1ELb0EiNS0_19identity_decomposerEEEEE10hipError_tT0_T1_T2_jT3_P12ihipStream_tbPNSt15iterator_traitsISK_E10value_typeEPNSQ_ISL_E10value_typeEPSM_NS1_7vsmem_tEENKUlT_SK_SL_SM_E_clIPiSE_SF_SF_EESJ_SZ_SK_SL_SM_EUlSZ_E1_NS1_11comp_targetILNS1_3genE5ELNS1_11target_archE942ELNS1_3gpuE9ELNS1_3repE0EEENS1_36merge_oddeven_config_static_selectorELNS0_4arch9wavefront6targetE1EEEvSL_
		.amdhsa_group_segment_fixed_size 0
		.amdhsa_private_segment_fixed_size 0
		.amdhsa_kernarg_size 48
		.amdhsa_user_sgpr_count 2
		.amdhsa_user_sgpr_dispatch_ptr 0
		.amdhsa_user_sgpr_queue_ptr 0
		.amdhsa_user_sgpr_kernarg_segment_ptr 1
		.amdhsa_user_sgpr_dispatch_id 0
		.amdhsa_user_sgpr_kernarg_preload_length 0
		.amdhsa_user_sgpr_kernarg_preload_offset 0
		.amdhsa_user_sgpr_private_segment_size 0
		.amdhsa_uses_dynamic_stack 0
		.amdhsa_enable_private_segment 0
		.amdhsa_system_sgpr_workgroup_id_x 1
		.amdhsa_system_sgpr_workgroup_id_y 0
		.amdhsa_system_sgpr_workgroup_id_z 0
		.amdhsa_system_sgpr_workgroup_info 0
		.amdhsa_system_vgpr_workitem_id 0
		.amdhsa_next_free_vgpr 1
		.amdhsa_next_free_sgpr 0
		.amdhsa_accum_offset 4
		.amdhsa_reserve_vcc 0
		.amdhsa_float_round_mode_32 0
		.amdhsa_float_round_mode_16_64 0
		.amdhsa_float_denorm_mode_32 3
		.amdhsa_float_denorm_mode_16_64 3
		.amdhsa_dx10_clamp 1
		.amdhsa_ieee_mode 1
		.amdhsa_fp16_overflow 0
		.amdhsa_tg_split 0
		.amdhsa_exception_fp_ieee_invalid_op 0
		.amdhsa_exception_fp_denorm_src 0
		.amdhsa_exception_fp_ieee_div_zero 0
		.amdhsa_exception_fp_ieee_overflow 0
		.amdhsa_exception_fp_ieee_underflow 0
		.amdhsa_exception_fp_ieee_inexact 0
		.amdhsa_exception_int_div_zero 0
	.end_amdhsa_kernel
	.section	.text._ZN7rocprim17ROCPRIM_400000_NS6detail17trampoline_kernelINS0_14default_configENS1_38merge_sort_block_merge_config_selectorIiNS0_10empty_typeEEEZZNS1_27merge_sort_block_merge_implIS3_N6thrust23THRUST_200600_302600_NS6detail15normal_iteratorINS9_10device_ptrIiEEEEPS5_jNS1_19radix_merge_compareILb1ELb0EiNS0_19identity_decomposerEEEEE10hipError_tT0_T1_T2_jT3_P12ihipStream_tbPNSt15iterator_traitsISK_E10value_typeEPNSQ_ISL_E10value_typeEPSM_NS1_7vsmem_tEENKUlT_SK_SL_SM_E_clIPiSE_SF_SF_EESJ_SZ_SK_SL_SM_EUlSZ_E1_NS1_11comp_targetILNS1_3genE5ELNS1_11target_archE942ELNS1_3gpuE9ELNS1_3repE0EEENS1_36merge_oddeven_config_static_selectorELNS0_4arch9wavefront6targetE1EEEvSL_,"axG",@progbits,_ZN7rocprim17ROCPRIM_400000_NS6detail17trampoline_kernelINS0_14default_configENS1_38merge_sort_block_merge_config_selectorIiNS0_10empty_typeEEEZZNS1_27merge_sort_block_merge_implIS3_N6thrust23THRUST_200600_302600_NS6detail15normal_iteratorINS9_10device_ptrIiEEEEPS5_jNS1_19radix_merge_compareILb1ELb0EiNS0_19identity_decomposerEEEEE10hipError_tT0_T1_T2_jT3_P12ihipStream_tbPNSt15iterator_traitsISK_E10value_typeEPNSQ_ISL_E10value_typeEPSM_NS1_7vsmem_tEENKUlT_SK_SL_SM_E_clIPiSE_SF_SF_EESJ_SZ_SK_SL_SM_EUlSZ_E1_NS1_11comp_targetILNS1_3genE5ELNS1_11target_archE942ELNS1_3gpuE9ELNS1_3repE0EEENS1_36merge_oddeven_config_static_selectorELNS0_4arch9wavefront6targetE1EEEvSL_,comdat
.Lfunc_end240:
	.size	_ZN7rocprim17ROCPRIM_400000_NS6detail17trampoline_kernelINS0_14default_configENS1_38merge_sort_block_merge_config_selectorIiNS0_10empty_typeEEEZZNS1_27merge_sort_block_merge_implIS3_N6thrust23THRUST_200600_302600_NS6detail15normal_iteratorINS9_10device_ptrIiEEEEPS5_jNS1_19radix_merge_compareILb1ELb0EiNS0_19identity_decomposerEEEEE10hipError_tT0_T1_T2_jT3_P12ihipStream_tbPNSt15iterator_traitsISK_E10value_typeEPNSQ_ISL_E10value_typeEPSM_NS1_7vsmem_tEENKUlT_SK_SL_SM_E_clIPiSE_SF_SF_EESJ_SZ_SK_SL_SM_EUlSZ_E1_NS1_11comp_targetILNS1_3genE5ELNS1_11target_archE942ELNS1_3gpuE9ELNS1_3repE0EEENS1_36merge_oddeven_config_static_selectorELNS0_4arch9wavefront6targetE1EEEvSL_, .Lfunc_end240-_ZN7rocprim17ROCPRIM_400000_NS6detail17trampoline_kernelINS0_14default_configENS1_38merge_sort_block_merge_config_selectorIiNS0_10empty_typeEEEZZNS1_27merge_sort_block_merge_implIS3_N6thrust23THRUST_200600_302600_NS6detail15normal_iteratorINS9_10device_ptrIiEEEEPS5_jNS1_19radix_merge_compareILb1ELb0EiNS0_19identity_decomposerEEEEE10hipError_tT0_T1_T2_jT3_P12ihipStream_tbPNSt15iterator_traitsISK_E10value_typeEPNSQ_ISL_E10value_typeEPSM_NS1_7vsmem_tEENKUlT_SK_SL_SM_E_clIPiSE_SF_SF_EESJ_SZ_SK_SL_SM_EUlSZ_E1_NS1_11comp_targetILNS1_3genE5ELNS1_11target_archE942ELNS1_3gpuE9ELNS1_3repE0EEENS1_36merge_oddeven_config_static_selectorELNS0_4arch9wavefront6targetE1EEEvSL_
                                        ; -- End function
	.set _ZN7rocprim17ROCPRIM_400000_NS6detail17trampoline_kernelINS0_14default_configENS1_38merge_sort_block_merge_config_selectorIiNS0_10empty_typeEEEZZNS1_27merge_sort_block_merge_implIS3_N6thrust23THRUST_200600_302600_NS6detail15normal_iteratorINS9_10device_ptrIiEEEEPS5_jNS1_19radix_merge_compareILb1ELb0EiNS0_19identity_decomposerEEEEE10hipError_tT0_T1_T2_jT3_P12ihipStream_tbPNSt15iterator_traitsISK_E10value_typeEPNSQ_ISL_E10value_typeEPSM_NS1_7vsmem_tEENKUlT_SK_SL_SM_E_clIPiSE_SF_SF_EESJ_SZ_SK_SL_SM_EUlSZ_E1_NS1_11comp_targetILNS1_3genE5ELNS1_11target_archE942ELNS1_3gpuE9ELNS1_3repE0EEENS1_36merge_oddeven_config_static_selectorELNS0_4arch9wavefront6targetE1EEEvSL_.num_vgpr, 0
	.set _ZN7rocprim17ROCPRIM_400000_NS6detail17trampoline_kernelINS0_14default_configENS1_38merge_sort_block_merge_config_selectorIiNS0_10empty_typeEEEZZNS1_27merge_sort_block_merge_implIS3_N6thrust23THRUST_200600_302600_NS6detail15normal_iteratorINS9_10device_ptrIiEEEEPS5_jNS1_19radix_merge_compareILb1ELb0EiNS0_19identity_decomposerEEEEE10hipError_tT0_T1_T2_jT3_P12ihipStream_tbPNSt15iterator_traitsISK_E10value_typeEPNSQ_ISL_E10value_typeEPSM_NS1_7vsmem_tEENKUlT_SK_SL_SM_E_clIPiSE_SF_SF_EESJ_SZ_SK_SL_SM_EUlSZ_E1_NS1_11comp_targetILNS1_3genE5ELNS1_11target_archE942ELNS1_3gpuE9ELNS1_3repE0EEENS1_36merge_oddeven_config_static_selectorELNS0_4arch9wavefront6targetE1EEEvSL_.num_agpr, 0
	.set _ZN7rocprim17ROCPRIM_400000_NS6detail17trampoline_kernelINS0_14default_configENS1_38merge_sort_block_merge_config_selectorIiNS0_10empty_typeEEEZZNS1_27merge_sort_block_merge_implIS3_N6thrust23THRUST_200600_302600_NS6detail15normal_iteratorINS9_10device_ptrIiEEEEPS5_jNS1_19radix_merge_compareILb1ELb0EiNS0_19identity_decomposerEEEEE10hipError_tT0_T1_T2_jT3_P12ihipStream_tbPNSt15iterator_traitsISK_E10value_typeEPNSQ_ISL_E10value_typeEPSM_NS1_7vsmem_tEENKUlT_SK_SL_SM_E_clIPiSE_SF_SF_EESJ_SZ_SK_SL_SM_EUlSZ_E1_NS1_11comp_targetILNS1_3genE5ELNS1_11target_archE942ELNS1_3gpuE9ELNS1_3repE0EEENS1_36merge_oddeven_config_static_selectorELNS0_4arch9wavefront6targetE1EEEvSL_.numbered_sgpr, 0
	.set _ZN7rocprim17ROCPRIM_400000_NS6detail17trampoline_kernelINS0_14default_configENS1_38merge_sort_block_merge_config_selectorIiNS0_10empty_typeEEEZZNS1_27merge_sort_block_merge_implIS3_N6thrust23THRUST_200600_302600_NS6detail15normal_iteratorINS9_10device_ptrIiEEEEPS5_jNS1_19radix_merge_compareILb1ELb0EiNS0_19identity_decomposerEEEEE10hipError_tT0_T1_T2_jT3_P12ihipStream_tbPNSt15iterator_traitsISK_E10value_typeEPNSQ_ISL_E10value_typeEPSM_NS1_7vsmem_tEENKUlT_SK_SL_SM_E_clIPiSE_SF_SF_EESJ_SZ_SK_SL_SM_EUlSZ_E1_NS1_11comp_targetILNS1_3genE5ELNS1_11target_archE942ELNS1_3gpuE9ELNS1_3repE0EEENS1_36merge_oddeven_config_static_selectorELNS0_4arch9wavefront6targetE1EEEvSL_.num_named_barrier, 0
	.set _ZN7rocprim17ROCPRIM_400000_NS6detail17trampoline_kernelINS0_14default_configENS1_38merge_sort_block_merge_config_selectorIiNS0_10empty_typeEEEZZNS1_27merge_sort_block_merge_implIS3_N6thrust23THRUST_200600_302600_NS6detail15normal_iteratorINS9_10device_ptrIiEEEEPS5_jNS1_19radix_merge_compareILb1ELb0EiNS0_19identity_decomposerEEEEE10hipError_tT0_T1_T2_jT3_P12ihipStream_tbPNSt15iterator_traitsISK_E10value_typeEPNSQ_ISL_E10value_typeEPSM_NS1_7vsmem_tEENKUlT_SK_SL_SM_E_clIPiSE_SF_SF_EESJ_SZ_SK_SL_SM_EUlSZ_E1_NS1_11comp_targetILNS1_3genE5ELNS1_11target_archE942ELNS1_3gpuE9ELNS1_3repE0EEENS1_36merge_oddeven_config_static_selectorELNS0_4arch9wavefront6targetE1EEEvSL_.private_seg_size, 0
	.set _ZN7rocprim17ROCPRIM_400000_NS6detail17trampoline_kernelINS0_14default_configENS1_38merge_sort_block_merge_config_selectorIiNS0_10empty_typeEEEZZNS1_27merge_sort_block_merge_implIS3_N6thrust23THRUST_200600_302600_NS6detail15normal_iteratorINS9_10device_ptrIiEEEEPS5_jNS1_19radix_merge_compareILb1ELb0EiNS0_19identity_decomposerEEEEE10hipError_tT0_T1_T2_jT3_P12ihipStream_tbPNSt15iterator_traitsISK_E10value_typeEPNSQ_ISL_E10value_typeEPSM_NS1_7vsmem_tEENKUlT_SK_SL_SM_E_clIPiSE_SF_SF_EESJ_SZ_SK_SL_SM_EUlSZ_E1_NS1_11comp_targetILNS1_3genE5ELNS1_11target_archE942ELNS1_3gpuE9ELNS1_3repE0EEENS1_36merge_oddeven_config_static_selectorELNS0_4arch9wavefront6targetE1EEEvSL_.uses_vcc, 0
	.set _ZN7rocprim17ROCPRIM_400000_NS6detail17trampoline_kernelINS0_14default_configENS1_38merge_sort_block_merge_config_selectorIiNS0_10empty_typeEEEZZNS1_27merge_sort_block_merge_implIS3_N6thrust23THRUST_200600_302600_NS6detail15normal_iteratorINS9_10device_ptrIiEEEEPS5_jNS1_19radix_merge_compareILb1ELb0EiNS0_19identity_decomposerEEEEE10hipError_tT0_T1_T2_jT3_P12ihipStream_tbPNSt15iterator_traitsISK_E10value_typeEPNSQ_ISL_E10value_typeEPSM_NS1_7vsmem_tEENKUlT_SK_SL_SM_E_clIPiSE_SF_SF_EESJ_SZ_SK_SL_SM_EUlSZ_E1_NS1_11comp_targetILNS1_3genE5ELNS1_11target_archE942ELNS1_3gpuE9ELNS1_3repE0EEENS1_36merge_oddeven_config_static_selectorELNS0_4arch9wavefront6targetE1EEEvSL_.uses_flat_scratch, 0
	.set _ZN7rocprim17ROCPRIM_400000_NS6detail17trampoline_kernelINS0_14default_configENS1_38merge_sort_block_merge_config_selectorIiNS0_10empty_typeEEEZZNS1_27merge_sort_block_merge_implIS3_N6thrust23THRUST_200600_302600_NS6detail15normal_iteratorINS9_10device_ptrIiEEEEPS5_jNS1_19radix_merge_compareILb1ELb0EiNS0_19identity_decomposerEEEEE10hipError_tT0_T1_T2_jT3_P12ihipStream_tbPNSt15iterator_traitsISK_E10value_typeEPNSQ_ISL_E10value_typeEPSM_NS1_7vsmem_tEENKUlT_SK_SL_SM_E_clIPiSE_SF_SF_EESJ_SZ_SK_SL_SM_EUlSZ_E1_NS1_11comp_targetILNS1_3genE5ELNS1_11target_archE942ELNS1_3gpuE9ELNS1_3repE0EEENS1_36merge_oddeven_config_static_selectorELNS0_4arch9wavefront6targetE1EEEvSL_.has_dyn_sized_stack, 0
	.set _ZN7rocprim17ROCPRIM_400000_NS6detail17trampoline_kernelINS0_14default_configENS1_38merge_sort_block_merge_config_selectorIiNS0_10empty_typeEEEZZNS1_27merge_sort_block_merge_implIS3_N6thrust23THRUST_200600_302600_NS6detail15normal_iteratorINS9_10device_ptrIiEEEEPS5_jNS1_19radix_merge_compareILb1ELb0EiNS0_19identity_decomposerEEEEE10hipError_tT0_T1_T2_jT3_P12ihipStream_tbPNSt15iterator_traitsISK_E10value_typeEPNSQ_ISL_E10value_typeEPSM_NS1_7vsmem_tEENKUlT_SK_SL_SM_E_clIPiSE_SF_SF_EESJ_SZ_SK_SL_SM_EUlSZ_E1_NS1_11comp_targetILNS1_3genE5ELNS1_11target_archE942ELNS1_3gpuE9ELNS1_3repE0EEENS1_36merge_oddeven_config_static_selectorELNS0_4arch9wavefront6targetE1EEEvSL_.has_recursion, 0
	.set _ZN7rocprim17ROCPRIM_400000_NS6detail17trampoline_kernelINS0_14default_configENS1_38merge_sort_block_merge_config_selectorIiNS0_10empty_typeEEEZZNS1_27merge_sort_block_merge_implIS3_N6thrust23THRUST_200600_302600_NS6detail15normal_iteratorINS9_10device_ptrIiEEEEPS5_jNS1_19radix_merge_compareILb1ELb0EiNS0_19identity_decomposerEEEEE10hipError_tT0_T1_T2_jT3_P12ihipStream_tbPNSt15iterator_traitsISK_E10value_typeEPNSQ_ISL_E10value_typeEPSM_NS1_7vsmem_tEENKUlT_SK_SL_SM_E_clIPiSE_SF_SF_EESJ_SZ_SK_SL_SM_EUlSZ_E1_NS1_11comp_targetILNS1_3genE5ELNS1_11target_archE942ELNS1_3gpuE9ELNS1_3repE0EEENS1_36merge_oddeven_config_static_selectorELNS0_4arch9wavefront6targetE1EEEvSL_.has_indirect_call, 0
	.section	.AMDGPU.csdata,"",@progbits
; Kernel info:
; codeLenInByte = 0
; TotalNumSgprs: 6
; NumVgprs: 0
; NumAgprs: 0
; TotalNumVgprs: 0
; ScratchSize: 0
; MemoryBound: 0
; FloatMode: 240
; IeeeMode: 1
; LDSByteSize: 0 bytes/workgroup (compile time only)
; SGPRBlocks: 0
; VGPRBlocks: 0
; NumSGPRsForWavesPerEU: 6
; NumVGPRsForWavesPerEU: 1
; AccumOffset: 4
; Occupancy: 8
; WaveLimiterHint : 0
; COMPUTE_PGM_RSRC2:SCRATCH_EN: 0
; COMPUTE_PGM_RSRC2:USER_SGPR: 2
; COMPUTE_PGM_RSRC2:TRAP_HANDLER: 0
; COMPUTE_PGM_RSRC2:TGID_X_EN: 1
; COMPUTE_PGM_RSRC2:TGID_Y_EN: 0
; COMPUTE_PGM_RSRC2:TGID_Z_EN: 0
; COMPUTE_PGM_RSRC2:TIDIG_COMP_CNT: 0
; COMPUTE_PGM_RSRC3_GFX90A:ACCUM_OFFSET: 0
; COMPUTE_PGM_RSRC3_GFX90A:TG_SPLIT: 0
	.section	.text._ZN7rocprim17ROCPRIM_400000_NS6detail17trampoline_kernelINS0_14default_configENS1_38merge_sort_block_merge_config_selectorIiNS0_10empty_typeEEEZZNS1_27merge_sort_block_merge_implIS3_N6thrust23THRUST_200600_302600_NS6detail15normal_iteratorINS9_10device_ptrIiEEEEPS5_jNS1_19radix_merge_compareILb1ELb0EiNS0_19identity_decomposerEEEEE10hipError_tT0_T1_T2_jT3_P12ihipStream_tbPNSt15iterator_traitsISK_E10value_typeEPNSQ_ISL_E10value_typeEPSM_NS1_7vsmem_tEENKUlT_SK_SL_SM_E_clIPiSE_SF_SF_EESJ_SZ_SK_SL_SM_EUlSZ_E1_NS1_11comp_targetILNS1_3genE4ELNS1_11target_archE910ELNS1_3gpuE8ELNS1_3repE0EEENS1_36merge_oddeven_config_static_selectorELNS0_4arch9wavefront6targetE1EEEvSL_,"axG",@progbits,_ZN7rocprim17ROCPRIM_400000_NS6detail17trampoline_kernelINS0_14default_configENS1_38merge_sort_block_merge_config_selectorIiNS0_10empty_typeEEEZZNS1_27merge_sort_block_merge_implIS3_N6thrust23THRUST_200600_302600_NS6detail15normal_iteratorINS9_10device_ptrIiEEEEPS5_jNS1_19radix_merge_compareILb1ELb0EiNS0_19identity_decomposerEEEEE10hipError_tT0_T1_T2_jT3_P12ihipStream_tbPNSt15iterator_traitsISK_E10value_typeEPNSQ_ISL_E10value_typeEPSM_NS1_7vsmem_tEENKUlT_SK_SL_SM_E_clIPiSE_SF_SF_EESJ_SZ_SK_SL_SM_EUlSZ_E1_NS1_11comp_targetILNS1_3genE4ELNS1_11target_archE910ELNS1_3gpuE8ELNS1_3repE0EEENS1_36merge_oddeven_config_static_selectorELNS0_4arch9wavefront6targetE1EEEvSL_,comdat
	.protected	_ZN7rocprim17ROCPRIM_400000_NS6detail17trampoline_kernelINS0_14default_configENS1_38merge_sort_block_merge_config_selectorIiNS0_10empty_typeEEEZZNS1_27merge_sort_block_merge_implIS3_N6thrust23THRUST_200600_302600_NS6detail15normal_iteratorINS9_10device_ptrIiEEEEPS5_jNS1_19radix_merge_compareILb1ELb0EiNS0_19identity_decomposerEEEEE10hipError_tT0_T1_T2_jT3_P12ihipStream_tbPNSt15iterator_traitsISK_E10value_typeEPNSQ_ISL_E10value_typeEPSM_NS1_7vsmem_tEENKUlT_SK_SL_SM_E_clIPiSE_SF_SF_EESJ_SZ_SK_SL_SM_EUlSZ_E1_NS1_11comp_targetILNS1_3genE4ELNS1_11target_archE910ELNS1_3gpuE8ELNS1_3repE0EEENS1_36merge_oddeven_config_static_selectorELNS0_4arch9wavefront6targetE1EEEvSL_ ; -- Begin function _ZN7rocprim17ROCPRIM_400000_NS6detail17trampoline_kernelINS0_14default_configENS1_38merge_sort_block_merge_config_selectorIiNS0_10empty_typeEEEZZNS1_27merge_sort_block_merge_implIS3_N6thrust23THRUST_200600_302600_NS6detail15normal_iteratorINS9_10device_ptrIiEEEEPS5_jNS1_19radix_merge_compareILb1ELb0EiNS0_19identity_decomposerEEEEE10hipError_tT0_T1_T2_jT3_P12ihipStream_tbPNSt15iterator_traitsISK_E10value_typeEPNSQ_ISL_E10value_typeEPSM_NS1_7vsmem_tEENKUlT_SK_SL_SM_E_clIPiSE_SF_SF_EESJ_SZ_SK_SL_SM_EUlSZ_E1_NS1_11comp_targetILNS1_3genE4ELNS1_11target_archE910ELNS1_3gpuE8ELNS1_3repE0EEENS1_36merge_oddeven_config_static_selectorELNS0_4arch9wavefront6targetE1EEEvSL_
	.globl	_ZN7rocprim17ROCPRIM_400000_NS6detail17trampoline_kernelINS0_14default_configENS1_38merge_sort_block_merge_config_selectorIiNS0_10empty_typeEEEZZNS1_27merge_sort_block_merge_implIS3_N6thrust23THRUST_200600_302600_NS6detail15normal_iteratorINS9_10device_ptrIiEEEEPS5_jNS1_19radix_merge_compareILb1ELb0EiNS0_19identity_decomposerEEEEE10hipError_tT0_T1_T2_jT3_P12ihipStream_tbPNSt15iterator_traitsISK_E10value_typeEPNSQ_ISL_E10value_typeEPSM_NS1_7vsmem_tEENKUlT_SK_SL_SM_E_clIPiSE_SF_SF_EESJ_SZ_SK_SL_SM_EUlSZ_E1_NS1_11comp_targetILNS1_3genE4ELNS1_11target_archE910ELNS1_3gpuE8ELNS1_3repE0EEENS1_36merge_oddeven_config_static_selectorELNS0_4arch9wavefront6targetE1EEEvSL_
	.p2align	8
	.type	_ZN7rocprim17ROCPRIM_400000_NS6detail17trampoline_kernelINS0_14default_configENS1_38merge_sort_block_merge_config_selectorIiNS0_10empty_typeEEEZZNS1_27merge_sort_block_merge_implIS3_N6thrust23THRUST_200600_302600_NS6detail15normal_iteratorINS9_10device_ptrIiEEEEPS5_jNS1_19radix_merge_compareILb1ELb0EiNS0_19identity_decomposerEEEEE10hipError_tT0_T1_T2_jT3_P12ihipStream_tbPNSt15iterator_traitsISK_E10value_typeEPNSQ_ISL_E10value_typeEPSM_NS1_7vsmem_tEENKUlT_SK_SL_SM_E_clIPiSE_SF_SF_EESJ_SZ_SK_SL_SM_EUlSZ_E1_NS1_11comp_targetILNS1_3genE4ELNS1_11target_archE910ELNS1_3gpuE8ELNS1_3repE0EEENS1_36merge_oddeven_config_static_selectorELNS0_4arch9wavefront6targetE1EEEvSL_,@function
_ZN7rocprim17ROCPRIM_400000_NS6detail17trampoline_kernelINS0_14default_configENS1_38merge_sort_block_merge_config_selectorIiNS0_10empty_typeEEEZZNS1_27merge_sort_block_merge_implIS3_N6thrust23THRUST_200600_302600_NS6detail15normal_iteratorINS9_10device_ptrIiEEEEPS5_jNS1_19radix_merge_compareILb1ELb0EiNS0_19identity_decomposerEEEEE10hipError_tT0_T1_T2_jT3_P12ihipStream_tbPNSt15iterator_traitsISK_E10value_typeEPNSQ_ISL_E10value_typeEPSM_NS1_7vsmem_tEENKUlT_SK_SL_SM_E_clIPiSE_SF_SF_EESJ_SZ_SK_SL_SM_EUlSZ_E1_NS1_11comp_targetILNS1_3genE4ELNS1_11target_archE910ELNS1_3gpuE8ELNS1_3repE0EEENS1_36merge_oddeven_config_static_selectorELNS0_4arch9wavefront6targetE1EEEvSL_: ; @_ZN7rocprim17ROCPRIM_400000_NS6detail17trampoline_kernelINS0_14default_configENS1_38merge_sort_block_merge_config_selectorIiNS0_10empty_typeEEEZZNS1_27merge_sort_block_merge_implIS3_N6thrust23THRUST_200600_302600_NS6detail15normal_iteratorINS9_10device_ptrIiEEEEPS5_jNS1_19radix_merge_compareILb1ELb0EiNS0_19identity_decomposerEEEEE10hipError_tT0_T1_T2_jT3_P12ihipStream_tbPNSt15iterator_traitsISK_E10value_typeEPNSQ_ISL_E10value_typeEPSM_NS1_7vsmem_tEENKUlT_SK_SL_SM_E_clIPiSE_SF_SF_EESJ_SZ_SK_SL_SM_EUlSZ_E1_NS1_11comp_targetILNS1_3genE4ELNS1_11target_archE910ELNS1_3gpuE8ELNS1_3repE0EEENS1_36merge_oddeven_config_static_selectorELNS0_4arch9wavefront6targetE1EEEvSL_
; %bb.0:
	.section	.rodata,"a",@progbits
	.p2align	6, 0x0
	.amdhsa_kernel _ZN7rocprim17ROCPRIM_400000_NS6detail17trampoline_kernelINS0_14default_configENS1_38merge_sort_block_merge_config_selectorIiNS0_10empty_typeEEEZZNS1_27merge_sort_block_merge_implIS3_N6thrust23THRUST_200600_302600_NS6detail15normal_iteratorINS9_10device_ptrIiEEEEPS5_jNS1_19radix_merge_compareILb1ELb0EiNS0_19identity_decomposerEEEEE10hipError_tT0_T1_T2_jT3_P12ihipStream_tbPNSt15iterator_traitsISK_E10value_typeEPNSQ_ISL_E10value_typeEPSM_NS1_7vsmem_tEENKUlT_SK_SL_SM_E_clIPiSE_SF_SF_EESJ_SZ_SK_SL_SM_EUlSZ_E1_NS1_11comp_targetILNS1_3genE4ELNS1_11target_archE910ELNS1_3gpuE8ELNS1_3repE0EEENS1_36merge_oddeven_config_static_selectorELNS0_4arch9wavefront6targetE1EEEvSL_
		.amdhsa_group_segment_fixed_size 0
		.amdhsa_private_segment_fixed_size 0
		.amdhsa_kernarg_size 48
		.amdhsa_user_sgpr_count 2
		.amdhsa_user_sgpr_dispatch_ptr 0
		.amdhsa_user_sgpr_queue_ptr 0
		.amdhsa_user_sgpr_kernarg_segment_ptr 1
		.amdhsa_user_sgpr_dispatch_id 0
		.amdhsa_user_sgpr_kernarg_preload_length 0
		.amdhsa_user_sgpr_kernarg_preload_offset 0
		.amdhsa_user_sgpr_private_segment_size 0
		.amdhsa_uses_dynamic_stack 0
		.amdhsa_enable_private_segment 0
		.amdhsa_system_sgpr_workgroup_id_x 1
		.amdhsa_system_sgpr_workgroup_id_y 0
		.amdhsa_system_sgpr_workgroup_id_z 0
		.amdhsa_system_sgpr_workgroup_info 0
		.amdhsa_system_vgpr_workitem_id 0
		.amdhsa_next_free_vgpr 1
		.amdhsa_next_free_sgpr 0
		.amdhsa_accum_offset 4
		.amdhsa_reserve_vcc 0
		.amdhsa_float_round_mode_32 0
		.amdhsa_float_round_mode_16_64 0
		.amdhsa_float_denorm_mode_32 3
		.amdhsa_float_denorm_mode_16_64 3
		.amdhsa_dx10_clamp 1
		.amdhsa_ieee_mode 1
		.amdhsa_fp16_overflow 0
		.amdhsa_tg_split 0
		.amdhsa_exception_fp_ieee_invalid_op 0
		.amdhsa_exception_fp_denorm_src 0
		.amdhsa_exception_fp_ieee_div_zero 0
		.amdhsa_exception_fp_ieee_overflow 0
		.amdhsa_exception_fp_ieee_underflow 0
		.amdhsa_exception_fp_ieee_inexact 0
		.amdhsa_exception_int_div_zero 0
	.end_amdhsa_kernel
	.section	.text._ZN7rocprim17ROCPRIM_400000_NS6detail17trampoline_kernelINS0_14default_configENS1_38merge_sort_block_merge_config_selectorIiNS0_10empty_typeEEEZZNS1_27merge_sort_block_merge_implIS3_N6thrust23THRUST_200600_302600_NS6detail15normal_iteratorINS9_10device_ptrIiEEEEPS5_jNS1_19radix_merge_compareILb1ELb0EiNS0_19identity_decomposerEEEEE10hipError_tT0_T1_T2_jT3_P12ihipStream_tbPNSt15iterator_traitsISK_E10value_typeEPNSQ_ISL_E10value_typeEPSM_NS1_7vsmem_tEENKUlT_SK_SL_SM_E_clIPiSE_SF_SF_EESJ_SZ_SK_SL_SM_EUlSZ_E1_NS1_11comp_targetILNS1_3genE4ELNS1_11target_archE910ELNS1_3gpuE8ELNS1_3repE0EEENS1_36merge_oddeven_config_static_selectorELNS0_4arch9wavefront6targetE1EEEvSL_,"axG",@progbits,_ZN7rocprim17ROCPRIM_400000_NS6detail17trampoline_kernelINS0_14default_configENS1_38merge_sort_block_merge_config_selectorIiNS0_10empty_typeEEEZZNS1_27merge_sort_block_merge_implIS3_N6thrust23THRUST_200600_302600_NS6detail15normal_iteratorINS9_10device_ptrIiEEEEPS5_jNS1_19radix_merge_compareILb1ELb0EiNS0_19identity_decomposerEEEEE10hipError_tT0_T1_T2_jT3_P12ihipStream_tbPNSt15iterator_traitsISK_E10value_typeEPNSQ_ISL_E10value_typeEPSM_NS1_7vsmem_tEENKUlT_SK_SL_SM_E_clIPiSE_SF_SF_EESJ_SZ_SK_SL_SM_EUlSZ_E1_NS1_11comp_targetILNS1_3genE4ELNS1_11target_archE910ELNS1_3gpuE8ELNS1_3repE0EEENS1_36merge_oddeven_config_static_selectorELNS0_4arch9wavefront6targetE1EEEvSL_,comdat
.Lfunc_end241:
	.size	_ZN7rocprim17ROCPRIM_400000_NS6detail17trampoline_kernelINS0_14default_configENS1_38merge_sort_block_merge_config_selectorIiNS0_10empty_typeEEEZZNS1_27merge_sort_block_merge_implIS3_N6thrust23THRUST_200600_302600_NS6detail15normal_iteratorINS9_10device_ptrIiEEEEPS5_jNS1_19radix_merge_compareILb1ELb0EiNS0_19identity_decomposerEEEEE10hipError_tT0_T1_T2_jT3_P12ihipStream_tbPNSt15iterator_traitsISK_E10value_typeEPNSQ_ISL_E10value_typeEPSM_NS1_7vsmem_tEENKUlT_SK_SL_SM_E_clIPiSE_SF_SF_EESJ_SZ_SK_SL_SM_EUlSZ_E1_NS1_11comp_targetILNS1_3genE4ELNS1_11target_archE910ELNS1_3gpuE8ELNS1_3repE0EEENS1_36merge_oddeven_config_static_selectorELNS0_4arch9wavefront6targetE1EEEvSL_, .Lfunc_end241-_ZN7rocprim17ROCPRIM_400000_NS6detail17trampoline_kernelINS0_14default_configENS1_38merge_sort_block_merge_config_selectorIiNS0_10empty_typeEEEZZNS1_27merge_sort_block_merge_implIS3_N6thrust23THRUST_200600_302600_NS6detail15normal_iteratorINS9_10device_ptrIiEEEEPS5_jNS1_19radix_merge_compareILb1ELb0EiNS0_19identity_decomposerEEEEE10hipError_tT0_T1_T2_jT3_P12ihipStream_tbPNSt15iterator_traitsISK_E10value_typeEPNSQ_ISL_E10value_typeEPSM_NS1_7vsmem_tEENKUlT_SK_SL_SM_E_clIPiSE_SF_SF_EESJ_SZ_SK_SL_SM_EUlSZ_E1_NS1_11comp_targetILNS1_3genE4ELNS1_11target_archE910ELNS1_3gpuE8ELNS1_3repE0EEENS1_36merge_oddeven_config_static_selectorELNS0_4arch9wavefront6targetE1EEEvSL_
                                        ; -- End function
	.set _ZN7rocprim17ROCPRIM_400000_NS6detail17trampoline_kernelINS0_14default_configENS1_38merge_sort_block_merge_config_selectorIiNS0_10empty_typeEEEZZNS1_27merge_sort_block_merge_implIS3_N6thrust23THRUST_200600_302600_NS6detail15normal_iteratorINS9_10device_ptrIiEEEEPS5_jNS1_19radix_merge_compareILb1ELb0EiNS0_19identity_decomposerEEEEE10hipError_tT0_T1_T2_jT3_P12ihipStream_tbPNSt15iterator_traitsISK_E10value_typeEPNSQ_ISL_E10value_typeEPSM_NS1_7vsmem_tEENKUlT_SK_SL_SM_E_clIPiSE_SF_SF_EESJ_SZ_SK_SL_SM_EUlSZ_E1_NS1_11comp_targetILNS1_3genE4ELNS1_11target_archE910ELNS1_3gpuE8ELNS1_3repE0EEENS1_36merge_oddeven_config_static_selectorELNS0_4arch9wavefront6targetE1EEEvSL_.num_vgpr, 0
	.set _ZN7rocprim17ROCPRIM_400000_NS6detail17trampoline_kernelINS0_14default_configENS1_38merge_sort_block_merge_config_selectorIiNS0_10empty_typeEEEZZNS1_27merge_sort_block_merge_implIS3_N6thrust23THRUST_200600_302600_NS6detail15normal_iteratorINS9_10device_ptrIiEEEEPS5_jNS1_19radix_merge_compareILb1ELb0EiNS0_19identity_decomposerEEEEE10hipError_tT0_T1_T2_jT3_P12ihipStream_tbPNSt15iterator_traitsISK_E10value_typeEPNSQ_ISL_E10value_typeEPSM_NS1_7vsmem_tEENKUlT_SK_SL_SM_E_clIPiSE_SF_SF_EESJ_SZ_SK_SL_SM_EUlSZ_E1_NS1_11comp_targetILNS1_3genE4ELNS1_11target_archE910ELNS1_3gpuE8ELNS1_3repE0EEENS1_36merge_oddeven_config_static_selectorELNS0_4arch9wavefront6targetE1EEEvSL_.num_agpr, 0
	.set _ZN7rocprim17ROCPRIM_400000_NS6detail17trampoline_kernelINS0_14default_configENS1_38merge_sort_block_merge_config_selectorIiNS0_10empty_typeEEEZZNS1_27merge_sort_block_merge_implIS3_N6thrust23THRUST_200600_302600_NS6detail15normal_iteratorINS9_10device_ptrIiEEEEPS5_jNS1_19radix_merge_compareILb1ELb0EiNS0_19identity_decomposerEEEEE10hipError_tT0_T1_T2_jT3_P12ihipStream_tbPNSt15iterator_traitsISK_E10value_typeEPNSQ_ISL_E10value_typeEPSM_NS1_7vsmem_tEENKUlT_SK_SL_SM_E_clIPiSE_SF_SF_EESJ_SZ_SK_SL_SM_EUlSZ_E1_NS1_11comp_targetILNS1_3genE4ELNS1_11target_archE910ELNS1_3gpuE8ELNS1_3repE0EEENS1_36merge_oddeven_config_static_selectorELNS0_4arch9wavefront6targetE1EEEvSL_.numbered_sgpr, 0
	.set _ZN7rocprim17ROCPRIM_400000_NS6detail17trampoline_kernelINS0_14default_configENS1_38merge_sort_block_merge_config_selectorIiNS0_10empty_typeEEEZZNS1_27merge_sort_block_merge_implIS3_N6thrust23THRUST_200600_302600_NS6detail15normal_iteratorINS9_10device_ptrIiEEEEPS5_jNS1_19radix_merge_compareILb1ELb0EiNS0_19identity_decomposerEEEEE10hipError_tT0_T1_T2_jT3_P12ihipStream_tbPNSt15iterator_traitsISK_E10value_typeEPNSQ_ISL_E10value_typeEPSM_NS1_7vsmem_tEENKUlT_SK_SL_SM_E_clIPiSE_SF_SF_EESJ_SZ_SK_SL_SM_EUlSZ_E1_NS1_11comp_targetILNS1_3genE4ELNS1_11target_archE910ELNS1_3gpuE8ELNS1_3repE0EEENS1_36merge_oddeven_config_static_selectorELNS0_4arch9wavefront6targetE1EEEvSL_.num_named_barrier, 0
	.set _ZN7rocprim17ROCPRIM_400000_NS6detail17trampoline_kernelINS0_14default_configENS1_38merge_sort_block_merge_config_selectorIiNS0_10empty_typeEEEZZNS1_27merge_sort_block_merge_implIS3_N6thrust23THRUST_200600_302600_NS6detail15normal_iteratorINS9_10device_ptrIiEEEEPS5_jNS1_19radix_merge_compareILb1ELb0EiNS0_19identity_decomposerEEEEE10hipError_tT0_T1_T2_jT3_P12ihipStream_tbPNSt15iterator_traitsISK_E10value_typeEPNSQ_ISL_E10value_typeEPSM_NS1_7vsmem_tEENKUlT_SK_SL_SM_E_clIPiSE_SF_SF_EESJ_SZ_SK_SL_SM_EUlSZ_E1_NS1_11comp_targetILNS1_3genE4ELNS1_11target_archE910ELNS1_3gpuE8ELNS1_3repE0EEENS1_36merge_oddeven_config_static_selectorELNS0_4arch9wavefront6targetE1EEEvSL_.private_seg_size, 0
	.set _ZN7rocprim17ROCPRIM_400000_NS6detail17trampoline_kernelINS0_14default_configENS1_38merge_sort_block_merge_config_selectorIiNS0_10empty_typeEEEZZNS1_27merge_sort_block_merge_implIS3_N6thrust23THRUST_200600_302600_NS6detail15normal_iteratorINS9_10device_ptrIiEEEEPS5_jNS1_19radix_merge_compareILb1ELb0EiNS0_19identity_decomposerEEEEE10hipError_tT0_T1_T2_jT3_P12ihipStream_tbPNSt15iterator_traitsISK_E10value_typeEPNSQ_ISL_E10value_typeEPSM_NS1_7vsmem_tEENKUlT_SK_SL_SM_E_clIPiSE_SF_SF_EESJ_SZ_SK_SL_SM_EUlSZ_E1_NS1_11comp_targetILNS1_3genE4ELNS1_11target_archE910ELNS1_3gpuE8ELNS1_3repE0EEENS1_36merge_oddeven_config_static_selectorELNS0_4arch9wavefront6targetE1EEEvSL_.uses_vcc, 0
	.set _ZN7rocprim17ROCPRIM_400000_NS6detail17trampoline_kernelINS0_14default_configENS1_38merge_sort_block_merge_config_selectorIiNS0_10empty_typeEEEZZNS1_27merge_sort_block_merge_implIS3_N6thrust23THRUST_200600_302600_NS6detail15normal_iteratorINS9_10device_ptrIiEEEEPS5_jNS1_19radix_merge_compareILb1ELb0EiNS0_19identity_decomposerEEEEE10hipError_tT0_T1_T2_jT3_P12ihipStream_tbPNSt15iterator_traitsISK_E10value_typeEPNSQ_ISL_E10value_typeEPSM_NS1_7vsmem_tEENKUlT_SK_SL_SM_E_clIPiSE_SF_SF_EESJ_SZ_SK_SL_SM_EUlSZ_E1_NS1_11comp_targetILNS1_3genE4ELNS1_11target_archE910ELNS1_3gpuE8ELNS1_3repE0EEENS1_36merge_oddeven_config_static_selectorELNS0_4arch9wavefront6targetE1EEEvSL_.uses_flat_scratch, 0
	.set _ZN7rocprim17ROCPRIM_400000_NS6detail17trampoline_kernelINS0_14default_configENS1_38merge_sort_block_merge_config_selectorIiNS0_10empty_typeEEEZZNS1_27merge_sort_block_merge_implIS3_N6thrust23THRUST_200600_302600_NS6detail15normal_iteratorINS9_10device_ptrIiEEEEPS5_jNS1_19radix_merge_compareILb1ELb0EiNS0_19identity_decomposerEEEEE10hipError_tT0_T1_T2_jT3_P12ihipStream_tbPNSt15iterator_traitsISK_E10value_typeEPNSQ_ISL_E10value_typeEPSM_NS1_7vsmem_tEENKUlT_SK_SL_SM_E_clIPiSE_SF_SF_EESJ_SZ_SK_SL_SM_EUlSZ_E1_NS1_11comp_targetILNS1_3genE4ELNS1_11target_archE910ELNS1_3gpuE8ELNS1_3repE0EEENS1_36merge_oddeven_config_static_selectorELNS0_4arch9wavefront6targetE1EEEvSL_.has_dyn_sized_stack, 0
	.set _ZN7rocprim17ROCPRIM_400000_NS6detail17trampoline_kernelINS0_14default_configENS1_38merge_sort_block_merge_config_selectorIiNS0_10empty_typeEEEZZNS1_27merge_sort_block_merge_implIS3_N6thrust23THRUST_200600_302600_NS6detail15normal_iteratorINS9_10device_ptrIiEEEEPS5_jNS1_19radix_merge_compareILb1ELb0EiNS0_19identity_decomposerEEEEE10hipError_tT0_T1_T2_jT3_P12ihipStream_tbPNSt15iterator_traitsISK_E10value_typeEPNSQ_ISL_E10value_typeEPSM_NS1_7vsmem_tEENKUlT_SK_SL_SM_E_clIPiSE_SF_SF_EESJ_SZ_SK_SL_SM_EUlSZ_E1_NS1_11comp_targetILNS1_3genE4ELNS1_11target_archE910ELNS1_3gpuE8ELNS1_3repE0EEENS1_36merge_oddeven_config_static_selectorELNS0_4arch9wavefront6targetE1EEEvSL_.has_recursion, 0
	.set _ZN7rocprim17ROCPRIM_400000_NS6detail17trampoline_kernelINS0_14default_configENS1_38merge_sort_block_merge_config_selectorIiNS0_10empty_typeEEEZZNS1_27merge_sort_block_merge_implIS3_N6thrust23THRUST_200600_302600_NS6detail15normal_iteratorINS9_10device_ptrIiEEEEPS5_jNS1_19radix_merge_compareILb1ELb0EiNS0_19identity_decomposerEEEEE10hipError_tT0_T1_T2_jT3_P12ihipStream_tbPNSt15iterator_traitsISK_E10value_typeEPNSQ_ISL_E10value_typeEPSM_NS1_7vsmem_tEENKUlT_SK_SL_SM_E_clIPiSE_SF_SF_EESJ_SZ_SK_SL_SM_EUlSZ_E1_NS1_11comp_targetILNS1_3genE4ELNS1_11target_archE910ELNS1_3gpuE8ELNS1_3repE0EEENS1_36merge_oddeven_config_static_selectorELNS0_4arch9wavefront6targetE1EEEvSL_.has_indirect_call, 0
	.section	.AMDGPU.csdata,"",@progbits
; Kernel info:
; codeLenInByte = 0
; TotalNumSgprs: 6
; NumVgprs: 0
; NumAgprs: 0
; TotalNumVgprs: 0
; ScratchSize: 0
; MemoryBound: 0
; FloatMode: 240
; IeeeMode: 1
; LDSByteSize: 0 bytes/workgroup (compile time only)
; SGPRBlocks: 0
; VGPRBlocks: 0
; NumSGPRsForWavesPerEU: 6
; NumVGPRsForWavesPerEU: 1
; AccumOffset: 4
; Occupancy: 8
; WaveLimiterHint : 0
; COMPUTE_PGM_RSRC2:SCRATCH_EN: 0
; COMPUTE_PGM_RSRC2:USER_SGPR: 2
; COMPUTE_PGM_RSRC2:TRAP_HANDLER: 0
; COMPUTE_PGM_RSRC2:TGID_X_EN: 1
; COMPUTE_PGM_RSRC2:TGID_Y_EN: 0
; COMPUTE_PGM_RSRC2:TGID_Z_EN: 0
; COMPUTE_PGM_RSRC2:TIDIG_COMP_CNT: 0
; COMPUTE_PGM_RSRC3_GFX90A:ACCUM_OFFSET: 0
; COMPUTE_PGM_RSRC3_GFX90A:TG_SPLIT: 0
	.section	.text._ZN7rocprim17ROCPRIM_400000_NS6detail17trampoline_kernelINS0_14default_configENS1_38merge_sort_block_merge_config_selectorIiNS0_10empty_typeEEEZZNS1_27merge_sort_block_merge_implIS3_N6thrust23THRUST_200600_302600_NS6detail15normal_iteratorINS9_10device_ptrIiEEEEPS5_jNS1_19radix_merge_compareILb1ELb0EiNS0_19identity_decomposerEEEEE10hipError_tT0_T1_T2_jT3_P12ihipStream_tbPNSt15iterator_traitsISK_E10value_typeEPNSQ_ISL_E10value_typeEPSM_NS1_7vsmem_tEENKUlT_SK_SL_SM_E_clIPiSE_SF_SF_EESJ_SZ_SK_SL_SM_EUlSZ_E1_NS1_11comp_targetILNS1_3genE3ELNS1_11target_archE908ELNS1_3gpuE7ELNS1_3repE0EEENS1_36merge_oddeven_config_static_selectorELNS0_4arch9wavefront6targetE1EEEvSL_,"axG",@progbits,_ZN7rocprim17ROCPRIM_400000_NS6detail17trampoline_kernelINS0_14default_configENS1_38merge_sort_block_merge_config_selectorIiNS0_10empty_typeEEEZZNS1_27merge_sort_block_merge_implIS3_N6thrust23THRUST_200600_302600_NS6detail15normal_iteratorINS9_10device_ptrIiEEEEPS5_jNS1_19radix_merge_compareILb1ELb0EiNS0_19identity_decomposerEEEEE10hipError_tT0_T1_T2_jT3_P12ihipStream_tbPNSt15iterator_traitsISK_E10value_typeEPNSQ_ISL_E10value_typeEPSM_NS1_7vsmem_tEENKUlT_SK_SL_SM_E_clIPiSE_SF_SF_EESJ_SZ_SK_SL_SM_EUlSZ_E1_NS1_11comp_targetILNS1_3genE3ELNS1_11target_archE908ELNS1_3gpuE7ELNS1_3repE0EEENS1_36merge_oddeven_config_static_selectorELNS0_4arch9wavefront6targetE1EEEvSL_,comdat
	.protected	_ZN7rocprim17ROCPRIM_400000_NS6detail17trampoline_kernelINS0_14default_configENS1_38merge_sort_block_merge_config_selectorIiNS0_10empty_typeEEEZZNS1_27merge_sort_block_merge_implIS3_N6thrust23THRUST_200600_302600_NS6detail15normal_iteratorINS9_10device_ptrIiEEEEPS5_jNS1_19radix_merge_compareILb1ELb0EiNS0_19identity_decomposerEEEEE10hipError_tT0_T1_T2_jT3_P12ihipStream_tbPNSt15iterator_traitsISK_E10value_typeEPNSQ_ISL_E10value_typeEPSM_NS1_7vsmem_tEENKUlT_SK_SL_SM_E_clIPiSE_SF_SF_EESJ_SZ_SK_SL_SM_EUlSZ_E1_NS1_11comp_targetILNS1_3genE3ELNS1_11target_archE908ELNS1_3gpuE7ELNS1_3repE0EEENS1_36merge_oddeven_config_static_selectorELNS0_4arch9wavefront6targetE1EEEvSL_ ; -- Begin function _ZN7rocprim17ROCPRIM_400000_NS6detail17trampoline_kernelINS0_14default_configENS1_38merge_sort_block_merge_config_selectorIiNS0_10empty_typeEEEZZNS1_27merge_sort_block_merge_implIS3_N6thrust23THRUST_200600_302600_NS6detail15normal_iteratorINS9_10device_ptrIiEEEEPS5_jNS1_19radix_merge_compareILb1ELb0EiNS0_19identity_decomposerEEEEE10hipError_tT0_T1_T2_jT3_P12ihipStream_tbPNSt15iterator_traitsISK_E10value_typeEPNSQ_ISL_E10value_typeEPSM_NS1_7vsmem_tEENKUlT_SK_SL_SM_E_clIPiSE_SF_SF_EESJ_SZ_SK_SL_SM_EUlSZ_E1_NS1_11comp_targetILNS1_3genE3ELNS1_11target_archE908ELNS1_3gpuE7ELNS1_3repE0EEENS1_36merge_oddeven_config_static_selectorELNS0_4arch9wavefront6targetE1EEEvSL_
	.globl	_ZN7rocprim17ROCPRIM_400000_NS6detail17trampoline_kernelINS0_14default_configENS1_38merge_sort_block_merge_config_selectorIiNS0_10empty_typeEEEZZNS1_27merge_sort_block_merge_implIS3_N6thrust23THRUST_200600_302600_NS6detail15normal_iteratorINS9_10device_ptrIiEEEEPS5_jNS1_19radix_merge_compareILb1ELb0EiNS0_19identity_decomposerEEEEE10hipError_tT0_T1_T2_jT3_P12ihipStream_tbPNSt15iterator_traitsISK_E10value_typeEPNSQ_ISL_E10value_typeEPSM_NS1_7vsmem_tEENKUlT_SK_SL_SM_E_clIPiSE_SF_SF_EESJ_SZ_SK_SL_SM_EUlSZ_E1_NS1_11comp_targetILNS1_3genE3ELNS1_11target_archE908ELNS1_3gpuE7ELNS1_3repE0EEENS1_36merge_oddeven_config_static_selectorELNS0_4arch9wavefront6targetE1EEEvSL_
	.p2align	8
	.type	_ZN7rocprim17ROCPRIM_400000_NS6detail17trampoline_kernelINS0_14default_configENS1_38merge_sort_block_merge_config_selectorIiNS0_10empty_typeEEEZZNS1_27merge_sort_block_merge_implIS3_N6thrust23THRUST_200600_302600_NS6detail15normal_iteratorINS9_10device_ptrIiEEEEPS5_jNS1_19radix_merge_compareILb1ELb0EiNS0_19identity_decomposerEEEEE10hipError_tT0_T1_T2_jT3_P12ihipStream_tbPNSt15iterator_traitsISK_E10value_typeEPNSQ_ISL_E10value_typeEPSM_NS1_7vsmem_tEENKUlT_SK_SL_SM_E_clIPiSE_SF_SF_EESJ_SZ_SK_SL_SM_EUlSZ_E1_NS1_11comp_targetILNS1_3genE3ELNS1_11target_archE908ELNS1_3gpuE7ELNS1_3repE0EEENS1_36merge_oddeven_config_static_selectorELNS0_4arch9wavefront6targetE1EEEvSL_,@function
_ZN7rocprim17ROCPRIM_400000_NS6detail17trampoline_kernelINS0_14default_configENS1_38merge_sort_block_merge_config_selectorIiNS0_10empty_typeEEEZZNS1_27merge_sort_block_merge_implIS3_N6thrust23THRUST_200600_302600_NS6detail15normal_iteratorINS9_10device_ptrIiEEEEPS5_jNS1_19radix_merge_compareILb1ELb0EiNS0_19identity_decomposerEEEEE10hipError_tT0_T1_T2_jT3_P12ihipStream_tbPNSt15iterator_traitsISK_E10value_typeEPNSQ_ISL_E10value_typeEPSM_NS1_7vsmem_tEENKUlT_SK_SL_SM_E_clIPiSE_SF_SF_EESJ_SZ_SK_SL_SM_EUlSZ_E1_NS1_11comp_targetILNS1_3genE3ELNS1_11target_archE908ELNS1_3gpuE7ELNS1_3repE0EEENS1_36merge_oddeven_config_static_selectorELNS0_4arch9wavefront6targetE1EEEvSL_: ; @_ZN7rocprim17ROCPRIM_400000_NS6detail17trampoline_kernelINS0_14default_configENS1_38merge_sort_block_merge_config_selectorIiNS0_10empty_typeEEEZZNS1_27merge_sort_block_merge_implIS3_N6thrust23THRUST_200600_302600_NS6detail15normal_iteratorINS9_10device_ptrIiEEEEPS5_jNS1_19radix_merge_compareILb1ELb0EiNS0_19identity_decomposerEEEEE10hipError_tT0_T1_T2_jT3_P12ihipStream_tbPNSt15iterator_traitsISK_E10value_typeEPNSQ_ISL_E10value_typeEPSM_NS1_7vsmem_tEENKUlT_SK_SL_SM_E_clIPiSE_SF_SF_EESJ_SZ_SK_SL_SM_EUlSZ_E1_NS1_11comp_targetILNS1_3genE3ELNS1_11target_archE908ELNS1_3gpuE7ELNS1_3repE0EEENS1_36merge_oddeven_config_static_selectorELNS0_4arch9wavefront6targetE1EEEvSL_
; %bb.0:
	.section	.rodata,"a",@progbits
	.p2align	6, 0x0
	.amdhsa_kernel _ZN7rocprim17ROCPRIM_400000_NS6detail17trampoline_kernelINS0_14default_configENS1_38merge_sort_block_merge_config_selectorIiNS0_10empty_typeEEEZZNS1_27merge_sort_block_merge_implIS3_N6thrust23THRUST_200600_302600_NS6detail15normal_iteratorINS9_10device_ptrIiEEEEPS5_jNS1_19radix_merge_compareILb1ELb0EiNS0_19identity_decomposerEEEEE10hipError_tT0_T1_T2_jT3_P12ihipStream_tbPNSt15iterator_traitsISK_E10value_typeEPNSQ_ISL_E10value_typeEPSM_NS1_7vsmem_tEENKUlT_SK_SL_SM_E_clIPiSE_SF_SF_EESJ_SZ_SK_SL_SM_EUlSZ_E1_NS1_11comp_targetILNS1_3genE3ELNS1_11target_archE908ELNS1_3gpuE7ELNS1_3repE0EEENS1_36merge_oddeven_config_static_selectorELNS0_4arch9wavefront6targetE1EEEvSL_
		.amdhsa_group_segment_fixed_size 0
		.amdhsa_private_segment_fixed_size 0
		.amdhsa_kernarg_size 48
		.amdhsa_user_sgpr_count 2
		.amdhsa_user_sgpr_dispatch_ptr 0
		.amdhsa_user_sgpr_queue_ptr 0
		.amdhsa_user_sgpr_kernarg_segment_ptr 1
		.amdhsa_user_sgpr_dispatch_id 0
		.amdhsa_user_sgpr_kernarg_preload_length 0
		.amdhsa_user_sgpr_kernarg_preload_offset 0
		.amdhsa_user_sgpr_private_segment_size 0
		.amdhsa_uses_dynamic_stack 0
		.amdhsa_enable_private_segment 0
		.amdhsa_system_sgpr_workgroup_id_x 1
		.amdhsa_system_sgpr_workgroup_id_y 0
		.amdhsa_system_sgpr_workgroup_id_z 0
		.amdhsa_system_sgpr_workgroup_info 0
		.amdhsa_system_vgpr_workitem_id 0
		.amdhsa_next_free_vgpr 1
		.amdhsa_next_free_sgpr 0
		.amdhsa_accum_offset 4
		.amdhsa_reserve_vcc 0
		.amdhsa_float_round_mode_32 0
		.amdhsa_float_round_mode_16_64 0
		.amdhsa_float_denorm_mode_32 3
		.amdhsa_float_denorm_mode_16_64 3
		.amdhsa_dx10_clamp 1
		.amdhsa_ieee_mode 1
		.amdhsa_fp16_overflow 0
		.amdhsa_tg_split 0
		.amdhsa_exception_fp_ieee_invalid_op 0
		.amdhsa_exception_fp_denorm_src 0
		.amdhsa_exception_fp_ieee_div_zero 0
		.amdhsa_exception_fp_ieee_overflow 0
		.amdhsa_exception_fp_ieee_underflow 0
		.amdhsa_exception_fp_ieee_inexact 0
		.amdhsa_exception_int_div_zero 0
	.end_amdhsa_kernel
	.section	.text._ZN7rocprim17ROCPRIM_400000_NS6detail17trampoline_kernelINS0_14default_configENS1_38merge_sort_block_merge_config_selectorIiNS0_10empty_typeEEEZZNS1_27merge_sort_block_merge_implIS3_N6thrust23THRUST_200600_302600_NS6detail15normal_iteratorINS9_10device_ptrIiEEEEPS5_jNS1_19radix_merge_compareILb1ELb0EiNS0_19identity_decomposerEEEEE10hipError_tT0_T1_T2_jT3_P12ihipStream_tbPNSt15iterator_traitsISK_E10value_typeEPNSQ_ISL_E10value_typeEPSM_NS1_7vsmem_tEENKUlT_SK_SL_SM_E_clIPiSE_SF_SF_EESJ_SZ_SK_SL_SM_EUlSZ_E1_NS1_11comp_targetILNS1_3genE3ELNS1_11target_archE908ELNS1_3gpuE7ELNS1_3repE0EEENS1_36merge_oddeven_config_static_selectorELNS0_4arch9wavefront6targetE1EEEvSL_,"axG",@progbits,_ZN7rocprim17ROCPRIM_400000_NS6detail17trampoline_kernelINS0_14default_configENS1_38merge_sort_block_merge_config_selectorIiNS0_10empty_typeEEEZZNS1_27merge_sort_block_merge_implIS3_N6thrust23THRUST_200600_302600_NS6detail15normal_iteratorINS9_10device_ptrIiEEEEPS5_jNS1_19radix_merge_compareILb1ELb0EiNS0_19identity_decomposerEEEEE10hipError_tT0_T1_T2_jT3_P12ihipStream_tbPNSt15iterator_traitsISK_E10value_typeEPNSQ_ISL_E10value_typeEPSM_NS1_7vsmem_tEENKUlT_SK_SL_SM_E_clIPiSE_SF_SF_EESJ_SZ_SK_SL_SM_EUlSZ_E1_NS1_11comp_targetILNS1_3genE3ELNS1_11target_archE908ELNS1_3gpuE7ELNS1_3repE0EEENS1_36merge_oddeven_config_static_selectorELNS0_4arch9wavefront6targetE1EEEvSL_,comdat
.Lfunc_end242:
	.size	_ZN7rocprim17ROCPRIM_400000_NS6detail17trampoline_kernelINS0_14default_configENS1_38merge_sort_block_merge_config_selectorIiNS0_10empty_typeEEEZZNS1_27merge_sort_block_merge_implIS3_N6thrust23THRUST_200600_302600_NS6detail15normal_iteratorINS9_10device_ptrIiEEEEPS5_jNS1_19radix_merge_compareILb1ELb0EiNS0_19identity_decomposerEEEEE10hipError_tT0_T1_T2_jT3_P12ihipStream_tbPNSt15iterator_traitsISK_E10value_typeEPNSQ_ISL_E10value_typeEPSM_NS1_7vsmem_tEENKUlT_SK_SL_SM_E_clIPiSE_SF_SF_EESJ_SZ_SK_SL_SM_EUlSZ_E1_NS1_11comp_targetILNS1_3genE3ELNS1_11target_archE908ELNS1_3gpuE7ELNS1_3repE0EEENS1_36merge_oddeven_config_static_selectorELNS0_4arch9wavefront6targetE1EEEvSL_, .Lfunc_end242-_ZN7rocprim17ROCPRIM_400000_NS6detail17trampoline_kernelINS0_14default_configENS1_38merge_sort_block_merge_config_selectorIiNS0_10empty_typeEEEZZNS1_27merge_sort_block_merge_implIS3_N6thrust23THRUST_200600_302600_NS6detail15normal_iteratorINS9_10device_ptrIiEEEEPS5_jNS1_19radix_merge_compareILb1ELb0EiNS0_19identity_decomposerEEEEE10hipError_tT0_T1_T2_jT3_P12ihipStream_tbPNSt15iterator_traitsISK_E10value_typeEPNSQ_ISL_E10value_typeEPSM_NS1_7vsmem_tEENKUlT_SK_SL_SM_E_clIPiSE_SF_SF_EESJ_SZ_SK_SL_SM_EUlSZ_E1_NS1_11comp_targetILNS1_3genE3ELNS1_11target_archE908ELNS1_3gpuE7ELNS1_3repE0EEENS1_36merge_oddeven_config_static_selectorELNS0_4arch9wavefront6targetE1EEEvSL_
                                        ; -- End function
	.set _ZN7rocprim17ROCPRIM_400000_NS6detail17trampoline_kernelINS0_14default_configENS1_38merge_sort_block_merge_config_selectorIiNS0_10empty_typeEEEZZNS1_27merge_sort_block_merge_implIS3_N6thrust23THRUST_200600_302600_NS6detail15normal_iteratorINS9_10device_ptrIiEEEEPS5_jNS1_19radix_merge_compareILb1ELb0EiNS0_19identity_decomposerEEEEE10hipError_tT0_T1_T2_jT3_P12ihipStream_tbPNSt15iterator_traitsISK_E10value_typeEPNSQ_ISL_E10value_typeEPSM_NS1_7vsmem_tEENKUlT_SK_SL_SM_E_clIPiSE_SF_SF_EESJ_SZ_SK_SL_SM_EUlSZ_E1_NS1_11comp_targetILNS1_3genE3ELNS1_11target_archE908ELNS1_3gpuE7ELNS1_3repE0EEENS1_36merge_oddeven_config_static_selectorELNS0_4arch9wavefront6targetE1EEEvSL_.num_vgpr, 0
	.set _ZN7rocprim17ROCPRIM_400000_NS6detail17trampoline_kernelINS0_14default_configENS1_38merge_sort_block_merge_config_selectorIiNS0_10empty_typeEEEZZNS1_27merge_sort_block_merge_implIS3_N6thrust23THRUST_200600_302600_NS6detail15normal_iteratorINS9_10device_ptrIiEEEEPS5_jNS1_19radix_merge_compareILb1ELb0EiNS0_19identity_decomposerEEEEE10hipError_tT0_T1_T2_jT3_P12ihipStream_tbPNSt15iterator_traitsISK_E10value_typeEPNSQ_ISL_E10value_typeEPSM_NS1_7vsmem_tEENKUlT_SK_SL_SM_E_clIPiSE_SF_SF_EESJ_SZ_SK_SL_SM_EUlSZ_E1_NS1_11comp_targetILNS1_3genE3ELNS1_11target_archE908ELNS1_3gpuE7ELNS1_3repE0EEENS1_36merge_oddeven_config_static_selectorELNS0_4arch9wavefront6targetE1EEEvSL_.num_agpr, 0
	.set _ZN7rocprim17ROCPRIM_400000_NS6detail17trampoline_kernelINS0_14default_configENS1_38merge_sort_block_merge_config_selectorIiNS0_10empty_typeEEEZZNS1_27merge_sort_block_merge_implIS3_N6thrust23THRUST_200600_302600_NS6detail15normal_iteratorINS9_10device_ptrIiEEEEPS5_jNS1_19radix_merge_compareILb1ELb0EiNS0_19identity_decomposerEEEEE10hipError_tT0_T1_T2_jT3_P12ihipStream_tbPNSt15iterator_traitsISK_E10value_typeEPNSQ_ISL_E10value_typeEPSM_NS1_7vsmem_tEENKUlT_SK_SL_SM_E_clIPiSE_SF_SF_EESJ_SZ_SK_SL_SM_EUlSZ_E1_NS1_11comp_targetILNS1_3genE3ELNS1_11target_archE908ELNS1_3gpuE7ELNS1_3repE0EEENS1_36merge_oddeven_config_static_selectorELNS0_4arch9wavefront6targetE1EEEvSL_.numbered_sgpr, 0
	.set _ZN7rocprim17ROCPRIM_400000_NS6detail17trampoline_kernelINS0_14default_configENS1_38merge_sort_block_merge_config_selectorIiNS0_10empty_typeEEEZZNS1_27merge_sort_block_merge_implIS3_N6thrust23THRUST_200600_302600_NS6detail15normal_iteratorINS9_10device_ptrIiEEEEPS5_jNS1_19radix_merge_compareILb1ELb0EiNS0_19identity_decomposerEEEEE10hipError_tT0_T1_T2_jT3_P12ihipStream_tbPNSt15iterator_traitsISK_E10value_typeEPNSQ_ISL_E10value_typeEPSM_NS1_7vsmem_tEENKUlT_SK_SL_SM_E_clIPiSE_SF_SF_EESJ_SZ_SK_SL_SM_EUlSZ_E1_NS1_11comp_targetILNS1_3genE3ELNS1_11target_archE908ELNS1_3gpuE7ELNS1_3repE0EEENS1_36merge_oddeven_config_static_selectorELNS0_4arch9wavefront6targetE1EEEvSL_.num_named_barrier, 0
	.set _ZN7rocprim17ROCPRIM_400000_NS6detail17trampoline_kernelINS0_14default_configENS1_38merge_sort_block_merge_config_selectorIiNS0_10empty_typeEEEZZNS1_27merge_sort_block_merge_implIS3_N6thrust23THRUST_200600_302600_NS6detail15normal_iteratorINS9_10device_ptrIiEEEEPS5_jNS1_19radix_merge_compareILb1ELb0EiNS0_19identity_decomposerEEEEE10hipError_tT0_T1_T2_jT3_P12ihipStream_tbPNSt15iterator_traitsISK_E10value_typeEPNSQ_ISL_E10value_typeEPSM_NS1_7vsmem_tEENKUlT_SK_SL_SM_E_clIPiSE_SF_SF_EESJ_SZ_SK_SL_SM_EUlSZ_E1_NS1_11comp_targetILNS1_3genE3ELNS1_11target_archE908ELNS1_3gpuE7ELNS1_3repE0EEENS1_36merge_oddeven_config_static_selectorELNS0_4arch9wavefront6targetE1EEEvSL_.private_seg_size, 0
	.set _ZN7rocprim17ROCPRIM_400000_NS6detail17trampoline_kernelINS0_14default_configENS1_38merge_sort_block_merge_config_selectorIiNS0_10empty_typeEEEZZNS1_27merge_sort_block_merge_implIS3_N6thrust23THRUST_200600_302600_NS6detail15normal_iteratorINS9_10device_ptrIiEEEEPS5_jNS1_19radix_merge_compareILb1ELb0EiNS0_19identity_decomposerEEEEE10hipError_tT0_T1_T2_jT3_P12ihipStream_tbPNSt15iterator_traitsISK_E10value_typeEPNSQ_ISL_E10value_typeEPSM_NS1_7vsmem_tEENKUlT_SK_SL_SM_E_clIPiSE_SF_SF_EESJ_SZ_SK_SL_SM_EUlSZ_E1_NS1_11comp_targetILNS1_3genE3ELNS1_11target_archE908ELNS1_3gpuE7ELNS1_3repE0EEENS1_36merge_oddeven_config_static_selectorELNS0_4arch9wavefront6targetE1EEEvSL_.uses_vcc, 0
	.set _ZN7rocprim17ROCPRIM_400000_NS6detail17trampoline_kernelINS0_14default_configENS1_38merge_sort_block_merge_config_selectorIiNS0_10empty_typeEEEZZNS1_27merge_sort_block_merge_implIS3_N6thrust23THRUST_200600_302600_NS6detail15normal_iteratorINS9_10device_ptrIiEEEEPS5_jNS1_19radix_merge_compareILb1ELb0EiNS0_19identity_decomposerEEEEE10hipError_tT0_T1_T2_jT3_P12ihipStream_tbPNSt15iterator_traitsISK_E10value_typeEPNSQ_ISL_E10value_typeEPSM_NS1_7vsmem_tEENKUlT_SK_SL_SM_E_clIPiSE_SF_SF_EESJ_SZ_SK_SL_SM_EUlSZ_E1_NS1_11comp_targetILNS1_3genE3ELNS1_11target_archE908ELNS1_3gpuE7ELNS1_3repE0EEENS1_36merge_oddeven_config_static_selectorELNS0_4arch9wavefront6targetE1EEEvSL_.uses_flat_scratch, 0
	.set _ZN7rocprim17ROCPRIM_400000_NS6detail17trampoline_kernelINS0_14default_configENS1_38merge_sort_block_merge_config_selectorIiNS0_10empty_typeEEEZZNS1_27merge_sort_block_merge_implIS3_N6thrust23THRUST_200600_302600_NS6detail15normal_iteratorINS9_10device_ptrIiEEEEPS5_jNS1_19radix_merge_compareILb1ELb0EiNS0_19identity_decomposerEEEEE10hipError_tT0_T1_T2_jT3_P12ihipStream_tbPNSt15iterator_traitsISK_E10value_typeEPNSQ_ISL_E10value_typeEPSM_NS1_7vsmem_tEENKUlT_SK_SL_SM_E_clIPiSE_SF_SF_EESJ_SZ_SK_SL_SM_EUlSZ_E1_NS1_11comp_targetILNS1_3genE3ELNS1_11target_archE908ELNS1_3gpuE7ELNS1_3repE0EEENS1_36merge_oddeven_config_static_selectorELNS0_4arch9wavefront6targetE1EEEvSL_.has_dyn_sized_stack, 0
	.set _ZN7rocprim17ROCPRIM_400000_NS6detail17trampoline_kernelINS0_14default_configENS1_38merge_sort_block_merge_config_selectorIiNS0_10empty_typeEEEZZNS1_27merge_sort_block_merge_implIS3_N6thrust23THRUST_200600_302600_NS6detail15normal_iteratorINS9_10device_ptrIiEEEEPS5_jNS1_19radix_merge_compareILb1ELb0EiNS0_19identity_decomposerEEEEE10hipError_tT0_T1_T2_jT3_P12ihipStream_tbPNSt15iterator_traitsISK_E10value_typeEPNSQ_ISL_E10value_typeEPSM_NS1_7vsmem_tEENKUlT_SK_SL_SM_E_clIPiSE_SF_SF_EESJ_SZ_SK_SL_SM_EUlSZ_E1_NS1_11comp_targetILNS1_3genE3ELNS1_11target_archE908ELNS1_3gpuE7ELNS1_3repE0EEENS1_36merge_oddeven_config_static_selectorELNS0_4arch9wavefront6targetE1EEEvSL_.has_recursion, 0
	.set _ZN7rocprim17ROCPRIM_400000_NS6detail17trampoline_kernelINS0_14default_configENS1_38merge_sort_block_merge_config_selectorIiNS0_10empty_typeEEEZZNS1_27merge_sort_block_merge_implIS3_N6thrust23THRUST_200600_302600_NS6detail15normal_iteratorINS9_10device_ptrIiEEEEPS5_jNS1_19radix_merge_compareILb1ELb0EiNS0_19identity_decomposerEEEEE10hipError_tT0_T1_T2_jT3_P12ihipStream_tbPNSt15iterator_traitsISK_E10value_typeEPNSQ_ISL_E10value_typeEPSM_NS1_7vsmem_tEENKUlT_SK_SL_SM_E_clIPiSE_SF_SF_EESJ_SZ_SK_SL_SM_EUlSZ_E1_NS1_11comp_targetILNS1_3genE3ELNS1_11target_archE908ELNS1_3gpuE7ELNS1_3repE0EEENS1_36merge_oddeven_config_static_selectorELNS0_4arch9wavefront6targetE1EEEvSL_.has_indirect_call, 0
	.section	.AMDGPU.csdata,"",@progbits
; Kernel info:
; codeLenInByte = 0
; TotalNumSgprs: 6
; NumVgprs: 0
; NumAgprs: 0
; TotalNumVgprs: 0
; ScratchSize: 0
; MemoryBound: 0
; FloatMode: 240
; IeeeMode: 1
; LDSByteSize: 0 bytes/workgroup (compile time only)
; SGPRBlocks: 0
; VGPRBlocks: 0
; NumSGPRsForWavesPerEU: 6
; NumVGPRsForWavesPerEU: 1
; AccumOffset: 4
; Occupancy: 8
; WaveLimiterHint : 0
; COMPUTE_PGM_RSRC2:SCRATCH_EN: 0
; COMPUTE_PGM_RSRC2:USER_SGPR: 2
; COMPUTE_PGM_RSRC2:TRAP_HANDLER: 0
; COMPUTE_PGM_RSRC2:TGID_X_EN: 1
; COMPUTE_PGM_RSRC2:TGID_Y_EN: 0
; COMPUTE_PGM_RSRC2:TGID_Z_EN: 0
; COMPUTE_PGM_RSRC2:TIDIG_COMP_CNT: 0
; COMPUTE_PGM_RSRC3_GFX90A:ACCUM_OFFSET: 0
; COMPUTE_PGM_RSRC3_GFX90A:TG_SPLIT: 0
	.section	.text._ZN7rocprim17ROCPRIM_400000_NS6detail17trampoline_kernelINS0_14default_configENS1_38merge_sort_block_merge_config_selectorIiNS0_10empty_typeEEEZZNS1_27merge_sort_block_merge_implIS3_N6thrust23THRUST_200600_302600_NS6detail15normal_iteratorINS9_10device_ptrIiEEEEPS5_jNS1_19radix_merge_compareILb1ELb0EiNS0_19identity_decomposerEEEEE10hipError_tT0_T1_T2_jT3_P12ihipStream_tbPNSt15iterator_traitsISK_E10value_typeEPNSQ_ISL_E10value_typeEPSM_NS1_7vsmem_tEENKUlT_SK_SL_SM_E_clIPiSE_SF_SF_EESJ_SZ_SK_SL_SM_EUlSZ_E1_NS1_11comp_targetILNS1_3genE2ELNS1_11target_archE906ELNS1_3gpuE6ELNS1_3repE0EEENS1_36merge_oddeven_config_static_selectorELNS0_4arch9wavefront6targetE1EEEvSL_,"axG",@progbits,_ZN7rocprim17ROCPRIM_400000_NS6detail17trampoline_kernelINS0_14default_configENS1_38merge_sort_block_merge_config_selectorIiNS0_10empty_typeEEEZZNS1_27merge_sort_block_merge_implIS3_N6thrust23THRUST_200600_302600_NS6detail15normal_iteratorINS9_10device_ptrIiEEEEPS5_jNS1_19radix_merge_compareILb1ELb0EiNS0_19identity_decomposerEEEEE10hipError_tT0_T1_T2_jT3_P12ihipStream_tbPNSt15iterator_traitsISK_E10value_typeEPNSQ_ISL_E10value_typeEPSM_NS1_7vsmem_tEENKUlT_SK_SL_SM_E_clIPiSE_SF_SF_EESJ_SZ_SK_SL_SM_EUlSZ_E1_NS1_11comp_targetILNS1_3genE2ELNS1_11target_archE906ELNS1_3gpuE6ELNS1_3repE0EEENS1_36merge_oddeven_config_static_selectorELNS0_4arch9wavefront6targetE1EEEvSL_,comdat
	.protected	_ZN7rocprim17ROCPRIM_400000_NS6detail17trampoline_kernelINS0_14default_configENS1_38merge_sort_block_merge_config_selectorIiNS0_10empty_typeEEEZZNS1_27merge_sort_block_merge_implIS3_N6thrust23THRUST_200600_302600_NS6detail15normal_iteratorINS9_10device_ptrIiEEEEPS5_jNS1_19radix_merge_compareILb1ELb0EiNS0_19identity_decomposerEEEEE10hipError_tT0_T1_T2_jT3_P12ihipStream_tbPNSt15iterator_traitsISK_E10value_typeEPNSQ_ISL_E10value_typeEPSM_NS1_7vsmem_tEENKUlT_SK_SL_SM_E_clIPiSE_SF_SF_EESJ_SZ_SK_SL_SM_EUlSZ_E1_NS1_11comp_targetILNS1_3genE2ELNS1_11target_archE906ELNS1_3gpuE6ELNS1_3repE0EEENS1_36merge_oddeven_config_static_selectorELNS0_4arch9wavefront6targetE1EEEvSL_ ; -- Begin function _ZN7rocprim17ROCPRIM_400000_NS6detail17trampoline_kernelINS0_14default_configENS1_38merge_sort_block_merge_config_selectorIiNS0_10empty_typeEEEZZNS1_27merge_sort_block_merge_implIS3_N6thrust23THRUST_200600_302600_NS6detail15normal_iteratorINS9_10device_ptrIiEEEEPS5_jNS1_19radix_merge_compareILb1ELb0EiNS0_19identity_decomposerEEEEE10hipError_tT0_T1_T2_jT3_P12ihipStream_tbPNSt15iterator_traitsISK_E10value_typeEPNSQ_ISL_E10value_typeEPSM_NS1_7vsmem_tEENKUlT_SK_SL_SM_E_clIPiSE_SF_SF_EESJ_SZ_SK_SL_SM_EUlSZ_E1_NS1_11comp_targetILNS1_3genE2ELNS1_11target_archE906ELNS1_3gpuE6ELNS1_3repE0EEENS1_36merge_oddeven_config_static_selectorELNS0_4arch9wavefront6targetE1EEEvSL_
	.globl	_ZN7rocprim17ROCPRIM_400000_NS6detail17trampoline_kernelINS0_14default_configENS1_38merge_sort_block_merge_config_selectorIiNS0_10empty_typeEEEZZNS1_27merge_sort_block_merge_implIS3_N6thrust23THRUST_200600_302600_NS6detail15normal_iteratorINS9_10device_ptrIiEEEEPS5_jNS1_19radix_merge_compareILb1ELb0EiNS0_19identity_decomposerEEEEE10hipError_tT0_T1_T2_jT3_P12ihipStream_tbPNSt15iterator_traitsISK_E10value_typeEPNSQ_ISL_E10value_typeEPSM_NS1_7vsmem_tEENKUlT_SK_SL_SM_E_clIPiSE_SF_SF_EESJ_SZ_SK_SL_SM_EUlSZ_E1_NS1_11comp_targetILNS1_3genE2ELNS1_11target_archE906ELNS1_3gpuE6ELNS1_3repE0EEENS1_36merge_oddeven_config_static_selectorELNS0_4arch9wavefront6targetE1EEEvSL_
	.p2align	8
	.type	_ZN7rocprim17ROCPRIM_400000_NS6detail17trampoline_kernelINS0_14default_configENS1_38merge_sort_block_merge_config_selectorIiNS0_10empty_typeEEEZZNS1_27merge_sort_block_merge_implIS3_N6thrust23THRUST_200600_302600_NS6detail15normal_iteratorINS9_10device_ptrIiEEEEPS5_jNS1_19radix_merge_compareILb1ELb0EiNS0_19identity_decomposerEEEEE10hipError_tT0_T1_T2_jT3_P12ihipStream_tbPNSt15iterator_traitsISK_E10value_typeEPNSQ_ISL_E10value_typeEPSM_NS1_7vsmem_tEENKUlT_SK_SL_SM_E_clIPiSE_SF_SF_EESJ_SZ_SK_SL_SM_EUlSZ_E1_NS1_11comp_targetILNS1_3genE2ELNS1_11target_archE906ELNS1_3gpuE6ELNS1_3repE0EEENS1_36merge_oddeven_config_static_selectorELNS0_4arch9wavefront6targetE1EEEvSL_,@function
_ZN7rocprim17ROCPRIM_400000_NS6detail17trampoline_kernelINS0_14default_configENS1_38merge_sort_block_merge_config_selectorIiNS0_10empty_typeEEEZZNS1_27merge_sort_block_merge_implIS3_N6thrust23THRUST_200600_302600_NS6detail15normal_iteratorINS9_10device_ptrIiEEEEPS5_jNS1_19radix_merge_compareILb1ELb0EiNS0_19identity_decomposerEEEEE10hipError_tT0_T1_T2_jT3_P12ihipStream_tbPNSt15iterator_traitsISK_E10value_typeEPNSQ_ISL_E10value_typeEPSM_NS1_7vsmem_tEENKUlT_SK_SL_SM_E_clIPiSE_SF_SF_EESJ_SZ_SK_SL_SM_EUlSZ_E1_NS1_11comp_targetILNS1_3genE2ELNS1_11target_archE906ELNS1_3gpuE6ELNS1_3repE0EEENS1_36merge_oddeven_config_static_selectorELNS0_4arch9wavefront6targetE1EEEvSL_: ; @_ZN7rocprim17ROCPRIM_400000_NS6detail17trampoline_kernelINS0_14default_configENS1_38merge_sort_block_merge_config_selectorIiNS0_10empty_typeEEEZZNS1_27merge_sort_block_merge_implIS3_N6thrust23THRUST_200600_302600_NS6detail15normal_iteratorINS9_10device_ptrIiEEEEPS5_jNS1_19radix_merge_compareILb1ELb0EiNS0_19identity_decomposerEEEEE10hipError_tT0_T1_T2_jT3_P12ihipStream_tbPNSt15iterator_traitsISK_E10value_typeEPNSQ_ISL_E10value_typeEPSM_NS1_7vsmem_tEENKUlT_SK_SL_SM_E_clIPiSE_SF_SF_EESJ_SZ_SK_SL_SM_EUlSZ_E1_NS1_11comp_targetILNS1_3genE2ELNS1_11target_archE906ELNS1_3gpuE6ELNS1_3repE0EEENS1_36merge_oddeven_config_static_selectorELNS0_4arch9wavefront6targetE1EEEvSL_
; %bb.0:
	.section	.rodata,"a",@progbits
	.p2align	6, 0x0
	.amdhsa_kernel _ZN7rocprim17ROCPRIM_400000_NS6detail17trampoline_kernelINS0_14default_configENS1_38merge_sort_block_merge_config_selectorIiNS0_10empty_typeEEEZZNS1_27merge_sort_block_merge_implIS3_N6thrust23THRUST_200600_302600_NS6detail15normal_iteratorINS9_10device_ptrIiEEEEPS5_jNS1_19radix_merge_compareILb1ELb0EiNS0_19identity_decomposerEEEEE10hipError_tT0_T1_T2_jT3_P12ihipStream_tbPNSt15iterator_traitsISK_E10value_typeEPNSQ_ISL_E10value_typeEPSM_NS1_7vsmem_tEENKUlT_SK_SL_SM_E_clIPiSE_SF_SF_EESJ_SZ_SK_SL_SM_EUlSZ_E1_NS1_11comp_targetILNS1_3genE2ELNS1_11target_archE906ELNS1_3gpuE6ELNS1_3repE0EEENS1_36merge_oddeven_config_static_selectorELNS0_4arch9wavefront6targetE1EEEvSL_
		.amdhsa_group_segment_fixed_size 0
		.amdhsa_private_segment_fixed_size 0
		.amdhsa_kernarg_size 48
		.amdhsa_user_sgpr_count 2
		.amdhsa_user_sgpr_dispatch_ptr 0
		.amdhsa_user_sgpr_queue_ptr 0
		.amdhsa_user_sgpr_kernarg_segment_ptr 1
		.amdhsa_user_sgpr_dispatch_id 0
		.amdhsa_user_sgpr_kernarg_preload_length 0
		.amdhsa_user_sgpr_kernarg_preload_offset 0
		.amdhsa_user_sgpr_private_segment_size 0
		.amdhsa_uses_dynamic_stack 0
		.amdhsa_enable_private_segment 0
		.amdhsa_system_sgpr_workgroup_id_x 1
		.amdhsa_system_sgpr_workgroup_id_y 0
		.amdhsa_system_sgpr_workgroup_id_z 0
		.amdhsa_system_sgpr_workgroup_info 0
		.amdhsa_system_vgpr_workitem_id 0
		.amdhsa_next_free_vgpr 1
		.amdhsa_next_free_sgpr 0
		.amdhsa_accum_offset 4
		.amdhsa_reserve_vcc 0
		.amdhsa_float_round_mode_32 0
		.amdhsa_float_round_mode_16_64 0
		.amdhsa_float_denorm_mode_32 3
		.amdhsa_float_denorm_mode_16_64 3
		.amdhsa_dx10_clamp 1
		.amdhsa_ieee_mode 1
		.amdhsa_fp16_overflow 0
		.amdhsa_tg_split 0
		.amdhsa_exception_fp_ieee_invalid_op 0
		.amdhsa_exception_fp_denorm_src 0
		.amdhsa_exception_fp_ieee_div_zero 0
		.amdhsa_exception_fp_ieee_overflow 0
		.amdhsa_exception_fp_ieee_underflow 0
		.amdhsa_exception_fp_ieee_inexact 0
		.amdhsa_exception_int_div_zero 0
	.end_amdhsa_kernel
	.section	.text._ZN7rocprim17ROCPRIM_400000_NS6detail17trampoline_kernelINS0_14default_configENS1_38merge_sort_block_merge_config_selectorIiNS0_10empty_typeEEEZZNS1_27merge_sort_block_merge_implIS3_N6thrust23THRUST_200600_302600_NS6detail15normal_iteratorINS9_10device_ptrIiEEEEPS5_jNS1_19radix_merge_compareILb1ELb0EiNS0_19identity_decomposerEEEEE10hipError_tT0_T1_T2_jT3_P12ihipStream_tbPNSt15iterator_traitsISK_E10value_typeEPNSQ_ISL_E10value_typeEPSM_NS1_7vsmem_tEENKUlT_SK_SL_SM_E_clIPiSE_SF_SF_EESJ_SZ_SK_SL_SM_EUlSZ_E1_NS1_11comp_targetILNS1_3genE2ELNS1_11target_archE906ELNS1_3gpuE6ELNS1_3repE0EEENS1_36merge_oddeven_config_static_selectorELNS0_4arch9wavefront6targetE1EEEvSL_,"axG",@progbits,_ZN7rocprim17ROCPRIM_400000_NS6detail17trampoline_kernelINS0_14default_configENS1_38merge_sort_block_merge_config_selectorIiNS0_10empty_typeEEEZZNS1_27merge_sort_block_merge_implIS3_N6thrust23THRUST_200600_302600_NS6detail15normal_iteratorINS9_10device_ptrIiEEEEPS5_jNS1_19radix_merge_compareILb1ELb0EiNS0_19identity_decomposerEEEEE10hipError_tT0_T1_T2_jT3_P12ihipStream_tbPNSt15iterator_traitsISK_E10value_typeEPNSQ_ISL_E10value_typeEPSM_NS1_7vsmem_tEENKUlT_SK_SL_SM_E_clIPiSE_SF_SF_EESJ_SZ_SK_SL_SM_EUlSZ_E1_NS1_11comp_targetILNS1_3genE2ELNS1_11target_archE906ELNS1_3gpuE6ELNS1_3repE0EEENS1_36merge_oddeven_config_static_selectorELNS0_4arch9wavefront6targetE1EEEvSL_,comdat
.Lfunc_end243:
	.size	_ZN7rocprim17ROCPRIM_400000_NS6detail17trampoline_kernelINS0_14default_configENS1_38merge_sort_block_merge_config_selectorIiNS0_10empty_typeEEEZZNS1_27merge_sort_block_merge_implIS3_N6thrust23THRUST_200600_302600_NS6detail15normal_iteratorINS9_10device_ptrIiEEEEPS5_jNS1_19radix_merge_compareILb1ELb0EiNS0_19identity_decomposerEEEEE10hipError_tT0_T1_T2_jT3_P12ihipStream_tbPNSt15iterator_traitsISK_E10value_typeEPNSQ_ISL_E10value_typeEPSM_NS1_7vsmem_tEENKUlT_SK_SL_SM_E_clIPiSE_SF_SF_EESJ_SZ_SK_SL_SM_EUlSZ_E1_NS1_11comp_targetILNS1_3genE2ELNS1_11target_archE906ELNS1_3gpuE6ELNS1_3repE0EEENS1_36merge_oddeven_config_static_selectorELNS0_4arch9wavefront6targetE1EEEvSL_, .Lfunc_end243-_ZN7rocprim17ROCPRIM_400000_NS6detail17trampoline_kernelINS0_14default_configENS1_38merge_sort_block_merge_config_selectorIiNS0_10empty_typeEEEZZNS1_27merge_sort_block_merge_implIS3_N6thrust23THRUST_200600_302600_NS6detail15normal_iteratorINS9_10device_ptrIiEEEEPS5_jNS1_19radix_merge_compareILb1ELb0EiNS0_19identity_decomposerEEEEE10hipError_tT0_T1_T2_jT3_P12ihipStream_tbPNSt15iterator_traitsISK_E10value_typeEPNSQ_ISL_E10value_typeEPSM_NS1_7vsmem_tEENKUlT_SK_SL_SM_E_clIPiSE_SF_SF_EESJ_SZ_SK_SL_SM_EUlSZ_E1_NS1_11comp_targetILNS1_3genE2ELNS1_11target_archE906ELNS1_3gpuE6ELNS1_3repE0EEENS1_36merge_oddeven_config_static_selectorELNS0_4arch9wavefront6targetE1EEEvSL_
                                        ; -- End function
	.set _ZN7rocprim17ROCPRIM_400000_NS6detail17trampoline_kernelINS0_14default_configENS1_38merge_sort_block_merge_config_selectorIiNS0_10empty_typeEEEZZNS1_27merge_sort_block_merge_implIS3_N6thrust23THRUST_200600_302600_NS6detail15normal_iteratorINS9_10device_ptrIiEEEEPS5_jNS1_19radix_merge_compareILb1ELb0EiNS0_19identity_decomposerEEEEE10hipError_tT0_T1_T2_jT3_P12ihipStream_tbPNSt15iterator_traitsISK_E10value_typeEPNSQ_ISL_E10value_typeEPSM_NS1_7vsmem_tEENKUlT_SK_SL_SM_E_clIPiSE_SF_SF_EESJ_SZ_SK_SL_SM_EUlSZ_E1_NS1_11comp_targetILNS1_3genE2ELNS1_11target_archE906ELNS1_3gpuE6ELNS1_3repE0EEENS1_36merge_oddeven_config_static_selectorELNS0_4arch9wavefront6targetE1EEEvSL_.num_vgpr, 0
	.set _ZN7rocprim17ROCPRIM_400000_NS6detail17trampoline_kernelINS0_14default_configENS1_38merge_sort_block_merge_config_selectorIiNS0_10empty_typeEEEZZNS1_27merge_sort_block_merge_implIS3_N6thrust23THRUST_200600_302600_NS6detail15normal_iteratorINS9_10device_ptrIiEEEEPS5_jNS1_19radix_merge_compareILb1ELb0EiNS0_19identity_decomposerEEEEE10hipError_tT0_T1_T2_jT3_P12ihipStream_tbPNSt15iterator_traitsISK_E10value_typeEPNSQ_ISL_E10value_typeEPSM_NS1_7vsmem_tEENKUlT_SK_SL_SM_E_clIPiSE_SF_SF_EESJ_SZ_SK_SL_SM_EUlSZ_E1_NS1_11comp_targetILNS1_3genE2ELNS1_11target_archE906ELNS1_3gpuE6ELNS1_3repE0EEENS1_36merge_oddeven_config_static_selectorELNS0_4arch9wavefront6targetE1EEEvSL_.num_agpr, 0
	.set _ZN7rocprim17ROCPRIM_400000_NS6detail17trampoline_kernelINS0_14default_configENS1_38merge_sort_block_merge_config_selectorIiNS0_10empty_typeEEEZZNS1_27merge_sort_block_merge_implIS3_N6thrust23THRUST_200600_302600_NS6detail15normal_iteratorINS9_10device_ptrIiEEEEPS5_jNS1_19radix_merge_compareILb1ELb0EiNS0_19identity_decomposerEEEEE10hipError_tT0_T1_T2_jT3_P12ihipStream_tbPNSt15iterator_traitsISK_E10value_typeEPNSQ_ISL_E10value_typeEPSM_NS1_7vsmem_tEENKUlT_SK_SL_SM_E_clIPiSE_SF_SF_EESJ_SZ_SK_SL_SM_EUlSZ_E1_NS1_11comp_targetILNS1_3genE2ELNS1_11target_archE906ELNS1_3gpuE6ELNS1_3repE0EEENS1_36merge_oddeven_config_static_selectorELNS0_4arch9wavefront6targetE1EEEvSL_.numbered_sgpr, 0
	.set _ZN7rocprim17ROCPRIM_400000_NS6detail17trampoline_kernelINS0_14default_configENS1_38merge_sort_block_merge_config_selectorIiNS0_10empty_typeEEEZZNS1_27merge_sort_block_merge_implIS3_N6thrust23THRUST_200600_302600_NS6detail15normal_iteratorINS9_10device_ptrIiEEEEPS5_jNS1_19radix_merge_compareILb1ELb0EiNS0_19identity_decomposerEEEEE10hipError_tT0_T1_T2_jT3_P12ihipStream_tbPNSt15iterator_traitsISK_E10value_typeEPNSQ_ISL_E10value_typeEPSM_NS1_7vsmem_tEENKUlT_SK_SL_SM_E_clIPiSE_SF_SF_EESJ_SZ_SK_SL_SM_EUlSZ_E1_NS1_11comp_targetILNS1_3genE2ELNS1_11target_archE906ELNS1_3gpuE6ELNS1_3repE0EEENS1_36merge_oddeven_config_static_selectorELNS0_4arch9wavefront6targetE1EEEvSL_.num_named_barrier, 0
	.set _ZN7rocprim17ROCPRIM_400000_NS6detail17trampoline_kernelINS0_14default_configENS1_38merge_sort_block_merge_config_selectorIiNS0_10empty_typeEEEZZNS1_27merge_sort_block_merge_implIS3_N6thrust23THRUST_200600_302600_NS6detail15normal_iteratorINS9_10device_ptrIiEEEEPS5_jNS1_19radix_merge_compareILb1ELb0EiNS0_19identity_decomposerEEEEE10hipError_tT0_T1_T2_jT3_P12ihipStream_tbPNSt15iterator_traitsISK_E10value_typeEPNSQ_ISL_E10value_typeEPSM_NS1_7vsmem_tEENKUlT_SK_SL_SM_E_clIPiSE_SF_SF_EESJ_SZ_SK_SL_SM_EUlSZ_E1_NS1_11comp_targetILNS1_3genE2ELNS1_11target_archE906ELNS1_3gpuE6ELNS1_3repE0EEENS1_36merge_oddeven_config_static_selectorELNS0_4arch9wavefront6targetE1EEEvSL_.private_seg_size, 0
	.set _ZN7rocprim17ROCPRIM_400000_NS6detail17trampoline_kernelINS0_14default_configENS1_38merge_sort_block_merge_config_selectorIiNS0_10empty_typeEEEZZNS1_27merge_sort_block_merge_implIS3_N6thrust23THRUST_200600_302600_NS6detail15normal_iteratorINS9_10device_ptrIiEEEEPS5_jNS1_19radix_merge_compareILb1ELb0EiNS0_19identity_decomposerEEEEE10hipError_tT0_T1_T2_jT3_P12ihipStream_tbPNSt15iterator_traitsISK_E10value_typeEPNSQ_ISL_E10value_typeEPSM_NS1_7vsmem_tEENKUlT_SK_SL_SM_E_clIPiSE_SF_SF_EESJ_SZ_SK_SL_SM_EUlSZ_E1_NS1_11comp_targetILNS1_3genE2ELNS1_11target_archE906ELNS1_3gpuE6ELNS1_3repE0EEENS1_36merge_oddeven_config_static_selectorELNS0_4arch9wavefront6targetE1EEEvSL_.uses_vcc, 0
	.set _ZN7rocprim17ROCPRIM_400000_NS6detail17trampoline_kernelINS0_14default_configENS1_38merge_sort_block_merge_config_selectorIiNS0_10empty_typeEEEZZNS1_27merge_sort_block_merge_implIS3_N6thrust23THRUST_200600_302600_NS6detail15normal_iteratorINS9_10device_ptrIiEEEEPS5_jNS1_19radix_merge_compareILb1ELb0EiNS0_19identity_decomposerEEEEE10hipError_tT0_T1_T2_jT3_P12ihipStream_tbPNSt15iterator_traitsISK_E10value_typeEPNSQ_ISL_E10value_typeEPSM_NS1_7vsmem_tEENKUlT_SK_SL_SM_E_clIPiSE_SF_SF_EESJ_SZ_SK_SL_SM_EUlSZ_E1_NS1_11comp_targetILNS1_3genE2ELNS1_11target_archE906ELNS1_3gpuE6ELNS1_3repE0EEENS1_36merge_oddeven_config_static_selectorELNS0_4arch9wavefront6targetE1EEEvSL_.uses_flat_scratch, 0
	.set _ZN7rocprim17ROCPRIM_400000_NS6detail17trampoline_kernelINS0_14default_configENS1_38merge_sort_block_merge_config_selectorIiNS0_10empty_typeEEEZZNS1_27merge_sort_block_merge_implIS3_N6thrust23THRUST_200600_302600_NS6detail15normal_iteratorINS9_10device_ptrIiEEEEPS5_jNS1_19radix_merge_compareILb1ELb0EiNS0_19identity_decomposerEEEEE10hipError_tT0_T1_T2_jT3_P12ihipStream_tbPNSt15iterator_traitsISK_E10value_typeEPNSQ_ISL_E10value_typeEPSM_NS1_7vsmem_tEENKUlT_SK_SL_SM_E_clIPiSE_SF_SF_EESJ_SZ_SK_SL_SM_EUlSZ_E1_NS1_11comp_targetILNS1_3genE2ELNS1_11target_archE906ELNS1_3gpuE6ELNS1_3repE0EEENS1_36merge_oddeven_config_static_selectorELNS0_4arch9wavefront6targetE1EEEvSL_.has_dyn_sized_stack, 0
	.set _ZN7rocprim17ROCPRIM_400000_NS6detail17trampoline_kernelINS0_14default_configENS1_38merge_sort_block_merge_config_selectorIiNS0_10empty_typeEEEZZNS1_27merge_sort_block_merge_implIS3_N6thrust23THRUST_200600_302600_NS6detail15normal_iteratorINS9_10device_ptrIiEEEEPS5_jNS1_19radix_merge_compareILb1ELb0EiNS0_19identity_decomposerEEEEE10hipError_tT0_T1_T2_jT3_P12ihipStream_tbPNSt15iterator_traitsISK_E10value_typeEPNSQ_ISL_E10value_typeEPSM_NS1_7vsmem_tEENKUlT_SK_SL_SM_E_clIPiSE_SF_SF_EESJ_SZ_SK_SL_SM_EUlSZ_E1_NS1_11comp_targetILNS1_3genE2ELNS1_11target_archE906ELNS1_3gpuE6ELNS1_3repE0EEENS1_36merge_oddeven_config_static_selectorELNS0_4arch9wavefront6targetE1EEEvSL_.has_recursion, 0
	.set _ZN7rocprim17ROCPRIM_400000_NS6detail17trampoline_kernelINS0_14default_configENS1_38merge_sort_block_merge_config_selectorIiNS0_10empty_typeEEEZZNS1_27merge_sort_block_merge_implIS3_N6thrust23THRUST_200600_302600_NS6detail15normal_iteratorINS9_10device_ptrIiEEEEPS5_jNS1_19radix_merge_compareILb1ELb0EiNS0_19identity_decomposerEEEEE10hipError_tT0_T1_T2_jT3_P12ihipStream_tbPNSt15iterator_traitsISK_E10value_typeEPNSQ_ISL_E10value_typeEPSM_NS1_7vsmem_tEENKUlT_SK_SL_SM_E_clIPiSE_SF_SF_EESJ_SZ_SK_SL_SM_EUlSZ_E1_NS1_11comp_targetILNS1_3genE2ELNS1_11target_archE906ELNS1_3gpuE6ELNS1_3repE0EEENS1_36merge_oddeven_config_static_selectorELNS0_4arch9wavefront6targetE1EEEvSL_.has_indirect_call, 0
	.section	.AMDGPU.csdata,"",@progbits
; Kernel info:
; codeLenInByte = 0
; TotalNumSgprs: 6
; NumVgprs: 0
; NumAgprs: 0
; TotalNumVgprs: 0
; ScratchSize: 0
; MemoryBound: 0
; FloatMode: 240
; IeeeMode: 1
; LDSByteSize: 0 bytes/workgroup (compile time only)
; SGPRBlocks: 0
; VGPRBlocks: 0
; NumSGPRsForWavesPerEU: 6
; NumVGPRsForWavesPerEU: 1
; AccumOffset: 4
; Occupancy: 8
; WaveLimiterHint : 0
; COMPUTE_PGM_RSRC2:SCRATCH_EN: 0
; COMPUTE_PGM_RSRC2:USER_SGPR: 2
; COMPUTE_PGM_RSRC2:TRAP_HANDLER: 0
; COMPUTE_PGM_RSRC2:TGID_X_EN: 1
; COMPUTE_PGM_RSRC2:TGID_Y_EN: 0
; COMPUTE_PGM_RSRC2:TGID_Z_EN: 0
; COMPUTE_PGM_RSRC2:TIDIG_COMP_CNT: 0
; COMPUTE_PGM_RSRC3_GFX90A:ACCUM_OFFSET: 0
; COMPUTE_PGM_RSRC3_GFX90A:TG_SPLIT: 0
	.section	.text._ZN7rocprim17ROCPRIM_400000_NS6detail17trampoline_kernelINS0_14default_configENS1_38merge_sort_block_merge_config_selectorIiNS0_10empty_typeEEEZZNS1_27merge_sort_block_merge_implIS3_N6thrust23THRUST_200600_302600_NS6detail15normal_iteratorINS9_10device_ptrIiEEEEPS5_jNS1_19radix_merge_compareILb1ELb0EiNS0_19identity_decomposerEEEEE10hipError_tT0_T1_T2_jT3_P12ihipStream_tbPNSt15iterator_traitsISK_E10value_typeEPNSQ_ISL_E10value_typeEPSM_NS1_7vsmem_tEENKUlT_SK_SL_SM_E_clIPiSE_SF_SF_EESJ_SZ_SK_SL_SM_EUlSZ_E1_NS1_11comp_targetILNS1_3genE9ELNS1_11target_archE1100ELNS1_3gpuE3ELNS1_3repE0EEENS1_36merge_oddeven_config_static_selectorELNS0_4arch9wavefront6targetE1EEEvSL_,"axG",@progbits,_ZN7rocprim17ROCPRIM_400000_NS6detail17trampoline_kernelINS0_14default_configENS1_38merge_sort_block_merge_config_selectorIiNS0_10empty_typeEEEZZNS1_27merge_sort_block_merge_implIS3_N6thrust23THRUST_200600_302600_NS6detail15normal_iteratorINS9_10device_ptrIiEEEEPS5_jNS1_19radix_merge_compareILb1ELb0EiNS0_19identity_decomposerEEEEE10hipError_tT0_T1_T2_jT3_P12ihipStream_tbPNSt15iterator_traitsISK_E10value_typeEPNSQ_ISL_E10value_typeEPSM_NS1_7vsmem_tEENKUlT_SK_SL_SM_E_clIPiSE_SF_SF_EESJ_SZ_SK_SL_SM_EUlSZ_E1_NS1_11comp_targetILNS1_3genE9ELNS1_11target_archE1100ELNS1_3gpuE3ELNS1_3repE0EEENS1_36merge_oddeven_config_static_selectorELNS0_4arch9wavefront6targetE1EEEvSL_,comdat
	.protected	_ZN7rocprim17ROCPRIM_400000_NS6detail17trampoline_kernelINS0_14default_configENS1_38merge_sort_block_merge_config_selectorIiNS0_10empty_typeEEEZZNS1_27merge_sort_block_merge_implIS3_N6thrust23THRUST_200600_302600_NS6detail15normal_iteratorINS9_10device_ptrIiEEEEPS5_jNS1_19radix_merge_compareILb1ELb0EiNS0_19identity_decomposerEEEEE10hipError_tT0_T1_T2_jT3_P12ihipStream_tbPNSt15iterator_traitsISK_E10value_typeEPNSQ_ISL_E10value_typeEPSM_NS1_7vsmem_tEENKUlT_SK_SL_SM_E_clIPiSE_SF_SF_EESJ_SZ_SK_SL_SM_EUlSZ_E1_NS1_11comp_targetILNS1_3genE9ELNS1_11target_archE1100ELNS1_3gpuE3ELNS1_3repE0EEENS1_36merge_oddeven_config_static_selectorELNS0_4arch9wavefront6targetE1EEEvSL_ ; -- Begin function _ZN7rocprim17ROCPRIM_400000_NS6detail17trampoline_kernelINS0_14default_configENS1_38merge_sort_block_merge_config_selectorIiNS0_10empty_typeEEEZZNS1_27merge_sort_block_merge_implIS3_N6thrust23THRUST_200600_302600_NS6detail15normal_iteratorINS9_10device_ptrIiEEEEPS5_jNS1_19radix_merge_compareILb1ELb0EiNS0_19identity_decomposerEEEEE10hipError_tT0_T1_T2_jT3_P12ihipStream_tbPNSt15iterator_traitsISK_E10value_typeEPNSQ_ISL_E10value_typeEPSM_NS1_7vsmem_tEENKUlT_SK_SL_SM_E_clIPiSE_SF_SF_EESJ_SZ_SK_SL_SM_EUlSZ_E1_NS1_11comp_targetILNS1_3genE9ELNS1_11target_archE1100ELNS1_3gpuE3ELNS1_3repE0EEENS1_36merge_oddeven_config_static_selectorELNS0_4arch9wavefront6targetE1EEEvSL_
	.globl	_ZN7rocprim17ROCPRIM_400000_NS6detail17trampoline_kernelINS0_14default_configENS1_38merge_sort_block_merge_config_selectorIiNS0_10empty_typeEEEZZNS1_27merge_sort_block_merge_implIS3_N6thrust23THRUST_200600_302600_NS6detail15normal_iteratorINS9_10device_ptrIiEEEEPS5_jNS1_19radix_merge_compareILb1ELb0EiNS0_19identity_decomposerEEEEE10hipError_tT0_T1_T2_jT3_P12ihipStream_tbPNSt15iterator_traitsISK_E10value_typeEPNSQ_ISL_E10value_typeEPSM_NS1_7vsmem_tEENKUlT_SK_SL_SM_E_clIPiSE_SF_SF_EESJ_SZ_SK_SL_SM_EUlSZ_E1_NS1_11comp_targetILNS1_3genE9ELNS1_11target_archE1100ELNS1_3gpuE3ELNS1_3repE0EEENS1_36merge_oddeven_config_static_selectorELNS0_4arch9wavefront6targetE1EEEvSL_
	.p2align	8
	.type	_ZN7rocprim17ROCPRIM_400000_NS6detail17trampoline_kernelINS0_14default_configENS1_38merge_sort_block_merge_config_selectorIiNS0_10empty_typeEEEZZNS1_27merge_sort_block_merge_implIS3_N6thrust23THRUST_200600_302600_NS6detail15normal_iteratorINS9_10device_ptrIiEEEEPS5_jNS1_19radix_merge_compareILb1ELb0EiNS0_19identity_decomposerEEEEE10hipError_tT0_T1_T2_jT3_P12ihipStream_tbPNSt15iterator_traitsISK_E10value_typeEPNSQ_ISL_E10value_typeEPSM_NS1_7vsmem_tEENKUlT_SK_SL_SM_E_clIPiSE_SF_SF_EESJ_SZ_SK_SL_SM_EUlSZ_E1_NS1_11comp_targetILNS1_3genE9ELNS1_11target_archE1100ELNS1_3gpuE3ELNS1_3repE0EEENS1_36merge_oddeven_config_static_selectorELNS0_4arch9wavefront6targetE1EEEvSL_,@function
_ZN7rocprim17ROCPRIM_400000_NS6detail17trampoline_kernelINS0_14default_configENS1_38merge_sort_block_merge_config_selectorIiNS0_10empty_typeEEEZZNS1_27merge_sort_block_merge_implIS3_N6thrust23THRUST_200600_302600_NS6detail15normal_iteratorINS9_10device_ptrIiEEEEPS5_jNS1_19radix_merge_compareILb1ELb0EiNS0_19identity_decomposerEEEEE10hipError_tT0_T1_T2_jT3_P12ihipStream_tbPNSt15iterator_traitsISK_E10value_typeEPNSQ_ISL_E10value_typeEPSM_NS1_7vsmem_tEENKUlT_SK_SL_SM_E_clIPiSE_SF_SF_EESJ_SZ_SK_SL_SM_EUlSZ_E1_NS1_11comp_targetILNS1_3genE9ELNS1_11target_archE1100ELNS1_3gpuE3ELNS1_3repE0EEENS1_36merge_oddeven_config_static_selectorELNS0_4arch9wavefront6targetE1EEEvSL_: ; @_ZN7rocprim17ROCPRIM_400000_NS6detail17trampoline_kernelINS0_14default_configENS1_38merge_sort_block_merge_config_selectorIiNS0_10empty_typeEEEZZNS1_27merge_sort_block_merge_implIS3_N6thrust23THRUST_200600_302600_NS6detail15normal_iteratorINS9_10device_ptrIiEEEEPS5_jNS1_19radix_merge_compareILb1ELb0EiNS0_19identity_decomposerEEEEE10hipError_tT0_T1_T2_jT3_P12ihipStream_tbPNSt15iterator_traitsISK_E10value_typeEPNSQ_ISL_E10value_typeEPSM_NS1_7vsmem_tEENKUlT_SK_SL_SM_E_clIPiSE_SF_SF_EESJ_SZ_SK_SL_SM_EUlSZ_E1_NS1_11comp_targetILNS1_3genE9ELNS1_11target_archE1100ELNS1_3gpuE3ELNS1_3repE0EEENS1_36merge_oddeven_config_static_selectorELNS0_4arch9wavefront6targetE1EEEvSL_
; %bb.0:
	.section	.rodata,"a",@progbits
	.p2align	6, 0x0
	.amdhsa_kernel _ZN7rocprim17ROCPRIM_400000_NS6detail17trampoline_kernelINS0_14default_configENS1_38merge_sort_block_merge_config_selectorIiNS0_10empty_typeEEEZZNS1_27merge_sort_block_merge_implIS3_N6thrust23THRUST_200600_302600_NS6detail15normal_iteratorINS9_10device_ptrIiEEEEPS5_jNS1_19radix_merge_compareILb1ELb0EiNS0_19identity_decomposerEEEEE10hipError_tT0_T1_T2_jT3_P12ihipStream_tbPNSt15iterator_traitsISK_E10value_typeEPNSQ_ISL_E10value_typeEPSM_NS1_7vsmem_tEENKUlT_SK_SL_SM_E_clIPiSE_SF_SF_EESJ_SZ_SK_SL_SM_EUlSZ_E1_NS1_11comp_targetILNS1_3genE9ELNS1_11target_archE1100ELNS1_3gpuE3ELNS1_3repE0EEENS1_36merge_oddeven_config_static_selectorELNS0_4arch9wavefront6targetE1EEEvSL_
		.amdhsa_group_segment_fixed_size 0
		.amdhsa_private_segment_fixed_size 0
		.amdhsa_kernarg_size 48
		.amdhsa_user_sgpr_count 2
		.amdhsa_user_sgpr_dispatch_ptr 0
		.amdhsa_user_sgpr_queue_ptr 0
		.amdhsa_user_sgpr_kernarg_segment_ptr 1
		.amdhsa_user_sgpr_dispatch_id 0
		.amdhsa_user_sgpr_kernarg_preload_length 0
		.amdhsa_user_sgpr_kernarg_preload_offset 0
		.amdhsa_user_sgpr_private_segment_size 0
		.amdhsa_uses_dynamic_stack 0
		.amdhsa_enable_private_segment 0
		.amdhsa_system_sgpr_workgroup_id_x 1
		.amdhsa_system_sgpr_workgroup_id_y 0
		.amdhsa_system_sgpr_workgroup_id_z 0
		.amdhsa_system_sgpr_workgroup_info 0
		.amdhsa_system_vgpr_workitem_id 0
		.amdhsa_next_free_vgpr 1
		.amdhsa_next_free_sgpr 0
		.amdhsa_accum_offset 4
		.amdhsa_reserve_vcc 0
		.amdhsa_float_round_mode_32 0
		.amdhsa_float_round_mode_16_64 0
		.amdhsa_float_denorm_mode_32 3
		.amdhsa_float_denorm_mode_16_64 3
		.amdhsa_dx10_clamp 1
		.amdhsa_ieee_mode 1
		.amdhsa_fp16_overflow 0
		.amdhsa_tg_split 0
		.amdhsa_exception_fp_ieee_invalid_op 0
		.amdhsa_exception_fp_denorm_src 0
		.amdhsa_exception_fp_ieee_div_zero 0
		.amdhsa_exception_fp_ieee_overflow 0
		.amdhsa_exception_fp_ieee_underflow 0
		.amdhsa_exception_fp_ieee_inexact 0
		.amdhsa_exception_int_div_zero 0
	.end_amdhsa_kernel
	.section	.text._ZN7rocprim17ROCPRIM_400000_NS6detail17trampoline_kernelINS0_14default_configENS1_38merge_sort_block_merge_config_selectorIiNS0_10empty_typeEEEZZNS1_27merge_sort_block_merge_implIS3_N6thrust23THRUST_200600_302600_NS6detail15normal_iteratorINS9_10device_ptrIiEEEEPS5_jNS1_19radix_merge_compareILb1ELb0EiNS0_19identity_decomposerEEEEE10hipError_tT0_T1_T2_jT3_P12ihipStream_tbPNSt15iterator_traitsISK_E10value_typeEPNSQ_ISL_E10value_typeEPSM_NS1_7vsmem_tEENKUlT_SK_SL_SM_E_clIPiSE_SF_SF_EESJ_SZ_SK_SL_SM_EUlSZ_E1_NS1_11comp_targetILNS1_3genE9ELNS1_11target_archE1100ELNS1_3gpuE3ELNS1_3repE0EEENS1_36merge_oddeven_config_static_selectorELNS0_4arch9wavefront6targetE1EEEvSL_,"axG",@progbits,_ZN7rocprim17ROCPRIM_400000_NS6detail17trampoline_kernelINS0_14default_configENS1_38merge_sort_block_merge_config_selectorIiNS0_10empty_typeEEEZZNS1_27merge_sort_block_merge_implIS3_N6thrust23THRUST_200600_302600_NS6detail15normal_iteratorINS9_10device_ptrIiEEEEPS5_jNS1_19radix_merge_compareILb1ELb0EiNS0_19identity_decomposerEEEEE10hipError_tT0_T1_T2_jT3_P12ihipStream_tbPNSt15iterator_traitsISK_E10value_typeEPNSQ_ISL_E10value_typeEPSM_NS1_7vsmem_tEENKUlT_SK_SL_SM_E_clIPiSE_SF_SF_EESJ_SZ_SK_SL_SM_EUlSZ_E1_NS1_11comp_targetILNS1_3genE9ELNS1_11target_archE1100ELNS1_3gpuE3ELNS1_3repE0EEENS1_36merge_oddeven_config_static_selectorELNS0_4arch9wavefront6targetE1EEEvSL_,comdat
.Lfunc_end244:
	.size	_ZN7rocprim17ROCPRIM_400000_NS6detail17trampoline_kernelINS0_14default_configENS1_38merge_sort_block_merge_config_selectorIiNS0_10empty_typeEEEZZNS1_27merge_sort_block_merge_implIS3_N6thrust23THRUST_200600_302600_NS6detail15normal_iteratorINS9_10device_ptrIiEEEEPS5_jNS1_19radix_merge_compareILb1ELb0EiNS0_19identity_decomposerEEEEE10hipError_tT0_T1_T2_jT3_P12ihipStream_tbPNSt15iterator_traitsISK_E10value_typeEPNSQ_ISL_E10value_typeEPSM_NS1_7vsmem_tEENKUlT_SK_SL_SM_E_clIPiSE_SF_SF_EESJ_SZ_SK_SL_SM_EUlSZ_E1_NS1_11comp_targetILNS1_3genE9ELNS1_11target_archE1100ELNS1_3gpuE3ELNS1_3repE0EEENS1_36merge_oddeven_config_static_selectorELNS0_4arch9wavefront6targetE1EEEvSL_, .Lfunc_end244-_ZN7rocprim17ROCPRIM_400000_NS6detail17trampoline_kernelINS0_14default_configENS1_38merge_sort_block_merge_config_selectorIiNS0_10empty_typeEEEZZNS1_27merge_sort_block_merge_implIS3_N6thrust23THRUST_200600_302600_NS6detail15normal_iteratorINS9_10device_ptrIiEEEEPS5_jNS1_19radix_merge_compareILb1ELb0EiNS0_19identity_decomposerEEEEE10hipError_tT0_T1_T2_jT3_P12ihipStream_tbPNSt15iterator_traitsISK_E10value_typeEPNSQ_ISL_E10value_typeEPSM_NS1_7vsmem_tEENKUlT_SK_SL_SM_E_clIPiSE_SF_SF_EESJ_SZ_SK_SL_SM_EUlSZ_E1_NS1_11comp_targetILNS1_3genE9ELNS1_11target_archE1100ELNS1_3gpuE3ELNS1_3repE0EEENS1_36merge_oddeven_config_static_selectorELNS0_4arch9wavefront6targetE1EEEvSL_
                                        ; -- End function
	.set _ZN7rocprim17ROCPRIM_400000_NS6detail17trampoline_kernelINS0_14default_configENS1_38merge_sort_block_merge_config_selectorIiNS0_10empty_typeEEEZZNS1_27merge_sort_block_merge_implIS3_N6thrust23THRUST_200600_302600_NS6detail15normal_iteratorINS9_10device_ptrIiEEEEPS5_jNS1_19radix_merge_compareILb1ELb0EiNS0_19identity_decomposerEEEEE10hipError_tT0_T1_T2_jT3_P12ihipStream_tbPNSt15iterator_traitsISK_E10value_typeEPNSQ_ISL_E10value_typeEPSM_NS1_7vsmem_tEENKUlT_SK_SL_SM_E_clIPiSE_SF_SF_EESJ_SZ_SK_SL_SM_EUlSZ_E1_NS1_11comp_targetILNS1_3genE9ELNS1_11target_archE1100ELNS1_3gpuE3ELNS1_3repE0EEENS1_36merge_oddeven_config_static_selectorELNS0_4arch9wavefront6targetE1EEEvSL_.num_vgpr, 0
	.set _ZN7rocprim17ROCPRIM_400000_NS6detail17trampoline_kernelINS0_14default_configENS1_38merge_sort_block_merge_config_selectorIiNS0_10empty_typeEEEZZNS1_27merge_sort_block_merge_implIS3_N6thrust23THRUST_200600_302600_NS6detail15normal_iteratorINS9_10device_ptrIiEEEEPS5_jNS1_19radix_merge_compareILb1ELb0EiNS0_19identity_decomposerEEEEE10hipError_tT0_T1_T2_jT3_P12ihipStream_tbPNSt15iterator_traitsISK_E10value_typeEPNSQ_ISL_E10value_typeEPSM_NS1_7vsmem_tEENKUlT_SK_SL_SM_E_clIPiSE_SF_SF_EESJ_SZ_SK_SL_SM_EUlSZ_E1_NS1_11comp_targetILNS1_3genE9ELNS1_11target_archE1100ELNS1_3gpuE3ELNS1_3repE0EEENS1_36merge_oddeven_config_static_selectorELNS0_4arch9wavefront6targetE1EEEvSL_.num_agpr, 0
	.set _ZN7rocprim17ROCPRIM_400000_NS6detail17trampoline_kernelINS0_14default_configENS1_38merge_sort_block_merge_config_selectorIiNS0_10empty_typeEEEZZNS1_27merge_sort_block_merge_implIS3_N6thrust23THRUST_200600_302600_NS6detail15normal_iteratorINS9_10device_ptrIiEEEEPS5_jNS1_19radix_merge_compareILb1ELb0EiNS0_19identity_decomposerEEEEE10hipError_tT0_T1_T2_jT3_P12ihipStream_tbPNSt15iterator_traitsISK_E10value_typeEPNSQ_ISL_E10value_typeEPSM_NS1_7vsmem_tEENKUlT_SK_SL_SM_E_clIPiSE_SF_SF_EESJ_SZ_SK_SL_SM_EUlSZ_E1_NS1_11comp_targetILNS1_3genE9ELNS1_11target_archE1100ELNS1_3gpuE3ELNS1_3repE0EEENS1_36merge_oddeven_config_static_selectorELNS0_4arch9wavefront6targetE1EEEvSL_.numbered_sgpr, 0
	.set _ZN7rocprim17ROCPRIM_400000_NS6detail17trampoline_kernelINS0_14default_configENS1_38merge_sort_block_merge_config_selectorIiNS0_10empty_typeEEEZZNS1_27merge_sort_block_merge_implIS3_N6thrust23THRUST_200600_302600_NS6detail15normal_iteratorINS9_10device_ptrIiEEEEPS5_jNS1_19radix_merge_compareILb1ELb0EiNS0_19identity_decomposerEEEEE10hipError_tT0_T1_T2_jT3_P12ihipStream_tbPNSt15iterator_traitsISK_E10value_typeEPNSQ_ISL_E10value_typeEPSM_NS1_7vsmem_tEENKUlT_SK_SL_SM_E_clIPiSE_SF_SF_EESJ_SZ_SK_SL_SM_EUlSZ_E1_NS1_11comp_targetILNS1_3genE9ELNS1_11target_archE1100ELNS1_3gpuE3ELNS1_3repE0EEENS1_36merge_oddeven_config_static_selectorELNS0_4arch9wavefront6targetE1EEEvSL_.num_named_barrier, 0
	.set _ZN7rocprim17ROCPRIM_400000_NS6detail17trampoline_kernelINS0_14default_configENS1_38merge_sort_block_merge_config_selectorIiNS0_10empty_typeEEEZZNS1_27merge_sort_block_merge_implIS3_N6thrust23THRUST_200600_302600_NS6detail15normal_iteratorINS9_10device_ptrIiEEEEPS5_jNS1_19radix_merge_compareILb1ELb0EiNS0_19identity_decomposerEEEEE10hipError_tT0_T1_T2_jT3_P12ihipStream_tbPNSt15iterator_traitsISK_E10value_typeEPNSQ_ISL_E10value_typeEPSM_NS1_7vsmem_tEENKUlT_SK_SL_SM_E_clIPiSE_SF_SF_EESJ_SZ_SK_SL_SM_EUlSZ_E1_NS1_11comp_targetILNS1_3genE9ELNS1_11target_archE1100ELNS1_3gpuE3ELNS1_3repE0EEENS1_36merge_oddeven_config_static_selectorELNS0_4arch9wavefront6targetE1EEEvSL_.private_seg_size, 0
	.set _ZN7rocprim17ROCPRIM_400000_NS6detail17trampoline_kernelINS0_14default_configENS1_38merge_sort_block_merge_config_selectorIiNS0_10empty_typeEEEZZNS1_27merge_sort_block_merge_implIS3_N6thrust23THRUST_200600_302600_NS6detail15normal_iteratorINS9_10device_ptrIiEEEEPS5_jNS1_19radix_merge_compareILb1ELb0EiNS0_19identity_decomposerEEEEE10hipError_tT0_T1_T2_jT3_P12ihipStream_tbPNSt15iterator_traitsISK_E10value_typeEPNSQ_ISL_E10value_typeEPSM_NS1_7vsmem_tEENKUlT_SK_SL_SM_E_clIPiSE_SF_SF_EESJ_SZ_SK_SL_SM_EUlSZ_E1_NS1_11comp_targetILNS1_3genE9ELNS1_11target_archE1100ELNS1_3gpuE3ELNS1_3repE0EEENS1_36merge_oddeven_config_static_selectorELNS0_4arch9wavefront6targetE1EEEvSL_.uses_vcc, 0
	.set _ZN7rocprim17ROCPRIM_400000_NS6detail17trampoline_kernelINS0_14default_configENS1_38merge_sort_block_merge_config_selectorIiNS0_10empty_typeEEEZZNS1_27merge_sort_block_merge_implIS3_N6thrust23THRUST_200600_302600_NS6detail15normal_iteratorINS9_10device_ptrIiEEEEPS5_jNS1_19radix_merge_compareILb1ELb0EiNS0_19identity_decomposerEEEEE10hipError_tT0_T1_T2_jT3_P12ihipStream_tbPNSt15iterator_traitsISK_E10value_typeEPNSQ_ISL_E10value_typeEPSM_NS1_7vsmem_tEENKUlT_SK_SL_SM_E_clIPiSE_SF_SF_EESJ_SZ_SK_SL_SM_EUlSZ_E1_NS1_11comp_targetILNS1_3genE9ELNS1_11target_archE1100ELNS1_3gpuE3ELNS1_3repE0EEENS1_36merge_oddeven_config_static_selectorELNS0_4arch9wavefront6targetE1EEEvSL_.uses_flat_scratch, 0
	.set _ZN7rocprim17ROCPRIM_400000_NS6detail17trampoline_kernelINS0_14default_configENS1_38merge_sort_block_merge_config_selectorIiNS0_10empty_typeEEEZZNS1_27merge_sort_block_merge_implIS3_N6thrust23THRUST_200600_302600_NS6detail15normal_iteratorINS9_10device_ptrIiEEEEPS5_jNS1_19radix_merge_compareILb1ELb0EiNS0_19identity_decomposerEEEEE10hipError_tT0_T1_T2_jT3_P12ihipStream_tbPNSt15iterator_traitsISK_E10value_typeEPNSQ_ISL_E10value_typeEPSM_NS1_7vsmem_tEENKUlT_SK_SL_SM_E_clIPiSE_SF_SF_EESJ_SZ_SK_SL_SM_EUlSZ_E1_NS1_11comp_targetILNS1_3genE9ELNS1_11target_archE1100ELNS1_3gpuE3ELNS1_3repE0EEENS1_36merge_oddeven_config_static_selectorELNS0_4arch9wavefront6targetE1EEEvSL_.has_dyn_sized_stack, 0
	.set _ZN7rocprim17ROCPRIM_400000_NS6detail17trampoline_kernelINS0_14default_configENS1_38merge_sort_block_merge_config_selectorIiNS0_10empty_typeEEEZZNS1_27merge_sort_block_merge_implIS3_N6thrust23THRUST_200600_302600_NS6detail15normal_iteratorINS9_10device_ptrIiEEEEPS5_jNS1_19radix_merge_compareILb1ELb0EiNS0_19identity_decomposerEEEEE10hipError_tT0_T1_T2_jT3_P12ihipStream_tbPNSt15iterator_traitsISK_E10value_typeEPNSQ_ISL_E10value_typeEPSM_NS1_7vsmem_tEENKUlT_SK_SL_SM_E_clIPiSE_SF_SF_EESJ_SZ_SK_SL_SM_EUlSZ_E1_NS1_11comp_targetILNS1_3genE9ELNS1_11target_archE1100ELNS1_3gpuE3ELNS1_3repE0EEENS1_36merge_oddeven_config_static_selectorELNS0_4arch9wavefront6targetE1EEEvSL_.has_recursion, 0
	.set _ZN7rocprim17ROCPRIM_400000_NS6detail17trampoline_kernelINS0_14default_configENS1_38merge_sort_block_merge_config_selectorIiNS0_10empty_typeEEEZZNS1_27merge_sort_block_merge_implIS3_N6thrust23THRUST_200600_302600_NS6detail15normal_iteratorINS9_10device_ptrIiEEEEPS5_jNS1_19radix_merge_compareILb1ELb0EiNS0_19identity_decomposerEEEEE10hipError_tT0_T1_T2_jT3_P12ihipStream_tbPNSt15iterator_traitsISK_E10value_typeEPNSQ_ISL_E10value_typeEPSM_NS1_7vsmem_tEENKUlT_SK_SL_SM_E_clIPiSE_SF_SF_EESJ_SZ_SK_SL_SM_EUlSZ_E1_NS1_11comp_targetILNS1_3genE9ELNS1_11target_archE1100ELNS1_3gpuE3ELNS1_3repE0EEENS1_36merge_oddeven_config_static_selectorELNS0_4arch9wavefront6targetE1EEEvSL_.has_indirect_call, 0
	.section	.AMDGPU.csdata,"",@progbits
; Kernel info:
; codeLenInByte = 0
; TotalNumSgprs: 6
; NumVgprs: 0
; NumAgprs: 0
; TotalNumVgprs: 0
; ScratchSize: 0
; MemoryBound: 0
; FloatMode: 240
; IeeeMode: 1
; LDSByteSize: 0 bytes/workgroup (compile time only)
; SGPRBlocks: 0
; VGPRBlocks: 0
; NumSGPRsForWavesPerEU: 6
; NumVGPRsForWavesPerEU: 1
; AccumOffset: 4
; Occupancy: 8
; WaveLimiterHint : 0
; COMPUTE_PGM_RSRC2:SCRATCH_EN: 0
; COMPUTE_PGM_RSRC2:USER_SGPR: 2
; COMPUTE_PGM_RSRC2:TRAP_HANDLER: 0
; COMPUTE_PGM_RSRC2:TGID_X_EN: 1
; COMPUTE_PGM_RSRC2:TGID_Y_EN: 0
; COMPUTE_PGM_RSRC2:TGID_Z_EN: 0
; COMPUTE_PGM_RSRC2:TIDIG_COMP_CNT: 0
; COMPUTE_PGM_RSRC3_GFX90A:ACCUM_OFFSET: 0
; COMPUTE_PGM_RSRC3_GFX90A:TG_SPLIT: 0
	.section	.text._ZN7rocprim17ROCPRIM_400000_NS6detail17trampoline_kernelINS0_14default_configENS1_38merge_sort_block_merge_config_selectorIiNS0_10empty_typeEEEZZNS1_27merge_sort_block_merge_implIS3_N6thrust23THRUST_200600_302600_NS6detail15normal_iteratorINS9_10device_ptrIiEEEEPS5_jNS1_19radix_merge_compareILb1ELb0EiNS0_19identity_decomposerEEEEE10hipError_tT0_T1_T2_jT3_P12ihipStream_tbPNSt15iterator_traitsISK_E10value_typeEPNSQ_ISL_E10value_typeEPSM_NS1_7vsmem_tEENKUlT_SK_SL_SM_E_clIPiSE_SF_SF_EESJ_SZ_SK_SL_SM_EUlSZ_E1_NS1_11comp_targetILNS1_3genE8ELNS1_11target_archE1030ELNS1_3gpuE2ELNS1_3repE0EEENS1_36merge_oddeven_config_static_selectorELNS0_4arch9wavefront6targetE1EEEvSL_,"axG",@progbits,_ZN7rocprim17ROCPRIM_400000_NS6detail17trampoline_kernelINS0_14default_configENS1_38merge_sort_block_merge_config_selectorIiNS0_10empty_typeEEEZZNS1_27merge_sort_block_merge_implIS3_N6thrust23THRUST_200600_302600_NS6detail15normal_iteratorINS9_10device_ptrIiEEEEPS5_jNS1_19radix_merge_compareILb1ELb0EiNS0_19identity_decomposerEEEEE10hipError_tT0_T1_T2_jT3_P12ihipStream_tbPNSt15iterator_traitsISK_E10value_typeEPNSQ_ISL_E10value_typeEPSM_NS1_7vsmem_tEENKUlT_SK_SL_SM_E_clIPiSE_SF_SF_EESJ_SZ_SK_SL_SM_EUlSZ_E1_NS1_11comp_targetILNS1_3genE8ELNS1_11target_archE1030ELNS1_3gpuE2ELNS1_3repE0EEENS1_36merge_oddeven_config_static_selectorELNS0_4arch9wavefront6targetE1EEEvSL_,comdat
	.protected	_ZN7rocprim17ROCPRIM_400000_NS6detail17trampoline_kernelINS0_14default_configENS1_38merge_sort_block_merge_config_selectorIiNS0_10empty_typeEEEZZNS1_27merge_sort_block_merge_implIS3_N6thrust23THRUST_200600_302600_NS6detail15normal_iteratorINS9_10device_ptrIiEEEEPS5_jNS1_19radix_merge_compareILb1ELb0EiNS0_19identity_decomposerEEEEE10hipError_tT0_T1_T2_jT3_P12ihipStream_tbPNSt15iterator_traitsISK_E10value_typeEPNSQ_ISL_E10value_typeEPSM_NS1_7vsmem_tEENKUlT_SK_SL_SM_E_clIPiSE_SF_SF_EESJ_SZ_SK_SL_SM_EUlSZ_E1_NS1_11comp_targetILNS1_3genE8ELNS1_11target_archE1030ELNS1_3gpuE2ELNS1_3repE0EEENS1_36merge_oddeven_config_static_selectorELNS0_4arch9wavefront6targetE1EEEvSL_ ; -- Begin function _ZN7rocprim17ROCPRIM_400000_NS6detail17trampoline_kernelINS0_14default_configENS1_38merge_sort_block_merge_config_selectorIiNS0_10empty_typeEEEZZNS1_27merge_sort_block_merge_implIS3_N6thrust23THRUST_200600_302600_NS6detail15normal_iteratorINS9_10device_ptrIiEEEEPS5_jNS1_19radix_merge_compareILb1ELb0EiNS0_19identity_decomposerEEEEE10hipError_tT0_T1_T2_jT3_P12ihipStream_tbPNSt15iterator_traitsISK_E10value_typeEPNSQ_ISL_E10value_typeEPSM_NS1_7vsmem_tEENKUlT_SK_SL_SM_E_clIPiSE_SF_SF_EESJ_SZ_SK_SL_SM_EUlSZ_E1_NS1_11comp_targetILNS1_3genE8ELNS1_11target_archE1030ELNS1_3gpuE2ELNS1_3repE0EEENS1_36merge_oddeven_config_static_selectorELNS0_4arch9wavefront6targetE1EEEvSL_
	.globl	_ZN7rocprim17ROCPRIM_400000_NS6detail17trampoline_kernelINS0_14default_configENS1_38merge_sort_block_merge_config_selectorIiNS0_10empty_typeEEEZZNS1_27merge_sort_block_merge_implIS3_N6thrust23THRUST_200600_302600_NS6detail15normal_iteratorINS9_10device_ptrIiEEEEPS5_jNS1_19radix_merge_compareILb1ELb0EiNS0_19identity_decomposerEEEEE10hipError_tT0_T1_T2_jT3_P12ihipStream_tbPNSt15iterator_traitsISK_E10value_typeEPNSQ_ISL_E10value_typeEPSM_NS1_7vsmem_tEENKUlT_SK_SL_SM_E_clIPiSE_SF_SF_EESJ_SZ_SK_SL_SM_EUlSZ_E1_NS1_11comp_targetILNS1_3genE8ELNS1_11target_archE1030ELNS1_3gpuE2ELNS1_3repE0EEENS1_36merge_oddeven_config_static_selectorELNS0_4arch9wavefront6targetE1EEEvSL_
	.p2align	8
	.type	_ZN7rocprim17ROCPRIM_400000_NS6detail17trampoline_kernelINS0_14default_configENS1_38merge_sort_block_merge_config_selectorIiNS0_10empty_typeEEEZZNS1_27merge_sort_block_merge_implIS3_N6thrust23THRUST_200600_302600_NS6detail15normal_iteratorINS9_10device_ptrIiEEEEPS5_jNS1_19radix_merge_compareILb1ELb0EiNS0_19identity_decomposerEEEEE10hipError_tT0_T1_T2_jT3_P12ihipStream_tbPNSt15iterator_traitsISK_E10value_typeEPNSQ_ISL_E10value_typeEPSM_NS1_7vsmem_tEENKUlT_SK_SL_SM_E_clIPiSE_SF_SF_EESJ_SZ_SK_SL_SM_EUlSZ_E1_NS1_11comp_targetILNS1_3genE8ELNS1_11target_archE1030ELNS1_3gpuE2ELNS1_3repE0EEENS1_36merge_oddeven_config_static_selectorELNS0_4arch9wavefront6targetE1EEEvSL_,@function
_ZN7rocprim17ROCPRIM_400000_NS6detail17trampoline_kernelINS0_14default_configENS1_38merge_sort_block_merge_config_selectorIiNS0_10empty_typeEEEZZNS1_27merge_sort_block_merge_implIS3_N6thrust23THRUST_200600_302600_NS6detail15normal_iteratorINS9_10device_ptrIiEEEEPS5_jNS1_19radix_merge_compareILb1ELb0EiNS0_19identity_decomposerEEEEE10hipError_tT0_T1_T2_jT3_P12ihipStream_tbPNSt15iterator_traitsISK_E10value_typeEPNSQ_ISL_E10value_typeEPSM_NS1_7vsmem_tEENKUlT_SK_SL_SM_E_clIPiSE_SF_SF_EESJ_SZ_SK_SL_SM_EUlSZ_E1_NS1_11comp_targetILNS1_3genE8ELNS1_11target_archE1030ELNS1_3gpuE2ELNS1_3repE0EEENS1_36merge_oddeven_config_static_selectorELNS0_4arch9wavefront6targetE1EEEvSL_: ; @_ZN7rocprim17ROCPRIM_400000_NS6detail17trampoline_kernelINS0_14default_configENS1_38merge_sort_block_merge_config_selectorIiNS0_10empty_typeEEEZZNS1_27merge_sort_block_merge_implIS3_N6thrust23THRUST_200600_302600_NS6detail15normal_iteratorINS9_10device_ptrIiEEEEPS5_jNS1_19radix_merge_compareILb1ELb0EiNS0_19identity_decomposerEEEEE10hipError_tT0_T1_T2_jT3_P12ihipStream_tbPNSt15iterator_traitsISK_E10value_typeEPNSQ_ISL_E10value_typeEPSM_NS1_7vsmem_tEENKUlT_SK_SL_SM_E_clIPiSE_SF_SF_EESJ_SZ_SK_SL_SM_EUlSZ_E1_NS1_11comp_targetILNS1_3genE8ELNS1_11target_archE1030ELNS1_3gpuE2ELNS1_3repE0EEENS1_36merge_oddeven_config_static_selectorELNS0_4arch9wavefront6targetE1EEEvSL_
; %bb.0:
	.section	.rodata,"a",@progbits
	.p2align	6, 0x0
	.amdhsa_kernel _ZN7rocprim17ROCPRIM_400000_NS6detail17trampoline_kernelINS0_14default_configENS1_38merge_sort_block_merge_config_selectorIiNS0_10empty_typeEEEZZNS1_27merge_sort_block_merge_implIS3_N6thrust23THRUST_200600_302600_NS6detail15normal_iteratorINS9_10device_ptrIiEEEEPS5_jNS1_19radix_merge_compareILb1ELb0EiNS0_19identity_decomposerEEEEE10hipError_tT0_T1_T2_jT3_P12ihipStream_tbPNSt15iterator_traitsISK_E10value_typeEPNSQ_ISL_E10value_typeEPSM_NS1_7vsmem_tEENKUlT_SK_SL_SM_E_clIPiSE_SF_SF_EESJ_SZ_SK_SL_SM_EUlSZ_E1_NS1_11comp_targetILNS1_3genE8ELNS1_11target_archE1030ELNS1_3gpuE2ELNS1_3repE0EEENS1_36merge_oddeven_config_static_selectorELNS0_4arch9wavefront6targetE1EEEvSL_
		.amdhsa_group_segment_fixed_size 0
		.amdhsa_private_segment_fixed_size 0
		.amdhsa_kernarg_size 48
		.amdhsa_user_sgpr_count 2
		.amdhsa_user_sgpr_dispatch_ptr 0
		.amdhsa_user_sgpr_queue_ptr 0
		.amdhsa_user_sgpr_kernarg_segment_ptr 1
		.amdhsa_user_sgpr_dispatch_id 0
		.amdhsa_user_sgpr_kernarg_preload_length 0
		.amdhsa_user_sgpr_kernarg_preload_offset 0
		.amdhsa_user_sgpr_private_segment_size 0
		.amdhsa_uses_dynamic_stack 0
		.amdhsa_enable_private_segment 0
		.amdhsa_system_sgpr_workgroup_id_x 1
		.amdhsa_system_sgpr_workgroup_id_y 0
		.amdhsa_system_sgpr_workgroup_id_z 0
		.amdhsa_system_sgpr_workgroup_info 0
		.amdhsa_system_vgpr_workitem_id 0
		.amdhsa_next_free_vgpr 1
		.amdhsa_next_free_sgpr 0
		.amdhsa_accum_offset 4
		.amdhsa_reserve_vcc 0
		.amdhsa_float_round_mode_32 0
		.amdhsa_float_round_mode_16_64 0
		.amdhsa_float_denorm_mode_32 3
		.amdhsa_float_denorm_mode_16_64 3
		.amdhsa_dx10_clamp 1
		.amdhsa_ieee_mode 1
		.amdhsa_fp16_overflow 0
		.amdhsa_tg_split 0
		.amdhsa_exception_fp_ieee_invalid_op 0
		.amdhsa_exception_fp_denorm_src 0
		.amdhsa_exception_fp_ieee_div_zero 0
		.amdhsa_exception_fp_ieee_overflow 0
		.amdhsa_exception_fp_ieee_underflow 0
		.amdhsa_exception_fp_ieee_inexact 0
		.amdhsa_exception_int_div_zero 0
	.end_amdhsa_kernel
	.section	.text._ZN7rocprim17ROCPRIM_400000_NS6detail17trampoline_kernelINS0_14default_configENS1_38merge_sort_block_merge_config_selectorIiNS0_10empty_typeEEEZZNS1_27merge_sort_block_merge_implIS3_N6thrust23THRUST_200600_302600_NS6detail15normal_iteratorINS9_10device_ptrIiEEEEPS5_jNS1_19radix_merge_compareILb1ELb0EiNS0_19identity_decomposerEEEEE10hipError_tT0_T1_T2_jT3_P12ihipStream_tbPNSt15iterator_traitsISK_E10value_typeEPNSQ_ISL_E10value_typeEPSM_NS1_7vsmem_tEENKUlT_SK_SL_SM_E_clIPiSE_SF_SF_EESJ_SZ_SK_SL_SM_EUlSZ_E1_NS1_11comp_targetILNS1_3genE8ELNS1_11target_archE1030ELNS1_3gpuE2ELNS1_3repE0EEENS1_36merge_oddeven_config_static_selectorELNS0_4arch9wavefront6targetE1EEEvSL_,"axG",@progbits,_ZN7rocprim17ROCPRIM_400000_NS6detail17trampoline_kernelINS0_14default_configENS1_38merge_sort_block_merge_config_selectorIiNS0_10empty_typeEEEZZNS1_27merge_sort_block_merge_implIS3_N6thrust23THRUST_200600_302600_NS6detail15normal_iteratorINS9_10device_ptrIiEEEEPS5_jNS1_19radix_merge_compareILb1ELb0EiNS0_19identity_decomposerEEEEE10hipError_tT0_T1_T2_jT3_P12ihipStream_tbPNSt15iterator_traitsISK_E10value_typeEPNSQ_ISL_E10value_typeEPSM_NS1_7vsmem_tEENKUlT_SK_SL_SM_E_clIPiSE_SF_SF_EESJ_SZ_SK_SL_SM_EUlSZ_E1_NS1_11comp_targetILNS1_3genE8ELNS1_11target_archE1030ELNS1_3gpuE2ELNS1_3repE0EEENS1_36merge_oddeven_config_static_selectorELNS0_4arch9wavefront6targetE1EEEvSL_,comdat
.Lfunc_end245:
	.size	_ZN7rocprim17ROCPRIM_400000_NS6detail17trampoline_kernelINS0_14default_configENS1_38merge_sort_block_merge_config_selectorIiNS0_10empty_typeEEEZZNS1_27merge_sort_block_merge_implIS3_N6thrust23THRUST_200600_302600_NS6detail15normal_iteratorINS9_10device_ptrIiEEEEPS5_jNS1_19radix_merge_compareILb1ELb0EiNS0_19identity_decomposerEEEEE10hipError_tT0_T1_T2_jT3_P12ihipStream_tbPNSt15iterator_traitsISK_E10value_typeEPNSQ_ISL_E10value_typeEPSM_NS1_7vsmem_tEENKUlT_SK_SL_SM_E_clIPiSE_SF_SF_EESJ_SZ_SK_SL_SM_EUlSZ_E1_NS1_11comp_targetILNS1_3genE8ELNS1_11target_archE1030ELNS1_3gpuE2ELNS1_3repE0EEENS1_36merge_oddeven_config_static_selectorELNS0_4arch9wavefront6targetE1EEEvSL_, .Lfunc_end245-_ZN7rocprim17ROCPRIM_400000_NS6detail17trampoline_kernelINS0_14default_configENS1_38merge_sort_block_merge_config_selectorIiNS0_10empty_typeEEEZZNS1_27merge_sort_block_merge_implIS3_N6thrust23THRUST_200600_302600_NS6detail15normal_iteratorINS9_10device_ptrIiEEEEPS5_jNS1_19radix_merge_compareILb1ELb0EiNS0_19identity_decomposerEEEEE10hipError_tT0_T1_T2_jT3_P12ihipStream_tbPNSt15iterator_traitsISK_E10value_typeEPNSQ_ISL_E10value_typeEPSM_NS1_7vsmem_tEENKUlT_SK_SL_SM_E_clIPiSE_SF_SF_EESJ_SZ_SK_SL_SM_EUlSZ_E1_NS1_11comp_targetILNS1_3genE8ELNS1_11target_archE1030ELNS1_3gpuE2ELNS1_3repE0EEENS1_36merge_oddeven_config_static_selectorELNS0_4arch9wavefront6targetE1EEEvSL_
                                        ; -- End function
	.set _ZN7rocprim17ROCPRIM_400000_NS6detail17trampoline_kernelINS0_14default_configENS1_38merge_sort_block_merge_config_selectorIiNS0_10empty_typeEEEZZNS1_27merge_sort_block_merge_implIS3_N6thrust23THRUST_200600_302600_NS6detail15normal_iteratorINS9_10device_ptrIiEEEEPS5_jNS1_19radix_merge_compareILb1ELb0EiNS0_19identity_decomposerEEEEE10hipError_tT0_T1_T2_jT3_P12ihipStream_tbPNSt15iterator_traitsISK_E10value_typeEPNSQ_ISL_E10value_typeEPSM_NS1_7vsmem_tEENKUlT_SK_SL_SM_E_clIPiSE_SF_SF_EESJ_SZ_SK_SL_SM_EUlSZ_E1_NS1_11comp_targetILNS1_3genE8ELNS1_11target_archE1030ELNS1_3gpuE2ELNS1_3repE0EEENS1_36merge_oddeven_config_static_selectorELNS0_4arch9wavefront6targetE1EEEvSL_.num_vgpr, 0
	.set _ZN7rocprim17ROCPRIM_400000_NS6detail17trampoline_kernelINS0_14default_configENS1_38merge_sort_block_merge_config_selectorIiNS0_10empty_typeEEEZZNS1_27merge_sort_block_merge_implIS3_N6thrust23THRUST_200600_302600_NS6detail15normal_iteratorINS9_10device_ptrIiEEEEPS5_jNS1_19radix_merge_compareILb1ELb0EiNS0_19identity_decomposerEEEEE10hipError_tT0_T1_T2_jT3_P12ihipStream_tbPNSt15iterator_traitsISK_E10value_typeEPNSQ_ISL_E10value_typeEPSM_NS1_7vsmem_tEENKUlT_SK_SL_SM_E_clIPiSE_SF_SF_EESJ_SZ_SK_SL_SM_EUlSZ_E1_NS1_11comp_targetILNS1_3genE8ELNS1_11target_archE1030ELNS1_3gpuE2ELNS1_3repE0EEENS1_36merge_oddeven_config_static_selectorELNS0_4arch9wavefront6targetE1EEEvSL_.num_agpr, 0
	.set _ZN7rocprim17ROCPRIM_400000_NS6detail17trampoline_kernelINS0_14default_configENS1_38merge_sort_block_merge_config_selectorIiNS0_10empty_typeEEEZZNS1_27merge_sort_block_merge_implIS3_N6thrust23THRUST_200600_302600_NS6detail15normal_iteratorINS9_10device_ptrIiEEEEPS5_jNS1_19radix_merge_compareILb1ELb0EiNS0_19identity_decomposerEEEEE10hipError_tT0_T1_T2_jT3_P12ihipStream_tbPNSt15iterator_traitsISK_E10value_typeEPNSQ_ISL_E10value_typeEPSM_NS1_7vsmem_tEENKUlT_SK_SL_SM_E_clIPiSE_SF_SF_EESJ_SZ_SK_SL_SM_EUlSZ_E1_NS1_11comp_targetILNS1_3genE8ELNS1_11target_archE1030ELNS1_3gpuE2ELNS1_3repE0EEENS1_36merge_oddeven_config_static_selectorELNS0_4arch9wavefront6targetE1EEEvSL_.numbered_sgpr, 0
	.set _ZN7rocprim17ROCPRIM_400000_NS6detail17trampoline_kernelINS0_14default_configENS1_38merge_sort_block_merge_config_selectorIiNS0_10empty_typeEEEZZNS1_27merge_sort_block_merge_implIS3_N6thrust23THRUST_200600_302600_NS6detail15normal_iteratorINS9_10device_ptrIiEEEEPS5_jNS1_19radix_merge_compareILb1ELb0EiNS0_19identity_decomposerEEEEE10hipError_tT0_T1_T2_jT3_P12ihipStream_tbPNSt15iterator_traitsISK_E10value_typeEPNSQ_ISL_E10value_typeEPSM_NS1_7vsmem_tEENKUlT_SK_SL_SM_E_clIPiSE_SF_SF_EESJ_SZ_SK_SL_SM_EUlSZ_E1_NS1_11comp_targetILNS1_3genE8ELNS1_11target_archE1030ELNS1_3gpuE2ELNS1_3repE0EEENS1_36merge_oddeven_config_static_selectorELNS0_4arch9wavefront6targetE1EEEvSL_.num_named_barrier, 0
	.set _ZN7rocprim17ROCPRIM_400000_NS6detail17trampoline_kernelINS0_14default_configENS1_38merge_sort_block_merge_config_selectorIiNS0_10empty_typeEEEZZNS1_27merge_sort_block_merge_implIS3_N6thrust23THRUST_200600_302600_NS6detail15normal_iteratorINS9_10device_ptrIiEEEEPS5_jNS1_19radix_merge_compareILb1ELb0EiNS0_19identity_decomposerEEEEE10hipError_tT0_T1_T2_jT3_P12ihipStream_tbPNSt15iterator_traitsISK_E10value_typeEPNSQ_ISL_E10value_typeEPSM_NS1_7vsmem_tEENKUlT_SK_SL_SM_E_clIPiSE_SF_SF_EESJ_SZ_SK_SL_SM_EUlSZ_E1_NS1_11comp_targetILNS1_3genE8ELNS1_11target_archE1030ELNS1_3gpuE2ELNS1_3repE0EEENS1_36merge_oddeven_config_static_selectorELNS0_4arch9wavefront6targetE1EEEvSL_.private_seg_size, 0
	.set _ZN7rocprim17ROCPRIM_400000_NS6detail17trampoline_kernelINS0_14default_configENS1_38merge_sort_block_merge_config_selectorIiNS0_10empty_typeEEEZZNS1_27merge_sort_block_merge_implIS3_N6thrust23THRUST_200600_302600_NS6detail15normal_iteratorINS9_10device_ptrIiEEEEPS5_jNS1_19radix_merge_compareILb1ELb0EiNS0_19identity_decomposerEEEEE10hipError_tT0_T1_T2_jT3_P12ihipStream_tbPNSt15iterator_traitsISK_E10value_typeEPNSQ_ISL_E10value_typeEPSM_NS1_7vsmem_tEENKUlT_SK_SL_SM_E_clIPiSE_SF_SF_EESJ_SZ_SK_SL_SM_EUlSZ_E1_NS1_11comp_targetILNS1_3genE8ELNS1_11target_archE1030ELNS1_3gpuE2ELNS1_3repE0EEENS1_36merge_oddeven_config_static_selectorELNS0_4arch9wavefront6targetE1EEEvSL_.uses_vcc, 0
	.set _ZN7rocprim17ROCPRIM_400000_NS6detail17trampoline_kernelINS0_14default_configENS1_38merge_sort_block_merge_config_selectorIiNS0_10empty_typeEEEZZNS1_27merge_sort_block_merge_implIS3_N6thrust23THRUST_200600_302600_NS6detail15normal_iteratorINS9_10device_ptrIiEEEEPS5_jNS1_19radix_merge_compareILb1ELb0EiNS0_19identity_decomposerEEEEE10hipError_tT0_T1_T2_jT3_P12ihipStream_tbPNSt15iterator_traitsISK_E10value_typeEPNSQ_ISL_E10value_typeEPSM_NS1_7vsmem_tEENKUlT_SK_SL_SM_E_clIPiSE_SF_SF_EESJ_SZ_SK_SL_SM_EUlSZ_E1_NS1_11comp_targetILNS1_3genE8ELNS1_11target_archE1030ELNS1_3gpuE2ELNS1_3repE0EEENS1_36merge_oddeven_config_static_selectorELNS0_4arch9wavefront6targetE1EEEvSL_.uses_flat_scratch, 0
	.set _ZN7rocprim17ROCPRIM_400000_NS6detail17trampoline_kernelINS0_14default_configENS1_38merge_sort_block_merge_config_selectorIiNS0_10empty_typeEEEZZNS1_27merge_sort_block_merge_implIS3_N6thrust23THRUST_200600_302600_NS6detail15normal_iteratorINS9_10device_ptrIiEEEEPS5_jNS1_19radix_merge_compareILb1ELb0EiNS0_19identity_decomposerEEEEE10hipError_tT0_T1_T2_jT3_P12ihipStream_tbPNSt15iterator_traitsISK_E10value_typeEPNSQ_ISL_E10value_typeEPSM_NS1_7vsmem_tEENKUlT_SK_SL_SM_E_clIPiSE_SF_SF_EESJ_SZ_SK_SL_SM_EUlSZ_E1_NS1_11comp_targetILNS1_3genE8ELNS1_11target_archE1030ELNS1_3gpuE2ELNS1_3repE0EEENS1_36merge_oddeven_config_static_selectorELNS0_4arch9wavefront6targetE1EEEvSL_.has_dyn_sized_stack, 0
	.set _ZN7rocprim17ROCPRIM_400000_NS6detail17trampoline_kernelINS0_14default_configENS1_38merge_sort_block_merge_config_selectorIiNS0_10empty_typeEEEZZNS1_27merge_sort_block_merge_implIS3_N6thrust23THRUST_200600_302600_NS6detail15normal_iteratorINS9_10device_ptrIiEEEEPS5_jNS1_19radix_merge_compareILb1ELb0EiNS0_19identity_decomposerEEEEE10hipError_tT0_T1_T2_jT3_P12ihipStream_tbPNSt15iterator_traitsISK_E10value_typeEPNSQ_ISL_E10value_typeEPSM_NS1_7vsmem_tEENKUlT_SK_SL_SM_E_clIPiSE_SF_SF_EESJ_SZ_SK_SL_SM_EUlSZ_E1_NS1_11comp_targetILNS1_3genE8ELNS1_11target_archE1030ELNS1_3gpuE2ELNS1_3repE0EEENS1_36merge_oddeven_config_static_selectorELNS0_4arch9wavefront6targetE1EEEvSL_.has_recursion, 0
	.set _ZN7rocprim17ROCPRIM_400000_NS6detail17trampoline_kernelINS0_14default_configENS1_38merge_sort_block_merge_config_selectorIiNS0_10empty_typeEEEZZNS1_27merge_sort_block_merge_implIS3_N6thrust23THRUST_200600_302600_NS6detail15normal_iteratorINS9_10device_ptrIiEEEEPS5_jNS1_19radix_merge_compareILb1ELb0EiNS0_19identity_decomposerEEEEE10hipError_tT0_T1_T2_jT3_P12ihipStream_tbPNSt15iterator_traitsISK_E10value_typeEPNSQ_ISL_E10value_typeEPSM_NS1_7vsmem_tEENKUlT_SK_SL_SM_E_clIPiSE_SF_SF_EESJ_SZ_SK_SL_SM_EUlSZ_E1_NS1_11comp_targetILNS1_3genE8ELNS1_11target_archE1030ELNS1_3gpuE2ELNS1_3repE0EEENS1_36merge_oddeven_config_static_selectorELNS0_4arch9wavefront6targetE1EEEvSL_.has_indirect_call, 0
	.section	.AMDGPU.csdata,"",@progbits
; Kernel info:
; codeLenInByte = 0
; TotalNumSgprs: 6
; NumVgprs: 0
; NumAgprs: 0
; TotalNumVgprs: 0
; ScratchSize: 0
; MemoryBound: 0
; FloatMode: 240
; IeeeMode: 1
; LDSByteSize: 0 bytes/workgroup (compile time only)
; SGPRBlocks: 0
; VGPRBlocks: 0
; NumSGPRsForWavesPerEU: 6
; NumVGPRsForWavesPerEU: 1
; AccumOffset: 4
; Occupancy: 8
; WaveLimiterHint : 0
; COMPUTE_PGM_RSRC2:SCRATCH_EN: 0
; COMPUTE_PGM_RSRC2:USER_SGPR: 2
; COMPUTE_PGM_RSRC2:TRAP_HANDLER: 0
; COMPUTE_PGM_RSRC2:TGID_X_EN: 1
; COMPUTE_PGM_RSRC2:TGID_Y_EN: 0
; COMPUTE_PGM_RSRC2:TGID_Z_EN: 0
; COMPUTE_PGM_RSRC2:TIDIG_COMP_CNT: 0
; COMPUTE_PGM_RSRC3_GFX90A:ACCUM_OFFSET: 0
; COMPUTE_PGM_RSRC3_GFX90A:TG_SPLIT: 0
	.section	.text._ZN7rocprim17ROCPRIM_400000_NS6detail17trampoline_kernelINS0_14default_configENS1_38merge_sort_block_merge_config_selectorIiNS0_10empty_typeEEEZZNS1_27merge_sort_block_merge_implIS3_N6thrust23THRUST_200600_302600_NS6detail15normal_iteratorINS9_10device_ptrIiEEEEPS5_jNS1_19radix_merge_compareILb1ELb0EiNS0_19identity_decomposerEEEEE10hipError_tT0_T1_T2_jT3_P12ihipStream_tbPNSt15iterator_traitsISK_E10value_typeEPNSQ_ISL_E10value_typeEPSM_NS1_7vsmem_tEENKUlT_SK_SL_SM_E_clISE_PiSF_SF_EESJ_SZ_SK_SL_SM_EUlSZ_E_NS1_11comp_targetILNS1_3genE0ELNS1_11target_archE4294967295ELNS1_3gpuE0ELNS1_3repE0EEENS1_48merge_mergepath_partition_config_static_selectorELNS0_4arch9wavefront6targetE1EEEvSL_,"axG",@progbits,_ZN7rocprim17ROCPRIM_400000_NS6detail17trampoline_kernelINS0_14default_configENS1_38merge_sort_block_merge_config_selectorIiNS0_10empty_typeEEEZZNS1_27merge_sort_block_merge_implIS3_N6thrust23THRUST_200600_302600_NS6detail15normal_iteratorINS9_10device_ptrIiEEEEPS5_jNS1_19radix_merge_compareILb1ELb0EiNS0_19identity_decomposerEEEEE10hipError_tT0_T1_T2_jT3_P12ihipStream_tbPNSt15iterator_traitsISK_E10value_typeEPNSQ_ISL_E10value_typeEPSM_NS1_7vsmem_tEENKUlT_SK_SL_SM_E_clISE_PiSF_SF_EESJ_SZ_SK_SL_SM_EUlSZ_E_NS1_11comp_targetILNS1_3genE0ELNS1_11target_archE4294967295ELNS1_3gpuE0ELNS1_3repE0EEENS1_48merge_mergepath_partition_config_static_selectorELNS0_4arch9wavefront6targetE1EEEvSL_,comdat
	.protected	_ZN7rocprim17ROCPRIM_400000_NS6detail17trampoline_kernelINS0_14default_configENS1_38merge_sort_block_merge_config_selectorIiNS0_10empty_typeEEEZZNS1_27merge_sort_block_merge_implIS3_N6thrust23THRUST_200600_302600_NS6detail15normal_iteratorINS9_10device_ptrIiEEEEPS5_jNS1_19radix_merge_compareILb1ELb0EiNS0_19identity_decomposerEEEEE10hipError_tT0_T1_T2_jT3_P12ihipStream_tbPNSt15iterator_traitsISK_E10value_typeEPNSQ_ISL_E10value_typeEPSM_NS1_7vsmem_tEENKUlT_SK_SL_SM_E_clISE_PiSF_SF_EESJ_SZ_SK_SL_SM_EUlSZ_E_NS1_11comp_targetILNS1_3genE0ELNS1_11target_archE4294967295ELNS1_3gpuE0ELNS1_3repE0EEENS1_48merge_mergepath_partition_config_static_selectorELNS0_4arch9wavefront6targetE1EEEvSL_ ; -- Begin function _ZN7rocprim17ROCPRIM_400000_NS6detail17trampoline_kernelINS0_14default_configENS1_38merge_sort_block_merge_config_selectorIiNS0_10empty_typeEEEZZNS1_27merge_sort_block_merge_implIS3_N6thrust23THRUST_200600_302600_NS6detail15normal_iteratorINS9_10device_ptrIiEEEEPS5_jNS1_19radix_merge_compareILb1ELb0EiNS0_19identity_decomposerEEEEE10hipError_tT0_T1_T2_jT3_P12ihipStream_tbPNSt15iterator_traitsISK_E10value_typeEPNSQ_ISL_E10value_typeEPSM_NS1_7vsmem_tEENKUlT_SK_SL_SM_E_clISE_PiSF_SF_EESJ_SZ_SK_SL_SM_EUlSZ_E_NS1_11comp_targetILNS1_3genE0ELNS1_11target_archE4294967295ELNS1_3gpuE0ELNS1_3repE0EEENS1_48merge_mergepath_partition_config_static_selectorELNS0_4arch9wavefront6targetE1EEEvSL_
	.globl	_ZN7rocprim17ROCPRIM_400000_NS6detail17trampoline_kernelINS0_14default_configENS1_38merge_sort_block_merge_config_selectorIiNS0_10empty_typeEEEZZNS1_27merge_sort_block_merge_implIS3_N6thrust23THRUST_200600_302600_NS6detail15normal_iteratorINS9_10device_ptrIiEEEEPS5_jNS1_19radix_merge_compareILb1ELb0EiNS0_19identity_decomposerEEEEE10hipError_tT0_T1_T2_jT3_P12ihipStream_tbPNSt15iterator_traitsISK_E10value_typeEPNSQ_ISL_E10value_typeEPSM_NS1_7vsmem_tEENKUlT_SK_SL_SM_E_clISE_PiSF_SF_EESJ_SZ_SK_SL_SM_EUlSZ_E_NS1_11comp_targetILNS1_3genE0ELNS1_11target_archE4294967295ELNS1_3gpuE0ELNS1_3repE0EEENS1_48merge_mergepath_partition_config_static_selectorELNS0_4arch9wavefront6targetE1EEEvSL_
	.p2align	8
	.type	_ZN7rocprim17ROCPRIM_400000_NS6detail17trampoline_kernelINS0_14default_configENS1_38merge_sort_block_merge_config_selectorIiNS0_10empty_typeEEEZZNS1_27merge_sort_block_merge_implIS3_N6thrust23THRUST_200600_302600_NS6detail15normal_iteratorINS9_10device_ptrIiEEEEPS5_jNS1_19radix_merge_compareILb1ELb0EiNS0_19identity_decomposerEEEEE10hipError_tT0_T1_T2_jT3_P12ihipStream_tbPNSt15iterator_traitsISK_E10value_typeEPNSQ_ISL_E10value_typeEPSM_NS1_7vsmem_tEENKUlT_SK_SL_SM_E_clISE_PiSF_SF_EESJ_SZ_SK_SL_SM_EUlSZ_E_NS1_11comp_targetILNS1_3genE0ELNS1_11target_archE4294967295ELNS1_3gpuE0ELNS1_3repE0EEENS1_48merge_mergepath_partition_config_static_selectorELNS0_4arch9wavefront6targetE1EEEvSL_,@function
_ZN7rocprim17ROCPRIM_400000_NS6detail17trampoline_kernelINS0_14default_configENS1_38merge_sort_block_merge_config_selectorIiNS0_10empty_typeEEEZZNS1_27merge_sort_block_merge_implIS3_N6thrust23THRUST_200600_302600_NS6detail15normal_iteratorINS9_10device_ptrIiEEEEPS5_jNS1_19radix_merge_compareILb1ELb0EiNS0_19identity_decomposerEEEEE10hipError_tT0_T1_T2_jT3_P12ihipStream_tbPNSt15iterator_traitsISK_E10value_typeEPNSQ_ISL_E10value_typeEPSM_NS1_7vsmem_tEENKUlT_SK_SL_SM_E_clISE_PiSF_SF_EESJ_SZ_SK_SL_SM_EUlSZ_E_NS1_11comp_targetILNS1_3genE0ELNS1_11target_archE4294967295ELNS1_3gpuE0ELNS1_3repE0EEENS1_48merge_mergepath_partition_config_static_selectorELNS0_4arch9wavefront6targetE1EEEvSL_: ; @_ZN7rocprim17ROCPRIM_400000_NS6detail17trampoline_kernelINS0_14default_configENS1_38merge_sort_block_merge_config_selectorIiNS0_10empty_typeEEEZZNS1_27merge_sort_block_merge_implIS3_N6thrust23THRUST_200600_302600_NS6detail15normal_iteratorINS9_10device_ptrIiEEEEPS5_jNS1_19radix_merge_compareILb1ELb0EiNS0_19identity_decomposerEEEEE10hipError_tT0_T1_T2_jT3_P12ihipStream_tbPNSt15iterator_traitsISK_E10value_typeEPNSQ_ISL_E10value_typeEPSM_NS1_7vsmem_tEENKUlT_SK_SL_SM_E_clISE_PiSF_SF_EESJ_SZ_SK_SL_SM_EUlSZ_E_NS1_11comp_targetILNS1_3genE0ELNS1_11target_archE4294967295ELNS1_3gpuE0ELNS1_3repE0EEENS1_48merge_mergepath_partition_config_static_selectorELNS0_4arch9wavefront6targetE1EEEvSL_
; %bb.0:
	s_load_dword s3, s[0:1], 0x0
	v_lshl_or_b32 v0, s2, 7, v0
	s_waitcnt lgkmcnt(0)
	v_cmp_gt_u32_e32 vcc, s3, v0
	s_and_saveexec_b64 s[2:3], vcc
	s_cbranch_execz .LBB246_6
; %bb.1:
	s_load_dwordx2 s[4:5], s[0:1], 0x4
	s_load_dwordx2 s[2:3], s[0:1], 0x20
	s_waitcnt lgkmcnt(0)
	s_lshr_b32 s6, s4, 9
	s_and_b32 s6, s6, 0x7ffffe
	s_add_i32 s7, s6, -1
	s_sub_i32 s6, 0, s6
	v_and_b32_e32 v1, s6, v0
	v_lshlrev_b32_e32 v1, 10, v1
	v_min_u32_e32 v2, s5, v1
	v_add_u32_e32 v1, s4, v1
	v_min_u32_e32 v4, s5, v1
	v_add_u32_e32 v1, s4, v4
	v_and_b32_e32 v3, s7, v0
	v_min_u32_e32 v1, s5, v1
	v_sub_u32_e32 v5, v1, v2
	v_lshlrev_b32_e32 v3, 10, v3
	v_min_u32_e32 v10, v5, v3
	v_sub_u32_e32 v3, v4, v2
	v_sub_u32_e32 v1, v1, v4
	v_sub_u32_e64 v1, v10, v1 clamp
	v_min_u32_e32 v11, v10, v3
	v_cmp_lt_u32_e32 vcc, v1, v11
	s_and_saveexec_b64 s[4:5], vcc
	s_cbranch_execz .LBB246_5
; %bb.2:
	s_load_dwordx2 s[0:1], s[0:1], 0x10
	v_mov_b32_e32 v5, 0
	v_mov_b32_e32 v3, v5
	s_waitcnt lgkmcnt(0)
	v_lshl_add_u64 v[6:7], v[2:3], 2, s[0:1]
	v_lshl_add_u64 v[8:9], v[4:5], 2, s[0:1]
	s_mov_b64 s[0:1], 0
.LBB246_3:                              ; =>This Inner Loop Header: Depth=1
	v_add_u32_e32 v3, v11, v1
	v_lshrrev_b32_e32 v4, 1, v3
	v_mov_b32_e32 v13, v5
	v_xad_u32 v12, v4, -1, v10
	v_lshl_add_u64 v[14:15], v[4:5], 2, v[6:7]
	v_lshl_add_u64 v[12:13], v[12:13], 2, v[8:9]
	flat_load_dword v3, v[14:15]
	flat_load_dword v16, v[12:13]
	v_add_u32_e32 v12, 1, v4
	s_waitcnt vmcnt(0) lgkmcnt(0)
	v_cmp_gt_i32_e32 vcc, v16, v3
	s_nop 1
	v_cndmask_b32_e32 v11, v11, v4, vcc
	v_cndmask_b32_e32 v1, v12, v1, vcc
	v_cmp_ge_u32_e32 vcc, v1, v11
	s_or_b64 s[0:1], vcc, s[0:1]
	s_andn2_b64 exec, exec, s[0:1]
	s_cbranch_execnz .LBB246_3
; %bb.4:
	s_or_b64 exec, exec, s[0:1]
.LBB246_5:
	s_or_b64 exec, exec, s[4:5]
	v_add_u32_e32 v2, v1, v2
	v_mov_b32_e32 v1, 0
	v_lshl_add_u64 v[0:1], v[0:1], 2, s[2:3]
	global_store_dword v[0:1], v2, off
.LBB246_6:
	s_endpgm
	.section	.rodata,"a",@progbits
	.p2align	6, 0x0
	.amdhsa_kernel _ZN7rocprim17ROCPRIM_400000_NS6detail17trampoline_kernelINS0_14default_configENS1_38merge_sort_block_merge_config_selectorIiNS0_10empty_typeEEEZZNS1_27merge_sort_block_merge_implIS3_N6thrust23THRUST_200600_302600_NS6detail15normal_iteratorINS9_10device_ptrIiEEEEPS5_jNS1_19radix_merge_compareILb1ELb0EiNS0_19identity_decomposerEEEEE10hipError_tT0_T1_T2_jT3_P12ihipStream_tbPNSt15iterator_traitsISK_E10value_typeEPNSQ_ISL_E10value_typeEPSM_NS1_7vsmem_tEENKUlT_SK_SL_SM_E_clISE_PiSF_SF_EESJ_SZ_SK_SL_SM_EUlSZ_E_NS1_11comp_targetILNS1_3genE0ELNS1_11target_archE4294967295ELNS1_3gpuE0ELNS1_3repE0EEENS1_48merge_mergepath_partition_config_static_selectorELNS0_4arch9wavefront6targetE1EEEvSL_
		.amdhsa_group_segment_fixed_size 0
		.amdhsa_private_segment_fixed_size 0
		.amdhsa_kernarg_size 40
		.amdhsa_user_sgpr_count 2
		.amdhsa_user_sgpr_dispatch_ptr 0
		.amdhsa_user_sgpr_queue_ptr 0
		.amdhsa_user_sgpr_kernarg_segment_ptr 1
		.amdhsa_user_sgpr_dispatch_id 0
		.amdhsa_user_sgpr_kernarg_preload_length 0
		.amdhsa_user_sgpr_kernarg_preload_offset 0
		.amdhsa_user_sgpr_private_segment_size 0
		.amdhsa_uses_dynamic_stack 0
		.amdhsa_enable_private_segment 0
		.amdhsa_system_sgpr_workgroup_id_x 1
		.amdhsa_system_sgpr_workgroup_id_y 0
		.amdhsa_system_sgpr_workgroup_id_z 0
		.amdhsa_system_sgpr_workgroup_info 0
		.amdhsa_system_vgpr_workitem_id 0
		.amdhsa_next_free_vgpr 17
		.amdhsa_next_free_sgpr 8
		.amdhsa_accum_offset 20
		.amdhsa_reserve_vcc 1
		.amdhsa_float_round_mode_32 0
		.amdhsa_float_round_mode_16_64 0
		.amdhsa_float_denorm_mode_32 3
		.amdhsa_float_denorm_mode_16_64 3
		.amdhsa_dx10_clamp 1
		.amdhsa_ieee_mode 1
		.amdhsa_fp16_overflow 0
		.amdhsa_tg_split 0
		.amdhsa_exception_fp_ieee_invalid_op 0
		.amdhsa_exception_fp_denorm_src 0
		.amdhsa_exception_fp_ieee_div_zero 0
		.amdhsa_exception_fp_ieee_overflow 0
		.amdhsa_exception_fp_ieee_underflow 0
		.amdhsa_exception_fp_ieee_inexact 0
		.amdhsa_exception_int_div_zero 0
	.end_amdhsa_kernel
	.section	.text._ZN7rocprim17ROCPRIM_400000_NS6detail17trampoline_kernelINS0_14default_configENS1_38merge_sort_block_merge_config_selectorIiNS0_10empty_typeEEEZZNS1_27merge_sort_block_merge_implIS3_N6thrust23THRUST_200600_302600_NS6detail15normal_iteratorINS9_10device_ptrIiEEEEPS5_jNS1_19radix_merge_compareILb1ELb0EiNS0_19identity_decomposerEEEEE10hipError_tT0_T1_T2_jT3_P12ihipStream_tbPNSt15iterator_traitsISK_E10value_typeEPNSQ_ISL_E10value_typeEPSM_NS1_7vsmem_tEENKUlT_SK_SL_SM_E_clISE_PiSF_SF_EESJ_SZ_SK_SL_SM_EUlSZ_E_NS1_11comp_targetILNS1_3genE0ELNS1_11target_archE4294967295ELNS1_3gpuE0ELNS1_3repE0EEENS1_48merge_mergepath_partition_config_static_selectorELNS0_4arch9wavefront6targetE1EEEvSL_,"axG",@progbits,_ZN7rocprim17ROCPRIM_400000_NS6detail17trampoline_kernelINS0_14default_configENS1_38merge_sort_block_merge_config_selectorIiNS0_10empty_typeEEEZZNS1_27merge_sort_block_merge_implIS3_N6thrust23THRUST_200600_302600_NS6detail15normal_iteratorINS9_10device_ptrIiEEEEPS5_jNS1_19radix_merge_compareILb1ELb0EiNS0_19identity_decomposerEEEEE10hipError_tT0_T1_T2_jT3_P12ihipStream_tbPNSt15iterator_traitsISK_E10value_typeEPNSQ_ISL_E10value_typeEPSM_NS1_7vsmem_tEENKUlT_SK_SL_SM_E_clISE_PiSF_SF_EESJ_SZ_SK_SL_SM_EUlSZ_E_NS1_11comp_targetILNS1_3genE0ELNS1_11target_archE4294967295ELNS1_3gpuE0ELNS1_3repE0EEENS1_48merge_mergepath_partition_config_static_selectorELNS0_4arch9wavefront6targetE1EEEvSL_,comdat
.Lfunc_end246:
	.size	_ZN7rocprim17ROCPRIM_400000_NS6detail17trampoline_kernelINS0_14default_configENS1_38merge_sort_block_merge_config_selectorIiNS0_10empty_typeEEEZZNS1_27merge_sort_block_merge_implIS3_N6thrust23THRUST_200600_302600_NS6detail15normal_iteratorINS9_10device_ptrIiEEEEPS5_jNS1_19radix_merge_compareILb1ELb0EiNS0_19identity_decomposerEEEEE10hipError_tT0_T1_T2_jT3_P12ihipStream_tbPNSt15iterator_traitsISK_E10value_typeEPNSQ_ISL_E10value_typeEPSM_NS1_7vsmem_tEENKUlT_SK_SL_SM_E_clISE_PiSF_SF_EESJ_SZ_SK_SL_SM_EUlSZ_E_NS1_11comp_targetILNS1_3genE0ELNS1_11target_archE4294967295ELNS1_3gpuE0ELNS1_3repE0EEENS1_48merge_mergepath_partition_config_static_selectorELNS0_4arch9wavefront6targetE1EEEvSL_, .Lfunc_end246-_ZN7rocprim17ROCPRIM_400000_NS6detail17trampoline_kernelINS0_14default_configENS1_38merge_sort_block_merge_config_selectorIiNS0_10empty_typeEEEZZNS1_27merge_sort_block_merge_implIS3_N6thrust23THRUST_200600_302600_NS6detail15normal_iteratorINS9_10device_ptrIiEEEEPS5_jNS1_19radix_merge_compareILb1ELb0EiNS0_19identity_decomposerEEEEE10hipError_tT0_T1_T2_jT3_P12ihipStream_tbPNSt15iterator_traitsISK_E10value_typeEPNSQ_ISL_E10value_typeEPSM_NS1_7vsmem_tEENKUlT_SK_SL_SM_E_clISE_PiSF_SF_EESJ_SZ_SK_SL_SM_EUlSZ_E_NS1_11comp_targetILNS1_3genE0ELNS1_11target_archE4294967295ELNS1_3gpuE0ELNS1_3repE0EEENS1_48merge_mergepath_partition_config_static_selectorELNS0_4arch9wavefront6targetE1EEEvSL_
                                        ; -- End function
	.set _ZN7rocprim17ROCPRIM_400000_NS6detail17trampoline_kernelINS0_14default_configENS1_38merge_sort_block_merge_config_selectorIiNS0_10empty_typeEEEZZNS1_27merge_sort_block_merge_implIS3_N6thrust23THRUST_200600_302600_NS6detail15normal_iteratorINS9_10device_ptrIiEEEEPS5_jNS1_19radix_merge_compareILb1ELb0EiNS0_19identity_decomposerEEEEE10hipError_tT0_T1_T2_jT3_P12ihipStream_tbPNSt15iterator_traitsISK_E10value_typeEPNSQ_ISL_E10value_typeEPSM_NS1_7vsmem_tEENKUlT_SK_SL_SM_E_clISE_PiSF_SF_EESJ_SZ_SK_SL_SM_EUlSZ_E_NS1_11comp_targetILNS1_3genE0ELNS1_11target_archE4294967295ELNS1_3gpuE0ELNS1_3repE0EEENS1_48merge_mergepath_partition_config_static_selectorELNS0_4arch9wavefront6targetE1EEEvSL_.num_vgpr, 17
	.set _ZN7rocprim17ROCPRIM_400000_NS6detail17trampoline_kernelINS0_14default_configENS1_38merge_sort_block_merge_config_selectorIiNS0_10empty_typeEEEZZNS1_27merge_sort_block_merge_implIS3_N6thrust23THRUST_200600_302600_NS6detail15normal_iteratorINS9_10device_ptrIiEEEEPS5_jNS1_19radix_merge_compareILb1ELb0EiNS0_19identity_decomposerEEEEE10hipError_tT0_T1_T2_jT3_P12ihipStream_tbPNSt15iterator_traitsISK_E10value_typeEPNSQ_ISL_E10value_typeEPSM_NS1_7vsmem_tEENKUlT_SK_SL_SM_E_clISE_PiSF_SF_EESJ_SZ_SK_SL_SM_EUlSZ_E_NS1_11comp_targetILNS1_3genE0ELNS1_11target_archE4294967295ELNS1_3gpuE0ELNS1_3repE0EEENS1_48merge_mergepath_partition_config_static_selectorELNS0_4arch9wavefront6targetE1EEEvSL_.num_agpr, 0
	.set _ZN7rocprim17ROCPRIM_400000_NS6detail17trampoline_kernelINS0_14default_configENS1_38merge_sort_block_merge_config_selectorIiNS0_10empty_typeEEEZZNS1_27merge_sort_block_merge_implIS3_N6thrust23THRUST_200600_302600_NS6detail15normal_iteratorINS9_10device_ptrIiEEEEPS5_jNS1_19radix_merge_compareILb1ELb0EiNS0_19identity_decomposerEEEEE10hipError_tT0_T1_T2_jT3_P12ihipStream_tbPNSt15iterator_traitsISK_E10value_typeEPNSQ_ISL_E10value_typeEPSM_NS1_7vsmem_tEENKUlT_SK_SL_SM_E_clISE_PiSF_SF_EESJ_SZ_SK_SL_SM_EUlSZ_E_NS1_11comp_targetILNS1_3genE0ELNS1_11target_archE4294967295ELNS1_3gpuE0ELNS1_3repE0EEENS1_48merge_mergepath_partition_config_static_selectorELNS0_4arch9wavefront6targetE1EEEvSL_.numbered_sgpr, 8
	.set _ZN7rocprim17ROCPRIM_400000_NS6detail17trampoline_kernelINS0_14default_configENS1_38merge_sort_block_merge_config_selectorIiNS0_10empty_typeEEEZZNS1_27merge_sort_block_merge_implIS3_N6thrust23THRUST_200600_302600_NS6detail15normal_iteratorINS9_10device_ptrIiEEEEPS5_jNS1_19radix_merge_compareILb1ELb0EiNS0_19identity_decomposerEEEEE10hipError_tT0_T1_T2_jT3_P12ihipStream_tbPNSt15iterator_traitsISK_E10value_typeEPNSQ_ISL_E10value_typeEPSM_NS1_7vsmem_tEENKUlT_SK_SL_SM_E_clISE_PiSF_SF_EESJ_SZ_SK_SL_SM_EUlSZ_E_NS1_11comp_targetILNS1_3genE0ELNS1_11target_archE4294967295ELNS1_3gpuE0ELNS1_3repE0EEENS1_48merge_mergepath_partition_config_static_selectorELNS0_4arch9wavefront6targetE1EEEvSL_.num_named_barrier, 0
	.set _ZN7rocprim17ROCPRIM_400000_NS6detail17trampoline_kernelINS0_14default_configENS1_38merge_sort_block_merge_config_selectorIiNS0_10empty_typeEEEZZNS1_27merge_sort_block_merge_implIS3_N6thrust23THRUST_200600_302600_NS6detail15normal_iteratorINS9_10device_ptrIiEEEEPS5_jNS1_19radix_merge_compareILb1ELb0EiNS0_19identity_decomposerEEEEE10hipError_tT0_T1_T2_jT3_P12ihipStream_tbPNSt15iterator_traitsISK_E10value_typeEPNSQ_ISL_E10value_typeEPSM_NS1_7vsmem_tEENKUlT_SK_SL_SM_E_clISE_PiSF_SF_EESJ_SZ_SK_SL_SM_EUlSZ_E_NS1_11comp_targetILNS1_3genE0ELNS1_11target_archE4294967295ELNS1_3gpuE0ELNS1_3repE0EEENS1_48merge_mergepath_partition_config_static_selectorELNS0_4arch9wavefront6targetE1EEEvSL_.private_seg_size, 0
	.set _ZN7rocprim17ROCPRIM_400000_NS6detail17trampoline_kernelINS0_14default_configENS1_38merge_sort_block_merge_config_selectorIiNS0_10empty_typeEEEZZNS1_27merge_sort_block_merge_implIS3_N6thrust23THRUST_200600_302600_NS6detail15normal_iteratorINS9_10device_ptrIiEEEEPS5_jNS1_19radix_merge_compareILb1ELb0EiNS0_19identity_decomposerEEEEE10hipError_tT0_T1_T2_jT3_P12ihipStream_tbPNSt15iterator_traitsISK_E10value_typeEPNSQ_ISL_E10value_typeEPSM_NS1_7vsmem_tEENKUlT_SK_SL_SM_E_clISE_PiSF_SF_EESJ_SZ_SK_SL_SM_EUlSZ_E_NS1_11comp_targetILNS1_3genE0ELNS1_11target_archE4294967295ELNS1_3gpuE0ELNS1_3repE0EEENS1_48merge_mergepath_partition_config_static_selectorELNS0_4arch9wavefront6targetE1EEEvSL_.uses_vcc, 1
	.set _ZN7rocprim17ROCPRIM_400000_NS6detail17trampoline_kernelINS0_14default_configENS1_38merge_sort_block_merge_config_selectorIiNS0_10empty_typeEEEZZNS1_27merge_sort_block_merge_implIS3_N6thrust23THRUST_200600_302600_NS6detail15normal_iteratorINS9_10device_ptrIiEEEEPS5_jNS1_19radix_merge_compareILb1ELb0EiNS0_19identity_decomposerEEEEE10hipError_tT0_T1_T2_jT3_P12ihipStream_tbPNSt15iterator_traitsISK_E10value_typeEPNSQ_ISL_E10value_typeEPSM_NS1_7vsmem_tEENKUlT_SK_SL_SM_E_clISE_PiSF_SF_EESJ_SZ_SK_SL_SM_EUlSZ_E_NS1_11comp_targetILNS1_3genE0ELNS1_11target_archE4294967295ELNS1_3gpuE0ELNS1_3repE0EEENS1_48merge_mergepath_partition_config_static_selectorELNS0_4arch9wavefront6targetE1EEEvSL_.uses_flat_scratch, 0
	.set _ZN7rocprim17ROCPRIM_400000_NS6detail17trampoline_kernelINS0_14default_configENS1_38merge_sort_block_merge_config_selectorIiNS0_10empty_typeEEEZZNS1_27merge_sort_block_merge_implIS3_N6thrust23THRUST_200600_302600_NS6detail15normal_iteratorINS9_10device_ptrIiEEEEPS5_jNS1_19radix_merge_compareILb1ELb0EiNS0_19identity_decomposerEEEEE10hipError_tT0_T1_T2_jT3_P12ihipStream_tbPNSt15iterator_traitsISK_E10value_typeEPNSQ_ISL_E10value_typeEPSM_NS1_7vsmem_tEENKUlT_SK_SL_SM_E_clISE_PiSF_SF_EESJ_SZ_SK_SL_SM_EUlSZ_E_NS1_11comp_targetILNS1_3genE0ELNS1_11target_archE4294967295ELNS1_3gpuE0ELNS1_3repE0EEENS1_48merge_mergepath_partition_config_static_selectorELNS0_4arch9wavefront6targetE1EEEvSL_.has_dyn_sized_stack, 0
	.set _ZN7rocprim17ROCPRIM_400000_NS6detail17trampoline_kernelINS0_14default_configENS1_38merge_sort_block_merge_config_selectorIiNS0_10empty_typeEEEZZNS1_27merge_sort_block_merge_implIS3_N6thrust23THRUST_200600_302600_NS6detail15normal_iteratorINS9_10device_ptrIiEEEEPS5_jNS1_19radix_merge_compareILb1ELb0EiNS0_19identity_decomposerEEEEE10hipError_tT0_T1_T2_jT3_P12ihipStream_tbPNSt15iterator_traitsISK_E10value_typeEPNSQ_ISL_E10value_typeEPSM_NS1_7vsmem_tEENKUlT_SK_SL_SM_E_clISE_PiSF_SF_EESJ_SZ_SK_SL_SM_EUlSZ_E_NS1_11comp_targetILNS1_3genE0ELNS1_11target_archE4294967295ELNS1_3gpuE0ELNS1_3repE0EEENS1_48merge_mergepath_partition_config_static_selectorELNS0_4arch9wavefront6targetE1EEEvSL_.has_recursion, 0
	.set _ZN7rocprim17ROCPRIM_400000_NS6detail17trampoline_kernelINS0_14default_configENS1_38merge_sort_block_merge_config_selectorIiNS0_10empty_typeEEEZZNS1_27merge_sort_block_merge_implIS3_N6thrust23THRUST_200600_302600_NS6detail15normal_iteratorINS9_10device_ptrIiEEEEPS5_jNS1_19radix_merge_compareILb1ELb0EiNS0_19identity_decomposerEEEEE10hipError_tT0_T1_T2_jT3_P12ihipStream_tbPNSt15iterator_traitsISK_E10value_typeEPNSQ_ISL_E10value_typeEPSM_NS1_7vsmem_tEENKUlT_SK_SL_SM_E_clISE_PiSF_SF_EESJ_SZ_SK_SL_SM_EUlSZ_E_NS1_11comp_targetILNS1_3genE0ELNS1_11target_archE4294967295ELNS1_3gpuE0ELNS1_3repE0EEENS1_48merge_mergepath_partition_config_static_selectorELNS0_4arch9wavefront6targetE1EEEvSL_.has_indirect_call, 0
	.section	.AMDGPU.csdata,"",@progbits
; Kernel info:
; codeLenInByte = 316
; TotalNumSgprs: 14
; NumVgprs: 17
; NumAgprs: 0
; TotalNumVgprs: 17
; ScratchSize: 0
; MemoryBound: 0
; FloatMode: 240
; IeeeMode: 1
; LDSByteSize: 0 bytes/workgroup (compile time only)
; SGPRBlocks: 1
; VGPRBlocks: 2
; NumSGPRsForWavesPerEU: 14
; NumVGPRsForWavesPerEU: 17
; AccumOffset: 20
; Occupancy: 8
; WaveLimiterHint : 0
; COMPUTE_PGM_RSRC2:SCRATCH_EN: 0
; COMPUTE_PGM_RSRC2:USER_SGPR: 2
; COMPUTE_PGM_RSRC2:TRAP_HANDLER: 0
; COMPUTE_PGM_RSRC2:TGID_X_EN: 1
; COMPUTE_PGM_RSRC2:TGID_Y_EN: 0
; COMPUTE_PGM_RSRC2:TGID_Z_EN: 0
; COMPUTE_PGM_RSRC2:TIDIG_COMP_CNT: 0
; COMPUTE_PGM_RSRC3_GFX90A:ACCUM_OFFSET: 4
; COMPUTE_PGM_RSRC3_GFX90A:TG_SPLIT: 0
	.section	.text._ZN7rocprim17ROCPRIM_400000_NS6detail17trampoline_kernelINS0_14default_configENS1_38merge_sort_block_merge_config_selectorIiNS0_10empty_typeEEEZZNS1_27merge_sort_block_merge_implIS3_N6thrust23THRUST_200600_302600_NS6detail15normal_iteratorINS9_10device_ptrIiEEEEPS5_jNS1_19radix_merge_compareILb1ELb0EiNS0_19identity_decomposerEEEEE10hipError_tT0_T1_T2_jT3_P12ihipStream_tbPNSt15iterator_traitsISK_E10value_typeEPNSQ_ISL_E10value_typeEPSM_NS1_7vsmem_tEENKUlT_SK_SL_SM_E_clISE_PiSF_SF_EESJ_SZ_SK_SL_SM_EUlSZ_E_NS1_11comp_targetILNS1_3genE10ELNS1_11target_archE1201ELNS1_3gpuE5ELNS1_3repE0EEENS1_48merge_mergepath_partition_config_static_selectorELNS0_4arch9wavefront6targetE1EEEvSL_,"axG",@progbits,_ZN7rocprim17ROCPRIM_400000_NS6detail17trampoline_kernelINS0_14default_configENS1_38merge_sort_block_merge_config_selectorIiNS0_10empty_typeEEEZZNS1_27merge_sort_block_merge_implIS3_N6thrust23THRUST_200600_302600_NS6detail15normal_iteratorINS9_10device_ptrIiEEEEPS5_jNS1_19radix_merge_compareILb1ELb0EiNS0_19identity_decomposerEEEEE10hipError_tT0_T1_T2_jT3_P12ihipStream_tbPNSt15iterator_traitsISK_E10value_typeEPNSQ_ISL_E10value_typeEPSM_NS1_7vsmem_tEENKUlT_SK_SL_SM_E_clISE_PiSF_SF_EESJ_SZ_SK_SL_SM_EUlSZ_E_NS1_11comp_targetILNS1_3genE10ELNS1_11target_archE1201ELNS1_3gpuE5ELNS1_3repE0EEENS1_48merge_mergepath_partition_config_static_selectorELNS0_4arch9wavefront6targetE1EEEvSL_,comdat
	.protected	_ZN7rocprim17ROCPRIM_400000_NS6detail17trampoline_kernelINS0_14default_configENS1_38merge_sort_block_merge_config_selectorIiNS0_10empty_typeEEEZZNS1_27merge_sort_block_merge_implIS3_N6thrust23THRUST_200600_302600_NS6detail15normal_iteratorINS9_10device_ptrIiEEEEPS5_jNS1_19radix_merge_compareILb1ELb0EiNS0_19identity_decomposerEEEEE10hipError_tT0_T1_T2_jT3_P12ihipStream_tbPNSt15iterator_traitsISK_E10value_typeEPNSQ_ISL_E10value_typeEPSM_NS1_7vsmem_tEENKUlT_SK_SL_SM_E_clISE_PiSF_SF_EESJ_SZ_SK_SL_SM_EUlSZ_E_NS1_11comp_targetILNS1_3genE10ELNS1_11target_archE1201ELNS1_3gpuE5ELNS1_3repE0EEENS1_48merge_mergepath_partition_config_static_selectorELNS0_4arch9wavefront6targetE1EEEvSL_ ; -- Begin function _ZN7rocprim17ROCPRIM_400000_NS6detail17trampoline_kernelINS0_14default_configENS1_38merge_sort_block_merge_config_selectorIiNS0_10empty_typeEEEZZNS1_27merge_sort_block_merge_implIS3_N6thrust23THRUST_200600_302600_NS6detail15normal_iteratorINS9_10device_ptrIiEEEEPS5_jNS1_19radix_merge_compareILb1ELb0EiNS0_19identity_decomposerEEEEE10hipError_tT0_T1_T2_jT3_P12ihipStream_tbPNSt15iterator_traitsISK_E10value_typeEPNSQ_ISL_E10value_typeEPSM_NS1_7vsmem_tEENKUlT_SK_SL_SM_E_clISE_PiSF_SF_EESJ_SZ_SK_SL_SM_EUlSZ_E_NS1_11comp_targetILNS1_3genE10ELNS1_11target_archE1201ELNS1_3gpuE5ELNS1_3repE0EEENS1_48merge_mergepath_partition_config_static_selectorELNS0_4arch9wavefront6targetE1EEEvSL_
	.globl	_ZN7rocprim17ROCPRIM_400000_NS6detail17trampoline_kernelINS0_14default_configENS1_38merge_sort_block_merge_config_selectorIiNS0_10empty_typeEEEZZNS1_27merge_sort_block_merge_implIS3_N6thrust23THRUST_200600_302600_NS6detail15normal_iteratorINS9_10device_ptrIiEEEEPS5_jNS1_19radix_merge_compareILb1ELb0EiNS0_19identity_decomposerEEEEE10hipError_tT0_T1_T2_jT3_P12ihipStream_tbPNSt15iterator_traitsISK_E10value_typeEPNSQ_ISL_E10value_typeEPSM_NS1_7vsmem_tEENKUlT_SK_SL_SM_E_clISE_PiSF_SF_EESJ_SZ_SK_SL_SM_EUlSZ_E_NS1_11comp_targetILNS1_3genE10ELNS1_11target_archE1201ELNS1_3gpuE5ELNS1_3repE0EEENS1_48merge_mergepath_partition_config_static_selectorELNS0_4arch9wavefront6targetE1EEEvSL_
	.p2align	8
	.type	_ZN7rocprim17ROCPRIM_400000_NS6detail17trampoline_kernelINS0_14default_configENS1_38merge_sort_block_merge_config_selectorIiNS0_10empty_typeEEEZZNS1_27merge_sort_block_merge_implIS3_N6thrust23THRUST_200600_302600_NS6detail15normal_iteratorINS9_10device_ptrIiEEEEPS5_jNS1_19radix_merge_compareILb1ELb0EiNS0_19identity_decomposerEEEEE10hipError_tT0_T1_T2_jT3_P12ihipStream_tbPNSt15iterator_traitsISK_E10value_typeEPNSQ_ISL_E10value_typeEPSM_NS1_7vsmem_tEENKUlT_SK_SL_SM_E_clISE_PiSF_SF_EESJ_SZ_SK_SL_SM_EUlSZ_E_NS1_11comp_targetILNS1_3genE10ELNS1_11target_archE1201ELNS1_3gpuE5ELNS1_3repE0EEENS1_48merge_mergepath_partition_config_static_selectorELNS0_4arch9wavefront6targetE1EEEvSL_,@function
_ZN7rocprim17ROCPRIM_400000_NS6detail17trampoline_kernelINS0_14default_configENS1_38merge_sort_block_merge_config_selectorIiNS0_10empty_typeEEEZZNS1_27merge_sort_block_merge_implIS3_N6thrust23THRUST_200600_302600_NS6detail15normal_iteratorINS9_10device_ptrIiEEEEPS5_jNS1_19radix_merge_compareILb1ELb0EiNS0_19identity_decomposerEEEEE10hipError_tT0_T1_T2_jT3_P12ihipStream_tbPNSt15iterator_traitsISK_E10value_typeEPNSQ_ISL_E10value_typeEPSM_NS1_7vsmem_tEENKUlT_SK_SL_SM_E_clISE_PiSF_SF_EESJ_SZ_SK_SL_SM_EUlSZ_E_NS1_11comp_targetILNS1_3genE10ELNS1_11target_archE1201ELNS1_3gpuE5ELNS1_3repE0EEENS1_48merge_mergepath_partition_config_static_selectorELNS0_4arch9wavefront6targetE1EEEvSL_: ; @_ZN7rocprim17ROCPRIM_400000_NS6detail17trampoline_kernelINS0_14default_configENS1_38merge_sort_block_merge_config_selectorIiNS0_10empty_typeEEEZZNS1_27merge_sort_block_merge_implIS3_N6thrust23THRUST_200600_302600_NS6detail15normal_iteratorINS9_10device_ptrIiEEEEPS5_jNS1_19radix_merge_compareILb1ELb0EiNS0_19identity_decomposerEEEEE10hipError_tT0_T1_T2_jT3_P12ihipStream_tbPNSt15iterator_traitsISK_E10value_typeEPNSQ_ISL_E10value_typeEPSM_NS1_7vsmem_tEENKUlT_SK_SL_SM_E_clISE_PiSF_SF_EESJ_SZ_SK_SL_SM_EUlSZ_E_NS1_11comp_targetILNS1_3genE10ELNS1_11target_archE1201ELNS1_3gpuE5ELNS1_3repE0EEENS1_48merge_mergepath_partition_config_static_selectorELNS0_4arch9wavefront6targetE1EEEvSL_
; %bb.0:
	.section	.rodata,"a",@progbits
	.p2align	6, 0x0
	.amdhsa_kernel _ZN7rocprim17ROCPRIM_400000_NS6detail17trampoline_kernelINS0_14default_configENS1_38merge_sort_block_merge_config_selectorIiNS0_10empty_typeEEEZZNS1_27merge_sort_block_merge_implIS3_N6thrust23THRUST_200600_302600_NS6detail15normal_iteratorINS9_10device_ptrIiEEEEPS5_jNS1_19radix_merge_compareILb1ELb0EiNS0_19identity_decomposerEEEEE10hipError_tT0_T1_T2_jT3_P12ihipStream_tbPNSt15iterator_traitsISK_E10value_typeEPNSQ_ISL_E10value_typeEPSM_NS1_7vsmem_tEENKUlT_SK_SL_SM_E_clISE_PiSF_SF_EESJ_SZ_SK_SL_SM_EUlSZ_E_NS1_11comp_targetILNS1_3genE10ELNS1_11target_archE1201ELNS1_3gpuE5ELNS1_3repE0EEENS1_48merge_mergepath_partition_config_static_selectorELNS0_4arch9wavefront6targetE1EEEvSL_
		.amdhsa_group_segment_fixed_size 0
		.amdhsa_private_segment_fixed_size 0
		.amdhsa_kernarg_size 40
		.amdhsa_user_sgpr_count 2
		.amdhsa_user_sgpr_dispatch_ptr 0
		.amdhsa_user_sgpr_queue_ptr 0
		.amdhsa_user_sgpr_kernarg_segment_ptr 1
		.amdhsa_user_sgpr_dispatch_id 0
		.amdhsa_user_sgpr_kernarg_preload_length 0
		.amdhsa_user_sgpr_kernarg_preload_offset 0
		.amdhsa_user_sgpr_private_segment_size 0
		.amdhsa_uses_dynamic_stack 0
		.amdhsa_enable_private_segment 0
		.amdhsa_system_sgpr_workgroup_id_x 1
		.amdhsa_system_sgpr_workgroup_id_y 0
		.amdhsa_system_sgpr_workgroup_id_z 0
		.amdhsa_system_sgpr_workgroup_info 0
		.amdhsa_system_vgpr_workitem_id 0
		.amdhsa_next_free_vgpr 1
		.amdhsa_next_free_sgpr 0
		.amdhsa_accum_offset 4
		.amdhsa_reserve_vcc 0
		.amdhsa_float_round_mode_32 0
		.amdhsa_float_round_mode_16_64 0
		.amdhsa_float_denorm_mode_32 3
		.amdhsa_float_denorm_mode_16_64 3
		.amdhsa_dx10_clamp 1
		.amdhsa_ieee_mode 1
		.amdhsa_fp16_overflow 0
		.amdhsa_tg_split 0
		.amdhsa_exception_fp_ieee_invalid_op 0
		.amdhsa_exception_fp_denorm_src 0
		.amdhsa_exception_fp_ieee_div_zero 0
		.amdhsa_exception_fp_ieee_overflow 0
		.amdhsa_exception_fp_ieee_underflow 0
		.amdhsa_exception_fp_ieee_inexact 0
		.amdhsa_exception_int_div_zero 0
	.end_amdhsa_kernel
	.section	.text._ZN7rocprim17ROCPRIM_400000_NS6detail17trampoline_kernelINS0_14default_configENS1_38merge_sort_block_merge_config_selectorIiNS0_10empty_typeEEEZZNS1_27merge_sort_block_merge_implIS3_N6thrust23THRUST_200600_302600_NS6detail15normal_iteratorINS9_10device_ptrIiEEEEPS5_jNS1_19radix_merge_compareILb1ELb0EiNS0_19identity_decomposerEEEEE10hipError_tT0_T1_T2_jT3_P12ihipStream_tbPNSt15iterator_traitsISK_E10value_typeEPNSQ_ISL_E10value_typeEPSM_NS1_7vsmem_tEENKUlT_SK_SL_SM_E_clISE_PiSF_SF_EESJ_SZ_SK_SL_SM_EUlSZ_E_NS1_11comp_targetILNS1_3genE10ELNS1_11target_archE1201ELNS1_3gpuE5ELNS1_3repE0EEENS1_48merge_mergepath_partition_config_static_selectorELNS0_4arch9wavefront6targetE1EEEvSL_,"axG",@progbits,_ZN7rocprim17ROCPRIM_400000_NS6detail17trampoline_kernelINS0_14default_configENS1_38merge_sort_block_merge_config_selectorIiNS0_10empty_typeEEEZZNS1_27merge_sort_block_merge_implIS3_N6thrust23THRUST_200600_302600_NS6detail15normal_iteratorINS9_10device_ptrIiEEEEPS5_jNS1_19radix_merge_compareILb1ELb0EiNS0_19identity_decomposerEEEEE10hipError_tT0_T1_T2_jT3_P12ihipStream_tbPNSt15iterator_traitsISK_E10value_typeEPNSQ_ISL_E10value_typeEPSM_NS1_7vsmem_tEENKUlT_SK_SL_SM_E_clISE_PiSF_SF_EESJ_SZ_SK_SL_SM_EUlSZ_E_NS1_11comp_targetILNS1_3genE10ELNS1_11target_archE1201ELNS1_3gpuE5ELNS1_3repE0EEENS1_48merge_mergepath_partition_config_static_selectorELNS0_4arch9wavefront6targetE1EEEvSL_,comdat
.Lfunc_end247:
	.size	_ZN7rocprim17ROCPRIM_400000_NS6detail17trampoline_kernelINS0_14default_configENS1_38merge_sort_block_merge_config_selectorIiNS0_10empty_typeEEEZZNS1_27merge_sort_block_merge_implIS3_N6thrust23THRUST_200600_302600_NS6detail15normal_iteratorINS9_10device_ptrIiEEEEPS5_jNS1_19radix_merge_compareILb1ELb0EiNS0_19identity_decomposerEEEEE10hipError_tT0_T1_T2_jT3_P12ihipStream_tbPNSt15iterator_traitsISK_E10value_typeEPNSQ_ISL_E10value_typeEPSM_NS1_7vsmem_tEENKUlT_SK_SL_SM_E_clISE_PiSF_SF_EESJ_SZ_SK_SL_SM_EUlSZ_E_NS1_11comp_targetILNS1_3genE10ELNS1_11target_archE1201ELNS1_3gpuE5ELNS1_3repE0EEENS1_48merge_mergepath_partition_config_static_selectorELNS0_4arch9wavefront6targetE1EEEvSL_, .Lfunc_end247-_ZN7rocprim17ROCPRIM_400000_NS6detail17trampoline_kernelINS0_14default_configENS1_38merge_sort_block_merge_config_selectorIiNS0_10empty_typeEEEZZNS1_27merge_sort_block_merge_implIS3_N6thrust23THRUST_200600_302600_NS6detail15normal_iteratorINS9_10device_ptrIiEEEEPS5_jNS1_19radix_merge_compareILb1ELb0EiNS0_19identity_decomposerEEEEE10hipError_tT0_T1_T2_jT3_P12ihipStream_tbPNSt15iterator_traitsISK_E10value_typeEPNSQ_ISL_E10value_typeEPSM_NS1_7vsmem_tEENKUlT_SK_SL_SM_E_clISE_PiSF_SF_EESJ_SZ_SK_SL_SM_EUlSZ_E_NS1_11comp_targetILNS1_3genE10ELNS1_11target_archE1201ELNS1_3gpuE5ELNS1_3repE0EEENS1_48merge_mergepath_partition_config_static_selectorELNS0_4arch9wavefront6targetE1EEEvSL_
                                        ; -- End function
	.set _ZN7rocprim17ROCPRIM_400000_NS6detail17trampoline_kernelINS0_14default_configENS1_38merge_sort_block_merge_config_selectorIiNS0_10empty_typeEEEZZNS1_27merge_sort_block_merge_implIS3_N6thrust23THRUST_200600_302600_NS6detail15normal_iteratorINS9_10device_ptrIiEEEEPS5_jNS1_19radix_merge_compareILb1ELb0EiNS0_19identity_decomposerEEEEE10hipError_tT0_T1_T2_jT3_P12ihipStream_tbPNSt15iterator_traitsISK_E10value_typeEPNSQ_ISL_E10value_typeEPSM_NS1_7vsmem_tEENKUlT_SK_SL_SM_E_clISE_PiSF_SF_EESJ_SZ_SK_SL_SM_EUlSZ_E_NS1_11comp_targetILNS1_3genE10ELNS1_11target_archE1201ELNS1_3gpuE5ELNS1_3repE0EEENS1_48merge_mergepath_partition_config_static_selectorELNS0_4arch9wavefront6targetE1EEEvSL_.num_vgpr, 0
	.set _ZN7rocprim17ROCPRIM_400000_NS6detail17trampoline_kernelINS0_14default_configENS1_38merge_sort_block_merge_config_selectorIiNS0_10empty_typeEEEZZNS1_27merge_sort_block_merge_implIS3_N6thrust23THRUST_200600_302600_NS6detail15normal_iteratorINS9_10device_ptrIiEEEEPS5_jNS1_19radix_merge_compareILb1ELb0EiNS0_19identity_decomposerEEEEE10hipError_tT0_T1_T2_jT3_P12ihipStream_tbPNSt15iterator_traitsISK_E10value_typeEPNSQ_ISL_E10value_typeEPSM_NS1_7vsmem_tEENKUlT_SK_SL_SM_E_clISE_PiSF_SF_EESJ_SZ_SK_SL_SM_EUlSZ_E_NS1_11comp_targetILNS1_3genE10ELNS1_11target_archE1201ELNS1_3gpuE5ELNS1_3repE0EEENS1_48merge_mergepath_partition_config_static_selectorELNS0_4arch9wavefront6targetE1EEEvSL_.num_agpr, 0
	.set _ZN7rocprim17ROCPRIM_400000_NS6detail17trampoline_kernelINS0_14default_configENS1_38merge_sort_block_merge_config_selectorIiNS0_10empty_typeEEEZZNS1_27merge_sort_block_merge_implIS3_N6thrust23THRUST_200600_302600_NS6detail15normal_iteratorINS9_10device_ptrIiEEEEPS5_jNS1_19radix_merge_compareILb1ELb0EiNS0_19identity_decomposerEEEEE10hipError_tT0_T1_T2_jT3_P12ihipStream_tbPNSt15iterator_traitsISK_E10value_typeEPNSQ_ISL_E10value_typeEPSM_NS1_7vsmem_tEENKUlT_SK_SL_SM_E_clISE_PiSF_SF_EESJ_SZ_SK_SL_SM_EUlSZ_E_NS1_11comp_targetILNS1_3genE10ELNS1_11target_archE1201ELNS1_3gpuE5ELNS1_3repE0EEENS1_48merge_mergepath_partition_config_static_selectorELNS0_4arch9wavefront6targetE1EEEvSL_.numbered_sgpr, 0
	.set _ZN7rocprim17ROCPRIM_400000_NS6detail17trampoline_kernelINS0_14default_configENS1_38merge_sort_block_merge_config_selectorIiNS0_10empty_typeEEEZZNS1_27merge_sort_block_merge_implIS3_N6thrust23THRUST_200600_302600_NS6detail15normal_iteratorINS9_10device_ptrIiEEEEPS5_jNS1_19radix_merge_compareILb1ELb0EiNS0_19identity_decomposerEEEEE10hipError_tT0_T1_T2_jT3_P12ihipStream_tbPNSt15iterator_traitsISK_E10value_typeEPNSQ_ISL_E10value_typeEPSM_NS1_7vsmem_tEENKUlT_SK_SL_SM_E_clISE_PiSF_SF_EESJ_SZ_SK_SL_SM_EUlSZ_E_NS1_11comp_targetILNS1_3genE10ELNS1_11target_archE1201ELNS1_3gpuE5ELNS1_3repE0EEENS1_48merge_mergepath_partition_config_static_selectorELNS0_4arch9wavefront6targetE1EEEvSL_.num_named_barrier, 0
	.set _ZN7rocprim17ROCPRIM_400000_NS6detail17trampoline_kernelINS0_14default_configENS1_38merge_sort_block_merge_config_selectorIiNS0_10empty_typeEEEZZNS1_27merge_sort_block_merge_implIS3_N6thrust23THRUST_200600_302600_NS6detail15normal_iteratorINS9_10device_ptrIiEEEEPS5_jNS1_19radix_merge_compareILb1ELb0EiNS0_19identity_decomposerEEEEE10hipError_tT0_T1_T2_jT3_P12ihipStream_tbPNSt15iterator_traitsISK_E10value_typeEPNSQ_ISL_E10value_typeEPSM_NS1_7vsmem_tEENKUlT_SK_SL_SM_E_clISE_PiSF_SF_EESJ_SZ_SK_SL_SM_EUlSZ_E_NS1_11comp_targetILNS1_3genE10ELNS1_11target_archE1201ELNS1_3gpuE5ELNS1_3repE0EEENS1_48merge_mergepath_partition_config_static_selectorELNS0_4arch9wavefront6targetE1EEEvSL_.private_seg_size, 0
	.set _ZN7rocprim17ROCPRIM_400000_NS6detail17trampoline_kernelINS0_14default_configENS1_38merge_sort_block_merge_config_selectorIiNS0_10empty_typeEEEZZNS1_27merge_sort_block_merge_implIS3_N6thrust23THRUST_200600_302600_NS6detail15normal_iteratorINS9_10device_ptrIiEEEEPS5_jNS1_19radix_merge_compareILb1ELb0EiNS0_19identity_decomposerEEEEE10hipError_tT0_T1_T2_jT3_P12ihipStream_tbPNSt15iterator_traitsISK_E10value_typeEPNSQ_ISL_E10value_typeEPSM_NS1_7vsmem_tEENKUlT_SK_SL_SM_E_clISE_PiSF_SF_EESJ_SZ_SK_SL_SM_EUlSZ_E_NS1_11comp_targetILNS1_3genE10ELNS1_11target_archE1201ELNS1_3gpuE5ELNS1_3repE0EEENS1_48merge_mergepath_partition_config_static_selectorELNS0_4arch9wavefront6targetE1EEEvSL_.uses_vcc, 0
	.set _ZN7rocprim17ROCPRIM_400000_NS6detail17trampoline_kernelINS0_14default_configENS1_38merge_sort_block_merge_config_selectorIiNS0_10empty_typeEEEZZNS1_27merge_sort_block_merge_implIS3_N6thrust23THRUST_200600_302600_NS6detail15normal_iteratorINS9_10device_ptrIiEEEEPS5_jNS1_19radix_merge_compareILb1ELb0EiNS0_19identity_decomposerEEEEE10hipError_tT0_T1_T2_jT3_P12ihipStream_tbPNSt15iterator_traitsISK_E10value_typeEPNSQ_ISL_E10value_typeEPSM_NS1_7vsmem_tEENKUlT_SK_SL_SM_E_clISE_PiSF_SF_EESJ_SZ_SK_SL_SM_EUlSZ_E_NS1_11comp_targetILNS1_3genE10ELNS1_11target_archE1201ELNS1_3gpuE5ELNS1_3repE0EEENS1_48merge_mergepath_partition_config_static_selectorELNS0_4arch9wavefront6targetE1EEEvSL_.uses_flat_scratch, 0
	.set _ZN7rocprim17ROCPRIM_400000_NS6detail17trampoline_kernelINS0_14default_configENS1_38merge_sort_block_merge_config_selectorIiNS0_10empty_typeEEEZZNS1_27merge_sort_block_merge_implIS3_N6thrust23THRUST_200600_302600_NS6detail15normal_iteratorINS9_10device_ptrIiEEEEPS5_jNS1_19radix_merge_compareILb1ELb0EiNS0_19identity_decomposerEEEEE10hipError_tT0_T1_T2_jT3_P12ihipStream_tbPNSt15iterator_traitsISK_E10value_typeEPNSQ_ISL_E10value_typeEPSM_NS1_7vsmem_tEENKUlT_SK_SL_SM_E_clISE_PiSF_SF_EESJ_SZ_SK_SL_SM_EUlSZ_E_NS1_11comp_targetILNS1_3genE10ELNS1_11target_archE1201ELNS1_3gpuE5ELNS1_3repE0EEENS1_48merge_mergepath_partition_config_static_selectorELNS0_4arch9wavefront6targetE1EEEvSL_.has_dyn_sized_stack, 0
	.set _ZN7rocprim17ROCPRIM_400000_NS6detail17trampoline_kernelINS0_14default_configENS1_38merge_sort_block_merge_config_selectorIiNS0_10empty_typeEEEZZNS1_27merge_sort_block_merge_implIS3_N6thrust23THRUST_200600_302600_NS6detail15normal_iteratorINS9_10device_ptrIiEEEEPS5_jNS1_19radix_merge_compareILb1ELb0EiNS0_19identity_decomposerEEEEE10hipError_tT0_T1_T2_jT3_P12ihipStream_tbPNSt15iterator_traitsISK_E10value_typeEPNSQ_ISL_E10value_typeEPSM_NS1_7vsmem_tEENKUlT_SK_SL_SM_E_clISE_PiSF_SF_EESJ_SZ_SK_SL_SM_EUlSZ_E_NS1_11comp_targetILNS1_3genE10ELNS1_11target_archE1201ELNS1_3gpuE5ELNS1_3repE0EEENS1_48merge_mergepath_partition_config_static_selectorELNS0_4arch9wavefront6targetE1EEEvSL_.has_recursion, 0
	.set _ZN7rocprim17ROCPRIM_400000_NS6detail17trampoline_kernelINS0_14default_configENS1_38merge_sort_block_merge_config_selectorIiNS0_10empty_typeEEEZZNS1_27merge_sort_block_merge_implIS3_N6thrust23THRUST_200600_302600_NS6detail15normal_iteratorINS9_10device_ptrIiEEEEPS5_jNS1_19radix_merge_compareILb1ELb0EiNS0_19identity_decomposerEEEEE10hipError_tT0_T1_T2_jT3_P12ihipStream_tbPNSt15iterator_traitsISK_E10value_typeEPNSQ_ISL_E10value_typeEPSM_NS1_7vsmem_tEENKUlT_SK_SL_SM_E_clISE_PiSF_SF_EESJ_SZ_SK_SL_SM_EUlSZ_E_NS1_11comp_targetILNS1_3genE10ELNS1_11target_archE1201ELNS1_3gpuE5ELNS1_3repE0EEENS1_48merge_mergepath_partition_config_static_selectorELNS0_4arch9wavefront6targetE1EEEvSL_.has_indirect_call, 0
	.section	.AMDGPU.csdata,"",@progbits
; Kernel info:
; codeLenInByte = 0
; TotalNumSgprs: 6
; NumVgprs: 0
; NumAgprs: 0
; TotalNumVgprs: 0
; ScratchSize: 0
; MemoryBound: 0
; FloatMode: 240
; IeeeMode: 1
; LDSByteSize: 0 bytes/workgroup (compile time only)
; SGPRBlocks: 0
; VGPRBlocks: 0
; NumSGPRsForWavesPerEU: 6
; NumVGPRsForWavesPerEU: 1
; AccumOffset: 4
; Occupancy: 8
; WaveLimiterHint : 0
; COMPUTE_PGM_RSRC2:SCRATCH_EN: 0
; COMPUTE_PGM_RSRC2:USER_SGPR: 2
; COMPUTE_PGM_RSRC2:TRAP_HANDLER: 0
; COMPUTE_PGM_RSRC2:TGID_X_EN: 1
; COMPUTE_PGM_RSRC2:TGID_Y_EN: 0
; COMPUTE_PGM_RSRC2:TGID_Z_EN: 0
; COMPUTE_PGM_RSRC2:TIDIG_COMP_CNT: 0
; COMPUTE_PGM_RSRC3_GFX90A:ACCUM_OFFSET: 0
; COMPUTE_PGM_RSRC3_GFX90A:TG_SPLIT: 0
	.section	.text._ZN7rocprim17ROCPRIM_400000_NS6detail17trampoline_kernelINS0_14default_configENS1_38merge_sort_block_merge_config_selectorIiNS0_10empty_typeEEEZZNS1_27merge_sort_block_merge_implIS3_N6thrust23THRUST_200600_302600_NS6detail15normal_iteratorINS9_10device_ptrIiEEEEPS5_jNS1_19radix_merge_compareILb1ELb0EiNS0_19identity_decomposerEEEEE10hipError_tT0_T1_T2_jT3_P12ihipStream_tbPNSt15iterator_traitsISK_E10value_typeEPNSQ_ISL_E10value_typeEPSM_NS1_7vsmem_tEENKUlT_SK_SL_SM_E_clISE_PiSF_SF_EESJ_SZ_SK_SL_SM_EUlSZ_E_NS1_11comp_targetILNS1_3genE5ELNS1_11target_archE942ELNS1_3gpuE9ELNS1_3repE0EEENS1_48merge_mergepath_partition_config_static_selectorELNS0_4arch9wavefront6targetE1EEEvSL_,"axG",@progbits,_ZN7rocprim17ROCPRIM_400000_NS6detail17trampoline_kernelINS0_14default_configENS1_38merge_sort_block_merge_config_selectorIiNS0_10empty_typeEEEZZNS1_27merge_sort_block_merge_implIS3_N6thrust23THRUST_200600_302600_NS6detail15normal_iteratorINS9_10device_ptrIiEEEEPS5_jNS1_19radix_merge_compareILb1ELb0EiNS0_19identity_decomposerEEEEE10hipError_tT0_T1_T2_jT3_P12ihipStream_tbPNSt15iterator_traitsISK_E10value_typeEPNSQ_ISL_E10value_typeEPSM_NS1_7vsmem_tEENKUlT_SK_SL_SM_E_clISE_PiSF_SF_EESJ_SZ_SK_SL_SM_EUlSZ_E_NS1_11comp_targetILNS1_3genE5ELNS1_11target_archE942ELNS1_3gpuE9ELNS1_3repE0EEENS1_48merge_mergepath_partition_config_static_selectorELNS0_4arch9wavefront6targetE1EEEvSL_,comdat
	.protected	_ZN7rocprim17ROCPRIM_400000_NS6detail17trampoline_kernelINS0_14default_configENS1_38merge_sort_block_merge_config_selectorIiNS0_10empty_typeEEEZZNS1_27merge_sort_block_merge_implIS3_N6thrust23THRUST_200600_302600_NS6detail15normal_iteratorINS9_10device_ptrIiEEEEPS5_jNS1_19radix_merge_compareILb1ELb0EiNS0_19identity_decomposerEEEEE10hipError_tT0_T1_T2_jT3_P12ihipStream_tbPNSt15iterator_traitsISK_E10value_typeEPNSQ_ISL_E10value_typeEPSM_NS1_7vsmem_tEENKUlT_SK_SL_SM_E_clISE_PiSF_SF_EESJ_SZ_SK_SL_SM_EUlSZ_E_NS1_11comp_targetILNS1_3genE5ELNS1_11target_archE942ELNS1_3gpuE9ELNS1_3repE0EEENS1_48merge_mergepath_partition_config_static_selectorELNS0_4arch9wavefront6targetE1EEEvSL_ ; -- Begin function _ZN7rocprim17ROCPRIM_400000_NS6detail17trampoline_kernelINS0_14default_configENS1_38merge_sort_block_merge_config_selectorIiNS0_10empty_typeEEEZZNS1_27merge_sort_block_merge_implIS3_N6thrust23THRUST_200600_302600_NS6detail15normal_iteratorINS9_10device_ptrIiEEEEPS5_jNS1_19radix_merge_compareILb1ELb0EiNS0_19identity_decomposerEEEEE10hipError_tT0_T1_T2_jT3_P12ihipStream_tbPNSt15iterator_traitsISK_E10value_typeEPNSQ_ISL_E10value_typeEPSM_NS1_7vsmem_tEENKUlT_SK_SL_SM_E_clISE_PiSF_SF_EESJ_SZ_SK_SL_SM_EUlSZ_E_NS1_11comp_targetILNS1_3genE5ELNS1_11target_archE942ELNS1_3gpuE9ELNS1_3repE0EEENS1_48merge_mergepath_partition_config_static_selectorELNS0_4arch9wavefront6targetE1EEEvSL_
	.globl	_ZN7rocprim17ROCPRIM_400000_NS6detail17trampoline_kernelINS0_14default_configENS1_38merge_sort_block_merge_config_selectorIiNS0_10empty_typeEEEZZNS1_27merge_sort_block_merge_implIS3_N6thrust23THRUST_200600_302600_NS6detail15normal_iteratorINS9_10device_ptrIiEEEEPS5_jNS1_19radix_merge_compareILb1ELb0EiNS0_19identity_decomposerEEEEE10hipError_tT0_T1_T2_jT3_P12ihipStream_tbPNSt15iterator_traitsISK_E10value_typeEPNSQ_ISL_E10value_typeEPSM_NS1_7vsmem_tEENKUlT_SK_SL_SM_E_clISE_PiSF_SF_EESJ_SZ_SK_SL_SM_EUlSZ_E_NS1_11comp_targetILNS1_3genE5ELNS1_11target_archE942ELNS1_3gpuE9ELNS1_3repE0EEENS1_48merge_mergepath_partition_config_static_selectorELNS0_4arch9wavefront6targetE1EEEvSL_
	.p2align	8
	.type	_ZN7rocprim17ROCPRIM_400000_NS6detail17trampoline_kernelINS0_14default_configENS1_38merge_sort_block_merge_config_selectorIiNS0_10empty_typeEEEZZNS1_27merge_sort_block_merge_implIS3_N6thrust23THRUST_200600_302600_NS6detail15normal_iteratorINS9_10device_ptrIiEEEEPS5_jNS1_19radix_merge_compareILb1ELb0EiNS0_19identity_decomposerEEEEE10hipError_tT0_T1_T2_jT3_P12ihipStream_tbPNSt15iterator_traitsISK_E10value_typeEPNSQ_ISL_E10value_typeEPSM_NS1_7vsmem_tEENKUlT_SK_SL_SM_E_clISE_PiSF_SF_EESJ_SZ_SK_SL_SM_EUlSZ_E_NS1_11comp_targetILNS1_3genE5ELNS1_11target_archE942ELNS1_3gpuE9ELNS1_3repE0EEENS1_48merge_mergepath_partition_config_static_selectorELNS0_4arch9wavefront6targetE1EEEvSL_,@function
_ZN7rocprim17ROCPRIM_400000_NS6detail17trampoline_kernelINS0_14default_configENS1_38merge_sort_block_merge_config_selectorIiNS0_10empty_typeEEEZZNS1_27merge_sort_block_merge_implIS3_N6thrust23THRUST_200600_302600_NS6detail15normal_iteratorINS9_10device_ptrIiEEEEPS5_jNS1_19radix_merge_compareILb1ELb0EiNS0_19identity_decomposerEEEEE10hipError_tT0_T1_T2_jT3_P12ihipStream_tbPNSt15iterator_traitsISK_E10value_typeEPNSQ_ISL_E10value_typeEPSM_NS1_7vsmem_tEENKUlT_SK_SL_SM_E_clISE_PiSF_SF_EESJ_SZ_SK_SL_SM_EUlSZ_E_NS1_11comp_targetILNS1_3genE5ELNS1_11target_archE942ELNS1_3gpuE9ELNS1_3repE0EEENS1_48merge_mergepath_partition_config_static_selectorELNS0_4arch9wavefront6targetE1EEEvSL_: ; @_ZN7rocprim17ROCPRIM_400000_NS6detail17trampoline_kernelINS0_14default_configENS1_38merge_sort_block_merge_config_selectorIiNS0_10empty_typeEEEZZNS1_27merge_sort_block_merge_implIS3_N6thrust23THRUST_200600_302600_NS6detail15normal_iteratorINS9_10device_ptrIiEEEEPS5_jNS1_19radix_merge_compareILb1ELb0EiNS0_19identity_decomposerEEEEE10hipError_tT0_T1_T2_jT3_P12ihipStream_tbPNSt15iterator_traitsISK_E10value_typeEPNSQ_ISL_E10value_typeEPSM_NS1_7vsmem_tEENKUlT_SK_SL_SM_E_clISE_PiSF_SF_EESJ_SZ_SK_SL_SM_EUlSZ_E_NS1_11comp_targetILNS1_3genE5ELNS1_11target_archE942ELNS1_3gpuE9ELNS1_3repE0EEENS1_48merge_mergepath_partition_config_static_selectorELNS0_4arch9wavefront6targetE1EEEvSL_
; %bb.0:
	.section	.rodata,"a",@progbits
	.p2align	6, 0x0
	.amdhsa_kernel _ZN7rocprim17ROCPRIM_400000_NS6detail17trampoline_kernelINS0_14default_configENS1_38merge_sort_block_merge_config_selectorIiNS0_10empty_typeEEEZZNS1_27merge_sort_block_merge_implIS3_N6thrust23THRUST_200600_302600_NS6detail15normal_iteratorINS9_10device_ptrIiEEEEPS5_jNS1_19radix_merge_compareILb1ELb0EiNS0_19identity_decomposerEEEEE10hipError_tT0_T1_T2_jT3_P12ihipStream_tbPNSt15iterator_traitsISK_E10value_typeEPNSQ_ISL_E10value_typeEPSM_NS1_7vsmem_tEENKUlT_SK_SL_SM_E_clISE_PiSF_SF_EESJ_SZ_SK_SL_SM_EUlSZ_E_NS1_11comp_targetILNS1_3genE5ELNS1_11target_archE942ELNS1_3gpuE9ELNS1_3repE0EEENS1_48merge_mergepath_partition_config_static_selectorELNS0_4arch9wavefront6targetE1EEEvSL_
		.amdhsa_group_segment_fixed_size 0
		.amdhsa_private_segment_fixed_size 0
		.amdhsa_kernarg_size 40
		.amdhsa_user_sgpr_count 2
		.amdhsa_user_sgpr_dispatch_ptr 0
		.amdhsa_user_sgpr_queue_ptr 0
		.amdhsa_user_sgpr_kernarg_segment_ptr 1
		.amdhsa_user_sgpr_dispatch_id 0
		.amdhsa_user_sgpr_kernarg_preload_length 0
		.amdhsa_user_sgpr_kernarg_preload_offset 0
		.amdhsa_user_sgpr_private_segment_size 0
		.amdhsa_uses_dynamic_stack 0
		.amdhsa_enable_private_segment 0
		.amdhsa_system_sgpr_workgroup_id_x 1
		.amdhsa_system_sgpr_workgroup_id_y 0
		.amdhsa_system_sgpr_workgroup_id_z 0
		.amdhsa_system_sgpr_workgroup_info 0
		.amdhsa_system_vgpr_workitem_id 0
		.amdhsa_next_free_vgpr 1
		.amdhsa_next_free_sgpr 0
		.amdhsa_accum_offset 4
		.amdhsa_reserve_vcc 0
		.amdhsa_float_round_mode_32 0
		.amdhsa_float_round_mode_16_64 0
		.amdhsa_float_denorm_mode_32 3
		.amdhsa_float_denorm_mode_16_64 3
		.amdhsa_dx10_clamp 1
		.amdhsa_ieee_mode 1
		.amdhsa_fp16_overflow 0
		.amdhsa_tg_split 0
		.amdhsa_exception_fp_ieee_invalid_op 0
		.amdhsa_exception_fp_denorm_src 0
		.amdhsa_exception_fp_ieee_div_zero 0
		.amdhsa_exception_fp_ieee_overflow 0
		.amdhsa_exception_fp_ieee_underflow 0
		.amdhsa_exception_fp_ieee_inexact 0
		.amdhsa_exception_int_div_zero 0
	.end_amdhsa_kernel
	.section	.text._ZN7rocprim17ROCPRIM_400000_NS6detail17trampoline_kernelINS0_14default_configENS1_38merge_sort_block_merge_config_selectorIiNS0_10empty_typeEEEZZNS1_27merge_sort_block_merge_implIS3_N6thrust23THRUST_200600_302600_NS6detail15normal_iteratorINS9_10device_ptrIiEEEEPS5_jNS1_19radix_merge_compareILb1ELb0EiNS0_19identity_decomposerEEEEE10hipError_tT0_T1_T2_jT3_P12ihipStream_tbPNSt15iterator_traitsISK_E10value_typeEPNSQ_ISL_E10value_typeEPSM_NS1_7vsmem_tEENKUlT_SK_SL_SM_E_clISE_PiSF_SF_EESJ_SZ_SK_SL_SM_EUlSZ_E_NS1_11comp_targetILNS1_3genE5ELNS1_11target_archE942ELNS1_3gpuE9ELNS1_3repE0EEENS1_48merge_mergepath_partition_config_static_selectorELNS0_4arch9wavefront6targetE1EEEvSL_,"axG",@progbits,_ZN7rocprim17ROCPRIM_400000_NS6detail17trampoline_kernelINS0_14default_configENS1_38merge_sort_block_merge_config_selectorIiNS0_10empty_typeEEEZZNS1_27merge_sort_block_merge_implIS3_N6thrust23THRUST_200600_302600_NS6detail15normal_iteratorINS9_10device_ptrIiEEEEPS5_jNS1_19radix_merge_compareILb1ELb0EiNS0_19identity_decomposerEEEEE10hipError_tT0_T1_T2_jT3_P12ihipStream_tbPNSt15iterator_traitsISK_E10value_typeEPNSQ_ISL_E10value_typeEPSM_NS1_7vsmem_tEENKUlT_SK_SL_SM_E_clISE_PiSF_SF_EESJ_SZ_SK_SL_SM_EUlSZ_E_NS1_11comp_targetILNS1_3genE5ELNS1_11target_archE942ELNS1_3gpuE9ELNS1_3repE0EEENS1_48merge_mergepath_partition_config_static_selectorELNS0_4arch9wavefront6targetE1EEEvSL_,comdat
.Lfunc_end248:
	.size	_ZN7rocprim17ROCPRIM_400000_NS6detail17trampoline_kernelINS0_14default_configENS1_38merge_sort_block_merge_config_selectorIiNS0_10empty_typeEEEZZNS1_27merge_sort_block_merge_implIS3_N6thrust23THRUST_200600_302600_NS6detail15normal_iteratorINS9_10device_ptrIiEEEEPS5_jNS1_19radix_merge_compareILb1ELb0EiNS0_19identity_decomposerEEEEE10hipError_tT0_T1_T2_jT3_P12ihipStream_tbPNSt15iterator_traitsISK_E10value_typeEPNSQ_ISL_E10value_typeEPSM_NS1_7vsmem_tEENKUlT_SK_SL_SM_E_clISE_PiSF_SF_EESJ_SZ_SK_SL_SM_EUlSZ_E_NS1_11comp_targetILNS1_3genE5ELNS1_11target_archE942ELNS1_3gpuE9ELNS1_3repE0EEENS1_48merge_mergepath_partition_config_static_selectorELNS0_4arch9wavefront6targetE1EEEvSL_, .Lfunc_end248-_ZN7rocprim17ROCPRIM_400000_NS6detail17trampoline_kernelINS0_14default_configENS1_38merge_sort_block_merge_config_selectorIiNS0_10empty_typeEEEZZNS1_27merge_sort_block_merge_implIS3_N6thrust23THRUST_200600_302600_NS6detail15normal_iteratorINS9_10device_ptrIiEEEEPS5_jNS1_19radix_merge_compareILb1ELb0EiNS0_19identity_decomposerEEEEE10hipError_tT0_T1_T2_jT3_P12ihipStream_tbPNSt15iterator_traitsISK_E10value_typeEPNSQ_ISL_E10value_typeEPSM_NS1_7vsmem_tEENKUlT_SK_SL_SM_E_clISE_PiSF_SF_EESJ_SZ_SK_SL_SM_EUlSZ_E_NS1_11comp_targetILNS1_3genE5ELNS1_11target_archE942ELNS1_3gpuE9ELNS1_3repE0EEENS1_48merge_mergepath_partition_config_static_selectorELNS0_4arch9wavefront6targetE1EEEvSL_
                                        ; -- End function
	.set _ZN7rocprim17ROCPRIM_400000_NS6detail17trampoline_kernelINS0_14default_configENS1_38merge_sort_block_merge_config_selectorIiNS0_10empty_typeEEEZZNS1_27merge_sort_block_merge_implIS3_N6thrust23THRUST_200600_302600_NS6detail15normal_iteratorINS9_10device_ptrIiEEEEPS5_jNS1_19radix_merge_compareILb1ELb0EiNS0_19identity_decomposerEEEEE10hipError_tT0_T1_T2_jT3_P12ihipStream_tbPNSt15iterator_traitsISK_E10value_typeEPNSQ_ISL_E10value_typeEPSM_NS1_7vsmem_tEENKUlT_SK_SL_SM_E_clISE_PiSF_SF_EESJ_SZ_SK_SL_SM_EUlSZ_E_NS1_11comp_targetILNS1_3genE5ELNS1_11target_archE942ELNS1_3gpuE9ELNS1_3repE0EEENS1_48merge_mergepath_partition_config_static_selectorELNS0_4arch9wavefront6targetE1EEEvSL_.num_vgpr, 0
	.set _ZN7rocprim17ROCPRIM_400000_NS6detail17trampoline_kernelINS0_14default_configENS1_38merge_sort_block_merge_config_selectorIiNS0_10empty_typeEEEZZNS1_27merge_sort_block_merge_implIS3_N6thrust23THRUST_200600_302600_NS6detail15normal_iteratorINS9_10device_ptrIiEEEEPS5_jNS1_19radix_merge_compareILb1ELb0EiNS0_19identity_decomposerEEEEE10hipError_tT0_T1_T2_jT3_P12ihipStream_tbPNSt15iterator_traitsISK_E10value_typeEPNSQ_ISL_E10value_typeEPSM_NS1_7vsmem_tEENKUlT_SK_SL_SM_E_clISE_PiSF_SF_EESJ_SZ_SK_SL_SM_EUlSZ_E_NS1_11comp_targetILNS1_3genE5ELNS1_11target_archE942ELNS1_3gpuE9ELNS1_3repE0EEENS1_48merge_mergepath_partition_config_static_selectorELNS0_4arch9wavefront6targetE1EEEvSL_.num_agpr, 0
	.set _ZN7rocprim17ROCPRIM_400000_NS6detail17trampoline_kernelINS0_14default_configENS1_38merge_sort_block_merge_config_selectorIiNS0_10empty_typeEEEZZNS1_27merge_sort_block_merge_implIS3_N6thrust23THRUST_200600_302600_NS6detail15normal_iteratorINS9_10device_ptrIiEEEEPS5_jNS1_19radix_merge_compareILb1ELb0EiNS0_19identity_decomposerEEEEE10hipError_tT0_T1_T2_jT3_P12ihipStream_tbPNSt15iterator_traitsISK_E10value_typeEPNSQ_ISL_E10value_typeEPSM_NS1_7vsmem_tEENKUlT_SK_SL_SM_E_clISE_PiSF_SF_EESJ_SZ_SK_SL_SM_EUlSZ_E_NS1_11comp_targetILNS1_3genE5ELNS1_11target_archE942ELNS1_3gpuE9ELNS1_3repE0EEENS1_48merge_mergepath_partition_config_static_selectorELNS0_4arch9wavefront6targetE1EEEvSL_.numbered_sgpr, 0
	.set _ZN7rocprim17ROCPRIM_400000_NS6detail17trampoline_kernelINS0_14default_configENS1_38merge_sort_block_merge_config_selectorIiNS0_10empty_typeEEEZZNS1_27merge_sort_block_merge_implIS3_N6thrust23THRUST_200600_302600_NS6detail15normal_iteratorINS9_10device_ptrIiEEEEPS5_jNS1_19radix_merge_compareILb1ELb0EiNS0_19identity_decomposerEEEEE10hipError_tT0_T1_T2_jT3_P12ihipStream_tbPNSt15iterator_traitsISK_E10value_typeEPNSQ_ISL_E10value_typeEPSM_NS1_7vsmem_tEENKUlT_SK_SL_SM_E_clISE_PiSF_SF_EESJ_SZ_SK_SL_SM_EUlSZ_E_NS1_11comp_targetILNS1_3genE5ELNS1_11target_archE942ELNS1_3gpuE9ELNS1_3repE0EEENS1_48merge_mergepath_partition_config_static_selectorELNS0_4arch9wavefront6targetE1EEEvSL_.num_named_barrier, 0
	.set _ZN7rocprim17ROCPRIM_400000_NS6detail17trampoline_kernelINS0_14default_configENS1_38merge_sort_block_merge_config_selectorIiNS0_10empty_typeEEEZZNS1_27merge_sort_block_merge_implIS3_N6thrust23THRUST_200600_302600_NS6detail15normal_iteratorINS9_10device_ptrIiEEEEPS5_jNS1_19radix_merge_compareILb1ELb0EiNS0_19identity_decomposerEEEEE10hipError_tT0_T1_T2_jT3_P12ihipStream_tbPNSt15iterator_traitsISK_E10value_typeEPNSQ_ISL_E10value_typeEPSM_NS1_7vsmem_tEENKUlT_SK_SL_SM_E_clISE_PiSF_SF_EESJ_SZ_SK_SL_SM_EUlSZ_E_NS1_11comp_targetILNS1_3genE5ELNS1_11target_archE942ELNS1_3gpuE9ELNS1_3repE0EEENS1_48merge_mergepath_partition_config_static_selectorELNS0_4arch9wavefront6targetE1EEEvSL_.private_seg_size, 0
	.set _ZN7rocprim17ROCPRIM_400000_NS6detail17trampoline_kernelINS0_14default_configENS1_38merge_sort_block_merge_config_selectorIiNS0_10empty_typeEEEZZNS1_27merge_sort_block_merge_implIS3_N6thrust23THRUST_200600_302600_NS6detail15normal_iteratorINS9_10device_ptrIiEEEEPS5_jNS1_19radix_merge_compareILb1ELb0EiNS0_19identity_decomposerEEEEE10hipError_tT0_T1_T2_jT3_P12ihipStream_tbPNSt15iterator_traitsISK_E10value_typeEPNSQ_ISL_E10value_typeEPSM_NS1_7vsmem_tEENKUlT_SK_SL_SM_E_clISE_PiSF_SF_EESJ_SZ_SK_SL_SM_EUlSZ_E_NS1_11comp_targetILNS1_3genE5ELNS1_11target_archE942ELNS1_3gpuE9ELNS1_3repE0EEENS1_48merge_mergepath_partition_config_static_selectorELNS0_4arch9wavefront6targetE1EEEvSL_.uses_vcc, 0
	.set _ZN7rocprim17ROCPRIM_400000_NS6detail17trampoline_kernelINS0_14default_configENS1_38merge_sort_block_merge_config_selectorIiNS0_10empty_typeEEEZZNS1_27merge_sort_block_merge_implIS3_N6thrust23THRUST_200600_302600_NS6detail15normal_iteratorINS9_10device_ptrIiEEEEPS5_jNS1_19radix_merge_compareILb1ELb0EiNS0_19identity_decomposerEEEEE10hipError_tT0_T1_T2_jT3_P12ihipStream_tbPNSt15iterator_traitsISK_E10value_typeEPNSQ_ISL_E10value_typeEPSM_NS1_7vsmem_tEENKUlT_SK_SL_SM_E_clISE_PiSF_SF_EESJ_SZ_SK_SL_SM_EUlSZ_E_NS1_11comp_targetILNS1_3genE5ELNS1_11target_archE942ELNS1_3gpuE9ELNS1_3repE0EEENS1_48merge_mergepath_partition_config_static_selectorELNS0_4arch9wavefront6targetE1EEEvSL_.uses_flat_scratch, 0
	.set _ZN7rocprim17ROCPRIM_400000_NS6detail17trampoline_kernelINS0_14default_configENS1_38merge_sort_block_merge_config_selectorIiNS0_10empty_typeEEEZZNS1_27merge_sort_block_merge_implIS3_N6thrust23THRUST_200600_302600_NS6detail15normal_iteratorINS9_10device_ptrIiEEEEPS5_jNS1_19radix_merge_compareILb1ELb0EiNS0_19identity_decomposerEEEEE10hipError_tT0_T1_T2_jT3_P12ihipStream_tbPNSt15iterator_traitsISK_E10value_typeEPNSQ_ISL_E10value_typeEPSM_NS1_7vsmem_tEENKUlT_SK_SL_SM_E_clISE_PiSF_SF_EESJ_SZ_SK_SL_SM_EUlSZ_E_NS1_11comp_targetILNS1_3genE5ELNS1_11target_archE942ELNS1_3gpuE9ELNS1_3repE0EEENS1_48merge_mergepath_partition_config_static_selectorELNS0_4arch9wavefront6targetE1EEEvSL_.has_dyn_sized_stack, 0
	.set _ZN7rocprim17ROCPRIM_400000_NS6detail17trampoline_kernelINS0_14default_configENS1_38merge_sort_block_merge_config_selectorIiNS0_10empty_typeEEEZZNS1_27merge_sort_block_merge_implIS3_N6thrust23THRUST_200600_302600_NS6detail15normal_iteratorINS9_10device_ptrIiEEEEPS5_jNS1_19radix_merge_compareILb1ELb0EiNS0_19identity_decomposerEEEEE10hipError_tT0_T1_T2_jT3_P12ihipStream_tbPNSt15iterator_traitsISK_E10value_typeEPNSQ_ISL_E10value_typeEPSM_NS1_7vsmem_tEENKUlT_SK_SL_SM_E_clISE_PiSF_SF_EESJ_SZ_SK_SL_SM_EUlSZ_E_NS1_11comp_targetILNS1_3genE5ELNS1_11target_archE942ELNS1_3gpuE9ELNS1_3repE0EEENS1_48merge_mergepath_partition_config_static_selectorELNS0_4arch9wavefront6targetE1EEEvSL_.has_recursion, 0
	.set _ZN7rocprim17ROCPRIM_400000_NS6detail17trampoline_kernelINS0_14default_configENS1_38merge_sort_block_merge_config_selectorIiNS0_10empty_typeEEEZZNS1_27merge_sort_block_merge_implIS3_N6thrust23THRUST_200600_302600_NS6detail15normal_iteratorINS9_10device_ptrIiEEEEPS5_jNS1_19radix_merge_compareILb1ELb0EiNS0_19identity_decomposerEEEEE10hipError_tT0_T1_T2_jT3_P12ihipStream_tbPNSt15iterator_traitsISK_E10value_typeEPNSQ_ISL_E10value_typeEPSM_NS1_7vsmem_tEENKUlT_SK_SL_SM_E_clISE_PiSF_SF_EESJ_SZ_SK_SL_SM_EUlSZ_E_NS1_11comp_targetILNS1_3genE5ELNS1_11target_archE942ELNS1_3gpuE9ELNS1_3repE0EEENS1_48merge_mergepath_partition_config_static_selectorELNS0_4arch9wavefront6targetE1EEEvSL_.has_indirect_call, 0
	.section	.AMDGPU.csdata,"",@progbits
; Kernel info:
; codeLenInByte = 0
; TotalNumSgprs: 6
; NumVgprs: 0
; NumAgprs: 0
; TotalNumVgprs: 0
; ScratchSize: 0
; MemoryBound: 0
; FloatMode: 240
; IeeeMode: 1
; LDSByteSize: 0 bytes/workgroup (compile time only)
; SGPRBlocks: 0
; VGPRBlocks: 0
; NumSGPRsForWavesPerEU: 6
; NumVGPRsForWavesPerEU: 1
; AccumOffset: 4
; Occupancy: 8
; WaveLimiterHint : 0
; COMPUTE_PGM_RSRC2:SCRATCH_EN: 0
; COMPUTE_PGM_RSRC2:USER_SGPR: 2
; COMPUTE_PGM_RSRC2:TRAP_HANDLER: 0
; COMPUTE_PGM_RSRC2:TGID_X_EN: 1
; COMPUTE_PGM_RSRC2:TGID_Y_EN: 0
; COMPUTE_PGM_RSRC2:TGID_Z_EN: 0
; COMPUTE_PGM_RSRC2:TIDIG_COMP_CNT: 0
; COMPUTE_PGM_RSRC3_GFX90A:ACCUM_OFFSET: 0
; COMPUTE_PGM_RSRC3_GFX90A:TG_SPLIT: 0
	.section	.text._ZN7rocprim17ROCPRIM_400000_NS6detail17trampoline_kernelINS0_14default_configENS1_38merge_sort_block_merge_config_selectorIiNS0_10empty_typeEEEZZNS1_27merge_sort_block_merge_implIS3_N6thrust23THRUST_200600_302600_NS6detail15normal_iteratorINS9_10device_ptrIiEEEEPS5_jNS1_19radix_merge_compareILb1ELb0EiNS0_19identity_decomposerEEEEE10hipError_tT0_T1_T2_jT3_P12ihipStream_tbPNSt15iterator_traitsISK_E10value_typeEPNSQ_ISL_E10value_typeEPSM_NS1_7vsmem_tEENKUlT_SK_SL_SM_E_clISE_PiSF_SF_EESJ_SZ_SK_SL_SM_EUlSZ_E_NS1_11comp_targetILNS1_3genE4ELNS1_11target_archE910ELNS1_3gpuE8ELNS1_3repE0EEENS1_48merge_mergepath_partition_config_static_selectorELNS0_4arch9wavefront6targetE1EEEvSL_,"axG",@progbits,_ZN7rocprim17ROCPRIM_400000_NS6detail17trampoline_kernelINS0_14default_configENS1_38merge_sort_block_merge_config_selectorIiNS0_10empty_typeEEEZZNS1_27merge_sort_block_merge_implIS3_N6thrust23THRUST_200600_302600_NS6detail15normal_iteratorINS9_10device_ptrIiEEEEPS5_jNS1_19radix_merge_compareILb1ELb0EiNS0_19identity_decomposerEEEEE10hipError_tT0_T1_T2_jT3_P12ihipStream_tbPNSt15iterator_traitsISK_E10value_typeEPNSQ_ISL_E10value_typeEPSM_NS1_7vsmem_tEENKUlT_SK_SL_SM_E_clISE_PiSF_SF_EESJ_SZ_SK_SL_SM_EUlSZ_E_NS1_11comp_targetILNS1_3genE4ELNS1_11target_archE910ELNS1_3gpuE8ELNS1_3repE0EEENS1_48merge_mergepath_partition_config_static_selectorELNS0_4arch9wavefront6targetE1EEEvSL_,comdat
	.protected	_ZN7rocprim17ROCPRIM_400000_NS6detail17trampoline_kernelINS0_14default_configENS1_38merge_sort_block_merge_config_selectorIiNS0_10empty_typeEEEZZNS1_27merge_sort_block_merge_implIS3_N6thrust23THRUST_200600_302600_NS6detail15normal_iteratorINS9_10device_ptrIiEEEEPS5_jNS1_19radix_merge_compareILb1ELb0EiNS0_19identity_decomposerEEEEE10hipError_tT0_T1_T2_jT3_P12ihipStream_tbPNSt15iterator_traitsISK_E10value_typeEPNSQ_ISL_E10value_typeEPSM_NS1_7vsmem_tEENKUlT_SK_SL_SM_E_clISE_PiSF_SF_EESJ_SZ_SK_SL_SM_EUlSZ_E_NS1_11comp_targetILNS1_3genE4ELNS1_11target_archE910ELNS1_3gpuE8ELNS1_3repE0EEENS1_48merge_mergepath_partition_config_static_selectorELNS0_4arch9wavefront6targetE1EEEvSL_ ; -- Begin function _ZN7rocprim17ROCPRIM_400000_NS6detail17trampoline_kernelINS0_14default_configENS1_38merge_sort_block_merge_config_selectorIiNS0_10empty_typeEEEZZNS1_27merge_sort_block_merge_implIS3_N6thrust23THRUST_200600_302600_NS6detail15normal_iteratorINS9_10device_ptrIiEEEEPS5_jNS1_19radix_merge_compareILb1ELb0EiNS0_19identity_decomposerEEEEE10hipError_tT0_T1_T2_jT3_P12ihipStream_tbPNSt15iterator_traitsISK_E10value_typeEPNSQ_ISL_E10value_typeEPSM_NS1_7vsmem_tEENKUlT_SK_SL_SM_E_clISE_PiSF_SF_EESJ_SZ_SK_SL_SM_EUlSZ_E_NS1_11comp_targetILNS1_3genE4ELNS1_11target_archE910ELNS1_3gpuE8ELNS1_3repE0EEENS1_48merge_mergepath_partition_config_static_selectorELNS0_4arch9wavefront6targetE1EEEvSL_
	.globl	_ZN7rocprim17ROCPRIM_400000_NS6detail17trampoline_kernelINS0_14default_configENS1_38merge_sort_block_merge_config_selectorIiNS0_10empty_typeEEEZZNS1_27merge_sort_block_merge_implIS3_N6thrust23THRUST_200600_302600_NS6detail15normal_iteratorINS9_10device_ptrIiEEEEPS5_jNS1_19radix_merge_compareILb1ELb0EiNS0_19identity_decomposerEEEEE10hipError_tT0_T1_T2_jT3_P12ihipStream_tbPNSt15iterator_traitsISK_E10value_typeEPNSQ_ISL_E10value_typeEPSM_NS1_7vsmem_tEENKUlT_SK_SL_SM_E_clISE_PiSF_SF_EESJ_SZ_SK_SL_SM_EUlSZ_E_NS1_11comp_targetILNS1_3genE4ELNS1_11target_archE910ELNS1_3gpuE8ELNS1_3repE0EEENS1_48merge_mergepath_partition_config_static_selectorELNS0_4arch9wavefront6targetE1EEEvSL_
	.p2align	8
	.type	_ZN7rocprim17ROCPRIM_400000_NS6detail17trampoline_kernelINS0_14default_configENS1_38merge_sort_block_merge_config_selectorIiNS0_10empty_typeEEEZZNS1_27merge_sort_block_merge_implIS3_N6thrust23THRUST_200600_302600_NS6detail15normal_iteratorINS9_10device_ptrIiEEEEPS5_jNS1_19radix_merge_compareILb1ELb0EiNS0_19identity_decomposerEEEEE10hipError_tT0_T1_T2_jT3_P12ihipStream_tbPNSt15iterator_traitsISK_E10value_typeEPNSQ_ISL_E10value_typeEPSM_NS1_7vsmem_tEENKUlT_SK_SL_SM_E_clISE_PiSF_SF_EESJ_SZ_SK_SL_SM_EUlSZ_E_NS1_11comp_targetILNS1_3genE4ELNS1_11target_archE910ELNS1_3gpuE8ELNS1_3repE0EEENS1_48merge_mergepath_partition_config_static_selectorELNS0_4arch9wavefront6targetE1EEEvSL_,@function
_ZN7rocprim17ROCPRIM_400000_NS6detail17trampoline_kernelINS0_14default_configENS1_38merge_sort_block_merge_config_selectorIiNS0_10empty_typeEEEZZNS1_27merge_sort_block_merge_implIS3_N6thrust23THRUST_200600_302600_NS6detail15normal_iteratorINS9_10device_ptrIiEEEEPS5_jNS1_19radix_merge_compareILb1ELb0EiNS0_19identity_decomposerEEEEE10hipError_tT0_T1_T2_jT3_P12ihipStream_tbPNSt15iterator_traitsISK_E10value_typeEPNSQ_ISL_E10value_typeEPSM_NS1_7vsmem_tEENKUlT_SK_SL_SM_E_clISE_PiSF_SF_EESJ_SZ_SK_SL_SM_EUlSZ_E_NS1_11comp_targetILNS1_3genE4ELNS1_11target_archE910ELNS1_3gpuE8ELNS1_3repE0EEENS1_48merge_mergepath_partition_config_static_selectorELNS0_4arch9wavefront6targetE1EEEvSL_: ; @_ZN7rocprim17ROCPRIM_400000_NS6detail17trampoline_kernelINS0_14default_configENS1_38merge_sort_block_merge_config_selectorIiNS0_10empty_typeEEEZZNS1_27merge_sort_block_merge_implIS3_N6thrust23THRUST_200600_302600_NS6detail15normal_iteratorINS9_10device_ptrIiEEEEPS5_jNS1_19radix_merge_compareILb1ELb0EiNS0_19identity_decomposerEEEEE10hipError_tT0_T1_T2_jT3_P12ihipStream_tbPNSt15iterator_traitsISK_E10value_typeEPNSQ_ISL_E10value_typeEPSM_NS1_7vsmem_tEENKUlT_SK_SL_SM_E_clISE_PiSF_SF_EESJ_SZ_SK_SL_SM_EUlSZ_E_NS1_11comp_targetILNS1_3genE4ELNS1_11target_archE910ELNS1_3gpuE8ELNS1_3repE0EEENS1_48merge_mergepath_partition_config_static_selectorELNS0_4arch9wavefront6targetE1EEEvSL_
; %bb.0:
	.section	.rodata,"a",@progbits
	.p2align	6, 0x0
	.amdhsa_kernel _ZN7rocprim17ROCPRIM_400000_NS6detail17trampoline_kernelINS0_14default_configENS1_38merge_sort_block_merge_config_selectorIiNS0_10empty_typeEEEZZNS1_27merge_sort_block_merge_implIS3_N6thrust23THRUST_200600_302600_NS6detail15normal_iteratorINS9_10device_ptrIiEEEEPS5_jNS1_19radix_merge_compareILb1ELb0EiNS0_19identity_decomposerEEEEE10hipError_tT0_T1_T2_jT3_P12ihipStream_tbPNSt15iterator_traitsISK_E10value_typeEPNSQ_ISL_E10value_typeEPSM_NS1_7vsmem_tEENKUlT_SK_SL_SM_E_clISE_PiSF_SF_EESJ_SZ_SK_SL_SM_EUlSZ_E_NS1_11comp_targetILNS1_3genE4ELNS1_11target_archE910ELNS1_3gpuE8ELNS1_3repE0EEENS1_48merge_mergepath_partition_config_static_selectorELNS0_4arch9wavefront6targetE1EEEvSL_
		.amdhsa_group_segment_fixed_size 0
		.amdhsa_private_segment_fixed_size 0
		.amdhsa_kernarg_size 40
		.amdhsa_user_sgpr_count 2
		.amdhsa_user_sgpr_dispatch_ptr 0
		.amdhsa_user_sgpr_queue_ptr 0
		.amdhsa_user_sgpr_kernarg_segment_ptr 1
		.amdhsa_user_sgpr_dispatch_id 0
		.amdhsa_user_sgpr_kernarg_preload_length 0
		.amdhsa_user_sgpr_kernarg_preload_offset 0
		.amdhsa_user_sgpr_private_segment_size 0
		.amdhsa_uses_dynamic_stack 0
		.amdhsa_enable_private_segment 0
		.amdhsa_system_sgpr_workgroup_id_x 1
		.amdhsa_system_sgpr_workgroup_id_y 0
		.amdhsa_system_sgpr_workgroup_id_z 0
		.amdhsa_system_sgpr_workgroup_info 0
		.amdhsa_system_vgpr_workitem_id 0
		.amdhsa_next_free_vgpr 1
		.amdhsa_next_free_sgpr 0
		.amdhsa_accum_offset 4
		.amdhsa_reserve_vcc 0
		.amdhsa_float_round_mode_32 0
		.amdhsa_float_round_mode_16_64 0
		.amdhsa_float_denorm_mode_32 3
		.amdhsa_float_denorm_mode_16_64 3
		.amdhsa_dx10_clamp 1
		.amdhsa_ieee_mode 1
		.amdhsa_fp16_overflow 0
		.amdhsa_tg_split 0
		.amdhsa_exception_fp_ieee_invalid_op 0
		.amdhsa_exception_fp_denorm_src 0
		.amdhsa_exception_fp_ieee_div_zero 0
		.amdhsa_exception_fp_ieee_overflow 0
		.amdhsa_exception_fp_ieee_underflow 0
		.amdhsa_exception_fp_ieee_inexact 0
		.amdhsa_exception_int_div_zero 0
	.end_amdhsa_kernel
	.section	.text._ZN7rocprim17ROCPRIM_400000_NS6detail17trampoline_kernelINS0_14default_configENS1_38merge_sort_block_merge_config_selectorIiNS0_10empty_typeEEEZZNS1_27merge_sort_block_merge_implIS3_N6thrust23THRUST_200600_302600_NS6detail15normal_iteratorINS9_10device_ptrIiEEEEPS5_jNS1_19radix_merge_compareILb1ELb0EiNS0_19identity_decomposerEEEEE10hipError_tT0_T1_T2_jT3_P12ihipStream_tbPNSt15iterator_traitsISK_E10value_typeEPNSQ_ISL_E10value_typeEPSM_NS1_7vsmem_tEENKUlT_SK_SL_SM_E_clISE_PiSF_SF_EESJ_SZ_SK_SL_SM_EUlSZ_E_NS1_11comp_targetILNS1_3genE4ELNS1_11target_archE910ELNS1_3gpuE8ELNS1_3repE0EEENS1_48merge_mergepath_partition_config_static_selectorELNS0_4arch9wavefront6targetE1EEEvSL_,"axG",@progbits,_ZN7rocprim17ROCPRIM_400000_NS6detail17trampoline_kernelINS0_14default_configENS1_38merge_sort_block_merge_config_selectorIiNS0_10empty_typeEEEZZNS1_27merge_sort_block_merge_implIS3_N6thrust23THRUST_200600_302600_NS6detail15normal_iteratorINS9_10device_ptrIiEEEEPS5_jNS1_19radix_merge_compareILb1ELb0EiNS0_19identity_decomposerEEEEE10hipError_tT0_T1_T2_jT3_P12ihipStream_tbPNSt15iterator_traitsISK_E10value_typeEPNSQ_ISL_E10value_typeEPSM_NS1_7vsmem_tEENKUlT_SK_SL_SM_E_clISE_PiSF_SF_EESJ_SZ_SK_SL_SM_EUlSZ_E_NS1_11comp_targetILNS1_3genE4ELNS1_11target_archE910ELNS1_3gpuE8ELNS1_3repE0EEENS1_48merge_mergepath_partition_config_static_selectorELNS0_4arch9wavefront6targetE1EEEvSL_,comdat
.Lfunc_end249:
	.size	_ZN7rocprim17ROCPRIM_400000_NS6detail17trampoline_kernelINS0_14default_configENS1_38merge_sort_block_merge_config_selectorIiNS0_10empty_typeEEEZZNS1_27merge_sort_block_merge_implIS3_N6thrust23THRUST_200600_302600_NS6detail15normal_iteratorINS9_10device_ptrIiEEEEPS5_jNS1_19radix_merge_compareILb1ELb0EiNS0_19identity_decomposerEEEEE10hipError_tT0_T1_T2_jT3_P12ihipStream_tbPNSt15iterator_traitsISK_E10value_typeEPNSQ_ISL_E10value_typeEPSM_NS1_7vsmem_tEENKUlT_SK_SL_SM_E_clISE_PiSF_SF_EESJ_SZ_SK_SL_SM_EUlSZ_E_NS1_11comp_targetILNS1_3genE4ELNS1_11target_archE910ELNS1_3gpuE8ELNS1_3repE0EEENS1_48merge_mergepath_partition_config_static_selectorELNS0_4arch9wavefront6targetE1EEEvSL_, .Lfunc_end249-_ZN7rocprim17ROCPRIM_400000_NS6detail17trampoline_kernelINS0_14default_configENS1_38merge_sort_block_merge_config_selectorIiNS0_10empty_typeEEEZZNS1_27merge_sort_block_merge_implIS3_N6thrust23THRUST_200600_302600_NS6detail15normal_iteratorINS9_10device_ptrIiEEEEPS5_jNS1_19radix_merge_compareILb1ELb0EiNS0_19identity_decomposerEEEEE10hipError_tT0_T1_T2_jT3_P12ihipStream_tbPNSt15iterator_traitsISK_E10value_typeEPNSQ_ISL_E10value_typeEPSM_NS1_7vsmem_tEENKUlT_SK_SL_SM_E_clISE_PiSF_SF_EESJ_SZ_SK_SL_SM_EUlSZ_E_NS1_11comp_targetILNS1_3genE4ELNS1_11target_archE910ELNS1_3gpuE8ELNS1_3repE0EEENS1_48merge_mergepath_partition_config_static_selectorELNS0_4arch9wavefront6targetE1EEEvSL_
                                        ; -- End function
	.set _ZN7rocprim17ROCPRIM_400000_NS6detail17trampoline_kernelINS0_14default_configENS1_38merge_sort_block_merge_config_selectorIiNS0_10empty_typeEEEZZNS1_27merge_sort_block_merge_implIS3_N6thrust23THRUST_200600_302600_NS6detail15normal_iteratorINS9_10device_ptrIiEEEEPS5_jNS1_19radix_merge_compareILb1ELb0EiNS0_19identity_decomposerEEEEE10hipError_tT0_T1_T2_jT3_P12ihipStream_tbPNSt15iterator_traitsISK_E10value_typeEPNSQ_ISL_E10value_typeEPSM_NS1_7vsmem_tEENKUlT_SK_SL_SM_E_clISE_PiSF_SF_EESJ_SZ_SK_SL_SM_EUlSZ_E_NS1_11comp_targetILNS1_3genE4ELNS1_11target_archE910ELNS1_3gpuE8ELNS1_3repE0EEENS1_48merge_mergepath_partition_config_static_selectorELNS0_4arch9wavefront6targetE1EEEvSL_.num_vgpr, 0
	.set _ZN7rocprim17ROCPRIM_400000_NS6detail17trampoline_kernelINS0_14default_configENS1_38merge_sort_block_merge_config_selectorIiNS0_10empty_typeEEEZZNS1_27merge_sort_block_merge_implIS3_N6thrust23THRUST_200600_302600_NS6detail15normal_iteratorINS9_10device_ptrIiEEEEPS5_jNS1_19radix_merge_compareILb1ELb0EiNS0_19identity_decomposerEEEEE10hipError_tT0_T1_T2_jT3_P12ihipStream_tbPNSt15iterator_traitsISK_E10value_typeEPNSQ_ISL_E10value_typeEPSM_NS1_7vsmem_tEENKUlT_SK_SL_SM_E_clISE_PiSF_SF_EESJ_SZ_SK_SL_SM_EUlSZ_E_NS1_11comp_targetILNS1_3genE4ELNS1_11target_archE910ELNS1_3gpuE8ELNS1_3repE0EEENS1_48merge_mergepath_partition_config_static_selectorELNS0_4arch9wavefront6targetE1EEEvSL_.num_agpr, 0
	.set _ZN7rocprim17ROCPRIM_400000_NS6detail17trampoline_kernelINS0_14default_configENS1_38merge_sort_block_merge_config_selectorIiNS0_10empty_typeEEEZZNS1_27merge_sort_block_merge_implIS3_N6thrust23THRUST_200600_302600_NS6detail15normal_iteratorINS9_10device_ptrIiEEEEPS5_jNS1_19radix_merge_compareILb1ELb0EiNS0_19identity_decomposerEEEEE10hipError_tT0_T1_T2_jT3_P12ihipStream_tbPNSt15iterator_traitsISK_E10value_typeEPNSQ_ISL_E10value_typeEPSM_NS1_7vsmem_tEENKUlT_SK_SL_SM_E_clISE_PiSF_SF_EESJ_SZ_SK_SL_SM_EUlSZ_E_NS1_11comp_targetILNS1_3genE4ELNS1_11target_archE910ELNS1_3gpuE8ELNS1_3repE0EEENS1_48merge_mergepath_partition_config_static_selectorELNS0_4arch9wavefront6targetE1EEEvSL_.numbered_sgpr, 0
	.set _ZN7rocprim17ROCPRIM_400000_NS6detail17trampoline_kernelINS0_14default_configENS1_38merge_sort_block_merge_config_selectorIiNS0_10empty_typeEEEZZNS1_27merge_sort_block_merge_implIS3_N6thrust23THRUST_200600_302600_NS6detail15normal_iteratorINS9_10device_ptrIiEEEEPS5_jNS1_19radix_merge_compareILb1ELb0EiNS0_19identity_decomposerEEEEE10hipError_tT0_T1_T2_jT3_P12ihipStream_tbPNSt15iterator_traitsISK_E10value_typeEPNSQ_ISL_E10value_typeEPSM_NS1_7vsmem_tEENKUlT_SK_SL_SM_E_clISE_PiSF_SF_EESJ_SZ_SK_SL_SM_EUlSZ_E_NS1_11comp_targetILNS1_3genE4ELNS1_11target_archE910ELNS1_3gpuE8ELNS1_3repE0EEENS1_48merge_mergepath_partition_config_static_selectorELNS0_4arch9wavefront6targetE1EEEvSL_.num_named_barrier, 0
	.set _ZN7rocprim17ROCPRIM_400000_NS6detail17trampoline_kernelINS0_14default_configENS1_38merge_sort_block_merge_config_selectorIiNS0_10empty_typeEEEZZNS1_27merge_sort_block_merge_implIS3_N6thrust23THRUST_200600_302600_NS6detail15normal_iteratorINS9_10device_ptrIiEEEEPS5_jNS1_19radix_merge_compareILb1ELb0EiNS0_19identity_decomposerEEEEE10hipError_tT0_T1_T2_jT3_P12ihipStream_tbPNSt15iterator_traitsISK_E10value_typeEPNSQ_ISL_E10value_typeEPSM_NS1_7vsmem_tEENKUlT_SK_SL_SM_E_clISE_PiSF_SF_EESJ_SZ_SK_SL_SM_EUlSZ_E_NS1_11comp_targetILNS1_3genE4ELNS1_11target_archE910ELNS1_3gpuE8ELNS1_3repE0EEENS1_48merge_mergepath_partition_config_static_selectorELNS0_4arch9wavefront6targetE1EEEvSL_.private_seg_size, 0
	.set _ZN7rocprim17ROCPRIM_400000_NS6detail17trampoline_kernelINS0_14default_configENS1_38merge_sort_block_merge_config_selectorIiNS0_10empty_typeEEEZZNS1_27merge_sort_block_merge_implIS3_N6thrust23THRUST_200600_302600_NS6detail15normal_iteratorINS9_10device_ptrIiEEEEPS5_jNS1_19radix_merge_compareILb1ELb0EiNS0_19identity_decomposerEEEEE10hipError_tT0_T1_T2_jT3_P12ihipStream_tbPNSt15iterator_traitsISK_E10value_typeEPNSQ_ISL_E10value_typeEPSM_NS1_7vsmem_tEENKUlT_SK_SL_SM_E_clISE_PiSF_SF_EESJ_SZ_SK_SL_SM_EUlSZ_E_NS1_11comp_targetILNS1_3genE4ELNS1_11target_archE910ELNS1_3gpuE8ELNS1_3repE0EEENS1_48merge_mergepath_partition_config_static_selectorELNS0_4arch9wavefront6targetE1EEEvSL_.uses_vcc, 0
	.set _ZN7rocprim17ROCPRIM_400000_NS6detail17trampoline_kernelINS0_14default_configENS1_38merge_sort_block_merge_config_selectorIiNS0_10empty_typeEEEZZNS1_27merge_sort_block_merge_implIS3_N6thrust23THRUST_200600_302600_NS6detail15normal_iteratorINS9_10device_ptrIiEEEEPS5_jNS1_19radix_merge_compareILb1ELb0EiNS0_19identity_decomposerEEEEE10hipError_tT0_T1_T2_jT3_P12ihipStream_tbPNSt15iterator_traitsISK_E10value_typeEPNSQ_ISL_E10value_typeEPSM_NS1_7vsmem_tEENKUlT_SK_SL_SM_E_clISE_PiSF_SF_EESJ_SZ_SK_SL_SM_EUlSZ_E_NS1_11comp_targetILNS1_3genE4ELNS1_11target_archE910ELNS1_3gpuE8ELNS1_3repE0EEENS1_48merge_mergepath_partition_config_static_selectorELNS0_4arch9wavefront6targetE1EEEvSL_.uses_flat_scratch, 0
	.set _ZN7rocprim17ROCPRIM_400000_NS6detail17trampoline_kernelINS0_14default_configENS1_38merge_sort_block_merge_config_selectorIiNS0_10empty_typeEEEZZNS1_27merge_sort_block_merge_implIS3_N6thrust23THRUST_200600_302600_NS6detail15normal_iteratorINS9_10device_ptrIiEEEEPS5_jNS1_19radix_merge_compareILb1ELb0EiNS0_19identity_decomposerEEEEE10hipError_tT0_T1_T2_jT3_P12ihipStream_tbPNSt15iterator_traitsISK_E10value_typeEPNSQ_ISL_E10value_typeEPSM_NS1_7vsmem_tEENKUlT_SK_SL_SM_E_clISE_PiSF_SF_EESJ_SZ_SK_SL_SM_EUlSZ_E_NS1_11comp_targetILNS1_3genE4ELNS1_11target_archE910ELNS1_3gpuE8ELNS1_3repE0EEENS1_48merge_mergepath_partition_config_static_selectorELNS0_4arch9wavefront6targetE1EEEvSL_.has_dyn_sized_stack, 0
	.set _ZN7rocprim17ROCPRIM_400000_NS6detail17trampoline_kernelINS0_14default_configENS1_38merge_sort_block_merge_config_selectorIiNS0_10empty_typeEEEZZNS1_27merge_sort_block_merge_implIS3_N6thrust23THRUST_200600_302600_NS6detail15normal_iteratorINS9_10device_ptrIiEEEEPS5_jNS1_19radix_merge_compareILb1ELb0EiNS0_19identity_decomposerEEEEE10hipError_tT0_T1_T2_jT3_P12ihipStream_tbPNSt15iterator_traitsISK_E10value_typeEPNSQ_ISL_E10value_typeEPSM_NS1_7vsmem_tEENKUlT_SK_SL_SM_E_clISE_PiSF_SF_EESJ_SZ_SK_SL_SM_EUlSZ_E_NS1_11comp_targetILNS1_3genE4ELNS1_11target_archE910ELNS1_3gpuE8ELNS1_3repE0EEENS1_48merge_mergepath_partition_config_static_selectorELNS0_4arch9wavefront6targetE1EEEvSL_.has_recursion, 0
	.set _ZN7rocprim17ROCPRIM_400000_NS6detail17trampoline_kernelINS0_14default_configENS1_38merge_sort_block_merge_config_selectorIiNS0_10empty_typeEEEZZNS1_27merge_sort_block_merge_implIS3_N6thrust23THRUST_200600_302600_NS6detail15normal_iteratorINS9_10device_ptrIiEEEEPS5_jNS1_19radix_merge_compareILb1ELb0EiNS0_19identity_decomposerEEEEE10hipError_tT0_T1_T2_jT3_P12ihipStream_tbPNSt15iterator_traitsISK_E10value_typeEPNSQ_ISL_E10value_typeEPSM_NS1_7vsmem_tEENKUlT_SK_SL_SM_E_clISE_PiSF_SF_EESJ_SZ_SK_SL_SM_EUlSZ_E_NS1_11comp_targetILNS1_3genE4ELNS1_11target_archE910ELNS1_3gpuE8ELNS1_3repE0EEENS1_48merge_mergepath_partition_config_static_selectorELNS0_4arch9wavefront6targetE1EEEvSL_.has_indirect_call, 0
	.section	.AMDGPU.csdata,"",@progbits
; Kernel info:
; codeLenInByte = 0
; TotalNumSgprs: 6
; NumVgprs: 0
; NumAgprs: 0
; TotalNumVgprs: 0
; ScratchSize: 0
; MemoryBound: 0
; FloatMode: 240
; IeeeMode: 1
; LDSByteSize: 0 bytes/workgroup (compile time only)
; SGPRBlocks: 0
; VGPRBlocks: 0
; NumSGPRsForWavesPerEU: 6
; NumVGPRsForWavesPerEU: 1
; AccumOffset: 4
; Occupancy: 8
; WaveLimiterHint : 0
; COMPUTE_PGM_RSRC2:SCRATCH_EN: 0
; COMPUTE_PGM_RSRC2:USER_SGPR: 2
; COMPUTE_PGM_RSRC2:TRAP_HANDLER: 0
; COMPUTE_PGM_RSRC2:TGID_X_EN: 1
; COMPUTE_PGM_RSRC2:TGID_Y_EN: 0
; COMPUTE_PGM_RSRC2:TGID_Z_EN: 0
; COMPUTE_PGM_RSRC2:TIDIG_COMP_CNT: 0
; COMPUTE_PGM_RSRC3_GFX90A:ACCUM_OFFSET: 0
; COMPUTE_PGM_RSRC3_GFX90A:TG_SPLIT: 0
	.section	.text._ZN7rocprim17ROCPRIM_400000_NS6detail17trampoline_kernelINS0_14default_configENS1_38merge_sort_block_merge_config_selectorIiNS0_10empty_typeEEEZZNS1_27merge_sort_block_merge_implIS3_N6thrust23THRUST_200600_302600_NS6detail15normal_iteratorINS9_10device_ptrIiEEEEPS5_jNS1_19radix_merge_compareILb1ELb0EiNS0_19identity_decomposerEEEEE10hipError_tT0_T1_T2_jT3_P12ihipStream_tbPNSt15iterator_traitsISK_E10value_typeEPNSQ_ISL_E10value_typeEPSM_NS1_7vsmem_tEENKUlT_SK_SL_SM_E_clISE_PiSF_SF_EESJ_SZ_SK_SL_SM_EUlSZ_E_NS1_11comp_targetILNS1_3genE3ELNS1_11target_archE908ELNS1_3gpuE7ELNS1_3repE0EEENS1_48merge_mergepath_partition_config_static_selectorELNS0_4arch9wavefront6targetE1EEEvSL_,"axG",@progbits,_ZN7rocprim17ROCPRIM_400000_NS6detail17trampoline_kernelINS0_14default_configENS1_38merge_sort_block_merge_config_selectorIiNS0_10empty_typeEEEZZNS1_27merge_sort_block_merge_implIS3_N6thrust23THRUST_200600_302600_NS6detail15normal_iteratorINS9_10device_ptrIiEEEEPS5_jNS1_19radix_merge_compareILb1ELb0EiNS0_19identity_decomposerEEEEE10hipError_tT0_T1_T2_jT3_P12ihipStream_tbPNSt15iterator_traitsISK_E10value_typeEPNSQ_ISL_E10value_typeEPSM_NS1_7vsmem_tEENKUlT_SK_SL_SM_E_clISE_PiSF_SF_EESJ_SZ_SK_SL_SM_EUlSZ_E_NS1_11comp_targetILNS1_3genE3ELNS1_11target_archE908ELNS1_3gpuE7ELNS1_3repE0EEENS1_48merge_mergepath_partition_config_static_selectorELNS0_4arch9wavefront6targetE1EEEvSL_,comdat
	.protected	_ZN7rocprim17ROCPRIM_400000_NS6detail17trampoline_kernelINS0_14default_configENS1_38merge_sort_block_merge_config_selectorIiNS0_10empty_typeEEEZZNS1_27merge_sort_block_merge_implIS3_N6thrust23THRUST_200600_302600_NS6detail15normal_iteratorINS9_10device_ptrIiEEEEPS5_jNS1_19radix_merge_compareILb1ELb0EiNS0_19identity_decomposerEEEEE10hipError_tT0_T1_T2_jT3_P12ihipStream_tbPNSt15iterator_traitsISK_E10value_typeEPNSQ_ISL_E10value_typeEPSM_NS1_7vsmem_tEENKUlT_SK_SL_SM_E_clISE_PiSF_SF_EESJ_SZ_SK_SL_SM_EUlSZ_E_NS1_11comp_targetILNS1_3genE3ELNS1_11target_archE908ELNS1_3gpuE7ELNS1_3repE0EEENS1_48merge_mergepath_partition_config_static_selectorELNS0_4arch9wavefront6targetE1EEEvSL_ ; -- Begin function _ZN7rocprim17ROCPRIM_400000_NS6detail17trampoline_kernelINS0_14default_configENS1_38merge_sort_block_merge_config_selectorIiNS0_10empty_typeEEEZZNS1_27merge_sort_block_merge_implIS3_N6thrust23THRUST_200600_302600_NS6detail15normal_iteratorINS9_10device_ptrIiEEEEPS5_jNS1_19radix_merge_compareILb1ELb0EiNS0_19identity_decomposerEEEEE10hipError_tT0_T1_T2_jT3_P12ihipStream_tbPNSt15iterator_traitsISK_E10value_typeEPNSQ_ISL_E10value_typeEPSM_NS1_7vsmem_tEENKUlT_SK_SL_SM_E_clISE_PiSF_SF_EESJ_SZ_SK_SL_SM_EUlSZ_E_NS1_11comp_targetILNS1_3genE3ELNS1_11target_archE908ELNS1_3gpuE7ELNS1_3repE0EEENS1_48merge_mergepath_partition_config_static_selectorELNS0_4arch9wavefront6targetE1EEEvSL_
	.globl	_ZN7rocprim17ROCPRIM_400000_NS6detail17trampoline_kernelINS0_14default_configENS1_38merge_sort_block_merge_config_selectorIiNS0_10empty_typeEEEZZNS1_27merge_sort_block_merge_implIS3_N6thrust23THRUST_200600_302600_NS6detail15normal_iteratorINS9_10device_ptrIiEEEEPS5_jNS1_19radix_merge_compareILb1ELb0EiNS0_19identity_decomposerEEEEE10hipError_tT0_T1_T2_jT3_P12ihipStream_tbPNSt15iterator_traitsISK_E10value_typeEPNSQ_ISL_E10value_typeEPSM_NS1_7vsmem_tEENKUlT_SK_SL_SM_E_clISE_PiSF_SF_EESJ_SZ_SK_SL_SM_EUlSZ_E_NS1_11comp_targetILNS1_3genE3ELNS1_11target_archE908ELNS1_3gpuE7ELNS1_3repE0EEENS1_48merge_mergepath_partition_config_static_selectorELNS0_4arch9wavefront6targetE1EEEvSL_
	.p2align	8
	.type	_ZN7rocprim17ROCPRIM_400000_NS6detail17trampoline_kernelINS0_14default_configENS1_38merge_sort_block_merge_config_selectorIiNS0_10empty_typeEEEZZNS1_27merge_sort_block_merge_implIS3_N6thrust23THRUST_200600_302600_NS6detail15normal_iteratorINS9_10device_ptrIiEEEEPS5_jNS1_19radix_merge_compareILb1ELb0EiNS0_19identity_decomposerEEEEE10hipError_tT0_T1_T2_jT3_P12ihipStream_tbPNSt15iterator_traitsISK_E10value_typeEPNSQ_ISL_E10value_typeEPSM_NS1_7vsmem_tEENKUlT_SK_SL_SM_E_clISE_PiSF_SF_EESJ_SZ_SK_SL_SM_EUlSZ_E_NS1_11comp_targetILNS1_3genE3ELNS1_11target_archE908ELNS1_3gpuE7ELNS1_3repE0EEENS1_48merge_mergepath_partition_config_static_selectorELNS0_4arch9wavefront6targetE1EEEvSL_,@function
_ZN7rocprim17ROCPRIM_400000_NS6detail17trampoline_kernelINS0_14default_configENS1_38merge_sort_block_merge_config_selectorIiNS0_10empty_typeEEEZZNS1_27merge_sort_block_merge_implIS3_N6thrust23THRUST_200600_302600_NS6detail15normal_iteratorINS9_10device_ptrIiEEEEPS5_jNS1_19radix_merge_compareILb1ELb0EiNS0_19identity_decomposerEEEEE10hipError_tT0_T1_T2_jT3_P12ihipStream_tbPNSt15iterator_traitsISK_E10value_typeEPNSQ_ISL_E10value_typeEPSM_NS1_7vsmem_tEENKUlT_SK_SL_SM_E_clISE_PiSF_SF_EESJ_SZ_SK_SL_SM_EUlSZ_E_NS1_11comp_targetILNS1_3genE3ELNS1_11target_archE908ELNS1_3gpuE7ELNS1_3repE0EEENS1_48merge_mergepath_partition_config_static_selectorELNS0_4arch9wavefront6targetE1EEEvSL_: ; @_ZN7rocprim17ROCPRIM_400000_NS6detail17trampoline_kernelINS0_14default_configENS1_38merge_sort_block_merge_config_selectorIiNS0_10empty_typeEEEZZNS1_27merge_sort_block_merge_implIS3_N6thrust23THRUST_200600_302600_NS6detail15normal_iteratorINS9_10device_ptrIiEEEEPS5_jNS1_19radix_merge_compareILb1ELb0EiNS0_19identity_decomposerEEEEE10hipError_tT0_T1_T2_jT3_P12ihipStream_tbPNSt15iterator_traitsISK_E10value_typeEPNSQ_ISL_E10value_typeEPSM_NS1_7vsmem_tEENKUlT_SK_SL_SM_E_clISE_PiSF_SF_EESJ_SZ_SK_SL_SM_EUlSZ_E_NS1_11comp_targetILNS1_3genE3ELNS1_11target_archE908ELNS1_3gpuE7ELNS1_3repE0EEENS1_48merge_mergepath_partition_config_static_selectorELNS0_4arch9wavefront6targetE1EEEvSL_
; %bb.0:
	.section	.rodata,"a",@progbits
	.p2align	6, 0x0
	.amdhsa_kernel _ZN7rocprim17ROCPRIM_400000_NS6detail17trampoline_kernelINS0_14default_configENS1_38merge_sort_block_merge_config_selectorIiNS0_10empty_typeEEEZZNS1_27merge_sort_block_merge_implIS3_N6thrust23THRUST_200600_302600_NS6detail15normal_iteratorINS9_10device_ptrIiEEEEPS5_jNS1_19radix_merge_compareILb1ELb0EiNS0_19identity_decomposerEEEEE10hipError_tT0_T1_T2_jT3_P12ihipStream_tbPNSt15iterator_traitsISK_E10value_typeEPNSQ_ISL_E10value_typeEPSM_NS1_7vsmem_tEENKUlT_SK_SL_SM_E_clISE_PiSF_SF_EESJ_SZ_SK_SL_SM_EUlSZ_E_NS1_11comp_targetILNS1_3genE3ELNS1_11target_archE908ELNS1_3gpuE7ELNS1_3repE0EEENS1_48merge_mergepath_partition_config_static_selectorELNS0_4arch9wavefront6targetE1EEEvSL_
		.amdhsa_group_segment_fixed_size 0
		.amdhsa_private_segment_fixed_size 0
		.amdhsa_kernarg_size 40
		.amdhsa_user_sgpr_count 2
		.amdhsa_user_sgpr_dispatch_ptr 0
		.amdhsa_user_sgpr_queue_ptr 0
		.amdhsa_user_sgpr_kernarg_segment_ptr 1
		.amdhsa_user_sgpr_dispatch_id 0
		.amdhsa_user_sgpr_kernarg_preload_length 0
		.amdhsa_user_sgpr_kernarg_preload_offset 0
		.amdhsa_user_sgpr_private_segment_size 0
		.amdhsa_uses_dynamic_stack 0
		.amdhsa_enable_private_segment 0
		.amdhsa_system_sgpr_workgroup_id_x 1
		.amdhsa_system_sgpr_workgroup_id_y 0
		.amdhsa_system_sgpr_workgroup_id_z 0
		.amdhsa_system_sgpr_workgroup_info 0
		.amdhsa_system_vgpr_workitem_id 0
		.amdhsa_next_free_vgpr 1
		.amdhsa_next_free_sgpr 0
		.amdhsa_accum_offset 4
		.amdhsa_reserve_vcc 0
		.amdhsa_float_round_mode_32 0
		.amdhsa_float_round_mode_16_64 0
		.amdhsa_float_denorm_mode_32 3
		.amdhsa_float_denorm_mode_16_64 3
		.amdhsa_dx10_clamp 1
		.amdhsa_ieee_mode 1
		.amdhsa_fp16_overflow 0
		.amdhsa_tg_split 0
		.amdhsa_exception_fp_ieee_invalid_op 0
		.amdhsa_exception_fp_denorm_src 0
		.amdhsa_exception_fp_ieee_div_zero 0
		.amdhsa_exception_fp_ieee_overflow 0
		.amdhsa_exception_fp_ieee_underflow 0
		.amdhsa_exception_fp_ieee_inexact 0
		.amdhsa_exception_int_div_zero 0
	.end_amdhsa_kernel
	.section	.text._ZN7rocprim17ROCPRIM_400000_NS6detail17trampoline_kernelINS0_14default_configENS1_38merge_sort_block_merge_config_selectorIiNS0_10empty_typeEEEZZNS1_27merge_sort_block_merge_implIS3_N6thrust23THRUST_200600_302600_NS6detail15normal_iteratorINS9_10device_ptrIiEEEEPS5_jNS1_19radix_merge_compareILb1ELb0EiNS0_19identity_decomposerEEEEE10hipError_tT0_T1_T2_jT3_P12ihipStream_tbPNSt15iterator_traitsISK_E10value_typeEPNSQ_ISL_E10value_typeEPSM_NS1_7vsmem_tEENKUlT_SK_SL_SM_E_clISE_PiSF_SF_EESJ_SZ_SK_SL_SM_EUlSZ_E_NS1_11comp_targetILNS1_3genE3ELNS1_11target_archE908ELNS1_3gpuE7ELNS1_3repE0EEENS1_48merge_mergepath_partition_config_static_selectorELNS0_4arch9wavefront6targetE1EEEvSL_,"axG",@progbits,_ZN7rocprim17ROCPRIM_400000_NS6detail17trampoline_kernelINS0_14default_configENS1_38merge_sort_block_merge_config_selectorIiNS0_10empty_typeEEEZZNS1_27merge_sort_block_merge_implIS3_N6thrust23THRUST_200600_302600_NS6detail15normal_iteratorINS9_10device_ptrIiEEEEPS5_jNS1_19radix_merge_compareILb1ELb0EiNS0_19identity_decomposerEEEEE10hipError_tT0_T1_T2_jT3_P12ihipStream_tbPNSt15iterator_traitsISK_E10value_typeEPNSQ_ISL_E10value_typeEPSM_NS1_7vsmem_tEENKUlT_SK_SL_SM_E_clISE_PiSF_SF_EESJ_SZ_SK_SL_SM_EUlSZ_E_NS1_11comp_targetILNS1_3genE3ELNS1_11target_archE908ELNS1_3gpuE7ELNS1_3repE0EEENS1_48merge_mergepath_partition_config_static_selectorELNS0_4arch9wavefront6targetE1EEEvSL_,comdat
.Lfunc_end250:
	.size	_ZN7rocprim17ROCPRIM_400000_NS6detail17trampoline_kernelINS0_14default_configENS1_38merge_sort_block_merge_config_selectorIiNS0_10empty_typeEEEZZNS1_27merge_sort_block_merge_implIS3_N6thrust23THRUST_200600_302600_NS6detail15normal_iteratorINS9_10device_ptrIiEEEEPS5_jNS1_19radix_merge_compareILb1ELb0EiNS0_19identity_decomposerEEEEE10hipError_tT0_T1_T2_jT3_P12ihipStream_tbPNSt15iterator_traitsISK_E10value_typeEPNSQ_ISL_E10value_typeEPSM_NS1_7vsmem_tEENKUlT_SK_SL_SM_E_clISE_PiSF_SF_EESJ_SZ_SK_SL_SM_EUlSZ_E_NS1_11comp_targetILNS1_3genE3ELNS1_11target_archE908ELNS1_3gpuE7ELNS1_3repE0EEENS1_48merge_mergepath_partition_config_static_selectorELNS0_4arch9wavefront6targetE1EEEvSL_, .Lfunc_end250-_ZN7rocprim17ROCPRIM_400000_NS6detail17trampoline_kernelINS0_14default_configENS1_38merge_sort_block_merge_config_selectorIiNS0_10empty_typeEEEZZNS1_27merge_sort_block_merge_implIS3_N6thrust23THRUST_200600_302600_NS6detail15normal_iteratorINS9_10device_ptrIiEEEEPS5_jNS1_19radix_merge_compareILb1ELb0EiNS0_19identity_decomposerEEEEE10hipError_tT0_T1_T2_jT3_P12ihipStream_tbPNSt15iterator_traitsISK_E10value_typeEPNSQ_ISL_E10value_typeEPSM_NS1_7vsmem_tEENKUlT_SK_SL_SM_E_clISE_PiSF_SF_EESJ_SZ_SK_SL_SM_EUlSZ_E_NS1_11comp_targetILNS1_3genE3ELNS1_11target_archE908ELNS1_3gpuE7ELNS1_3repE0EEENS1_48merge_mergepath_partition_config_static_selectorELNS0_4arch9wavefront6targetE1EEEvSL_
                                        ; -- End function
	.set _ZN7rocprim17ROCPRIM_400000_NS6detail17trampoline_kernelINS0_14default_configENS1_38merge_sort_block_merge_config_selectorIiNS0_10empty_typeEEEZZNS1_27merge_sort_block_merge_implIS3_N6thrust23THRUST_200600_302600_NS6detail15normal_iteratorINS9_10device_ptrIiEEEEPS5_jNS1_19radix_merge_compareILb1ELb0EiNS0_19identity_decomposerEEEEE10hipError_tT0_T1_T2_jT3_P12ihipStream_tbPNSt15iterator_traitsISK_E10value_typeEPNSQ_ISL_E10value_typeEPSM_NS1_7vsmem_tEENKUlT_SK_SL_SM_E_clISE_PiSF_SF_EESJ_SZ_SK_SL_SM_EUlSZ_E_NS1_11comp_targetILNS1_3genE3ELNS1_11target_archE908ELNS1_3gpuE7ELNS1_3repE0EEENS1_48merge_mergepath_partition_config_static_selectorELNS0_4arch9wavefront6targetE1EEEvSL_.num_vgpr, 0
	.set _ZN7rocprim17ROCPRIM_400000_NS6detail17trampoline_kernelINS0_14default_configENS1_38merge_sort_block_merge_config_selectorIiNS0_10empty_typeEEEZZNS1_27merge_sort_block_merge_implIS3_N6thrust23THRUST_200600_302600_NS6detail15normal_iteratorINS9_10device_ptrIiEEEEPS5_jNS1_19radix_merge_compareILb1ELb0EiNS0_19identity_decomposerEEEEE10hipError_tT0_T1_T2_jT3_P12ihipStream_tbPNSt15iterator_traitsISK_E10value_typeEPNSQ_ISL_E10value_typeEPSM_NS1_7vsmem_tEENKUlT_SK_SL_SM_E_clISE_PiSF_SF_EESJ_SZ_SK_SL_SM_EUlSZ_E_NS1_11comp_targetILNS1_3genE3ELNS1_11target_archE908ELNS1_3gpuE7ELNS1_3repE0EEENS1_48merge_mergepath_partition_config_static_selectorELNS0_4arch9wavefront6targetE1EEEvSL_.num_agpr, 0
	.set _ZN7rocprim17ROCPRIM_400000_NS6detail17trampoline_kernelINS0_14default_configENS1_38merge_sort_block_merge_config_selectorIiNS0_10empty_typeEEEZZNS1_27merge_sort_block_merge_implIS3_N6thrust23THRUST_200600_302600_NS6detail15normal_iteratorINS9_10device_ptrIiEEEEPS5_jNS1_19radix_merge_compareILb1ELb0EiNS0_19identity_decomposerEEEEE10hipError_tT0_T1_T2_jT3_P12ihipStream_tbPNSt15iterator_traitsISK_E10value_typeEPNSQ_ISL_E10value_typeEPSM_NS1_7vsmem_tEENKUlT_SK_SL_SM_E_clISE_PiSF_SF_EESJ_SZ_SK_SL_SM_EUlSZ_E_NS1_11comp_targetILNS1_3genE3ELNS1_11target_archE908ELNS1_3gpuE7ELNS1_3repE0EEENS1_48merge_mergepath_partition_config_static_selectorELNS0_4arch9wavefront6targetE1EEEvSL_.numbered_sgpr, 0
	.set _ZN7rocprim17ROCPRIM_400000_NS6detail17trampoline_kernelINS0_14default_configENS1_38merge_sort_block_merge_config_selectorIiNS0_10empty_typeEEEZZNS1_27merge_sort_block_merge_implIS3_N6thrust23THRUST_200600_302600_NS6detail15normal_iteratorINS9_10device_ptrIiEEEEPS5_jNS1_19radix_merge_compareILb1ELb0EiNS0_19identity_decomposerEEEEE10hipError_tT0_T1_T2_jT3_P12ihipStream_tbPNSt15iterator_traitsISK_E10value_typeEPNSQ_ISL_E10value_typeEPSM_NS1_7vsmem_tEENKUlT_SK_SL_SM_E_clISE_PiSF_SF_EESJ_SZ_SK_SL_SM_EUlSZ_E_NS1_11comp_targetILNS1_3genE3ELNS1_11target_archE908ELNS1_3gpuE7ELNS1_3repE0EEENS1_48merge_mergepath_partition_config_static_selectorELNS0_4arch9wavefront6targetE1EEEvSL_.num_named_barrier, 0
	.set _ZN7rocprim17ROCPRIM_400000_NS6detail17trampoline_kernelINS0_14default_configENS1_38merge_sort_block_merge_config_selectorIiNS0_10empty_typeEEEZZNS1_27merge_sort_block_merge_implIS3_N6thrust23THRUST_200600_302600_NS6detail15normal_iteratorINS9_10device_ptrIiEEEEPS5_jNS1_19radix_merge_compareILb1ELb0EiNS0_19identity_decomposerEEEEE10hipError_tT0_T1_T2_jT3_P12ihipStream_tbPNSt15iterator_traitsISK_E10value_typeEPNSQ_ISL_E10value_typeEPSM_NS1_7vsmem_tEENKUlT_SK_SL_SM_E_clISE_PiSF_SF_EESJ_SZ_SK_SL_SM_EUlSZ_E_NS1_11comp_targetILNS1_3genE3ELNS1_11target_archE908ELNS1_3gpuE7ELNS1_3repE0EEENS1_48merge_mergepath_partition_config_static_selectorELNS0_4arch9wavefront6targetE1EEEvSL_.private_seg_size, 0
	.set _ZN7rocprim17ROCPRIM_400000_NS6detail17trampoline_kernelINS0_14default_configENS1_38merge_sort_block_merge_config_selectorIiNS0_10empty_typeEEEZZNS1_27merge_sort_block_merge_implIS3_N6thrust23THRUST_200600_302600_NS6detail15normal_iteratorINS9_10device_ptrIiEEEEPS5_jNS1_19radix_merge_compareILb1ELb0EiNS0_19identity_decomposerEEEEE10hipError_tT0_T1_T2_jT3_P12ihipStream_tbPNSt15iterator_traitsISK_E10value_typeEPNSQ_ISL_E10value_typeEPSM_NS1_7vsmem_tEENKUlT_SK_SL_SM_E_clISE_PiSF_SF_EESJ_SZ_SK_SL_SM_EUlSZ_E_NS1_11comp_targetILNS1_3genE3ELNS1_11target_archE908ELNS1_3gpuE7ELNS1_3repE0EEENS1_48merge_mergepath_partition_config_static_selectorELNS0_4arch9wavefront6targetE1EEEvSL_.uses_vcc, 0
	.set _ZN7rocprim17ROCPRIM_400000_NS6detail17trampoline_kernelINS0_14default_configENS1_38merge_sort_block_merge_config_selectorIiNS0_10empty_typeEEEZZNS1_27merge_sort_block_merge_implIS3_N6thrust23THRUST_200600_302600_NS6detail15normal_iteratorINS9_10device_ptrIiEEEEPS5_jNS1_19radix_merge_compareILb1ELb0EiNS0_19identity_decomposerEEEEE10hipError_tT0_T1_T2_jT3_P12ihipStream_tbPNSt15iterator_traitsISK_E10value_typeEPNSQ_ISL_E10value_typeEPSM_NS1_7vsmem_tEENKUlT_SK_SL_SM_E_clISE_PiSF_SF_EESJ_SZ_SK_SL_SM_EUlSZ_E_NS1_11comp_targetILNS1_3genE3ELNS1_11target_archE908ELNS1_3gpuE7ELNS1_3repE0EEENS1_48merge_mergepath_partition_config_static_selectorELNS0_4arch9wavefront6targetE1EEEvSL_.uses_flat_scratch, 0
	.set _ZN7rocprim17ROCPRIM_400000_NS6detail17trampoline_kernelINS0_14default_configENS1_38merge_sort_block_merge_config_selectorIiNS0_10empty_typeEEEZZNS1_27merge_sort_block_merge_implIS3_N6thrust23THRUST_200600_302600_NS6detail15normal_iteratorINS9_10device_ptrIiEEEEPS5_jNS1_19radix_merge_compareILb1ELb0EiNS0_19identity_decomposerEEEEE10hipError_tT0_T1_T2_jT3_P12ihipStream_tbPNSt15iterator_traitsISK_E10value_typeEPNSQ_ISL_E10value_typeEPSM_NS1_7vsmem_tEENKUlT_SK_SL_SM_E_clISE_PiSF_SF_EESJ_SZ_SK_SL_SM_EUlSZ_E_NS1_11comp_targetILNS1_3genE3ELNS1_11target_archE908ELNS1_3gpuE7ELNS1_3repE0EEENS1_48merge_mergepath_partition_config_static_selectorELNS0_4arch9wavefront6targetE1EEEvSL_.has_dyn_sized_stack, 0
	.set _ZN7rocprim17ROCPRIM_400000_NS6detail17trampoline_kernelINS0_14default_configENS1_38merge_sort_block_merge_config_selectorIiNS0_10empty_typeEEEZZNS1_27merge_sort_block_merge_implIS3_N6thrust23THRUST_200600_302600_NS6detail15normal_iteratorINS9_10device_ptrIiEEEEPS5_jNS1_19radix_merge_compareILb1ELb0EiNS0_19identity_decomposerEEEEE10hipError_tT0_T1_T2_jT3_P12ihipStream_tbPNSt15iterator_traitsISK_E10value_typeEPNSQ_ISL_E10value_typeEPSM_NS1_7vsmem_tEENKUlT_SK_SL_SM_E_clISE_PiSF_SF_EESJ_SZ_SK_SL_SM_EUlSZ_E_NS1_11comp_targetILNS1_3genE3ELNS1_11target_archE908ELNS1_3gpuE7ELNS1_3repE0EEENS1_48merge_mergepath_partition_config_static_selectorELNS0_4arch9wavefront6targetE1EEEvSL_.has_recursion, 0
	.set _ZN7rocprim17ROCPRIM_400000_NS6detail17trampoline_kernelINS0_14default_configENS1_38merge_sort_block_merge_config_selectorIiNS0_10empty_typeEEEZZNS1_27merge_sort_block_merge_implIS3_N6thrust23THRUST_200600_302600_NS6detail15normal_iteratorINS9_10device_ptrIiEEEEPS5_jNS1_19radix_merge_compareILb1ELb0EiNS0_19identity_decomposerEEEEE10hipError_tT0_T1_T2_jT3_P12ihipStream_tbPNSt15iterator_traitsISK_E10value_typeEPNSQ_ISL_E10value_typeEPSM_NS1_7vsmem_tEENKUlT_SK_SL_SM_E_clISE_PiSF_SF_EESJ_SZ_SK_SL_SM_EUlSZ_E_NS1_11comp_targetILNS1_3genE3ELNS1_11target_archE908ELNS1_3gpuE7ELNS1_3repE0EEENS1_48merge_mergepath_partition_config_static_selectorELNS0_4arch9wavefront6targetE1EEEvSL_.has_indirect_call, 0
	.section	.AMDGPU.csdata,"",@progbits
; Kernel info:
; codeLenInByte = 0
; TotalNumSgprs: 6
; NumVgprs: 0
; NumAgprs: 0
; TotalNumVgprs: 0
; ScratchSize: 0
; MemoryBound: 0
; FloatMode: 240
; IeeeMode: 1
; LDSByteSize: 0 bytes/workgroup (compile time only)
; SGPRBlocks: 0
; VGPRBlocks: 0
; NumSGPRsForWavesPerEU: 6
; NumVGPRsForWavesPerEU: 1
; AccumOffset: 4
; Occupancy: 8
; WaveLimiterHint : 0
; COMPUTE_PGM_RSRC2:SCRATCH_EN: 0
; COMPUTE_PGM_RSRC2:USER_SGPR: 2
; COMPUTE_PGM_RSRC2:TRAP_HANDLER: 0
; COMPUTE_PGM_RSRC2:TGID_X_EN: 1
; COMPUTE_PGM_RSRC2:TGID_Y_EN: 0
; COMPUTE_PGM_RSRC2:TGID_Z_EN: 0
; COMPUTE_PGM_RSRC2:TIDIG_COMP_CNT: 0
; COMPUTE_PGM_RSRC3_GFX90A:ACCUM_OFFSET: 0
; COMPUTE_PGM_RSRC3_GFX90A:TG_SPLIT: 0
	.section	.text._ZN7rocprim17ROCPRIM_400000_NS6detail17trampoline_kernelINS0_14default_configENS1_38merge_sort_block_merge_config_selectorIiNS0_10empty_typeEEEZZNS1_27merge_sort_block_merge_implIS3_N6thrust23THRUST_200600_302600_NS6detail15normal_iteratorINS9_10device_ptrIiEEEEPS5_jNS1_19radix_merge_compareILb1ELb0EiNS0_19identity_decomposerEEEEE10hipError_tT0_T1_T2_jT3_P12ihipStream_tbPNSt15iterator_traitsISK_E10value_typeEPNSQ_ISL_E10value_typeEPSM_NS1_7vsmem_tEENKUlT_SK_SL_SM_E_clISE_PiSF_SF_EESJ_SZ_SK_SL_SM_EUlSZ_E_NS1_11comp_targetILNS1_3genE2ELNS1_11target_archE906ELNS1_3gpuE6ELNS1_3repE0EEENS1_48merge_mergepath_partition_config_static_selectorELNS0_4arch9wavefront6targetE1EEEvSL_,"axG",@progbits,_ZN7rocprim17ROCPRIM_400000_NS6detail17trampoline_kernelINS0_14default_configENS1_38merge_sort_block_merge_config_selectorIiNS0_10empty_typeEEEZZNS1_27merge_sort_block_merge_implIS3_N6thrust23THRUST_200600_302600_NS6detail15normal_iteratorINS9_10device_ptrIiEEEEPS5_jNS1_19radix_merge_compareILb1ELb0EiNS0_19identity_decomposerEEEEE10hipError_tT0_T1_T2_jT3_P12ihipStream_tbPNSt15iterator_traitsISK_E10value_typeEPNSQ_ISL_E10value_typeEPSM_NS1_7vsmem_tEENKUlT_SK_SL_SM_E_clISE_PiSF_SF_EESJ_SZ_SK_SL_SM_EUlSZ_E_NS1_11comp_targetILNS1_3genE2ELNS1_11target_archE906ELNS1_3gpuE6ELNS1_3repE0EEENS1_48merge_mergepath_partition_config_static_selectorELNS0_4arch9wavefront6targetE1EEEvSL_,comdat
	.protected	_ZN7rocprim17ROCPRIM_400000_NS6detail17trampoline_kernelINS0_14default_configENS1_38merge_sort_block_merge_config_selectorIiNS0_10empty_typeEEEZZNS1_27merge_sort_block_merge_implIS3_N6thrust23THRUST_200600_302600_NS6detail15normal_iteratorINS9_10device_ptrIiEEEEPS5_jNS1_19radix_merge_compareILb1ELb0EiNS0_19identity_decomposerEEEEE10hipError_tT0_T1_T2_jT3_P12ihipStream_tbPNSt15iterator_traitsISK_E10value_typeEPNSQ_ISL_E10value_typeEPSM_NS1_7vsmem_tEENKUlT_SK_SL_SM_E_clISE_PiSF_SF_EESJ_SZ_SK_SL_SM_EUlSZ_E_NS1_11comp_targetILNS1_3genE2ELNS1_11target_archE906ELNS1_3gpuE6ELNS1_3repE0EEENS1_48merge_mergepath_partition_config_static_selectorELNS0_4arch9wavefront6targetE1EEEvSL_ ; -- Begin function _ZN7rocprim17ROCPRIM_400000_NS6detail17trampoline_kernelINS0_14default_configENS1_38merge_sort_block_merge_config_selectorIiNS0_10empty_typeEEEZZNS1_27merge_sort_block_merge_implIS3_N6thrust23THRUST_200600_302600_NS6detail15normal_iteratorINS9_10device_ptrIiEEEEPS5_jNS1_19radix_merge_compareILb1ELb0EiNS0_19identity_decomposerEEEEE10hipError_tT0_T1_T2_jT3_P12ihipStream_tbPNSt15iterator_traitsISK_E10value_typeEPNSQ_ISL_E10value_typeEPSM_NS1_7vsmem_tEENKUlT_SK_SL_SM_E_clISE_PiSF_SF_EESJ_SZ_SK_SL_SM_EUlSZ_E_NS1_11comp_targetILNS1_3genE2ELNS1_11target_archE906ELNS1_3gpuE6ELNS1_3repE0EEENS1_48merge_mergepath_partition_config_static_selectorELNS0_4arch9wavefront6targetE1EEEvSL_
	.globl	_ZN7rocprim17ROCPRIM_400000_NS6detail17trampoline_kernelINS0_14default_configENS1_38merge_sort_block_merge_config_selectorIiNS0_10empty_typeEEEZZNS1_27merge_sort_block_merge_implIS3_N6thrust23THRUST_200600_302600_NS6detail15normal_iteratorINS9_10device_ptrIiEEEEPS5_jNS1_19radix_merge_compareILb1ELb0EiNS0_19identity_decomposerEEEEE10hipError_tT0_T1_T2_jT3_P12ihipStream_tbPNSt15iterator_traitsISK_E10value_typeEPNSQ_ISL_E10value_typeEPSM_NS1_7vsmem_tEENKUlT_SK_SL_SM_E_clISE_PiSF_SF_EESJ_SZ_SK_SL_SM_EUlSZ_E_NS1_11comp_targetILNS1_3genE2ELNS1_11target_archE906ELNS1_3gpuE6ELNS1_3repE0EEENS1_48merge_mergepath_partition_config_static_selectorELNS0_4arch9wavefront6targetE1EEEvSL_
	.p2align	8
	.type	_ZN7rocprim17ROCPRIM_400000_NS6detail17trampoline_kernelINS0_14default_configENS1_38merge_sort_block_merge_config_selectorIiNS0_10empty_typeEEEZZNS1_27merge_sort_block_merge_implIS3_N6thrust23THRUST_200600_302600_NS6detail15normal_iteratorINS9_10device_ptrIiEEEEPS5_jNS1_19radix_merge_compareILb1ELb0EiNS0_19identity_decomposerEEEEE10hipError_tT0_T1_T2_jT3_P12ihipStream_tbPNSt15iterator_traitsISK_E10value_typeEPNSQ_ISL_E10value_typeEPSM_NS1_7vsmem_tEENKUlT_SK_SL_SM_E_clISE_PiSF_SF_EESJ_SZ_SK_SL_SM_EUlSZ_E_NS1_11comp_targetILNS1_3genE2ELNS1_11target_archE906ELNS1_3gpuE6ELNS1_3repE0EEENS1_48merge_mergepath_partition_config_static_selectorELNS0_4arch9wavefront6targetE1EEEvSL_,@function
_ZN7rocprim17ROCPRIM_400000_NS6detail17trampoline_kernelINS0_14default_configENS1_38merge_sort_block_merge_config_selectorIiNS0_10empty_typeEEEZZNS1_27merge_sort_block_merge_implIS3_N6thrust23THRUST_200600_302600_NS6detail15normal_iteratorINS9_10device_ptrIiEEEEPS5_jNS1_19radix_merge_compareILb1ELb0EiNS0_19identity_decomposerEEEEE10hipError_tT0_T1_T2_jT3_P12ihipStream_tbPNSt15iterator_traitsISK_E10value_typeEPNSQ_ISL_E10value_typeEPSM_NS1_7vsmem_tEENKUlT_SK_SL_SM_E_clISE_PiSF_SF_EESJ_SZ_SK_SL_SM_EUlSZ_E_NS1_11comp_targetILNS1_3genE2ELNS1_11target_archE906ELNS1_3gpuE6ELNS1_3repE0EEENS1_48merge_mergepath_partition_config_static_selectorELNS0_4arch9wavefront6targetE1EEEvSL_: ; @_ZN7rocprim17ROCPRIM_400000_NS6detail17trampoline_kernelINS0_14default_configENS1_38merge_sort_block_merge_config_selectorIiNS0_10empty_typeEEEZZNS1_27merge_sort_block_merge_implIS3_N6thrust23THRUST_200600_302600_NS6detail15normal_iteratorINS9_10device_ptrIiEEEEPS5_jNS1_19radix_merge_compareILb1ELb0EiNS0_19identity_decomposerEEEEE10hipError_tT0_T1_T2_jT3_P12ihipStream_tbPNSt15iterator_traitsISK_E10value_typeEPNSQ_ISL_E10value_typeEPSM_NS1_7vsmem_tEENKUlT_SK_SL_SM_E_clISE_PiSF_SF_EESJ_SZ_SK_SL_SM_EUlSZ_E_NS1_11comp_targetILNS1_3genE2ELNS1_11target_archE906ELNS1_3gpuE6ELNS1_3repE0EEENS1_48merge_mergepath_partition_config_static_selectorELNS0_4arch9wavefront6targetE1EEEvSL_
; %bb.0:
	.section	.rodata,"a",@progbits
	.p2align	6, 0x0
	.amdhsa_kernel _ZN7rocprim17ROCPRIM_400000_NS6detail17trampoline_kernelINS0_14default_configENS1_38merge_sort_block_merge_config_selectorIiNS0_10empty_typeEEEZZNS1_27merge_sort_block_merge_implIS3_N6thrust23THRUST_200600_302600_NS6detail15normal_iteratorINS9_10device_ptrIiEEEEPS5_jNS1_19radix_merge_compareILb1ELb0EiNS0_19identity_decomposerEEEEE10hipError_tT0_T1_T2_jT3_P12ihipStream_tbPNSt15iterator_traitsISK_E10value_typeEPNSQ_ISL_E10value_typeEPSM_NS1_7vsmem_tEENKUlT_SK_SL_SM_E_clISE_PiSF_SF_EESJ_SZ_SK_SL_SM_EUlSZ_E_NS1_11comp_targetILNS1_3genE2ELNS1_11target_archE906ELNS1_3gpuE6ELNS1_3repE0EEENS1_48merge_mergepath_partition_config_static_selectorELNS0_4arch9wavefront6targetE1EEEvSL_
		.amdhsa_group_segment_fixed_size 0
		.amdhsa_private_segment_fixed_size 0
		.amdhsa_kernarg_size 40
		.amdhsa_user_sgpr_count 2
		.amdhsa_user_sgpr_dispatch_ptr 0
		.amdhsa_user_sgpr_queue_ptr 0
		.amdhsa_user_sgpr_kernarg_segment_ptr 1
		.amdhsa_user_sgpr_dispatch_id 0
		.amdhsa_user_sgpr_kernarg_preload_length 0
		.amdhsa_user_sgpr_kernarg_preload_offset 0
		.amdhsa_user_sgpr_private_segment_size 0
		.amdhsa_uses_dynamic_stack 0
		.amdhsa_enable_private_segment 0
		.amdhsa_system_sgpr_workgroup_id_x 1
		.amdhsa_system_sgpr_workgroup_id_y 0
		.amdhsa_system_sgpr_workgroup_id_z 0
		.amdhsa_system_sgpr_workgroup_info 0
		.amdhsa_system_vgpr_workitem_id 0
		.amdhsa_next_free_vgpr 1
		.amdhsa_next_free_sgpr 0
		.amdhsa_accum_offset 4
		.amdhsa_reserve_vcc 0
		.amdhsa_float_round_mode_32 0
		.amdhsa_float_round_mode_16_64 0
		.amdhsa_float_denorm_mode_32 3
		.amdhsa_float_denorm_mode_16_64 3
		.amdhsa_dx10_clamp 1
		.amdhsa_ieee_mode 1
		.amdhsa_fp16_overflow 0
		.amdhsa_tg_split 0
		.amdhsa_exception_fp_ieee_invalid_op 0
		.amdhsa_exception_fp_denorm_src 0
		.amdhsa_exception_fp_ieee_div_zero 0
		.amdhsa_exception_fp_ieee_overflow 0
		.amdhsa_exception_fp_ieee_underflow 0
		.amdhsa_exception_fp_ieee_inexact 0
		.amdhsa_exception_int_div_zero 0
	.end_amdhsa_kernel
	.section	.text._ZN7rocprim17ROCPRIM_400000_NS6detail17trampoline_kernelINS0_14default_configENS1_38merge_sort_block_merge_config_selectorIiNS0_10empty_typeEEEZZNS1_27merge_sort_block_merge_implIS3_N6thrust23THRUST_200600_302600_NS6detail15normal_iteratorINS9_10device_ptrIiEEEEPS5_jNS1_19radix_merge_compareILb1ELb0EiNS0_19identity_decomposerEEEEE10hipError_tT0_T1_T2_jT3_P12ihipStream_tbPNSt15iterator_traitsISK_E10value_typeEPNSQ_ISL_E10value_typeEPSM_NS1_7vsmem_tEENKUlT_SK_SL_SM_E_clISE_PiSF_SF_EESJ_SZ_SK_SL_SM_EUlSZ_E_NS1_11comp_targetILNS1_3genE2ELNS1_11target_archE906ELNS1_3gpuE6ELNS1_3repE0EEENS1_48merge_mergepath_partition_config_static_selectorELNS0_4arch9wavefront6targetE1EEEvSL_,"axG",@progbits,_ZN7rocprim17ROCPRIM_400000_NS6detail17trampoline_kernelINS0_14default_configENS1_38merge_sort_block_merge_config_selectorIiNS0_10empty_typeEEEZZNS1_27merge_sort_block_merge_implIS3_N6thrust23THRUST_200600_302600_NS6detail15normal_iteratorINS9_10device_ptrIiEEEEPS5_jNS1_19radix_merge_compareILb1ELb0EiNS0_19identity_decomposerEEEEE10hipError_tT0_T1_T2_jT3_P12ihipStream_tbPNSt15iterator_traitsISK_E10value_typeEPNSQ_ISL_E10value_typeEPSM_NS1_7vsmem_tEENKUlT_SK_SL_SM_E_clISE_PiSF_SF_EESJ_SZ_SK_SL_SM_EUlSZ_E_NS1_11comp_targetILNS1_3genE2ELNS1_11target_archE906ELNS1_3gpuE6ELNS1_3repE0EEENS1_48merge_mergepath_partition_config_static_selectorELNS0_4arch9wavefront6targetE1EEEvSL_,comdat
.Lfunc_end251:
	.size	_ZN7rocprim17ROCPRIM_400000_NS6detail17trampoline_kernelINS0_14default_configENS1_38merge_sort_block_merge_config_selectorIiNS0_10empty_typeEEEZZNS1_27merge_sort_block_merge_implIS3_N6thrust23THRUST_200600_302600_NS6detail15normal_iteratorINS9_10device_ptrIiEEEEPS5_jNS1_19radix_merge_compareILb1ELb0EiNS0_19identity_decomposerEEEEE10hipError_tT0_T1_T2_jT3_P12ihipStream_tbPNSt15iterator_traitsISK_E10value_typeEPNSQ_ISL_E10value_typeEPSM_NS1_7vsmem_tEENKUlT_SK_SL_SM_E_clISE_PiSF_SF_EESJ_SZ_SK_SL_SM_EUlSZ_E_NS1_11comp_targetILNS1_3genE2ELNS1_11target_archE906ELNS1_3gpuE6ELNS1_3repE0EEENS1_48merge_mergepath_partition_config_static_selectorELNS0_4arch9wavefront6targetE1EEEvSL_, .Lfunc_end251-_ZN7rocprim17ROCPRIM_400000_NS6detail17trampoline_kernelINS0_14default_configENS1_38merge_sort_block_merge_config_selectorIiNS0_10empty_typeEEEZZNS1_27merge_sort_block_merge_implIS3_N6thrust23THRUST_200600_302600_NS6detail15normal_iteratorINS9_10device_ptrIiEEEEPS5_jNS1_19radix_merge_compareILb1ELb0EiNS0_19identity_decomposerEEEEE10hipError_tT0_T1_T2_jT3_P12ihipStream_tbPNSt15iterator_traitsISK_E10value_typeEPNSQ_ISL_E10value_typeEPSM_NS1_7vsmem_tEENKUlT_SK_SL_SM_E_clISE_PiSF_SF_EESJ_SZ_SK_SL_SM_EUlSZ_E_NS1_11comp_targetILNS1_3genE2ELNS1_11target_archE906ELNS1_3gpuE6ELNS1_3repE0EEENS1_48merge_mergepath_partition_config_static_selectorELNS0_4arch9wavefront6targetE1EEEvSL_
                                        ; -- End function
	.set _ZN7rocprim17ROCPRIM_400000_NS6detail17trampoline_kernelINS0_14default_configENS1_38merge_sort_block_merge_config_selectorIiNS0_10empty_typeEEEZZNS1_27merge_sort_block_merge_implIS3_N6thrust23THRUST_200600_302600_NS6detail15normal_iteratorINS9_10device_ptrIiEEEEPS5_jNS1_19radix_merge_compareILb1ELb0EiNS0_19identity_decomposerEEEEE10hipError_tT0_T1_T2_jT3_P12ihipStream_tbPNSt15iterator_traitsISK_E10value_typeEPNSQ_ISL_E10value_typeEPSM_NS1_7vsmem_tEENKUlT_SK_SL_SM_E_clISE_PiSF_SF_EESJ_SZ_SK_SL_SM_EUlSZ_E_NS1_11comp_targetILNS1_3genE2ELNS1_11target_archE906ELNS1_3gpuE6ELNS1_3repE0EEENS1_48merge_mergepath_partition_config_static_selectorELNS0_4arch9wavefront6targetE1EEEvSL_.num_vgpr, 0
	.set _ZN7rocprim17ROCPRIM_400000_NS6detail17trampoline_kernelINS0_14default_configENS1_38merge_sort_block_merge_config_selectorIiNS0_10empty_typeEEEZZNS1_27merge_sort_block_merge_implIS3_N6thrust23THRUST_200600_302600_NS6detail15normal_iteratorINS9_10device_ptrIiEEEEPS5_jNS1_19radix_merge_compareILb1ELb0EiNS0_19identity_decomposerEEEEE10hipError_tT0_T1_T2_jT3_P12ihipStream_tbPNSt15iterator_traitsISK_E10value_typeEPNSQ_ISL_E10value_typeEPSM_NS1_7vsmem_tEENKUlT_SK_SL_SM_E_clISE_PiSF_SF_EESJ_SZ_SK_SL_SM_EUlSZ_E_NS1_11comp_targetILNS1_3genE2ELNS1_11target_archE906ELNS1_3gpuE6ELNS1_3repE0EEENS1_48merge_mergepath_partition_config_static_selectorELNS0_4arch9wavefront6targetE1EEEvSL_.num_agpr, 0
	.set _ZN7rocprim17ROCPRIM_400000_NS6detail17trampoline_kernelINS0_14default_configENS1_38merge_sort_block_merge_config_selectorIiNS0_10empty_typeEEEZZNS1_27merge_sort_block_merge_implIS3_N6thrust23THRUST_200600_302600_NS6detail15normal_iteratorINS9_10device_ptrIiEEEEPS5_jNS1_19radix_merge_compareILb1ELb0EiNS0_19identity_decomposerEEEEE10hipError_tT0_T1_T2_jT3_P12ihipStream_tbPNSt15iterator_traitsISK_E10value_typeEPNSQ_ISL_E10value_typeEPSM_NS1_7vsmem_tEENKUlT_SK_SL_SM_E_clISE_PiSF_SF_EESJ_SZ_SK_SL_SM_EUlSZ_E_NS1_11comp_targetILNS1_3genE2ELNS1_11target_archE906ELNS1_3gpuE6ELNS1_3repE0EEENS1_48merge_mergepath_partition_config_static_selectorELNS0_4arch9wavefront6targetE1EEEvSL_.numbered_sgpr, 0
	.set _ZN7rocprim17ROCPRIM_400000_NS6detail17trampoline_kernelINS0_14default_configENS1_38merge_sort_block_merge_config_selectorIiNS0_10empty_typeEEEZZNS1_27merge_sort_block_merge_implIS3_N6thrust23THRUST_200600_302600_NS6detail15normal_iteratorINS9_10device_ptrIiEEEEPS5_jNS1_19radix_merge_compareILb1ELb0EiNS0_19identity_decomposerEEEEE10hipError_tT0_T1_T2_jT3_P12ihipStream_tbPNSt15iterator_traitsISK_E10value_typeEPNSQ_ISL_E10value_typeEPSM_NS1_7vsmem_tEENKUlT_SK_SL_SM_E_clISE_PiSF_SF_EESJ_SZ_SK_SL_SM_EUlSZ_E_NS1_11comp_targetILNS1_3genE2ELNS1_11target_archE906ELNS1_3gpuE6ELNS1_3repE0EEENS1_48merge_mergepath_partition_config_static_selectorELNS0_4arch9wavefront6targetE1EEEvSL_.num_named_barrier, 0
	.set _ZN7rocprim17ROCPRIM_400000_NS6detail17trampoline_kernelINS0_14default_configENS1_38merge_sort_block_merge_config_selectorIiNS0_10empty_typeEEEZZNS1_27merge_sort_block_merge_implIS3_N6thrust23THRUST_200600_302600_NS6detail15normal_iteratorINS9_10device_ptrIiEEEEPS5_jNS1_19radix_merge_compareILb1ELb0EiNS0_19identity_decomposerEEEEE10hipError_tT0_T1_T2_jT3_P12ihipStream_tbPNSt15iterator_traitsISK_E10value_typeEPNSQ_ISL_E10value_typeEPSM_NS1_7vsmem_tEENKUlT_SK_SL_SM_E_clISE_PiSF_SF_EESJ_SZ_SK_SL_SM_EUlSZ_E_NS1_11comp_targetILNS1_3genE2ELNS1_11target_archE906ELNS1_3gpuE6ELNS1_3repE0EEENS1_48merge_mergepath_partition_config_static_selectorELNS0_4arch9wavefront6targetE1EEEvSL_.private_seg_size, 0
	.set _ZN7rocprim17ROCPRIM_400000_NS6detail17trampoline_kernelINS0_14default_configENS1_38merge_sort_block_merge_config_selectorIiNS0_10empty_typeEEEZZNS1_27merge_sort_block_merge_implIS3_N6thrust23THRUST_200600_302600_NS6detail15normal_iteratorINS9_10device_ptrIiEEEEPS5_jNS1_19radix_merge_compareILb1ELb0EiNS0_19identity_decomposerEEEEE10hipError_tT0_T1_T2_jT3_P12ihipStream_tbPNSt15iterator_traitsISK_E10value_typeEPNSQ_ISL_E10value_typeEPSM_NS1_7vsmem_tEENKUlT_SK_SL_SM_E_clISE_PiSF_SF_EESJ_SZ_SK_SL_SM_EUlSZ_E_NS1_11comp_targetILNS1_3genE2ELNS1_11target_archE906ELNS1_3gpuE6ELNS1_3repE0EEENS1_48merge_mergepath_partition_config_static_selectorELNS0_4arch9wavefront6targetE1EEEvSL_.uses_vcc, 0
	.set _ZN7rocprim17ROCPRIM_400000_NS6detail17trampoline_kernelINS0_14default_configENS1_38merge_sort_block_merge_config_selectorIiNS0_10empty_typeEEEZZNS1_27merge_sort_block_merge_implIS3_N6thrust23THRUST_200600_302600_NS6detail15normal_iteratorINS9_10device_ptrIiEEEEPS5_jNS1_19radix_merge_compareILb1ELb0EiNS0_19identity_decomposerEEEEE10hipError_tT0_T1_T2_jT3_P12ihipStream_tbPNSt15iterator_traitsISK_E10value_typeEPNSQ_ISL_E10value_typeEPSM_NS1_7vsmem_tEENKUlT_SK_SL_SM_E_clISE_PiSF_SF_EESJ_SZ_SK_SL_SM_EUlSZ_E_NS1_11comp_targetILNS1_3genE2ELNS1_11target_archE906ELNS1_3gpuE6ELNS1_3repE0EEENS1_48merge_mergepath_partition_config_static_selectorELNS0_4arch9wavefront6targetE1EEEvSL_.uses_flat_scratch, 0
	.set _ZN7rocprim17ROCPRIM_400000_NS6detail17trampoline_kernelINS0_14default_configENS1_38merge_sort_block_merge_config_selectorIiNS0_10empty_typeEEEZZNS1_27merge_sort_block_merge_implIS3_N6thrust23THRUST_200600_302600_NS6detail15normal_iteratorINS9_10device_ptrIiEEEEPS5_jNS1_19radix_merge_compareILb1ELb0EiNS0_19identity_decomposerEEEEE10hipError_tT0_T1_T2_jT3_P12ihipStream_tbPNSt15iterator_traitsISK_E10value_typeEPNSQ_ISL_E10value_typeEPSM_NS1_7vsmem_tEENKUlT_SK_SL_SM_E_clISE_PiSF_SF_EESJ_SZ_SK_SL_SM_EUlSZ_E_NS1_11comp_targetILNS1_3genE2ELNS1_11target_archE906ELNS1_3gpuE6ELNS1_3repE0EEENS1_48merge_mergepath_partition_config_static_selectorELNS0_4arch9wavefront6targetE1EEEvSL_.has_dyn_sized_stack, 0
	.set _ZN7rocprim17ROCPRIM_400000_NS6detail17trampoline_kernelINS0_14default_configENS1_38merge_sort_block_merge_config_selectorIiNS0_10empty_typeEEEZZNS1_27merge_sort_block_merge_implIS3_N6thrust23THRUST_200600_302600_NS6detail15normal_iteratorINS9_10device_ptrIiEEEEPS5_jNS1_19radix_merge_compareILb1ELb0EiNS0_19identity_decomposerEEEEE10hipError_tT0_T1_T2_jT3_P12ihipStream_tbPNSt15iterator_traitsISK_E10value_typeEPNSQ_ISL_E10value_typeEPSM_NS1_7vsmem_tEENKUlT_SK_SL_SM_E_clISE_PiSF_SF_EESJ_SZ_SK_SL_SM_EUlSZ_E_NS1_11comp_targetILNS1_3genE2ELNS1_11target_archE906ELNS1_3gpuE6ELNS1_3repE0EEENS1_48merge_mergepath_partition_config_static_selectorELNS0_4arch9wavefront6targetE1EEEvSL_.has_recursion, 0
	.set _ZN7rocprim17ROCPRIM_400000_NS6detail17trampoline_kernelINS0_14default_configENS1_38merge_sort_block_merge_config_selectorIiNS0_10empty_typeEEEZZNS1_27merge_sort_block_merge_implIS3_N6thrust23THRUST_200600_302600_NS6detail15normal_iteratorINS9_10device_ptrIiEEEEPS5_jNS1_19radix_merge_compareILb1ELb0EiNS0_19identity_decomposerEEEEE10hipError_tT0_T1_T2_jT3_P12ihipStream_tbPNSt15iterator_traitsISK_E10value_typeEPNSQ_ISL_E10value_typeEPSM_NS1_7vsmem_tEENKUlT_SK_SL_SM_E_clISE_PiSF_SF_EESJ_SZ_SK_SL_SM_EUlSZ_E_NS1_11comp_targetILNS1_3genE2ELNS1_11target_archE906ELNS1_3gpuE6ELNS1_3repE0EEENS1_48merge_mergepath_partition_config_static_selectorELNS0_4arch9wavefront6targetE1EEEvSL_.has_indirect_call, 0
	.section	.AMDGPU.csdata,"",@progbits
; Kernel info:
; codeLenInByte = 0
; TotalNumSgprs: 6
; NumVgprs: 0
; NumAgprs: 0
; TotalNumVgprs: 0
; ScratchSize: 0
; MemoryBound: 0
; FloatMode: 240
; IeeeMode: 1
; LDSByteSize: 0 bytes/workgroup (compile time only)
; SGPRBlocks: 0
; VGPRBlocks: 0
; NumSGPRsForWavesPerEU: 6
; NumVGPRsForWavesPerEU: 1
; AccumOffset: 4
; Occupancy: 8
; WaveLimiterHint : 0
; COMPUTE_PGM_RSRC2:SCRATCH_EN: 0
; COMPUTE_PGM_RSRC2:USER_SGPR: 2
; COMPUTE_PGM_RSRC2:TRAP_HANDLER: 0
; COMPUTE_PGM_RSRC2:TGID_X_EN: 1
; COMPUTE_PGM_RSRC2:TGID_Y_EN: 0
; COMPUTE_PGM_RSRC2:TGID_Z_EN: 0
; COMPUTE_PGM_RSRC2:TIDIG_COMP_CNT: 0
; COMPUTE_PGM_RSRC3_GFX90A:ACCUM_OFFSET: 0
; COMPUTE_PGM_RSRC3_GFX90A:TG_SPLIT: 0
	.section	.text._ZN7rocprim17ROCPRIM_400000_NS6detail17trampoline_kernelINS0_14default_configENS1_38merge_sort_block_merge_config_selectorIiNS0_10empty_typeEEEZZNS1_27merge_sort_block_merge_implIS3_N6thrust23THRUST_200600_302600_NS6detail15normal_iteratorINS9_10device_ptrIiEEEEPS5_jNS1_19radix_merge_compareILb1ELb0EiNS0_19identity_decomposerEEEEE10hipError_tT0_T1_T2_jT3_P12ihipStream_tbPNSt15iterator_traitsISK_E10value_typeEPNSQ_ISL_E10value_typeEPSM_NS1_7vsmem_tEENKUlT_SK_SL_SM_E_clISE_PiSF_SF_EESJ_SZ_SK_SL_SM_EUlSZ_E_NS1_11comp_targetILNS1_3genE9ELNS1_11target_archE1100ELNS1_3gpuE3ELNS1_3repE0EEENS1_48merge_mergepath_partition_config_static_selectorELNS0_4arch9wavefront6targetE1EEEvSL_,"axG",@progbits,_ZN7rocprim17ROCPRIM_400000_NS6detail17trampoline_kernelINS0_14default_configENS1_38merge_sort_block_merge_config_selectorIiNS0_10empty_typeEEEZZNS1_27merge_sort_block_merge_implIS3_N6thrust23THRUST_200600_302600_NS6detail15normal_iteratorINS9_10device_ptrIiEEEEPS5_jNS1_19radix_merge_compareILb1ELb0EiNS0_19identity_decomposerEEEEE10hipError_tT0_T1_T2_jT3_P12ihipStream_tbPNSt15iterator_traitsISK_E10value_typeEPNSQ_ISL_E10value_typeEPSM_NS1_7vsmem_tEENKUlT_SK_SL_SM_E_clISE_PiSF_SF_EESJ_SZ_SK_SL_SM_EUlSZ_E_NS1_11comp_targetILNS1_3genE9ELNS1_11target_archE1100ELNS1_3gpuE3ELNS1_3repE0EEENS1_48merge_mergepath_partition_config_static_selectorELNS0_4arch9wavefront6targetE1EEEvSL_,comdat
	.protected	_ZN7rocprim17ROCPRIM_400000_NS6detail17trampoline_kernelINS0_14default_configENS1_38merge_sort_block_merge_config_selectorIiNS0_10empty_typeEEEZZNS1_27merge_sort_block_merge_implIS3_N6thrust23THRUST_200600_302600_NS6detail15normal_iteratorINS9_10device_ptrIiEEEEPS5_jNS1_19radix_merge_compareILb1ELb0EiNS0_19identity_decomposerEEEEE10hipError_tT0_T1_T2_jT3_P12ihipStream_tbPNSt15iterator_traitsISK_E10value_typeEPNSQ_ISL_E10value_typeEPSM_NS1_7vsmem_tEENKUlT_SK_SL_SM_E_clISE_PiSF_SF_EESJ_SZ_SK_SL_SM_EUlSZ_E_NS1_11comp_targetILNS1_3genE9ELNS1_11target_archE1100ELNS1_3gpuE3ELNS1_3repE0EEENS1_48merge_mergepath_partition_config_static_selectorELNS0_4arch9wavefront6targetE1EEEvSL_ ; -- Begin function _ZN7rocprim17ROCPRIM_400000_NS6detail17trampoline_kernelINS0_14default_configENS1_38merge_sort_block_merge_config_selectorIiNS0_10empty_typeEEEZZNS1_27merge_sort_block_merge_implIS3_N6thrust23THRUST_200600_302600_NS6detail15normal_iteratorINS9_10device_ptrIiEEEEPS5_jNS1_19radix_merge_compareILb1ELb0EiNS0_19identity_decomposerEEEEE10hipError_tT0_T1_T2_jT3_P12ihipStream_tbPNSt15iterator_traitsISK_E10value_typeEPNSQ_ISL_E10value_typeEPSM_NS1_7vsmem_tEENKUlT_SK_SL_SM_E_clISE_PiSF_SF_EESJ_SZ_SK_SL_SM_EUlSZ_E_NS1_11comp_targetILNS1_3genE9ELNS1_11target_archE1100ELNS1_3gpuE3ELNS1_3repE0EEENS1_48merge_mergepath_partition_config_static_selectorELNS0_4arch9wavefront6targetE1EEEvSL_
	.globl	_ZN7rocprim17ROCPRIM_400000_NS6detail17trampoline_kernelINS0_14default_configENS1_38merge_sort_block_merge_config_selectorIiNS0_10empty_typeEEEZZNS1_27merge_sort_block_merge_implIS3_N6thrust23THRUST_200600_302600_NS6detail15normal_iteratorINS9_10device_ptrIiEEEEPS5_jNS1_19radix_merge_compareILb1ELb0EiNS0_19identity_decomposerEEEEE10hipError_tT0_T1_T2_jT3_P12ihipStream_tbPNSt15iterator_traitsISK_E10value_typeEPNSQ_ISL_E10value_typeEPSM_NS1_7vsmem_tEENKUlT_SK_SL_SM_E_clISE_PiSF_SF_EESJ_SZ_SK_SL_SM_EUlSZ_E_NS1_11comp_targetILNS1_3genE9ELNS1_11target_archE1100ELNS1_3gpuE3ELNS1_3repE0EEENS1_48merge_mergepath_partition_config_static_selectorELNS0_4arch9wavefront6targetE1EEEvSL_
	.p2align	8
	.type	_ZN7rocprim17ROCPRIM_400000_NS6detail17trampoline_kernelINS0_14default_configENS1_38merge_sort_block_merge_config_selectorIiNS0_10empty_typeEEEZZNS1_27merge_sort_block_merge_implIS3_N6thrust23THRUST_200600_302600_NS6detail15normal_iteratorINS9_10device_ptrIiEEEEPS5_jNS1_19radix_merge_compareILb1ELb0EiNS0_19identity_decomposerEEEEE10hipError_tT0_T1_T2_jT3_P12ihipStream_tbPNSt15iterator_traitsISK_E10value_typeEPNSQ_ISL_E10value_typeEPSM_NS1_7vsmem_tEENKUlT_SK_SL_SM_E_clISE_PiSF_SF_EESJ_SZ_SK_SL_SM_EUlSZ_E_NS1_11comp_targetILNS1_3genE9ELNS1_11target_archE1100ELNS1_3gpuE3ELNS1_3repE0EEENS1_48merge_mergepath_partition_config_static_selectorELNS0_4arch9wavefront6targetE1EEEvSL_,@function
_ZN7rocprim17ROCPRIM_400000_NS6detail17trampoline_kernelINS0_14default_configENS1_38merge_sort_block_merge_config_selectorIiNS0_10empty_typeEEEZZNS1_27merge_sort_block_merge_implIS3_N6thrust23THRUST_200600_302600_NS6detail15normal_iteratorINS9_10device_ptrIiEEEEPS5_jNS1_19radix_merge_compareILb1ELb0EiNS0_19identity_decomposerEEEEE10hipError_tT0_T1_T2_jT3_P12ihipStream_tbPNSt15iterator_traitsISK_E10value_typeEPNSQ_ISL_E10value_typeEPSM_NS1_7vsmem_tEENKUlT_SK_SL_SM_E_clISE_PiSF_SF_EESJ_SZ_SK_SL_SM_EUlSZ_E_NS1_11comp_targetILNS1_3genE9ELNS1_11target_archE1100ELNS1_3gpuE3ELNS1_3repE0EEENS1_48merge_mergepath_partition_config_static_selectorELNS0_4arch9wavefront6targetE1EEEvSL_: ; @_ZN7rocprim17ROCPRIM_400000_NS6detail17trampoline_kernelINS0_14default_configENS1_38merge_sort_block_merge_config_selectorIiNS0_10empty_typeEEEZZNS1_27merge_sort_block_merge_implIS3_N6thrust23THRUST_200600_302600_NS6detail15normal_iteratorINS9_10device_ptrIiEEEEPS5_jNS1_19radix_merge_compareILb1ELb0EiNS0_19identity_decomposerEEEEE10hipError_tT0_T1_T2_jT3_P12ihipStream_tbPNSt15iterator_traitsISK_E10value_typeEPNSQ_ISL_E10value_typeEPSM_NS1_7vsmem_tEENKUlT_SK_SL_SM_E_clISE_PiSF_SF_EESJ_SZ_SK_SL_SM_EUlSZ_E_NS1_11comp_targetILNS1_3genE9ELNS1_11target_archE1100ELNS1_3gpuE3ELNS1_3repE0EEENS1_48merge_mergepath_partition_config_static_selectorELNS0_4arch9wavefront6targetE1EEEvSL_
; %bb.0:
	.section	.rodata,"a",@progbits
	.p2align	6, 0x0
	.amdhsa_kernel _ZN7rocprim17ROCPRIM_400000_NS6detail17trampoline_kernelINS0_14default_configENS1_38merge_sort_block_merge_config_selectorIiNS0_10empty_typeEEEZZNS1_27merge_sort_block_merge_implIS3_N6thrust23THRUST_200600_302600_NS6detail15normal_iteratorINS9_10device_ptrIiEEEEPS5_jNS1_19radix_merge_compareILb1ELb0EiNS0_19identity_decomposerEEEEE10hipError_tT0_T1_T2_jT3_P12ihipStream_tbPNSt15iterator_traitsISK_E10value_typeEPNSQ_ISL_E10value_typeEPSM_NS1_7vsmem_tEENKUlT_SK_SL_SM_E_clISE_PiSF_SF_EESJ_SZ_SK_SL_SM_EUlSZ_E_NS1_11comp_targetILNS1_3genE9ELNS1_11target_archE1100ELNS1_3gpuE3ELNS1_3repE0EEENS1_48merge_mergepath_partition_config_static_selectorELNS0_4arch9wavefront6targetE1EEEvSL_
		.amdhsa_group_segment_fixed_size 0
		.amdhsa_private_segment_fixed_size 0
		.amdhsa_kernarg_size 40
		.amdhsa_user_sgpr_count 2
		.amdhsa_user_sgpr_dispatch_ptr 0
		.amdhsa_user_sgpr_queue_ptr 0
		.amdhsa_user_sgpr_kernarg_segment_ptr 1
		.amdhsa_user_sgpr_dispatch_id 0
		.amdhsa_user_sgpr_kernarg_preload_length 0
		.amdhsa_user_sgpr_kernarg_preload_offset 0
		.amdhsa_user_sgpr_private_segment_size 0
		.amdhsa_uses_dynamic_stack 0
		.amdhsa_enable_private_segment 0
		.amdhsa_system_sgpr_workgroup_id_x 1
		.amdhsa_system_sgpr_workgroup_id_y 0
		.amdhsa_system_sgpr_workgroup_id_z 0
		.amdhsa_system_sgpr_workgroup_info 0
		.amdhsa_system_vgpr_workitem_id 0
		.amdhsa_next_free_vgpr 1
		.amdhsa_next_free_sgpr 0
		.amdhsa_accum_offset 4
		.amdhsa_reserve_vcc 0
		.amdhsa_float_round_mode_32 0
		.amdhsa_float_round_mode_16_64 0
		.amdhsa_float_denorm_mode_32 3
		.amdhsa_float_denorm_mode_16_64 3
		.amdhsa_dx10_clamp 1
		.amdhsa_ieee_mode 1
		.amdhsa_fp16_overflow 0
		.amdhsa_tg_split 0
		.amdhsa_exception_fp_ieee_invalid_op 0
		.amdhsa_exception_fp_denorm_src 0
		.amdhsa_exception_fp_ieee_div_zero 0
		.amdhsa_exception_fp_ieee_overflow 0
		.amdhsa_exception_fp_ieee_underflow 0
		.amdhsa_exception_fp_ieee_inexact 0
		.amdhsa_exception_int_div_zero 0
	.end_amdhsa_kernel
	.section	.text._ZN7rocprim17ROCPRIM_400000_NS6detail17trampoline_kernelINS0_14default_configENS1_38merge_sort_block_merge_config_selectorIiNS0_10empty_typeEEEZZNS1_27merge_sort_block_merge_implIS3_N6thrust23THRUST_200600_302600_NS6detail15normal_iteratorINS9_10device_ptrIiEEEEPS5_jNS1_19radix_merge_compareILb1ELb0EiNS0_19identity_decomposerEEEEE10hipError_tT0_T1_T2_jT3_P12ihipStream_tbPNSt15iterator_traitsISK_E10value_typeEPNSQ_ISL_E10value_typeEPSM_NS1_7vsmem_tEENKUlT_SK_SL_SM_E_clISE_PiSF_SF_EESJ_SZ_SK_SL_SM_EUlSZ_E_NS1_11comp_targetILNS1_3genE9ELNS1_11target_archE1100ELNS1_3gpuE3ELNS1_3repE0EEENS1_48merge_mergepath_partition_config_static_selectorELNS0_4arch9wavefront6targetE1EEEvSL_,"axG",@progbits,_ZN7rocprim17ROCPRIM_400000_NS6detail17trampoline_kernelINS0_14default_configENS1_38merge_sort_block_merge_config_selectorIiNS0_10empty_typeEEEZZNS1_27merge_sort_block_merge_implIS3_N6thrust23THRUST_200600_302600_NS6detail15normal_iteratorINS9_10device_ptrIiEEEEPS5_jNS1_19radix_merge_compareILb1ELb0EiNS0_19identity_decomposerEEEEE10hipError_tT0_T1_T2_jT3_P12ihipStream_tbPNSt15iterator_traitsISK_E10value_typeEPNSQ_ISL_E10value_typeEPSM_NS1_7vsmem_tEENKUlT_SK_SL_SM_E_clISE_PiSF_SF_EESJ_SZ_SK_SL_SM_EUlSZ_E_NS1_11comp_targetILNS1_3genE9ELNS1_11target_archE1100ELNS1_3gpuE3ELNS1_3repE0EEENS1_48merge_mergepath_partition_config_static_selectorELNS0_4arch9wavefront6targetE1EEEvSL_,comdat
.Lfunc_end252:
	.size	_ZN7rocprim17ROCPRIM_400000_NS6detail17trampoline_kernelINS0_14default_configENS1_38merge_sort_block_merge_config_selectorIiNS0_10empty_typeEEEZZNS1_27merge_sort_block_merge_implIS3_N6thrust23THRUST_200600_302600_NS6detail15normal_iteratorINS9_10device_ptrIiEEEEPS5_jNS1_19radix_merge_compareILb1ELb0EiNS0_19identity_decomposerEEEEE10hipError_tT0_T1_T2_jT3_P12ihipStream_tbPNSt15iterator_traitsISK_E10value_typeEPNSQ_ISL_E10value_typeEPSM_NS1_7vsmem_tEENKUlT_SK_SL_SM_E_clISE_PiSF_SF_EESJ_SZ_SK_SL_SM_EUlSZ_E_NS1_11comp_targetILNS1_3genE9ELNS1_11target_archE1100ELNS1_3gpuE3ELNS1_3repE0EEENS1_48merge_mergepath_partition_config_static_selectorELNS0_4arch9wavefront6targetE1EEEvSL_, .Lfunc_end252-_ZN7rocprim17ROCPRIM_400000_NS6detail17trampoline_kernelINS0_14default_configENS1_38merge_sort_block_merge_config_selectorIiNS0_10empty_typeEEEZZNS1_27merge_sort_block_merge_implIS3_N6thrust23THRUST_200600_302600_NS6detail15normal_iteratorINS9_10device_ptrIiEEEEPS5_jNS1_19radix_merge_compareILb1ELb0EiNS0_19identity_decomposerEEEEE10hipError_tT0_T1_T2_jT3_P12ihipStream_tbPNSt15iterator_traitsISK_E10value_typeEPNSQ_ISL_E10value_typeEPSM_NS1_7vsmem_tEENKUlT_SK_SL_SM_E_clISE_PiSF_SF_EESJ_SZ_SK_SL_SM_EUlSZ_E_NS1_11comp_targetILNS1_3genE9ELNS1_11target_archE1100ELNS1_3gpuE3ELNS1_3repE0EEENS1_48merge_mergepath_partition_config_static_selectorELNS0_4arch9wavefront6targetE1EEEvSL_
                                        ; -- End function
	.set _ZN7rocprim17ROCPRIM_400000_NS6detail17trampoline_kernelINS0_14default_configENS1_38merge_sort_block_merge_config_selectorIiNS0_10empty_typeEEEZZNS1_27merge_sort_block_merge_implIS3_N6thrust23THRUST_200600_302600_NS6detail15normal_iteratorINS9_10device_ptrIiEEEEPS5_jNS1_19radix_merge_compareILb1ELb0EiNS0_19identity_decomposerEEEEE10hipError_tT0_T1_T2_jT3_P12ihipStream_tbPNSt15iterator_traitsISK_E10value_typeEPNSQ_ISL_E10value_typeEPSM_NS1_7vsmem_tEENKUlT_SK_SL_SM_E_clISE_PiSF_SF_EESJ_SZ_SK_SL_SM_EUlSZ_E_NS1_11comp_targetILNS1_3genE9ELNS1_11target_archE1100ELNS1_3gpuE3ELNS1_3repE0EEENS1_48merge_mergepath_partition_config_static_selectorELNS0_4arch9wavefront6targetE1EEEvSL_.num_vgpr, 0
	.set _ZN7rocprim17ROCPRIM_400000_NS6detail17trampoline_kernelINS0_14default_configENS1_38merge_sort_block_merge_config_selectorIiNS0_10empty_typeEEEZZNS1_27merge_sort_block_merge_implIS3_N6thrust23THRUST_200600_302600_NS6detail15normal_iteratorINS9_10device_ptrIiEEEEPS5_jNS1_19radix_merge_compareILb1ELb0EiNS0_19identity_decomposerEEEEE10hipError_tT0_T1_T2_jT3_P12ihipStream_tbPNSt15iterator_traitsISK_E10value_typeEPNSQ_ISL_E10value_typeEPSM_NS1_7vsmem_tEENKUlT_SK_SL_SM_E_clISE_PiSF_SF_EESJ_SZ_SK_SL_SM_EUlSZ_E_NS1_11comp_targetILNS1_3genE9ELNS1_11target_archE1100ELNS1_3gpuE3ELNS1_3repE0EEENS1_48merge_mergepath_partition_config_static_selectorELNS0_4arch9wavefront6targetE1EEEvSL_.num_agpr, 0
	.set _ZN7rocprim17ROCPRIM_400000_NS6detail17trampoline_kernelINS0_14default_configENS1_38merge_sort_block_merge_config_selectorIiNS0_10empty_typeEEEZZNS1_27merge_sort_block_merge_implIS3_N6thrust23THRUST_200600_302600_NS6detail15normal_iteratorINS9_10device_ptrIiEEEEPS5_jNS1_19radix_merge_compareILb1ELb0EiNS0_19identity_decomposerEEEEE10hipError_tT0_T1_T2_jT3_P12ihipStream_tbPNSt15iterator_traitsISK_E10value_typeEPNSQ_ISL_E10value_typeEPSM_NS1_7vsmem_tEENKUlT_SK_SL_SM_E_clISE_PiSF_SF_EESJ_SZ_SK_SL_SM_EUlSZ_E_NS1_11comp_targetILNS1_3genE9ELNS1_11target_archE1100ELNS1_3gpuE3ELNS1_3repE0EEENS1_48merge_mergepath_partition_config_static_selectorELNS0_4arch9wavefront6targetE1EEEvSL_.numbered_sgpr, 0
	.set _ZN7rocprim17ROCPRIM_400000_NS6detail17trampoline_kernelINS0_14default_configENS1_38merge_sort_block_merge_config_selectorIiNS0_10empty_typeEEEZZNS1_27merge_sort_block_merge_implIS3_N6thrust23THRUST_200600_302600_NS6detail15normal_iteratorINS9_10device_ptrIiEEEEPS5_jNS1_19radix_merge_compareILb1ELb0EiNS0_19identity_decomposerEEEEE10hipError_tT0_T1_T2_jT3_P12ihipStream_tbPNSt15iterator_traitsISK_E10value_typeEPNSQ_ISL_E10value_typeEPSM_NS1_7vsmem_tEENKUlT_SK_SL_SM_E_clISE_PiSF_SF_EESJ_SZ_SK_SL_SM_EUlSZ_E_NS1_11comp_targetILNS1_3genE9ELNS1_11target_archE1100ELNS1_3gpuE3ELNS1_3repE0EEENS1_48merge_mergepath_partition_config_static_selectorELNS0_4arch9wavefront6targetE1EEEvSL_.num_named_barrier, 0
	.set _ZN7rocprim17ROCPRIM_400000_NS6detail17trampoline_kernelINS0_14default_configENS1_38merge_sort_block_merge_config_selectorIiNS0_10empty_typeEEEZZNS1_27merge_sort_block_merge_implIS3_N6thrust23THRUST_200600_302600_NS6detail15normal_iteratorINS9_10device_ptrIiEEEEPS5_jNS1_19radix_merge_compareILb1ELb0EiNS0_19identity_decomposerEEEEE10hipError_tT0_T1_T2_jT3_P12ihipStream_tbPNSt15iterator_traitsISK_E10value_typeEPNSQ_ISL_E10value_typeEPSM_NS1_7vsmem_tEENKUlT_SK_SL_SM_E_clISE_PiSF_SF_EESJ_SZ_SK_SL_SM_EUlSZ_E_NS1_11comp_targetILNS1_3genE9ELNS1_11target_archE1100ELNS1_3gpuE3ELNS1_3repE0EEENS1_48merge_mergepath_partition_config_static_selectorELNS0_4arch9wavefront6targetE1EEEvSL_.private_seg_size, 0
	.set _ZN7rocprim17ROCPRIM_400000_NS6detail17trampoline_kernelINS0_14default_configENS1_38merge_sort_block_merge_config_selectorIiNS0_10empty_typeEEEZZNS1_27merge_sort_block_merge_implIS3_N6thrust23THRUST_200600_302600_NS6detail15normal_iteratorINS9_10device_ptrIiEEEEPS5_jNS1_19radix_merge_compareILb1ELb0EiNS0_19identity_decomposerEEEEE10hipError_tT0_T1_T2_jT3_P12ihipStream_tbPNSt15iterator_traitsISK_E10value_typeEPNSQ_ISL_E10value_typeEPSM_NS1_7vsmem_tEENKUlT_SK_SL_SM_E_clISE_PiSF_SF_EESJ_SZ_SK_SL_SM_EUlSZ_E_NS1_11comp_targetILNS1_3genE9ELNS1_11target_archE1100ELNS1_3gpuE3ELNS1_3repE0EEENS1_48merge_mergepath_partition_config_static_selectorELNS0_4arch9wavefront6targetE1EEEvSL_.uses_vcc, 0
	.set _ZN7rocprim17ROCPRIM_400000_NS6detail17trampoline_kernelINS0_14default_configENS1_38merge_sort_block_merge_config_selectorIiNS0_10empty_typeEEEZZNS1_27merge_sort_block_merge_implIS3_N6thrust23THRUST_200600_302600_NS6detail15normal_iteratorINS9_10device_ptrIiEEEEPS5_jNS1_19radix_merge_compareILb1ELb0EiNS0_19identity_decomposerEEEEE10hipError_tT0_T1_T2_jT3_P12ihipStream_tbPNSt15iterator_traitsISK_E10value_typeEPNSQ_ISL_E10value_typeEPSM_NS1_7vsmem_tEENKUlT_SK_SL_SM_E_clISE_PiSF_SF_EESJ_SZ_SK_SL_SM_EUlSZ_E_NS1_11comp_targetILNS1_3genE9ELNS1_11target_archE1100ELNS1_3gpuE3ELNS1_3repE0EEENS1_48merge_mergepath_partition_config_static_selectorELNS0_4arch9wavefront6targetE1EEEvSL_.uses_flat_scratch, 0
	.set _ZN7rocprim17ROCPRIM_400000_NS6detail17trampoline_kernelINS0_14default_configENS1_38merge_sort_block_merge_config_selectorIiNS0_10empty_typeEEEZZNS1_27merge_sort_block_merge_implIS3_N6thrust23THRUST_200600_302600_NS6detail15normal_iteratorINS9_10device_ptrIiEEEEPS5_jNS1_19radix_merge_compareILb1ELb0EiNS0_19identity_decomposerEEEEE10hipError_tT0_T1_T2_jT3_P12ihipStream_tbPNSt15iterator_traitsISK_E10value_typeEPNSQ_ISL_E10value_typeEPSM_NS1_7vsmem_tEENKUlT_SK_SL_SM_E_clISE_PiSF_SF_EESJ_SZ_SK_SL_SM_EUlSZ_E_NS1_11comp_targetILNS1_3genE9ELNS1_11target_archE1100ELNS1_3gpuE3ELNS1_3repE0EEENS1_48merge_mergepath_partition_config_static_selectorELNS0_4arch9wavefront6targetE1EEEvSL_.has_dyn_sized_stack, 0
	.set _ZN7rocprim17ROCPRIM_400000_NS6detail17trampoline_kernelINS0_14default_configENS1_38merge_sort_block_merge_config_selectorIiNS0_10empty_typeEEEZZNS1_27merge_sort_block_merge_implIS3_N6thrust23THRUST_200600_302600_NS6detail15normal_iteratorINS9_10device_ptrIiEEEEPS5_jNS1_19radix_merge_compareILb1ELb0EiNS0_19identity_decomposerEEEEE10hipError_tT0_T1_T2_jT3_P12ihipStream_tbPNSt15iterator_traitsISK_E10value_typeEPNSQ_ISL_E10value_typeEPSM_NS1_7vsmem_tEENKUlT_SK_SL_SM_E_clISE_PiSF_SF_EESJ_SZ_SK_SL_SM_EUlSZ_E_NS1_11comp_targetILNS1_3genE9ELNS1_11target_archE1100ELNS1_3gpuE3ELNS1_3repE0EEENS1_48merge_mergepath_partition_config_static_selectorELNS0_4arch9wavefront6targetE1EEEvSL_.has_recursion, 0
	.set _ZN7rocprim17ROCPRIM_400000_NS6detail17trampoline_kernelINS0_14default_configENS1_38merge_sort_block_merge_config_selectorIiNS0_10empty_typeEEEZZNS1_27merge_sort_block_merge_implIS3_N6thrust23THRUST_200600_302600_NS6detail15normal_iteratorINS9_10device_ptrIiEEEEPS5_jNS1_19radix_merge_compareILb1ELb0EiNS0_19identity_decomposerEEEEE10hipError_tT0_T1_T2_jT3_P12ihipStream_tbPNSt15iterator_traitsISK_E10value_typeEPNSQ_ISL_E10value_typeEPSM_NS1_7vsmem_tEENKUlT_SK_SL_SM_E_clISE_PiSF_SF_EESJ_SZ_SK_SL_SM_EUlSZ_E_NS1_11comp_targetILNS1_3genE9ELNS1_11target_archE1100ELNS1_3gpuE3ELNS1_3repE0EEENS1_48merge_mergepath_partition_config_static_selectorELNS0_4arch9wavefront6targetE1EEEvSL_.has_indirect_call, 0
	.section	.AMDGPU.csdata,"",@progbits
; Kernel info:
; codeLenInByte = 0
; TotalNumSgprs: 6
; NumVgprs: 0
; NumAgprs: 0
; TotalNumVgprs: 0
; ScratchSize: 0
; MemoryBound: 0
; FloatMode: 240
; IeeeMode: 1
; LDSByteSize: 0 bytes/workgroup (compile time only)
; SGPRBlocks: 0
; VGPRBlocks: 0
; NumSGPRsForWavesPerEU: 6
; NumVGPRsForWavesPerEU: 1
; AccumOffset: 4
; Occupancy: 8
; WaveLimiterHint : 0
; COMPUTE_PGM_RSRC2:SCRATCH_EN: 0
; COMPUTE_PGM_RSRC2:USER_SGPR: 2
; COMPUTE_PGM_RSRC2:TRAP_HANDLER: 0
; COMPUTE_PGM_RSRC2:TGID_X_EN: 1
; COMPUTE_PGM_RSRC2:TGID_Y_EN: 0
; COMPUTE_PGM_RSRC2:TGID_Z_EN: 0
; COMPUTE_PGM_RSRC2:TIDIG_COMP_CNT: 0
; COMPUTE_PGM_RSRC3_GFX90A:ACCUM_OFFSET: 0
; COMPUTE_PGM_RSRC3_GFX90A:TG_SPLIT: 0
	.section	.text._ZN7rocprim17ROCPRIM_400000_NS6detail17trampoline_kernelINS0_14default_configENS1_38merge_sort_block_merge_config_selectorIiNS0_10empty_typeEEEZZNS1_27merge_sort_block_merge_implIS3_N6thrust23THRUST_200600_302600_NS6detail15normal_iteratorINS9_10device_ptrIiEEEEPS5_jNS1_19radix_merge_compareILb1ELb0EiNS0_19identity_decomposerEEEEE10hipError_tT0_T1_T2_jT3_P12ihipStream_tbPNSt15iterator_traitsISK_E10value_typeEPNSQ_ISL_E10value_typeEPSM_NS1_7vsmem_tEENKUlT_SK_SL_SM_E_clISE_PiSF_SF_EESJ_SZ_SK_SL_SM_EUlSZ_E_NS1_11comp_targetILNS1_3genE8ELNS1_11target_archE1030ELNS1_3gpuE2ELNS1_3repE0EEENS1_48merge_mergepath_partition_config_static_selectorELNS0_4arch9wavefront6targetE1EEEvSL_,"axG",@progbits,_ZN7rocprim17ROCPRIM_400000_NS6detail17trampoline_kernelINS0_14default_configENS1_38merge_sort_block_merge_config_selectorIiNS0_10empty_typeEEEZZNS1_27merge_sort_block_merge_implIS3_N6thrust23THRUST_200600_302600_NS6detail15normal_iteratorINS9_10device_ptrIiEEEEPS5_jNS1_19radix_merge_compareILb1ELb0EiNS0_19identity_decomposerEEEEE10hipError_tT0_T1_T2_jT3_P12ihipStream_tbPNSt15iterator_traitsISK_E10value_typeEPNSQ_ISL_E10value_typeEPSM_NS1_7vsmem_tEENKUlT_SK_SL_SM_E_clISE_PiSF_SF_EESJ_SZ_SK_SL_SM_EUlSZ_E_NS1_11comp_targetILNS1_3genE8ELNS1_11target_archE1030ELNS1_3gpuE2ELNS1_3repE0EEENS1_48merge_mergepath_partition_config_static_selectorELNS0_4arch9wavefront6targetE1EEEvSL_,comdat
	.protected	_ZN7rocprim17ROCPRIM_400000_NS6detail17trampoline_kernelINS0_14default_configENS1_38merge_sort_block_merge_config_selectorIiNS0_10empty_typeEEEZZNS1_27merge_sort_block_merge_implIS3_N6thrust23THRUST_200600_302600_NS6detail15normal_iteratorINS9_10device_ptrIiEEEEPS5_jNS1_19radix_merge_compareILb1ELb0EiNS0_19identity_decomposerEEEEE10hipError_tT0_T1_T2_jT3_P12ihipStream_tbPNSt15iterator_traitsISK_E10value_typeEPNSQ_ISL_E10value_typeEPSM_NS1_7vsmem_tEENKUlT_SK_SL_SM_E_clISE_PiSF_SF_EESJ_SZ_SK_SL_SM_EUlSZ_E_NS1_11comp_targetILNS1_3genE8ELNS1_11target_archE1030ELNS1_3gpuE2ELNS1_3repE0EEENS1_48merge_mergepath_partition_config_static_selectorELNS0_4arch9wavefront6targetE1EEEvSL_ ; -- Begin function _ZN7rocprim17ROCPRIM_400000_NS6detail17trampoline_kernelINS0_14default_configENS1_38merge_sort_block_merge_config_selectorIiNS0_10empty_typeEEEZZNS1_27merge_sort_block_merge_implIS3_N6thrust23THRUST_200600_302600_NS6detail15normal_iteratorINS9_10device_ptrIiEEEEPS5_jNS1_19radix_merge_compareILb1ELb0EiNS0_19identity_decomposerEEEEE10hipError_tT0_T1_T2_jT3_P12ihipStream_tbPNSt15iterator_traitsISK_E10value_typeEPNSQ_ISL_E10value_typeEPSM_NS1_7vsmem_tEENKUlT_SK_SL_SM_E_clISE_PiSF_SF_EESJ_SZ_SK_SL_SM_EUlSZ_E_NS1_11comp_targetILNS1_3genE8ELNS1_11target_archE1030ELNS1_3gpuE2ELNS1_3repE0EEENS1_48merge_mergepath_partition_config_static_selectorELNS0_4arch9wavefront6targetE1EEEvSL_
	.globl	_ZN7rocprim17ROCPRIM_400000_NS6detail17trampoline_kernelINS0_14default_configENS1_38merge_sort_block_merge_config_selectorIiNS0_10empty_typeEEEZZNS1_27merge_sort_block_merge_implIS3_N6thrust23THRUST_200600_302600_NS6detail15normal_iteratorINS9_10device_ptrIiEEEEPS5_jNS1_19radix_merge_compareILb1ELb0EiNS0_19identity_decomposerEEEEE10hipError_tT0_T1_T2_jT3_P12ihipStream_tbPNSt15iterator_traitsISK_E10value_typeEPNSQ_ISL_E10value_typeEPSM_NS1_7vsmem_tEENKUlT_SK_SL_SM_E_clISE_PiSF_SF_EESJ_SZ_SK_SL_SM_EUlSZ_E_NS1_11comp_targetILNS1_3genE8ELNS1_11target_archE1030ELNS1_3gpuE2ELNS1_3repE0EEENS1_48merge_mergepath_partition_config_static_selectorELNS0_4arch9wavefront6targetE1EEEvSL_
	.p2align	8
	.type	_ZN7rocprim17ROCPRIM_400000_NS6detail17trampoline_kernelINS0_14default_configENS1_38merge_sort_block_merge_config_selectorIiNS0_10empty_typeEEEZZNS1_27merge_sort_block_merge_implIS3_N6thrust23THRUST_200600_302600_NS6detail15normal_iteratorINS9_10device_ptrIiEEEEPS5_jNS1_19radix_merge_compareILb1ELb0EiNS0_19identity_decomposerEEEEE10hipError_tT0_T1_T2_jT3_P12ihipStream_tbPNSt15iterator_traitsISK_E10value_typeEPNSQ_ISL_E10value_typeEPSM_NS1_7vsmem_tEENKUlT_SK_SL_SM_E_clISE_PiSF_SF_EESJ_SZ_SK_SL_SM_EUlSZ_E_NS1_11comp_targetILNS1_3genE8ELNS1_11target_archE1030ELNS1_3gpuE2ELNS1_3repE0EEENS1_48merge_mergepath_partition_config_static_selectorELNS0_4arch9wavefront6targetE1EEEvSL_,@function
_ZN7rocprim17ROCPRIM_400000_NS6detail17trampoline_kernelINS0_14default_configENS1_38merge_sort_block_merge_config_selectorIiNS0_10empty_typeEEEZZNS1_27merge_sort_block_merge_implIS3_N6thrust23THRUST_200600_302600_NS6detail15normal_iteratorINS9_10device_ptrIiEEEEPS5_jNS1_19radix_merge_compareILb1ELb0EiNS0_19identity_decomposerEEEEE10hipError_tT0_T1_T2_jT3_P12ihipStream_tbPNSt15iterator_traitsISK_E10value_typeEPNSQ_ISL_E10value_typeEPSM_NS1_7vsmem_tEENKUlT_SK_SL_SM_E_clISE_PiSF_SF_EESJ_SZ_SK_SL_SM_EUlSZ_E_NS1_11comp_targetILNS1_3genE8ELNS1_11target_archE1030ELNS1_3gpuE2ELNS1_3repE0EEENS1_48merge_mergepath_partition_config_static_selectorELNS0_4arch9wavefront6targetE1EEEvSL_: ; @_ZN7rocprim17ROCPRIM_400000_NS6detail17trampoline_kernelINS0_14default_configENS1_38merge_sort_block_merge_config_selectorIiNS0_10empty_typeEEEZZNS1_27merge_sort_block_merge_implIS3_N6thrust23THRUST_200600_302600_NS6detail15normal_iteratorINS9_10device_ptrIiEEEEPS5_jNS1_19radix_merge_compareILb1ELb0EiNS0_19identity_decomposerEEEEE10hipError_tT0_T1_T2_jT3_P12ihipStream_tbPNSt15iterator_traitsISK_E10value_typeEPNSQ_ISL_E10value_typeEPSM_NS1_7vsmem_tEENKUlT_SK_SL_SM_E_clISE_PiSF_SF_EESJ_SZ_SK_SL_SM_EUlSZ_E_NS1_11comp_targetILNS1_3genE8ELNS1_11target_archE1030ELNS1_3gpuE2ELNS1_3repE0EEENS1_48merge_mergepath_partition_config_static_selectorELNS0_4arch9wavefront6targetE1EEEvSL_
; %bb.0:
	.section	.rodata,"a",@progbits
	.p2align	6, 0x0
	.amdhsa_kernel _ZN7rocprim17ROCPRIM_400000_NS6detail17trampoline_kernelINS0_14default_configENS1_38merge_sort_block_merge_config_selectorIiNS0_10empty_typeEEEZZNS1_27merge_sort_block_merge_implIS3_N6thrust23THRUST_200600_302600_NS6detail15normal_iteratorINS9_10device_ptrIiEEEEPS5_jNS1_19radix_merge_compareILb1ELb0EiNS0_19identity_decomposerEEEEE10hipError_tT0_T1_T2_jT3_P12ihipStream_tbPNSt15iterator_traitsISK_E10value_typeEPNSQ_ISL_E10value_typeEPSM_NS1_7vsmem_tEENKUlT_SK_SL_SM_E_clISE_PiSF_SF_EESJ_SZ_SK_SL_SM_EUlSZ_E_NS1_11comp_targetILNS1_3genE8ELNS1_11target_archE1030ELNS1_3gpuE2ELNS1_3repE0EEENS1_48merge_mergepath_partition_config_static_selectorELNS0_4arch9wavefront6targetE1EEEvSL_
		.amdhsa_group_segment_fixed_size 0
		.amdhsa_private_segment_fixed_size 0
		.amdhsa_kernarg_size 40
		.amdhsa_user_sgpr_count 2
		.amdhsa_user_sgpr_dispatch_ptr 0
		.amdhsa_user_sgpr_queue_ptr 0
		.amdhsa_user_sgpr_kernarg_segment_ptr 1
		.amdhsa_user_sgpr_dispatch_id 0
		.amdhsa_user_sgpr_kernarg_preload_length 0
		.amdhsa_user_sgpr_kernarg_preload_offset 0
		.amdhsa_user_sgpr_private_segment_size 0
		.amdhsa_uses_dynamic_stack 0
		.amdhsa_enable_private_segment 0
		.amdhsa_system_sgpr_workgroup_id_x 1
		.amdhsa_system_sgpr_workgroup_id_y 0
		.amdhsa_system_sgpr_workgroup_id_z 0
		.amdhsa_system_sgpr_workgroup_info 0
		.amdhsa_system_vgpr_workitem_id 0
		.amdhsa_next_free_vgpr 1
		.amdhsa_next_free_sgpr 0
		.amdhsa_accum_offset 4
		.amdhsa_reserve_vcc 0
		.amdhsa_float_round_mode_32 0
		.amdhsa_float_round_mode_16_64 0
		.amdhsa_float_denorm_mode_32 3
		.amdhsa_float_denorm_mode_16_64 3
		.amdhsa_dx10_clamp 1
		.amdhsa_ieee_mode 1
		.amdhsa_fp16_overflow 0
		.amdhsa_tg_split 0
		.amdhsa_exception_fp_ieee_invalid_op 0
		.amdhsa_exception_fp_denorm_src 0
		.amdhsa_exception_fp_ieee_div_zero 0
		.amdhsa_exception_fp_ieee_overflow 0
		.amdhsa_exception_fp_ieee_underflow 0
		.amdhsa_exception_fp_ieee_inexact 0
		.amdhsa_exception_int_div_zero 0
	.end_amdhsa_kernel
	.section	.text._ZN7rocprim17ROCPRIM_400000_NS6detail17trampoline_kernelINS0_14default_configENS1_38merge_sort_block_merge_config_selectorIiNS0_10empty_typeEEEZZNS1_27merge_sort_block_merge_implIS3_N6thrust23THRUST_200600_302600_NS6detail15normal_iteratorINS9_10device_ptrIiEEEEPS5_jNS1_19radix_merge_compareILb1ELb0EiNS0_19identity_decomposerEEEEE10hipError_tT0_T1_T2_jT3_P12ihipStream_tbPNSt15iterator_traitsISK_E10value_typeEPNSQ_ISL_E10value_typeEPSM_NS1_7vsmem_tEENKUlT_SK_SL_SM_E_clISE_PiSF_SF_EESJ_SZ_SK_SL_SM_EUlSZ_E_NS1_11comp_targetILNS1_3genE8ELNS1_11target_archE1030ELNS1_3gpuE2ELNS1_3repE0EEENS1_48merge_mergepath_partition_config_static_selectorELNS0_4arch9wavefront6targetE1EEEvSL_,"axG",@progbits,_ZN7rocprim17ROCPRIM_400000_NS6detail17trampoline_kernelINS0_14default_configENS1_38merge_sort_block_merge_config_selectorIiNS0_10empty_typeEEEZZNS1_27merge_sort_block_merge_implIS3_N6thrust23THRUST_200600_302600_NS6detail15normal_iteratorINS9_10device_ptrIiEEEEPS5_jNS1_19radix_merge_compareILb1ELb0EiNS0_19identity_decomposerEEEEE10hipError_tT0_T1_T2_jT3_P12ihipStream_tbPNSt15iterator_traitsISK_E10value_typeEPNSQ_ISL_E10value_typeEPSM_NS1_7vsmem_tEENKUlT_SK_SL_SM_E_clISE_PiSF_SF_EESJ_SZ_SK_SL_SM_EUlSZ_E_NS1_11comp_targetILNS1_3genE8ELNS1_11target_archE1030ELNS1_3gpuE2ELNS1_3repE0EEENS1_48merge_mergepath_partition_config_static_selectorELNS0_4arch9wavefront6targetE1EEEvSL_,comdat
.Lfunc_end253:
	.size	_ZN7rocprim17ROCPRIM_400000_NS6detail17trampoline_kernelINS0_14default_configENS1_38merge_sort_block_merge_config_selectorIiNS0_10empty_typeEEEZZNS1_27merge_sort_block_merge_implIS3_N6thrust23THRUST_200600_302600_NS6detail15normal_iteratorINS9_10device_ptrIiEEEEPS5_jNS1_19radix_merge_compareILb1ELb0EiNS0_19identity_decomposerEEEEE10hipError_tT0_T1_T2_jT3_P12ihipStream_tbPNSt15iterator_traitsISK_E10value_typeEPNSQ_ISL_E10value_typeEPSM_NS1_7vsmem_tEENKUlT_SK_SL_SM_E_clISE_PiSF_SF_EESJ_SZ_SK_SL_SM_EUlSZ_E_NS1_11comp_targetILNS1_3genE8ELNS1_11target_archE1030ELNS1_3gpuE2ELNS1_3repE0EEENS1_48merge_mergepath_partition_config_static_selectorELNS0_4arch9wavefront6targetE1EEEvSL_, .Lfunc_end253-_ZN7rocprim17ROCPRIM_400000_NS6detail17trampoline_kernelINS0_14default_configENS1_38merge_sort_block_merge_config_selectorIiNS0_10empty_typeEEEZZNS1_27merge_sort_block_merge_implIS3_N6thrust23THRUST_200600_302600_NS6detail15normal_iteratorINS9_10device_ptrIiEEEEPS5_jNS1_19radix_merge_compareILb1ELb0EiNS0_19identity_decomposerEEEEE10hipError_tT0_T1_T2_jT3_P12ihipStream_tbPNSt15iterator_traitsISK_E10value_typeEPNSQ_ISL_E10value_typeEPSM_NS1_7vsmem_tEENKUlT_SK_SL_SM_E_clISE_PiSF_SF_EESJ_SZ_SK_SL_SM_EUlSZ_E_NS1_11comp_targetILNS1_3genE8ELNS1_11target_archE1030ELNS1_3gpuE2ELNS1_3repE0EEENS1_48merge_mergepath_partition_config_static_selectorELNS0_4arch9wavefront6targetE1EEEvSL_
                                        ; -- End function
	.set _ZN7rocprim17ROCPRIM_400000_NS6detail17trampoline_kernelINS0_14default_configENS1_38merge_sort_block_merge_config_selectorIiNS0_10empty_typeEEEZZNS1_27merge_sort_block_merge_implIS3_N6thrust23THRUST_200600_302600_NS6detail15normal_iteratorINS9_10device_ptrIiEEEEPS5_jNS1_19radix_merge_compareILb1ELb0EiNS0_19identity_decomposerEEEEE10hipError_tT0_T1_T2_jT3_P12ihipStream_tbPNSt15iterator_traitsISK_E10value_typeEPNSQ_ISL_E10value_typeEPSM_NS1_7vsmem_tEENKUlT_SK_SL_SM_E_clISE_PiSF_SF_EESJ_SZ_SK_SL_SM_EUlSZ_E_NS1_11comp_targetILNS1_3genE8ELNS1_11target_archE1030ELNS1_3gpuE2ELNS1_3repE0EEENS1_48merge_mergepath_partition_config_static_selectorELNS0_4arch9wavefront6targetE1EEEvSL_.num_vgpr, 0
	.set _ZN7rocprim17ROCPRIM_400000_NS6detail17trampoline_kernelINS0_14default_configENS1_38merge_sort_block_merge_config_selectorIiNS0_10empty_typeEEEZZNS1_27merge_sort_block_merge_implIS3_N6thrust23THRUST_200600_302600_NS6detail15normal_iteratorINS9_10device_ptrIiEEEEPS5_jNS1_19radix_merge_compareILb1ELb0EiNS0_19identity_decomposerEEEEE10hipError_tT0_T1_T2_jT3_P12ihipStream_tbPNSt15iterator_traitsISK_E10value_typeEPNSQ_ISL_E10value_typeEPSM_NS1_7vsmem_tEENKUlT_SK_SL_SM_E_clISE_PiSF_SF_EESJ_SZ_SK_SL_SM_EUlSZ_E_NS1_11comp_targetILNS1_3genE8ELNS1_11target_archE1030ELNS1_3gpuE2ELNS1_3repE0EEENS1_48merge_mergepath_partition_config_static_selectorELNS0_4arch9wavefront6targetE1EEEvSL_.num_agpr, 0
	.set _ZN7rocprim17ROCPRIM_400000_NS6detail17trampoline_kernelINS0_14default_configENS1_38merge_sort_block_merge_config_selectorIiNS0_10empty_typeEEEZZNS1_27merge_sort_block_merge_implIS3_N6thrust23THRUST_200600_302600_NS6detail15normal_iteratorINS9_10device_ptrIiEEEEPS5_jNS1_19radix_merge_compareILb1ELb0EiNS0_19identity_decomposerEEEEE10hipError_tT0_T1_T2_jT3_P12ihipStream_tbPNSt15iterator_traitsISK_E10value_typeEPNSQ_ISL_E10value_typeEPSM_NS1_7vsmem_tEENKUlT_SK_SL_SM_E_clISE_PiSF_SF_EESJ_SZ_SK_SL_SM_EUlSZ_E_NS1_11comp_targetILNS1_3genE8ELNS1_11target_archE1030ELNS1_3gpuE2ELNS1_3repE0EEENS1_48merge_mergepath_partition_config_static_selectorELNS0_4arch9wavefront6targetE1EEEvSL_.numbered_sgpr, 0
	.set _ZN7rocprim17ROCPRIM_400000_NS6detail17trampoline_kernelINS0_14default_configENS1_38merge_sort_block_merge_config_selectorIiNS0_10empty_typeEEEZZNS1_27merge_sort_block_merge_implIS3_N6thrust23THRUST_200600_302600_NS6detail15normal_iteratorINS9_10device_ptrIiEEEEPS5_jNS1_19radix_merge_compareILb1ELb0EiNS0_19identity_decomposerEEEEE10hipError_tT0_T1_T2_jT3_P12ihipStream_tbPNSt15iterator_traitsISK_E10value_typeEPNSQ_ISL_E10value_typeEPSM_NS1_7vsmem_tEENKUlT_SK_SL_SM_E_clISE_PiSF_SF_EESJ_SZ_SK_SL_SM_EUlSZ_E_NS1_11comp_targetILNS1_3genE8ELNS1_11target_archE1030ELNS1_3gpuE2ELNS1_3repE0EEENS1_48merge_mergepath_partition_config_static_selectorELNS0_4arch9wavefront6targetE1EEEvSL_.num_named_barrier, 0
	.set _ZN7rocprim17ROCPRIM_400000_NS6detail17trampoline_kernelINS0_14default_configENS1_38merge_sort_block_merge_config_selectorIiNS0_10empty_typeEEEZZNS1_27merge_sort_block_merge_implIS3_N6thrust23THRUST_200600_302600_NS6detail15normal_iteratorINS9_10device_ptrIiEEEEPS5_jNS1_19radix_merge_compareILb1ELb0EiNS0_19identity_decomposerEEEEE10hipError_tT0_T1_T2_jT3_P12ihipStream_tbPNSt15iterator_traitsISK_E10value_typeEPNSQ_ISL_E10value_typeEPSM_NS1_7vsmem_tEENKUlT_SK_SL_SM_E_clISE_PiSF_SF_EESJ_SZ_SK_SL_SM_EUlSZ_E_NS1_11comp_targetILNS1_3genE8ELNS1_11target_archE1030ELNS1_3gpuE2ELNS1_3repE0EEENS1_48merge_mergepath_partition_config_static_selectorELNS0_4arch9wavefront6targetE1EEEvSL_.private_seg_size, 0
	.set _ZN7rocprim17ROCPRIM_400000_NS6detail17trampoline_kernelINS0_14default_configENS1_38merge_sort_block_merge_config_selectorIiNS0_10empty_typeEEEZZNS1_27merge_sort_block_merge_implIS3_N6thrust23THRUST_200600_302600_NS6detail15normal_iteratorINS9_10device_ptrIiEEEEPS5_jNS1_19radix_merge_compareILb1ELb0EiNS0_19identity_decomposerEEEEE10hipError_tT0_T1_T2_jT3_P12ihipStream_tbPNSt15iterator_traitsISK_E10value_typeEPNSQ_ISL_E10value_typeEPSM_NS1_7vsmem_tEENKUlT_SK_SL_SM_E_clISE_PiSF_SF_EESJ_SZ_SK_SL_SM_EUlSZ_E_NS1_11comp_targetILNS1_3genE8ELNS1_11target_archE1030ELNS1_3gpuE2ELNS1_3repE0EEENS1_48merge_mergepath_partition_config_static_selectorELNS0_4arch9wavefront6targetE1EEEvSL_.uses_vcc, 0
	.set _ZN7rocprim17ROCPRIM_400000_NS6detail17trampoline_kernelINS0_14default_configENS1_38merge_sort_block_merge_config_selectorIiNS0_10empty_typeEEEZZNS1_27merge_sort_block_merge_implIS3_N6thrust23THRUST_200600_302600_NS6detail15normal_iteratorINS9_10device_ptrIiEEEEPS5_jNS1_19radix_merge_compareILb1ELb0EiNS0_19identity_decomposerEEEEE10hipError_tT0_T1_T2_jT3_P12ihipStream_tbPNSt15iterator_traitsISK_E10value_typeEPNSQ_ISL_E10value_typeEPSM_NS1_7vsmem_tEENKUlT_SK_SL_SM_E_clISE_PiSF_SF_EESJ_SZ_SK_SL_SM_EUlSZ_E_NS1_11comp_targetILNS1_3genE8ELNS1_11target_archE1030ELNS1_3gpuE2ELNS1_3repE0EEENS1_48merge_mergepath_partition_config_static_selectorELNS0_4arch9wavefront6targetE1EEEvSL_.uses_flat_scratch, 0
	.set _ZN7rocprim17ROCPRIM_400000_NS6detail17trampoline_kernelINS0_14default_configENS1_38merge_sort_block_merge_config_selectorIiNS0_10empty_typeEEEZZNS1_27merge_sort_block_merge_implIS3_N6thrust23THRUST_200600_302600_NS6detail15normal_iteratorINS9_10device_ptrIiEEEEPS5_jNS1_19radix_merge_compareILb1ELb0EiNS0_19identity_decomposerEEEEE10hipError_tT0_T1_T2_jT3_P12ihipStream_tbPNSt15iterator_traitsISK_E10value_typeEPNSQ_ISL_E10value_typeEPSM_NS1_7vsmem_tEENKUlT_SK_SL_SM_E_clISE_PiSF_SF_EESJ_SZ_SK_SL_SM_EUlSZ_E_NS1_11comp_targetILNS1_3genE8ELNS1_11target_archE1030ELNS1_3gpuE2ELNS1_3repE0EEENS1_48merge_mergepath_partition_config_static_selectorELNS0_4arch9wavefront6targetE1EEEvSL_.has_dyn_sized_stack, 0
	.set _ZN7rocprim17ROCPRIM_400000_NS6detail17trampoline_kernelINS0_14default_configENS1_38merge_sort_block_merge_config_selectorIiNS0_10empty_typeEEEZZNS1_27merge_sort_block_merge_implIS3_N6thrust23THRUST_200600_302600_NS6detail15normal_iteratorINS9_10device_ptrIiEEEEPS5_jNS1_19radix_merge_compareILb1ELb0EiNS0_19identity_decomposerEEEEE10hipError_tT0_T1_T2_jT3_P12ihipStream_tbPNSt15iterator_traitsISK_E10value_typeEPNSQ_ISL_E10value_typeEPSM_NS1_7vsmem_tEENKUlT_SK_SL_SM_E_clISE_PiSF_SF_EESJ_SZ_SK_SL_SM_EUlSZ_E_NS1_11comp_targetILNS1_3genE8ELNS1_11target_archE1030ELNS1_3gpuE2ELNS1_3repE0EEENS1_48merge_mergepath_partition_config_static_selectorELNS0_4arch9wavefront6targetE1EEEvSL_.has_recursion, 0
	.set _ZN7rocprim17ROCPRIM_400000_NS6detail17trampoline_kernelINS0_14default_configENS1_38merge_sort_block_merge_config_selectorIiNS0_10empty_typeEEEZZNS1_27merge_sort_block_merge_implIS3_N6thrust23THRUST_200600_302600_NS6detail15normal_iteratorINS9_10device_ptrIiEEEEPS5_jNS1_19radix_merge_compareILb1ELb0EiNS0_19identity_decomposerEEEEE10hipError_tT0_T1_T2_jT3_P12ihipStream_tbPNSt15iterator_traitsISK_E10value_typeEPNSQ_ISL_E10value_typeEPSM_NS1_7vsmem_tEENKUlT_SK_SL_SM_E_clISE_PiSF_SF_EESJ_SZ_SK_SL_SM_EUlSZ_E_NS1_11comp_targetILNS1_3genE8ELNS1_11target_archE1030ELNS1_3gpuE2ELNS1_3repE0EEENS1_48merge_mergepath_partition_config_static_selectorELNS0_4arch9wavefront6targetE1EEEvSL_.has_indirect_call, 0
	.section	.AMDGPU.csdata,"",@progbits
; Kernel info:
; codeLenInByte = 0
; TotalNumSgprs: 6
; NumVgprs: 0
; NumAgprs: 0
; TotalNumVgprs: 0
; ScratchSize: 0
; MemoryBound: 0
; FloatMode: 240
; IeeeMode: 1
; LDSByteSize: 0 bytes/workgroup (compile time only)
; SGPRBlocks: 0
; VGPRBlocks: 0
; NumSGPRsForWavesPerEU: 6
; NumVGPRsForWavesPerEU: 1
; AccumOffset: 4
; Occupancy: 8
; WaveLimiterHint : 0
; COMPUTE_PGM_RSRC2:SCRATCH_EN: 0
; COMPUTE_PGM_RSRC2:USER_SGPR: 2
; COMPUTE_PGM_RSRC2:TRAP_HANDLER: 0
; COMPUTE_PGM_RSRC2:TGID_X_EN: 1
; COMPUTE_PGM_RSRC2:TGID_Y_EN: 0
; COMPUTE_PGM_RSRC2:TGID_Z_EN: 0
; COMPUTE_PGM_RSRC2:TIDIG_COMP_CNT: 0
; COMPUTE_PGM_RSRC3_GFX90A:ACCUM_OFFSET: 0
; COMPUTE_PGM_RSRC3_GFX90A:TG_SPLIT: 0
	.section	.text._ZN7rocprim17ROCPRIM_400000_NS6detail17trampoline_kernelINS0_14default_configENS1_38merge_sort_block_merge_config_selectorIiNS0_10empty_typeEEEZZNS1_27merge_sort_block_merge_implIS3_N6thrust23THRUST_200600_302600_NS6detail15normal_iteratorINS9_10device_ptrIiEEEEPS5_jNS1_19radix_merge_compareILb1ELb0EiNS0_19identity_decomposerEEEEE10hipError_tT0_T1_T2_jT3_P12ihipStream_tbPNSt15iterator_traitsISK_E10value_typeEPNSQ_ISL_E10value_typeEPSM_NS1_7vsmem_tEENKUlT_SK_SL_SM_E_clISE_PiSF_SF_EESJ_SZ_SK_SL_SM_EUlSZ_E0_NS1_11comp_targetILNS1_3genE0ELNS1_11target_archE4294967295ELNS1_3gpuE0ELNS1_3repE0EEENS1_38merge_mergepath_config_static_selectorELNS0_4arch9wavefront6targetE1EEEvSL_,"axG",@progbits,_ZN7rocprim17ROCPRIM_400000_NS6detail17trampoline_kernelINS0_14default_configENS1_38merge_sort_block_merge_config_selectorIiNS0_10empty_typeEEEZZNS1_27merge_sort_block_merge_implIS3_N6thrust23THRUST_200600_302600_NS6detail15normal_iteratorINS9_10device_ptrIiEEEEPS5_jNS1_19radix_merge_compareILb1ELb0EiNS0_19identity_decomposerEEEEE10hipError_tT0_T1_T2_jT3_P12ihipStream_tbPNSt15iterator_traitsISK_E10value_typeEPNSQ_ISL_E10value_typeEPSM_NS1_7vsmem_tEENKUlT_SK_SL_SM_E_clISE_PiSF_SF_EESJ_SZ_SK_SL_SM_EUlSZ_E0_NS1_11comp_targetILNS1_3genE0ELNS1_11target_archE4294967295ELNS1_3gpuE0ELNS1_3repE0EEENS1_38merge_mergepath_config_static_selectorELNS0_4arch9wavefront6targetE1EEEvSL_,comdat
	.protected	_ZN7rocprim17ROCPRIM_400000_NS6detail17trampoline_kernelINS0_14default_configENS1_38merge_sort_block_merge_config_selectorIiNS0_10empty_typeEEEZZNS1_27merge_sort_block_merge_implIS3_N6thrust23THRUST_200600_302600_NS6detail15normal_iteratorINS9_10device_ptrIiEEEEPS5_jNS1_19radix_merge_compareILb1ELb0EiNS0_19identity_decomposerEEEEE10hipError_tT0_T1_T2_jT3_P12ihipStream_tbPNSt15iterator_traitsISK_E10value_typeEPNSQ_ISL_E10value_typeEPSM_NS1_7vsmem_tEENKUlT_SK_SL_SM_E_clISE_PiSF_SF_EESJ_SZ_SK_SL_SM_EUlSZ_E0_NS1_11comp_targetILNS1_3genE0ELNS1_11target_archE4294967295ELNS1_3gpuE0ELNS1_3repE0EEENS1_38merge_mergepath_config_static_selectorELNS0_4arch9wavefront6targetE1EEEvSL_ ; -- Begin function _ZN7rocprim17ROCPRIM_400000_NS6detail17trampoline_kernelINS0_14default_configENS1_38merge_sort_block_merge_config_selectorIiNS0_10empty_typeEEEZZNS1_27merge_sort_block_merge_implIS3_N6thrust23THRUST_200600_302600_NS6detail15normal_iteratorINS9_10device_ptrIiEEEEPS5_jNS1_19radix_merge_compareILb1ELb0EiNS0_19identity_decomposerEEEEE10hipError_tT0_T1_T2_jT3_P12ihipStream_tbPNSt15iterator_traitsISK_E10value_typeEPNSQ_ISL_E10value_typeEPSM_NS1_7vsmem_tEENKUlT_SK_SL_SM_E_clISE_PiSF_SF_EESJ_SZ_SK_SL_SM_EUlSZ_E0_NS1_11comp_targetILNS1_3genE0ELNS1_11target_archE4294967295ELNS1_3gpuE0ELNS1_3repE0EEENS1_38merge_mergepath_config_static_selectorELNS0_4arch9wavefront6targetE1EEEvSL_
	.globl	_ZN7rocprim17ROCPRIM_400000_NS6detail17trampoline_kernelINS0_14default_configENS1_38merge_sort_block_merge_config_selectorIiNS0_10empty_typeEEEZZNS1_27merge_sort_block_merge_implIS3_N6thrust23THRUST_200600_302600_NS6detail15normal_iteratorINS9_10device_ptrIiEEEEPS5_jNS1_19radix_merge_compareILb1ELb0EiNS0_19identity_decomposerEEEEE10hipError_tT0_T1_T2_jT3_P12ihipStream_tbPNSt15iterator_traitsISK_E10value_typeEPNSQ_ISL_E10value_typeEPSM_NS1_7vsmem_tEENKUlT_SK_SL_SM_E_clISE_PiSF_SF_EESJ_SZ_SK_SL_SM_EUlSZ_E0_NS1_11comp_targetILNS1_3genE0ELNS1_11target_archE4294967295ELNS1_3gpuE0ELNS1_3repE0EEENS1_38merge_mergepath_config_static_selectorELNS0_4arch9wavefront6targetE1EEEvSL_
	.p2align	8
	.type	_ZN7rocprim17ROCPRIM_400000_NS6detail17trampoline_kernelINS0_14default_configENS1_38merge_sort_block_merge_config_selectorIiNS0_10empty_typeEEEZZNS1_27merge_sort_block_merge_implIS3_N6thrust23THRUST_200600_302600_NS6detail15normal_iteratorINS9_10device_ptrIiEEEEPS5_jNS1_19radix_merge_compareILb1ELb0EiNS0_19identity_decomposerEEEEE10hipError_tT0_T1_T2_jT3_P12ihipStream_tbPNSt15iterator_traitsISK_E10value_typeEPNSQ_ISL_E10value_typeEPSM_NS1_7vsmem_tEENKUlT_SK_SL_SM_E_clISE_PiSF_SF_EESJ_SZ_SK_SL_SM_EUlSZ_E0_NS1_11comp_targetILNS1_3genE0ELNS1_11target_archE4294967295ELNS1_3gpuE0ELNS1_3repE0EEENS1_38merge_mergepath_config_static_selectorELNS0_4arch9wavefront6targetE1EEEvSL_,@function
_ZN7rocprim17ROCPRIM_400000_NS6detail17trampoline_kernelINS0_14default_configENS1_38merge_sort_block_merge_config_selectorIiNS0_10empty_typeEEEZZNS1_27merge_sort_block_merge_implIS3_N6thrust23THRUST_200600_302600_NS6detail15normal_iteratorINS9_10device_ptrIiEEEEPS5_jNS1_19radix_merge_compareILb1ELb0EiNS0_19identity_decomposerEEEEE10hipError_tT0_T1_T2_jT3_P12ihipStream_tbPNSt15iterator_traitsISK_E10value_typeEPNSQ_ISL_E10value_typeEPSM_NS1_7vsmem_tEENKUlT_SK_SL_SM_E_clISE_PiSF_SF_EESJ_SZ_SK_SL_SM_EUlSZ_E0_NS1_11comp_targetILNS1_3genE0ELNS1_11target_archE4294967295ELNS1_3gpuE0ELNS1_3repE0EEENS1_38merge_mergepath_config_static_selectorELNS0_4arch9wavefront6targetE1EEEvSL_: ; @_ZN7rocprim17ROCPRIM_400000_NS6detail17trampoline_kernelINS0_14default_configENS1_38merge_sort_block_merge_config_selectorIiNS0_10empty_typeEEEZZNS1_27merge_sort_block_merge_implIS3_N6thrust23THRUST_200600_302600_NS6detail15normal_iteratorINS9_10device_ptrIiEEEEPS5_jNS1_19radix_merge_compareILb1ELb0EiNS0_19identity_decomposerEEEEE10hipError_tT0_T1_T2_jT3_P12ihipStream_tbPNSt15iterator_traitsISK_E10value_typeEPNSQ_ISL_E10value_typeEPSM_NS1_7vsmem_tEENKUlT_SK_SL_SM_E_clISE_PiSF_SF_EESJ_SZ_SK_SL_SM_EUlSZ_E0_NS1_11comp_targetILNS1_3genE0ELNS1_11target_archE4294967295ELNS1_3gpuE0ELNS1_3repE0EEENS1_38merge_mergepath_config_static_selectorELNS0_4arch9wavefront6targetE1EEEvSL_
; %bb.0:
	s_load_dwordx2 s[12:13], s[0:1], 0x40
	s_load_dword s5, s[0:1], 0x30
	s_add_u32 s8, s0, 64
	s_addc_u32 s9, s1, 0
	s_waitcnt lgkmcnt(0)
	s_mul_i32 s4, s13, s4
	s_add_i32 s3, s4, s3
	s_mul_i32 s3, s3, s12
	s_add_i32 s10, s3, s2
	s_cmp_ge_u32 s10, s5
	s_cbranch_scc1 .LBB254_43
; %bb.1:
	s_load_dwordx2 s[14:15], s[0:1], 0x28
	s_load_dwordx2 s[4:5], s[0:1], 0x38
	;; [unrolled: 1-line block ×3, first 2 shown]
	s_mov_b32 s11, 0
	s_mov_b32 s23, s11
	s_waitcnt lgkmcnt(0)
	s_lshr_b32 s24, s14, 10
	s_cmp_lg_u32 s10, s24
	s_cselect_b64 s[18:19], -1, 0
	s_lshl_b64 s[16:17], s[10:11], 2
	s_add_u32 s4, s4, s16
	s_addc_u32 s5, s5, s17
	s_lshr_b32 s3, s15, 9
	s_and_b32 s3, s3, 0x7ffffe
	s_load_dwordx2 s[20:21], s[4:5], 0x0
	s_sub_i32 s3, 0, s3
	s_and_b32 s4, s10, s3
	s_lshl_b32 s5, s4, 10
	s_lshl_b32 s16, s10, 10
	;; [unrolled: 1-line block ×3, first 2 shown]
	s_sub_i32 s13, s16, s5
	s_add_i32 s4, s4, s15
	s_add_i32 s13, s4, s13
	s_waitcnt lgkmcnt(0)
	s_sub_i32 s17, s13, s20
	s_sub_i32 s13, s13, s21
	;; [unrolled: 1-line block ×3, first 2 shown]
	s_min_u32 s22, s14, s17
	s_addk_i32 s13, 0x400
	s_or_b32 s3, s10, s3
	s_min_u32 s5, s14, s4
	s_add_i32 s4, s4, s15
	s_cmp_eq_u32 s3, -1
	s_cselect_b32 s3, s4, s13
	s_cselect_b32 s4, s5, s21
	s_min_u32 s3, s3, s14
	s_mov_b32 s21, s11
	s_sub_i32 s15, s4, s20
	s_sub_i32 s13, s3, s22
	s_lshl_b64 s[4:5], s[20:21], 2
	s_add_u32 s4, s6, s4
	s_addc_u32 s5, s7, s5
	s_lshl_b64 s[20:21], s[22:23], 2
	s_add_u32 s6, s6, s20
	s_addc_u32 s7, s7, s21
	s_cmp_lt_u32 s2, s12
	v_mov_b32_e32 v9, 0
	s_cselect_b32 s2, 12, 18
	global_load_dword v1, v9, s[8:9] offset:14
	s_add_u32 s2, s8, s2
	s_addc_u32 s3, s9, 0
	global_load_ushort v2, v9, s[2:3]
	s_cmp_eq_u32 s10, s24
	v_lshlrev_b32_e32 v10, 2, v0
	s_waitcnt vmcnt(1)
	v_lshrrev_b32_e32 v3, 16, v1
	v_and_b32_e32 v1, 0xffff, v1
	v_mul_lo_u32 v1, v1, v3
	s_waitcnt vmcnt(0)
	v_mul_lo_u32 v1, v1, v2
	v_add_u32_e32 v14, v1, v0
	v_add_u32_e32 v12, v14, v1
	s_cbranch_scc1 .LBB254_3
; %bb.2:
	v_mov_b32_e32 v11, v9
	v_subrev_co_u32_e32 v8, vcc, s15, v0
	v_lshl_add_u64 v[2:3], s[4:5], 0, v[10:11]
	v_lshl_add_u64 v[4:5], v[8:9], 2, s[6:7]
	v_cndmask_b32_e32 v3, v5, v3, vcc
	v_cndmask_b32_e32 v2, v4, v2, vcc
	v_mov_b32_e32 v15, v9
	v_subrev_co_u32_e32 v8, vcc, s15, v14
	v_lshl_add_u64 v[4:5], v[14:15], 2, s[4:5]
	v_lshl_add_u64 v[6:7], v[8:9], 2, s[6:7]
	v_cndmask_b32_e32 v5, v7, v5, vcc
	v_cndmask_b32_e32 v4, v6, v4, vcc
	v_mov_b32_e32 v13, v9
	v_subrev_co_u32_e32 v8, vcc, s15, v12
	global_load_dword v2, v[2:3], off
	v_lshl_add_u64 v[6:7], v[8:9], 2, s[6:7]
	global_load_dword v3, v[4:5], off
	v_lshl_add_u64 v[4:5], v[12:13], 2, s[4:5]
	v_cndmask_b32_e32 v4, v6, v4, vcc
	v_add_u32_e32 v6, v12, v1
	v_cndmask_b32_e32 v5, v7, v5, vcc
	v_mov_b32_e32 v7, v9
	v_subrev_co_u32_e32 v8, vcc, s15, v6
	v_lshl_add_u64 v[16:17], v[6:7], 2, s[4:5]
	v_lshl_add_u64 v[18:19], v[8:9], 2, s[6:7]
	v_cndmask_b32_e32 v17, v19, v17, vcc
	v_cndmask_b32_e32 v16, v18, v16, vcc
	global_load_dword v4, v[4:5], off
	s_add_i32 s10, s13, s15
	global_load_dword v5, v[16:17], off
	v_add_u32_e32 v16, v6, v1
	v_mov_b32_e32 v17, v9
	v_subrev_co_u32_e32 v8, vcc, s15, v16
	v_lshl_add_u64 v[6:7], v[16:17], 2, s[4:5]
	v_lshl_add_u64 v[18:19], v[8:9], 2, s[6:7]
	v_add_u32_e32 v16, v16, v1
	v_cndmask_b32_e32 v7, v19, v7, vcc
	v_cndmask_b32_e32 v6, v18, v6, vcc
	v_subrev_co_u32_e32 v8, vcc, s15, v16
	v_lshl_add_u64 v[18:19], v[16:17], 2, s[4:5]
	v_lshl_add_u64 v[20:21], v[8:9], 2, s[6:7]
	v_add_u32_e32 v16, v16, v1
	v_cndmask_b32_e32 v19, v21, v19, vcc
	v_cndmask_b32_e32 v18, v20, v18, vcc
	v_subrev_co_u32_e32 v8, vcc, s15, v16
	global_load_dword v6, v[6:7], off
	v_lshl_add_u64 v[20:21], v[8:9], 2, s[6:7]
	global_load_dword v7, v[18:19], off
	v_lshl_add_u64 v[18:19], v[16:17], 2, s[4:5]
	v_cndmask_b32_e32 v19, v21, v19, vcc
	v_cndmask_b32_e32 v18, v20, v18, vcc
	global_load_dword v8, v[18:19], off
	v_add_u32_e32 v16, v16, v1
	s_mov_b64 s[2:3], -1
	v_mov_b32_e32 v11, s10
	s_cbranch_execz .LBB254_4
	s_branch .LBB254_17
.LBB254_3:
	s_mov_b64 s[2:3], 0
                                        ; implicit-def: $vgpr16
                                        ; implicit-def: $vgpr2_vgpr3_vgpr4_vgpr5_vgpr6_vgpr7_vgpr8_vgpr9
                                        ; implicit-def: $vgpr11
.LBB254_4:
	s_add_i32 s8, s13, s15
	s_waitcnt vmcnt(6)
	v_mov_b32_e32 v2, 0
	v_cmp_gt_u32_e32 vcc, s8, v0
	s_waitcnt vmcnt(5)
	v_mov_b32_e32 v3, v2
	s_waitcnt vmcnt(4)
	v_mov_b32_e32 v4, v2
	;; [unrolled: 2-line block ×6, first 2 shown]
	v_mov_b32_e32 v9, v2
	s_and_saveexec_b64 s[2:3], vcc
	s_cbranch_execnz .LBB254_44
; %bb.5:
	s_or_b64 exec, exec, s[2:3]
	v_cmp_gt_u32_e32 vcc, s8, v14
	s_and_saveexec_b64 s[2:3], vcc
	s_cbranch_execnz .LBB254_45
.LBB254_6:
	s_or_b64 exec, exec, s[2:3]
	v_cmp_gt_u32_e32 vcc, s8, v12
	s_and_saveexec_b64 s[2:3], vcc
	s_cbranch_execz .LBB254_8
.LBB254_7:
	v_mov_b32_e32 v13, 0
	v_subrev_co_u32_e32 v16, vcc, s15, v12
	v_mov_b32_e32 v17, v13
	v_lshl_add_u64 v[14:15], v[12:13], 2, s[4:5]
	v_lshl_add_u64 v[16:17], v[16:17], 2, s[6:7]
	v_cndmask_b32_e32 v15, v17, v15, vcc
	v_cndmask_b32_e32 v14, v16, v14, vcc
	global_load_dword v4, v[14:15], off
.LBB254_8:
	s_or_b64 exec, exec, s[2:3]
	v_add_u32_e32 v12, v12, v1
	v_cmp_gt_u32_e32 vcc, s8, v12
	s_and_saveexec_b64 s[2:3], vcc
	s_cbranch_execz .LBB254_10
; %bb.9:
	v_mov_b32_e32 v13, 0
	v_subrev_co_u32_e32 v16, vcc, s15, v12
	v_mov_b32_e32 v17, v13
	v_lshl_add_u64 v[14:15], v[12:13], 2, s[4:5]
	v_lshl_add_u64 v[16:17], v[16:17], 2, s[6:7]
	v_cndmask_b32_e32 v15, v17, v15, vcc
	v_cndmask_b32_e32 v14, v16, v14, vcc
	global_load_dword v5, v[14:15], off
.LBB254_10:
	s_or_b64 exec, exec, s[2:3]
	v_add_u32_e32 v12, v12, v1
	v_cmp_gt_u32_e32 vcc, s8, v12
	s_and_saveexec_b64 s[2:3], vcc
	s_cbranch_execz .LBB254_12
; %bb.11:
	v_mov_b32_e32 v13, 0
	v_subrev_co_u32_e32 v16, vcc, s15, v12
	v_mov_b32_e32 v17, v13
	v_lshl_add_u64 v[14:15], v[12:13], 2, s[4:5]
	v_lshl_add_u64 v[16:17], v[16:17], 2, s[6:7]
	v_cndmask_b32_e32 v15, v17, v15, vcc
	v_cndmask_b32_e32 v14, v16, v14, vcc
	global_load_dword v6, v[14:15], off
.LBB254_12:
	;; [unrolled: 15-line block ×4, first 2 shown]
	s_or_b64 exec, exec, s[2:3]
	v_add_u32_e32 v16, v12, v1
	v_cmp_gt_u32_e64 s[2:3], s8, v16
	v_mov_b32_e32 v11, s8
.LBB254_17:
	s_and_saveexec_b64 s[8:9], s[2:3]
	s_cbranch_execz .LBB254_19
; %bb.18:
	v_mov_b32_e32 v13, 0
	v_mov_b32_e32 v17, v13
	v_subrev_co_u32_e32 v12, vcc, s15, v16
	v_lshl_add_u64 v[14:15], v[16:17], 2, s[4:5]
	v_lshl_add_u64 v[12:13], v[12:13], 2, s[6:7]
	v_cndmask_b32_e32 v13, v13, v15, vcc
	v_cndmask_b32_e32 v12, v12, v14, vcc
	global_load_dword v9, v[12:13], off
.LBB254_19:
	s_or_b64 exec, exec, s[8:9]
	s_load_dwordx2 s[20:21], s[0:1], 0x10
	v_lshlrev_b32_e32 v1, 3, v0
	v_min_u32_e32 v13, v11, v1
	v_sub_u32_e64 v12, v13, s13 clamp
	v_min_u32_e32 v14, s15, v13
	v_cmp_lt_u32_e32 vcc, v12, v14
	s_waitcnt vmcnt(0)
	ds_write2st64_b32 v10, v2, v3 offset1:2
	ds_write2st64_b32 v10, v4, v5 offset0:4 offset1:6
	ds_write2st64_b32 v10, v6, v7 offset0:8 offset1:10
	;; [unrolled: 1-line block ×3, first 2 shown]
	s_waitcnt lgkmcnt(0)
	s_barrier
	s_and_saveexec_b64 s[0:1], vcc
	s_cbranch_execz .LBB254_23
; %bb.20:
	v_lshlrev_b32_e32 v15, 2, v13
	v_lshl_add_u32 v15, s15, 2, v15
	s_mov_b64 s[2:3], 0
.LBB254_21:                             ; =>This Inner Loop Header: Depth=1
	v_add_u32_e32 v16, v14, v12
	v_lshrrev_b32_e32 v16, 1, v16
	v_not_b32_e32 v17, v16
	v_lshlrev_b32_e32 v18, 2, v16
	v_lshl_add_u32 v17, v17, 2, v15
	ds_read_b32 v18, v18
	ds_read_b32 v17, v17
	v_add_u32_e32 v19, 1, v16
	s_waitcnt lgkmcnt(0)
	v_cmp_gt_i32_e32 vcc, v17, v18
	s_nop 1
	v_cndmask_b32_e32 v14, v14, v16, vcc
	v_cndmask_b32_e32 v12, v19, v12, vcc
	v_cmp_ge_u32_e32 vcc, v12, v14
	s_or_b64 s[2:3], vcc, s[2:3]
	s_andn2_b64 exec, exec, s[2:3]
	s_cbranch_execnz .LBB254_21
; %bb.22:
	s_or_b64 exec, exec, s[2:3]
.LBB254_23:
	s_or_b64 exec, exec, s[0:1]
	v_sub_u32_e32 v13, v13, v12
	v_add_u32_e32 v13, s15, v13
	v_cmp_ge_u32_e32 vcc, s15, v12
	v_cmp_le_u32_e64 s[0:1], v13, v11
	s_or_b64 s[0:1], vcc, s[0:1]
	s_and_saveexec_b64 s[22:23], s[0:1]
	s_cbranch_execz .LBB254_29
; %bb.24:
	v_cmp_gt_u32_e32 vcc, s15, v12
                                        ; implicit-def: $vgpr2
	s_and_saveexec_b64 s[0:1], vcc
; %bb.25:
	v_lshlrev_b32_e32 v2, 2, v12
	ds_read_b32 v2, v2
; %bb.26:
	s_or_b64 exec, exec, s[0:1]
	v_cmp_ge_u32_e64 s[0:1], v13, v11
	v_cmp_lt_u32_e64 s[2:3], v13, v11
                                        ; implicit-def: $vgpr3
	s_and_saveexec_b64 s[4:5], s[2:3]
; %bb.27:
	v_lshlrev_b32_e32 v3, 2, v13
	ds_read_b32 v3, v3
; %bb.28:
	s_or_b64 exec, exec, s[4:5]
	s_waitcnt lgkmcnt(0)
	v_cmp_le_i32_e64 s[2:3], v3, v2
	s_and_b64 s[2:3], vcc, s[2:3]
	s_or_b64 vcc, s[0:1], s[2:3]
	v_mov_b32_e32 v5, s15
	v_cndmask_b32_e32 v4, v13, v12, vcc
	v_cndmask_b32_e32 v6, v11, v5, vcc
	v_add_u32_e32 v4, 1, v4
	v_add_u32_e32 v6, -1, v6
	v_min_u32_e32 v6, v4, v6
	v_lshlrev_b32_e32 v6, 2, v6
	ds_read_b32 v6, v6
	v_cndmask_b32_e32 v8, v4, v13, vcc
	v_cndmask_b32_e32 v4, v12, v4, vcc
	v_cmp_gt_u32_e64 s[2:3], s15, v4
	v_cmp_ge_u32_e64 s[0:1], v8, v11
	s_waitcnt lgkmcnt(0)
	v_cndmask_b32_e32 v7, v6, v3, vcc
	v_cndmask_b32_e32 v6, v2, v6, vcc
	v_cmp_le_i32_e64 s[4:5], v7, v6
	s_and_b64 s[2:3], s[2:3], s[4:5]
	s_or_b64 s[0:1], s[0:1], s[2:3]
	v_cndmask_b32_e64 v9, v8, v4, s[0:1]
	v_cndmask_b32_e64 v12, v11, v5, s[0:1]
	v_add_u32_e32 v9, 1, v9
	v_add_u32_e32 v12, -1, v12
	v_min_u32_e32 v12, v9, v12
	v_lshlrev_b32_e32 v12, 2, v12
	ds_read_b32 v12, v12
	v_cndmask_b32_e64 v4, v4, v9, s[0:1]
	v_cndmask_b32_e64 v8, v9, v8, s[0:1]
	v_cmp_gt_u32_e64 s[4:5], s15, v4
	v_cmp_ge_u32_e64 s[2:3], v8, v11
	s_waitcnt lgkmcnt(0)
	v_cndmask_b32_e64 v13, v12, v7, s[0:1]
	v_cndmask_b32_e64 v12, v6, v12, s[0:1]
	v_cmp_le_i32_e64 s[6:7], v13, v12
	s_and_b64 s[4:5], s[4:5], s[6:7]
	s_or_b64 s[2:3], s[2:3], s[4:5]
	v_cndmask_b32_e64 v9, v8, v4, s[2:3]
	v_cndmask_b32_e64 v14, v11, v5, s[2:3]
	v_add_u32_e32 v9, 1, v9
	v_add_u32_e32 v14, -1, v14
	v_min_u32_e32 v14, v9, v14
	v_lshlrev_b32_e32 v14, 2, v14
	ds_read_b32 v14, v14
	v_cndmask_b32_e64 v4, v4, v9, s[2:3]
	v_cndmask_b32_e64 v8, v9, v8, s[2:3]
	v_cmp_gt_u32_e64 s[6:7], s15, v4
	v_cmp_ge_u32_e64 s[4:5], v8, v11
	s_waitcnt lgkmcnt(0)
	v_cndmask_b32_e64 v15, v14, v13, s[2:3]
	v_cndmask_b32_e64 v14, v12, v14, s[2:3]
	;; [unrolled: 17-line block ×4, first 2 shown]
	v_cmp_le_i32_e64 s[12:13], v19, v18
	s_and_b64 s[10:11], s[10:11], s[12:13]
	s_or_b64 s[8:9], s[8:9], s[10:11]
	v_cndmask_b32_e64 v4, v8, v9, s[8:9]
	v_cndmask_b32_e64 v20, v11, v5, s[8:9]
	v_add_u32_e32 v21, 1, v4
	v_add_u32_e32 v4, -1, v20
	v_min_u32_e32 v4, v21, v4
	v_lshlrev_b32_e32 v4, 2, v4
	ds_read_b32 v20, v4
	v_cndmask_b32_e64 v4, v13, v12, s[2:3]
	v_cndmask_b32_e64 v9, v9, v21, s[8:9]
	v_cndmask_b32_e32 v2, v3, v2, vcc
	v_cndmask_b32_e64 v3, v7, v6, s[0:1]
	s_waitcnt lgkmcnt(0)
	v_cndmask_b32_e64 v12, v20, v19, s[8:9]
	v_cndmask_b32_e64 v13, v18, v20, s[8:9]
	;; [unrolled: 1-line block ×3, first 2 shown]
	v_cmp_gt_u32_e64 s[0:1], s15, v9
	v_cmp_le_i32_e64 s[2:3], v12, v13
	v_cmp_ge_u32_e32 vcc, v20, v11
	s_and_b64 s[0:1], s[0:1], s[2:3]
	s_or_b64 vcc, vcc, s[0:1]
	v_cndmask_b32_e32 v6, v20, v9, vcc
	v_cndmask_b32_e32 v5, v11, v5, vcc
	v_add_u32_e32 v21, 1, v6
	v_add_u32_e32 v5, -1, v5
	v_min_u32_e32 v5, v21, v5
	v_lshlrev_b32_e32 v5, 2, v5
	ds_read_b32 v22, v5
	v_cndmask_b32_e32 v8, v12, v13, vcc
	v_cndmask_b32_e32 v9, v9, v21, vcc
	v_cndmask_b32_e64 v5, v15, v14, s[4:5]
	v_cndmask_b32_e32 v14, v21, v20, vcc
	s_waitcnt lgkmcnt(0)
	v_cndmask_b32_e32 v12, v22, v12, vcc
	v_cndmask_b32_e32 v13, v13, v22, vcc
	v_cmp_gt_u32_e64 s[0:1], s15, v9
	v_cmp_le_i32_e64 s[2:3], v12, v13
	v_cmp_ge_u32_e32 vcc, v14, v11
	s_and_b64 s[0:1], s[0:1], s[2:3]
	s_or_b64 vcc, vcc, s[0:1]
	v_cndmask_b32_e64 v6, v17, v16, s[6:7]
	v_cndmask_b32_e64 v7, v19, v18, s[8:9]
	v_cndmask_b32_e32 v9, v12, v13, vcc
.LBB254_29:
	s_or_b64 exec, exec, s[22:23]
	v_and_b32_e32 v11, 0x7c, v0
	v_lshl_add_u32 v1, v1, 2, v11
	s_barrier
	s_barrier
	ds_write2_b32 v1, v2, v3 offset1:1
	ds_write2_b32 v1, v4, v5 offset0:2 offset1:3
	ds_write2_b32 v1, v6, v7 offset0:4 offset1:5
	;; [unrolled: 1-line block ×3, first 2 shown]
	v_lshrrev_b32_e32 v1, 3, v0
	v_and_b32_e32 v1, 12, v1
	v_or_b32_e32 v9, 0x80, v0
	v_add_u32_e32 v12, v1, v10
	v_lshrrev_b32_e32 v1, 3, v9
	v_and_b32_e32 v1, 28, v1
	v_or_b32_e32 v8, 0x100, v0
	v_add_u32_e32 v13, v1, v10
	;; [unrolled: 4-line block ×6, first 2 shown]
	v_lshrrev_b32_e32 v1, 3, v4
	s_mov_b32 s17, 0
	v_and_b32_e32 v1, 0x6c, v1
	s_lshl_b64 s[0:1], s[16:17], 2
	v_add_u32_e32 v18, v1, v10
	v_or_b32_e32 v1, 0x380, v0
	s_add_u32 s0, s20, s0
	v_lshrrev_b32_e32 v2, 3, v1
	s_addc_u32 s1, s21, s1
	v_and_b32_e32 v2, 0x7c, v2
	v_mov_b32_e32 v11, 0
	v_add_u32_e32 v19, v2, v10
	v_lshl_add_u64 v[2:3], s[0:1], 0, v[10:11]
	s_and_b64 vcc, exec, s[18:19]
	s_waitcnt lgkmcnt(0)
	s_cbranch_vccz .LBB254_31
; %bb.30:
	s_barrier
	ds_read_b32 v10, v12
	ds_read_b32 v11, v13 offset:512
	ds_read_b32 v20, v14 offset:1024
	;; [unrolled: 1-line block ×7, first 2 shown]
	s_waitcnt lgkmcnt(7)
	global_store_dword v[2:3], v10, off
	s_waitcnt lgkmcnt(6)
	global_store_dword v[2:3], v11, off offset:512
	s_waitcnt lgkmcnt(5)
	global_store_dword v[2:3], v20, off offset:1024
	;; [unrolled: 2-line block ×6, first 2 shown]
	s_mov_b64 s[0:1], -1
	s_cbranch_execz .LBB254_32
	s_branch .LBB254_41
.LBB254_31:
	s_mov_b64 s[0:1], 0
                                        ; implicit-def: $vgpr22
.LBB254_32:
	s_barrier
	s_waitcnt lgkmcnt(0)
	ds_read_b32 v21, v13 offset:512
	ds_read_b32 v20, v14 offset:1024
	ds_read_b32 v14, v15 offset:1536
	ds_read_b32 v13, v16 offset:2048
	ds_read_b32 v11, v17 offset:2560
	ds_read_b32 v10, v18 offset:3072
	ds_read_b32 v22, v19 offset:3584
	s_sub_i32 s2, s14, s16
	v_cmp_gt_u32_e32 vcc, s2, v0
	s_and_saveexec_b64 s[0:1], vcc
	s_cbranch_execnz .LBB254_46
; %bb.33:
	s_or_b64 exec, exec, s[0:1]
	v_cmp_gt_u32_e32 vcc, s2, v9
	s_and_saveexec_b64 s[0:1], vcc
	s_cbranch_execnz .LBB254_47
.LBB254_34:
	s_or_b64 exec, exec, s[0:1]
	v_cmp_gt_u32_e32 vcc, s2, v8
	s_and_saveexec_b64 s[0:1], vcc
	s_cbranch_execnz .LBB254_48
.LBB254_35:
	s_or_b64 exec, exec, s[0:1]
	v_cmp_gt_u32_e32 vcc, s2, v7
	s_and_saveexec_b64 s[0:1], vcc
	s_cbranch_execnz .LBB254_49
.LBB254_36:
	s_or_b64 exec, exec, s[0:1]
	v_cmp_gt_u32_e32 vcc, s2, v6
	s_and_saveexec_b64 s[0:1], vcc
	s_cbranch_execnz .LBB254_50
.LBB254_37:
	s_or_b64 exec, exec, s[0:1]
	v_cmp_gt_u32_e32 vcc, s2, v5
	s_and_saveexec_b64 s[0:1], vcc
	s_cbranch_execnz .LBB254_51
.LBB254_38:
	s_or_b64 exec, exec, s[0:1]
	v_cmp_gt_u32_e32 vcc, s2, v4
	s_and_saveexec_b64 s[0:1], vcc
	s_cbranch_execz .LBB254_40
.LBB254_39:
	s_waitcnt lgkmcnt(1)
	global_store_dword v[2:3], v10, off offset:3072
.LBB254_40:
	s_or_b64 exec, exec, s[0:1]
	v_cmp_gt_u32_e64 s[0:1], s2, v1
.LBB254_41:
	s_and_saveexec_b64 s[2:3], s[0:1]
	s_cbranch_execz .LBB254_43
; %bb.42:
	s_waitcnt lgkmcnt(0)
	global_store_dword v[2:3], v22, off offset:3584
.LBB254_43:
	s_endpgm
.LBB254_44:
	v_mov_b32_e32 v11, v2
	v_subrev_co_u32_e32 v6, vcc, s15, v0
	v_mov_b32_e32 v7, v2
	v_lshl_add_u64 v[4:5], s[4:5], 0, v[10:11]
	v_lshl_add_u64 v[6:7], v[6:7], 2, s[6:7]
	v_cndmask_b32_e32 v5, v7, v5, vcc
	v_cndmask_b32_e32 v4, v6, v4, vcc
	global_load_dword v16, v[4:5], off
	v_mov_b32_e32 v17, v2
	v_mov_b32_e32 v18, v2
	;; [unrolled: 1-line block ×7, first 2 shown]
	s_waitcnt vmcnt(0)
	v_mov_b64_e32 v[2:3], v[16:17]
	v_mov_b64_e32 v[4:5], v[18:19]
	;; [unrolled: 1-line block ×4, first 2 shown]
	s_or_b64 exec, exec, s[2:3]
	v_cmp_gt_u32_e32 vcc, s8, v14
	s_and_saveexec_b64 s[2:3], vcc
	s_cbranch_execz .LBB254_6
.LBB254_45:
	v_mov_b32_e32 v15, 0
	v_lshl_add_u64 v[16:17], v[14:15], 2, s[4:5]
	v_subrev_co_u32_e32 v14, vcc, s15, v14
	v_lshl_add_u64 v[14:15], v[14:15], 2, s[6:7]
	s_nop 0
	v_cndmask_b32_e32 v15, v15, v17, vcc
	v_cndmask_b32_e32 v14, v14, v16, vcc
	global_load_dword v3, v[14:15], off
	s_or_b64 exec, exec, s[2:3]
	v_cmp_gt_u32_e32 vcc, s8, v12
	s_and_saveexec_b64 s[2:3], vcc
	s_cbranch_execnz .LBB254_7
	s_branch .LBB254_8
.LBB254_46:
	ds_read_b32 v0, v12
	s_waitcnt lgkmcnt(0)
	global_store_dword v[2:3], v0, off
	s_or_b64 exec, exec, s[0:1]
	v_cmp_gt_u32_e32 vcc, s2, v9
	s_and_saveexec_b64 s[0:1], vcc
	s_cbranch_execz .LBB254_34
.LBB254_47:
	s_waitcnt lgkmcnt(6)
	global_store_dword v[2:3], v21, off offset:512
	s_or_b64 exec, exec, s[0:1]
	v_cmp_gt_u32_e32 vcc, s2, v8
	s_and_saveexec_b64 s[0:1], vcc
	s_cbranch_execz .LBB254_35
.LBB254_48:
	s_waitcnt lgkmcnt(5)
	global_store_dword v[2:3], v20, off offset:1024
	s_or_b64 exec, exec, s[0:1]
	v_cmp_gt_u32_e32 vcc, s2, v7
	s_and_saveexec_b64 s[0:1], vcc
	s_cbranch_execz .LBB254_36
.LBB254_49:
	s_waitcnt lgkmcnt(4)
	global_store_dword v[2:3], v14, off offset:1536
	s_or_b64 exec, exec, s[0:1]
	v_cmp_gt_u32_e32 vcc, s2, v6
	s_and_saveexec_b64 s[0:1], vcc
	s_cbranch_execz .LBB254_37
.LBB254_50:
	s_waitcnt lgkmcnt(3)
	global_store_dword v[2:3], v13, off offset:2048
	s_or_b64 exec, exec, s[0:1]
	v_cmp_gt_u32_e32 vcc, s2, v5
	s_and_saveexec_b64 s[0:1], vcc
	s_cbranch_execz .LBB254_38
.LBB254_51:
	s_waitcnt lgkmcnt(2)
	global_store_dword v[2:3], v11, off offset:2560
	s_or_b64 exec, exec, s[0:1]
	v_cmp_gt_u32_e32 vcc, s2, v4
	s_and_saveexec_b64 s[0:1], vcc
	s_cbranch_execnz .LBB254_39
	s_branch .LBB254_40
	.section	.rodata,"a",@progbits
	.p2align	6, 0x0
	.amdhsa_kernel _ZN7rocprim17ROCPRIM_400000_NS6detail17trampoline_kernelINS0_14default_configENS1_38merge_sort_block_merge_config_selectorIiNS0_10empty_typeEEEZZNS1_27merge_sort_block_merge_implIS3_N6thrust23THRUST_200600_302600_NS6detail15normal_iteratorINS9_10device_ptrIiEEEEPS5_jNS1_19radix_merge_compareILb1ELb0EiNS0_19identity_decomposerEEEEE10hipError_tT0_T1_T2_jT3_P12ihipStream_tbPNSt15iterator_traitsISK_E10value_typeEPNSQ_ISL_E10value_typeEPSM_NS1_7vsmem_tEENKUlT_SK_SL_SM_E_clISE_PiSF_SF_EESJ_SZ_SK_SL_SM_EUlSZ_E0_NS1_11comp_targetILNS1_3genE0ELNS1_11target_archE4294967295ELNS1_3gpuE0ELNS1_3repE0EEENS1_38merge_mergepath_config_static_selectorELNS0_4arch9wavefront6targetE1EEEvSL_
		.amdhsa_group_segment_fixed_size 4224
		.amdhsa_private_segment_fixed_size 0
		.amdhsa_kernarg_size 320
		.amdhsa_user_sgpr_count 2
		.amdhsa_user_sgpr_dispatch_ptr 0
		.amdhsa_user_sgpr_queue_ptr 0
		.amdhsa_user_sgpr_kernarg_segment_ptr 1
		.amdhsa_user_sgpr_dispatch_id 0
		.amdhsa_user_sgpr_kernarg_preload_length 0
		.amdhsa_user_sgpr_kernarg_preload_offset 0
		.amdhsa_user_sgpr_private_segment_size 0
		.amdhsa_uses_dynamic_stack 0
		.amdhsa_enable_private_segment 0
		.amdhsa_system_sgpr_workgroup_id_x 1
		.amdhsa_system_sgpr_workgroup_id_y 1
		.amdhsa_system_sgpr_workgroup_id_z 1
		.amdhsa_system_sgpr_workgroup_info 0
		.amdhsa_system_vgpr_workitem_id 0
		.amdhsa_next_free_vgpr 26
		.amdhsa_next_free_sgpr 25
		.amdhsa_accum_offset 28
		.amdhsa_reserve_vcc 1
		.amdhsa_float_round_mode_32 0
		.amdhsa_float_round_mode_16_64 0
		.amdhsa_float_denorm_mode_32 3
		.amdhsa_float_denorm_mode_16_64 3
		.amdhsa_dx10_clamp 1
		.amdhsa_ieee_mode 1
		.amdhsa_fp16_overflow 0
		.amdhsa_tg_split 0
		.amdhsa_exception_fp_ieee_invalid_op 0
		.amdhsa_exception_fp_denorm_src 0
		.amdhsa_exception_fp_ieee_div_zero 0
		.amdhsa_exception_fp_ieee_overflow 0
		.amdhsa_exception_fp_ieee_underflow 0
		.amdhsa_exception_fp_ieee_inexact 0
		.amdhsa_exception_int_div_zero 0
	.end_amdhsa_kernel
	.section	.text._ZN7rocprim17ROCPRIM_400000_NS6detail17trampoline_kernelINS0_14default_configENS1_38merge_sort_block_merge_config_selectorIiNS0_10empty_typeEEEZZNS1_27merge_sort_block_merge_implIS3_N6thrust23THRUST_200600_302600_NS6detail15normal_iteratorINS9_10device_ptrIiEEEEPS5_jNS1_19radix_merge_compareILb1ELb0EiNS0_19identity_decomposerEEEEE10hipError_tT0_T1_T2_jT3_P12ihipStream_tbPNSt15iterator_traitsISK_E10value_typeEPNSQ_ISL_E10value_typeEPSM_NS1_7vsmem_tEENKUlT_SK_SL_SM_E_clISE_PiSF_SF_EESJ_SZ_SK_SL_SM_EUlSZ_E0_NS1_11comp_targetILNS1_3genE0ELNS1_11target_archE4294967295ELNS1_3gpuE0ELNS1_3repE0EEENS1_38merge_mergepath_config_static_selectorELNS0_4arch9wavefront6targetE1EEEvSL_,"axG",@progbits,_ZN7rocprim17ROCPRIM_400000_NS6detail17trampoline_kernelINS0_14default_configENS1_38merge_sort_block_merge_config_selectorIiNS0_10empty_typeEEEZZNS1_27merge_sort_block_merge_implIS3_N6thrust23THRUST_200600_302600_NS6detail15normal_iteratorINS9_10device_ptrIiEEEEPS5_jNS1_19radix_merge_compareILb1ELb0EiNS0_19identity_decomposerEEEEE10hipError_tT0_T1_T2_jT3_P12ihipStream_tbPNSt15iterator_traitsISK_E10value_typeEPNSQ_ISL_E10value_typeEPSM_NS1_7vsmem_tEENKUlT_SK_SL_SM_E_clISE_PiSF_SF_EESJ_SZ_SK_SL_SM_EUlSZ_E0_NS1_11comp_targetILNS1_3genE0ELNS1_11target_archE4294967295ELNS1_3gpuE0ELNS1_3repE0EEENS1_38merge_mergepath_config_static_selectorELNS0_4arch9wavefront6targetE1EEEvSL_,comdat
.Lfunc_end254:
	.size	_ZN7rocprim17ROCPRIM_400000_NS6detail17trampoline_kernelINS0_14default_configENS1_38merge_sort_block_merge_config_selectorIiNS0_10empty_typeEEEZZNS1_27merge_sort_block_merge_implIS3_N6thrust23THRUST_200600_302600_NS6detail15normal_iteratorINS9_10device_ptrIiEEEEPS5_jNS1_19radix_merge_compareILb1ELb0EiNS0_19identity_decomposerEEEEE10hipError_tT0_T1_T2_jT3_P12ihipStream_tbPNSt15iterator_traitsISK_E10value_typeEPNSQ_ISL_E10value_typeEPSM_NS1_7vsmem_tEENKUlT_SK_SL_SM_E_clISE_PiSF_SF_EESJ_SZ_SK_SL_SM_EUlSZ_E0_NS1_11comp_targetILNS1_3genE0ELNS1_11target_archE4294967295ELNS1_3gpuE0ELNS1_3repE0EEENS1_38merge_mergepath_config_static_selectorELNS0_4arch9wavefront6targetE1EEEvSL_, .Lfunc_end254-_ZN7rocprim17ROCPRIM_400000_NS6detail17trampoline_kernelINS0_14default_configENS1_38merge_sort_block_merge_config_selectorIiNS0_10empty_typeEEEZZNS1_27merge_sort_block_merge_implIS3_N6thrust23THRUST_200600_302600_NS6detail15normal_iteratorINS9_10device_ptrIiEEEEPS5_jNS1_19radix_merge_compareILb1ELb0EiNS0_19identity_decomposerEEEEE10hipError_tT0_T1_T2_jT3_P12ihipStream_tbPNSt15iterator_traitsISK_E10value_typeEPNSQ_ISL_E10value_typeEPSM_NS1_7vsmem_tEENKUlT_SK_SL_SM_E_clISE_PiSF_SF_EESJ_SZ_SK_SL_SM_EUlSZ_E0_NS1_11comp_targetILNS1_3genE0ELNS1_11target_archE4294967295ELNS1_3gpuE0ELNS1_3repE0EEENS1_38merge_mergepath_config_static_selectorELNS0_4arch9wavefront6targetE1EEEvSL_
                                        ; -- End function
	.set _ZN7rocprim17ROCPRIM_400000_NS6detail17trampoline_kernelINS0_14default_configENS1_38merge_sort_block_merge_config_selectorIiNS0_10empty_typeEEEZZNS1_27merge_sort_block_merge_implIS3_N6thrust23THRUST_200600_302600_NS6detail15normal_iteratorINS9_10device_ptrIiEEEEPS5_jNS1_19radix_merge_compareILb1ELb0EiNS0_19identity_decomposerEEEEE10hipError_tT0_T1_T2_jT3_P12ihipStream_tbPNSt15iterator_traitsISK_E10value_typeEPNSQ_ISL_E10value_typeEPSM_NS1_7vsmem_tEENKUlT_SK_SL_SM_E_clISE_PiSF_SF_EESJ_SZ_SK_SL_SM_EUlSZ_E0_NS1_11comp_targetILNS1_3genE0ELNS1_11target_archE4294967295ELNS1_3gpuE0ELNS1_3repE0EEENS1_38merge_mergepath_config_static_selectorELNS0_4arch9wavefront6targetE1EEEvSL_.num_vgpr, 26
	.set _ZN7rocprim17ROCPRIM_400000_NS6detail17trampoline_kernelINS0_14default_configENS1_38merge_sort_block_merge_config_selectorIiNS0_10empty_typeEEEZZNS1_27merge_sort_block_merge_implIS3_N6thrust23THRUST_200600_302600_NS6detail15normal_iteratorINS9_10device_ptrIiEEEEPS5_jNS1_19radix_merge_compareILb1ELb0EiNS0_19identity_decomposerEEEEE10hipError_tT0_T1_T2_jT3_P12ihipStream_tbPNSt15iterator_traitsISK_E10value_typeEPNSQ_ISL_E10value_typeEPSM_NS1_7vsmem_tEENKUlT_SK_SL_SM_E_clISE_PiSF_SF_EESJ_SZ_SK_SL_SM_EUlSZ_E0_NS1_11comp_targetILNS1_3genE0ELNS1_11target_archE4294967295ELNS1_3gpuE0ELNS1_3repE0EEENS1_38merge_mergepath_config_static_selectorELNS0_4arch9wavefront6targetE1EEEvSL_.num_agpr, 0
	.set _ZN7rocprim17ROCPRIM_400000_NS6detail17trampoline_kernelINS0_14default_configENS1_38merge_sort_block_merge_config_selectorIiNS0_10empty_typeEEEZZNS1_27merge_sort_block_merge_implIS3_N6thrust23THRUST_200600_302600_NS6detail15normal_iteratorINS9_10device_ptrIiEEEEPS5_jNS1_19radix_merge_compareILb1ELb0EiNS0_19identity_decomposerEEEEE10hipError_tT0_T1_T2_jT3_P12ihipStream_tbPNSt15iterator_traitsISK_E10value_typeEPNSQ_ISL_E10value_typeEPSM_NS1_7vsmem_tEENKUlT_SK_SL_SM_E_clISE_PiSF_SF_EESJ_SZ_SK_SL_SM_EUlSZ_E0_NS1_11comp_targetILNS1_3genE0ELNS1_11target_archE4294967295ELNS1_3gpuE0ELNS1_3repE0EEENS1_38merge_mergepath_config_static_selectorELNS0_4arch9wavefront6targetE1EEEvSL_.numbered_sgpr, 25
	.set _ZN7rocprim17ROCPRIM_400000_NS6detail17trampoline_kernelINS0_14default_configENS1_38merge_sort_block_merge_config_selectorIiNS0_10empty_typeEEEZZNS1_27merge_sort_block_merge_implIS3_N6thrust23THRUST_200600_302600_NS6detail15normal_iteratorINS9_10device_ptrIiEEEEPS5_jNS1_19radix_merge_compareILb1ELb0EiNS0_19identity_decomposerEEEEE10hipError_tT0_T1_T2_jT3_P12ihipStream_tbPNSt15iterator_traitsISK_E10value_typeEPNSQ_ISL_E10value_typeEPSM_NS1_7vsmem_tEENKUlT_SK_SL_SM_E_clISE_PiSF_SF_EESJ_SZ_SK_SL_SM_EUlSZ_E0_NS1_11comp_targetILNS1_3genE0ELNS1_11target_archE4294967295ELNS1_3gpuE0ELNS1_3repE0EEENS1_38merge_mergepath_config_static_selectorELNS0_4arch9wavefront6targetE1EEEvSL_.num_named_barrier, 0
	.set _ZN7rocprim17ROCPRIM_400000_NS6detail17trampoline_kernelINS0_14default_configENS1_38merge_sort_block_merge_config_selectorIiNS0_10empty_typeEEEZZNS1_27merge_sort_block_merge_implIS3_N6thrust23THRUST_200600_302600_NS6detail15normal_iteratorINS9_10device_ptrIiEEEEPS5_jNS1_19radix_merge_compareILb1ELb0EiNS0_19identity_decomposerEEEEE10hipError_tT0_T1_T2_jT3_P12ihipStream_tbPNSt15iterator_traitsISK_E10value_typeEPNSQ_ISL_E10value_typeEPSM_NS1_7vsmem_tEENKUlT_SK_SL_SM_E_clISE_PiSF_SF_EESJ_SZ_SK_SL_SM_EUlSZ_E0_NS1_11comp_targetILNS1_3genE0ELNS1_11target_archE4294967295ELNS1_3gpuE0ELNS1_3repE0EEENS1_38merge_mergepath_config_static_selectorELNS0_4arch9wavefront6targetE1EEEvSL_.private_seg_size, 0
	.set _ZN7rocprim17ROCPRIM_400000_NS6detail17trampoline_kernelINS0_14default_configENS1_38merge_sort_block_merge_config_selectorIiNS0_10empty_typeEEEZZNS1_27merge_sort_block_merge_implIS3_N6thrust23THRUST_200600_302600_NS6detail15normal_iteratorINS9_10device_ptrIiEEEEPS5_jNS1_19radix_merge_compareILb1ELb0EiNS0_19identity_decomposerEEEEE10hipError_tT0_T1_T2_jT3_P12ihipStream_tbPNSt15iterator_traitsISK_E10value_typeEPNSQ_ISL_E10value_typeEPSM_NS1_7vsmem_tEENKUlT_SK_SL_SM_E_clISE_PiSF_SF_EESJ_SZ_SK_SL_SM_EUlSZ_E0_NS1_11comp_targetILNS1_3genE0ELNS1_11target_archE4294967295ELNS1_3gpuE0ELNS1_3repE0EEENS1_38merge_mergepath_config_static_selectorELNS0_4arch9wavefront6targetE1EEEvSL_.uses_vcc, 1
	.set _ZN7rocprim17ROCPRIM_400000_NS6detail17trampoline_kernelINS0_14default_configENS1_38merge_sort_block_merge_config_selectorIiNS0_10empty_typeEEEZZNS1_27merge_sort_block_merge_implIS3_N6thrust23THRUST_200600_302600_NS6detail15normal_iteratorINS9_10device_ptrIiEEEEPS5_jNS1_19radix_merge_compareILb1ELb0EiNS0_19identity_decomposerEEEEE10hipError_tT0_T1_T2_jT3_P12ihipStream_tbPNSt15iterator_traitsISK_E10value_typeEPNSQ_ISL_E10value_typeEPSM_NS1_7vsmem_tEENKUlT_SK_SL_SM_E_clISE_PiSF_SF_EESJ_SZ_SK_SL_SM_EUlSZ_E0_NS1_11comp_targetILNS1_3genE0ELNS1_11target_archE4294967295ELNS1_3gpuE0ELNS1_3repE0EEENS1_38merge_mergepath_config_static_selectorELNS0_4arch9wavefront6targetE1EEEvSL_.uses_flat_scratch, 0
	.set _ZN7rocprim17ROCPRIM_400000_NS6detail17trampoline_kernelINS0_14default_configENS1_38merge_sort_block_merge_config_selectorIiNS0_10empty_typeEEEZZNS1_27merge_sort_block_merge_implIS3_N6thrust23THRUST_200600_302600_NS6detail15normal_iteratorINS9_10device_ptrIiEEEEPS5_jNS1_19radix_merge_compareILb1ELb0EiNS0_19identity_decomposerEEEEE10hipError_tT0_T1_T2_jT3_P12ihipStream_tbPNSt15iterator_traitsISK_E10value_typeEPNSQ_ISL_E10value_typeEPSM_NS1_7vsmem_tEENKUlT_SK_SL_SM_E_clISE_PiSF_SF_EESJ_SZ_SK_SL_SM_EUlSZ_E0_NS1_11comp_targetILNS1_3genE0ELNS1_11target_archE4294967295ELNS1_3gpuE0ELNS1_3repE0EEENS1_38merge_mergepath_config_static_selectorELNS0_4arch9wavefront6targetE1EEEvSL_.has_dyn_sized_stack, 0
	.set _ZN7rocprim17ROCPRIM_400000_NS6detail17trampoline_kernelINS0_14default_configENS1_38merge_sort_block_merge_config_selectorIiNS0_10empty_typeEEEZZNS1_27merge_sort_block_merge_implIS3_N6thrust23THRUST_200600_302600_NS6detail15normal_iteratorINS9_10device_ptrIiEEEEPS5_jNS1_19radix_merge_compareILb1ELb0EiNS0_19identity_decomposerEEEEE10hipError_tT0_T1_T2_jT3_P12ihipStream_tbPNSt15iterator_traitsISK_E10value_typeEPNSQ_ISL_E10value_typeEPSM_NS1_7vsmem_tEENKUlT_SK_SL_SM_E_clISE_PiSF_SF_EESJ_SZ_SK_SL_SM_EUlSZ_E0_NS1_11comp_targetILNS1_3genE0ELNS1_11target_archE4294967295ELNS1_3gpuE0ELNS1_3repE0EEENS1_38merge_mergepath_config_static_selectorELNS0_4arch9wavefront6targetE1EEEvSL_.has_recursion, 0
	.set _ZN7rocprim17ROCPRIM_400000_NS6detail17trampoline_kernelINS0_14default_configENS1_38merge_sort_block_merge_config_selectorIiNS0_10empty_typeEEEZZNS1_27merge_sort_block_merge_implIS3_N6thrust23THRUST_200600_302600_NS6detail15normal_iteratorINS9_10device_ptrIiEEEEPS5_jNS1_19radix_merge_compareILb1ELb0EiNS0_19identity_decomposerEEEEE10hipError_tT0_T1_T2_jT3_P12ihipStream_tbPNSt15iterator_traitsISK_E10value_typeEPNSQ_ISL_E10value_typeEPSM_NS1_7vsmem_tEENKUlT_SK_SL_SM_E_clISE_PiSF_SF_EESJ_SZ_SK_SL_SM_EUlSZ_E0_NS1_11comp_targetILNS1_3genE0ELNS1_11target_archE4294967295ELNS1_3gpuE0ELNS1_3repE0EEENS1_38merge_mergepath_config_static_selectorELNS0_4arch9wavefront6targetE1EEEvSL_.has_indirect_call, 0
	.section	.AMDGPU.csdata,"",@progbits
; Kernel info:
; codeLenInByte = 3212
; TotalNumSgprs: 31
; NumVgprs: 26
; NumAgprs: 0
; TotalNumVgprs: 26
; ScratchSize: 0
; MemoryBound: 0
; FloatMode: 240
; IeeeMode: 1
; LDSByteSize: 4224 bytes/workgroup (compile time only)
; SGPRBlocks: 3
; VGPRBlocks: 3
; NumSGPRsForWavesPerEU: 31
; NumVGPRsForWavesPerEU: 26
; AccumOffset: 28
; Occupancy: 8
; WaveLimiterHint : 1
; COMPUTE_PGM_RSRC2:SCRATCH_EN: 0
; COMPUTE_PGM_RSRC2:USER_SGPR: 2
; COMPUTE_PGM_RSRC2:TRAP_HANDLER: 0
; COMPUTE_PGM_RSRC2:TGID_X_EN: 1
; COMPUTE_PGM_RSRC2:TGID_Y_EN: 1
; COMPUTE_PGM_RSRC2:TGID_Z_EN: 1
; COMPUTE_PGM_RSRC2:TIDIG_COMP_CNT: 0
; COMPUTE_PGM_RSRC3_GFX90A:ACCUM_OFFSET: 6
; COMPUTE_PGM_RSRC3_GFX90A:TG_SPLIT: 0
	.section	.text._ZN7rocprim17ROCPRIM_400000_NS6detail17trampoline_kernelINS0_14default_configENS1_38merge_sort_block_merge_config_selectorIiNS0_10empty_typeEEEZZNS1_27merge_sort_block_merge_implIS3_N6thrust23THRUST_200600_302600_NS6detail15normal_iteratorINS9_10device_ptrIiEEEEPS5_jNS1_19radix_merge_compareILb1ELb0EiNS0_19identity_decomposerEEEEE10hipError_tT0_T1_T2_jT3_P12ihipStream_tbPNSt15iterator_traitsISK_E10value_typeEPNSQ_ISL_E10value_typeEPSM_NS1_7vsmem_tEENKUlT_SK_SL_SM_E_clISE_PiSF_SF_EESJ_SZ_SK_SL_SM_EUlSZ_E0_NS1_11comp_targetILNS1_3genE10ELNS1_11target_archE1201ELNS1_3gpuE5ELNS1_3repE0EEENS1_38merge_mergepath_config_static_selectorELNS0_4arch9wavefront6targetE1EEEvSL_,"axG",@progbits,_ZN7rocprim17ROCPRIM_400000_NS6detail17trampoline_kernelINS0_14default_configENS1_38merge_sort_block_merge_config_selectorIiNS0_10empty_typeEEEZZNS1_27merge_sort_block_merge_implIS3_N6thrust23THRUST_200600_302600_NS6detail15normal_iteratorINS9_10device_ptrIiEEEEPS5_jNS1_19radix_merge_compareILb1ELb0EiNS0_19identity_decomposerEEEEE10hipError_tT0_T1_T2_jT3_P12ihipStream_tbPNSt15iterator_traitsISK_E10value_typeEPNSQ_ISL_E10value_typeEPSM_NS1_7vsmem_tEENKUlT_SK_SL_SM_E_clISE_PiSF_SF_EESJ_SZ_SK_SL_SM_EUlSZ_E0_NS1_11comp_targetILNS1_3genE10ELNS1_11target_archE1201ELNS1_3gpuE5ELNS1_3repE0EEENS1_38merge_mergepath_config_static_selectorELNS0_4arch9wavefront6targetE1EEEvSL_,comdat
	.protected	_ZN7rocprim17ROCPRIM_400000_NS6detail17trampoline_kernelINS0_14default_configENS1_38merge_sort_block_merge_config_selectorIiNS0_10empty_typeEEEZZNS1_27merge_sort_block_merge_implIS3_N6thrust23THRUST_200600_302600_NS6detail15normal_iteratorINS9_10device_ptrIiEEEEPS5_jNS1_19radix_merge_compareILb1ELb0EiNS0_19identity_decomposerEEEEE10hipError_tT0_T1_T2_jT3_P12ihipStream_tbPNSt15iterator_traitsISK_E10value_typeEPNSQ_ISL_E10value_typeEPSM_NS1_7vsmem_tEENKUlT_SK_SL_SM_E_clISE_PiSF_SF_EESJ_SZ_SK_SL_SM_EUlSZ_E0_NS1_11comp_targetILNS1_3genE10ELNS1_11target_archE1201ELNS1_3gpuE5ELNS1_3repE0EEENS1_38merge_mergepath_config_static_selectorELNS0_4arch9wavefront6targetE1EEEvSL_ ; -- Begin function _ZN7rocprim17ROCPRIM_400000_NS6detail17trampoline_kernelINS0_14default_configENS1_38merge_sort_block_merge_config_selectorIiNS0_10empty_typeEEEZZNS1_27merge_sort_block_merge_implIS3_N6thrust23THRUST_200600_302600_NS6detail15normal_iteratorINS9_10device_ptrIiEEEEPS5_jNS1_19radix_merge_compareILb1ELb0EiNS0_19identity_decomposerEEEEE10hipError_tT0_T1_T2_jT3_P12ihipStream_tbPNSt15iterator_traitsISK_E10value_typeEPNSQ_ISL_E10value_typeEPSM_NS1_7vsmem_tEENKUlT_SK_SL_SM_E_clISE_PiSF_SF_EESJ_SZ_SK_SL_SM_EUlSZ_E0_NS1_11comp_targetILNS1_3genE10ELNS1_11target_archE1201ELNS1_3gpuE5ELNS1_3repE0EEENS1_38merge_mergepath_config_static_selectorELNS0_4arch9wavefront6targetE1EEEvSL_
	.globl	_ZN7rocprim17ROCPRIM_400000_NS6detail17trampoline_kernelINS0_14default_configENS1_38merge_sort_block_merge_config_selectorIiNS0_10empty_typeEEEZZNS1_27merge_sort_block_merge_implIS3_N6thrust23THRUST_200600_302600_NS6detail15normal_iteratorINS9_10device_ptrIiEEEEPS5_jNS1_19radix_merge_compareILb1ELb0EiNS0_19identity_decomposerEEEEE10hipError_tT0_T1_T2_jT3_P12ihipStream_tbPNSt15iterator_traitsISK_E10value_typeEPNSQ_ISL_E10value_typeEPSM_NS1_7vsmem_tEENKUlT_SK_SL_SM_E_clISE_PiSF_SF_EESJ_SZ_SK_SL_SM_EUlSZ_E0_NS1_11comp_targetILNS1_3genE10ELNS1_11target_archE1201ELNS1_3gpuE5ELNS1_3repE0EEENS1_38merge_mergepath_config_static_selectorELNS0_4arch9wavefront6targetE1EEEvSL_
	.p2align	8
	.type	_ZN7rocprim17ROCPRIM_400000_NS6detail17trampoline_kernelINS0_14default_configENS1_38merge_sort_block_merge_config_selectorIiNS0_10empty_typeEEEZZNS1_27merge_sort_block_merge_implIS3_N6thrust23THRUST_200600_302600_NS6detail15normal_iteratorINS9_10device_ptrIiEEEEPS5_jNS1_19radix_merge_compareILb1ELb0EiNS0_19identity_decomposerEEEEE10hipError_tT0_T1_T2_jT3_P12ihipStream_tbPNSt15iterator_traitsISK_E10value_typeEPNSQ_ISL_E10value_typeEPSM_NS1_7vsmem_tEENKUlT_SK_SL_SM_E_clISE_PiSF_SF_EESJ_SZ_SK_SL_SM_EUlSZ_E0_NS1_11comp_targetILNS1_3genE10ELNS1_11target_archE1201ELNS1_3gpuE5ELNS1_3repE0EEENS1_38merge_mergepath_config_static_selectorELNS0_4arch9wavefront6targetE1EEEvSL_,@function
_ZN7rocprim17ROCPRIM_400000_NS6detail17trampoline_kernelINS0_14default_configENS1_38merge_sort_block_merge_config_selectorIiNS0_10empty_typeEEEZZNS1_27merge_sort_block_merge_implIS3_N6thrust23THRUST_200600_302600_NS6detail15normal_iteratorINS9_10device_ptrIiEEEEPS5_jNS1_19radix_merge_compareILb1ELb0EiNS0_19identity_decomposerEEEEE10hipError_tT0_T1_T2_jT3_P12ihipStream_tbPNSt15iterator_traitsISK_E10value_typeEPNSQ_ISL_E10value_typeEPSM_NS1_7vsmem_tEENKUlT_SK_SL_SM_E_clISE_PiSF_SF_EESJ_SZ_SK_SL_SM_EUlSZ_E0_NS1_11comp_targetILNS1_3genE10ELNS1_11target_archE1201ELNS1_3gpuE5ELNS1_3repE0EEENS1_38merge_mergepath_config_static_selectorELNS0_4arch9wavefront6targetE1EEEvSL_: ; @_ZN7rocprim17ROCPRIM_400000_NS6detail17trampoline_kernelINS0_14default_configENS1_38merge_sort_block_merge_config_selectorIiNS0_10empty_typeEEEZZNS1_27merge_sort_block_merge_implIS3_N6thrust23THRUST_200600_302600_NS6detail15normal_iteratorINS9_10device_ptrIiEEEEPS5_jNS1_19radix_merge_compareILb1ELb0EiNS0_19identity_decomposerEEEEE10hipError_tT0_T1_T2_jT3_P12ihipStream_tbPNSt15iterator_traitsISK_E10value_typeEPNSQ_ISL_E10value_typeEPSM_NS1_7vsmem_tEENKUlT_SK_SL_SM_E_clISE_PiSF_SF_EESJ_SZ_SK_SL_SM_EUlSZ_E0_NS1_11comp_targetILNS1_3genE10ELNS1_11target_archE1201ELNS1_3gpuE5ELNS1_3repE0EEENS1_38merge_mergepath_config_static_selectorELNS0_4arch9wavefront6targetE1EEEvSL_
; %bb.0:
	.section	.rodata,"a",@progbits
	.p2align	6, 0x0
	.amdhsa_kernel _ZN7rocprim17ROCPRIM_400000_NS6detail17trampoline_kernelINS0_14default_configENS1_38merge_sort_block_merge_config_selectorIiNS0_10empty_typeEEEZZNS1_27merge_sort_block_merge_implIS3_N6thrust23THRUST_200600_302600_NS6detail15normal_iteratorINS9_10device_ptrIiEEEEPS5_jNS1_19radix_merge_compareILb1ELb0EiNS0_19identity_decomposerEEEEE10hipError_tT0_T1_T2_jT3_P12ihipStream_tbPNSt15iterator_traitsISK_E10value_typeEPNSQ_ISL_E10value_typeEPSM_NS1_7vsmem_tEENKUlT_SK_SL_SM_E_clISE_PiSF_SF_EESJ_SZ_SK_SL_SM_EUlSZ_E0_NS1_11comp_targetILNS1_3genE10ELNS1_11target_archE1201ELNS1_3gpuE5ELNS1_3repE0EEENS1_38merge_mergepath_config_static_selectorELNS0_4arch9wavefront6targetE1EEEvSL_
		.amdhsa_group_segment_fixed_size 0
		.amdhsa_private_segment_fixed_size 0
		.amdhsa_kernarg_size 64
		.amdhsa_user_sgpr_count 2
		.amdhsa_user_sgpr_dispatch_ptr 0
		.amdhsa_user_sgpr_queue_ptr 0
		.amdhsa_user_sgpr_kernarg_segment_ptr 1
		.amdhsa_user_sgpr_dispatch_id 0
		.amdhsa_user_sgpr_kernarg_preload_length 0
		.amdhsa_user_sgpr_kernarg_preload_offset 0
		.amdhsa_user_sgpr_private_segment_size 0
		.amdhsa_uses_dynamic_stack 0
		.amdhsa_enable_private_segment 0
		.amdhsa_system_sgpr_workgroup_id_x 1
		.amdhsa_system_sgpr_workgroup_id_y 0
		.amdhsa_system_sgpr_workgroup_id_z 0
		.amdhsa_system_sgpr_workgroup_info 0
		.amdhsa_system_vgpr_workitem_id 0
		.amdhsa_next_free_vgpr 1
		.amdhsa_next_free_sgpr 0
		.amdhsa_accum_offset 4
		.amdhsa_reserve_vcc 0
		.amdhsa_float_round_mode_32 0
		.amdhsa_float_round_mode_16_64 0
		.amdhsa_float_denorm_mode_32 3
		.amdhsa_float_denorm_mode_16_64 3
		.amdhsa_dx10_clamp 1
		.amdhsa_ieee_mode 1
		.amdhsa_fp16_overflow 0
		.amdhsa_tg_split 0
		.amdhsa_exception_fp_ieee_invalid_op 0
		.amdhsa_exception_fp_denorm_src 0
		.amdhsa_exception_fp_ieee_div_zero 0
		.amdhsa_exception_fp_ieee_overflow 0
		.amdhsa_exception_fp_ieee_underflow 0
		.amdhsa_exception_fp_ieee_inexact 0
		.amdhsa_exception_int_div_zero 0
	.end_amdhsa_kernel
	.section	.text._ZN7rocprim17ROCPRIM_400000_NS6detail17trampoline_kernelINS0_14default_configENS1_38merge_sort_block_merge_config_selectorIiNS0_10empty_typeEEEZZNS1_27merge_sort_block_merge_implIS3_N6thrust23THRUST_200600_302600_NS6detail15normal_iteratorINS9_10device_ptrIiEEEEPS5_jNS1_19radix_merge_compareILb1ELb0EiNS0_19identity_decomposerEEEEE10hipError_tT0_T1_T2_jT3_P12ihipStream_tbPNSt15iterator_traitsISK_E10value_typeEPNSQ_ISL_E10value_typeEPSM_NS1_7vsmem_tEENKUlT_SK_SL_SM_E_clISE_PiSF_SF_EESJ_SZ_SK_SL_SM_EUlSZ_E0_NS1_11comp_targetILNS1_3genE10ELNS1_11target_archE1201ELNS1_3gpuE5ELNS1_3repE0EEENS1_38merge_mergepath_config_static_selectorELNS0_4arch9wavefront6targetE1EEEvSL_,"axG",@progbits,_ZN7rocprim17ROCPRIM_400000_NS6detail17trampoline_kernelINS0_14default_configENS1_38merge_sort_block_merge_config_selectorIiNS0_10empty_typeEEEZZNS1_27merge_sort_block_merge_implIS3_N6thrust23THRUST_200600_302600_NS6detail15normal_iteratorINS9_10device_ptrIiEEEEPS5_jNS1_19radix_merge_compareILb1ELb0EiNS0_19identity_decomposerEEEEE10hipError_tT0_T1_T2_jT3_P12ihipStream_tbPNSt15iterator_traitsISK_E10value_typeEPNSQ_ISL_E10value_typeEPSM_NS1_7vsmem_tEENKUlT_SK_SL_SM_E_clISE_PiSF_SF_EESJ_SZ_SK_SL_SM_EUlSZ_E0_NS1_11comp_targetILNS1_3genE10ELNS1_11target_archE1201ELNS1_3gpuE5ELNS1_3repE0EEENS1_38merge_mergepath_config_static_selectorELNS0_4arch9wavefront6targetE1EEEvSL_,comdat
.Lfunc_end255:
	.size	_ZN7rocprim17ROCPRIM_400000_NS6detail17trampoline_kernelINS0_14default_configENS1_38merge_sort_block_merge_config_selectorIiNS0_10empty_typeEEEZZNS1_27merge_sort_block_merge_implIS3_N6thrust23THRUST_200600_302600_NS6detail15normal_iteratorINS9_10device_ptrIiEEEEPS5_jNS1_19radix_merge_compareILb1ELb0EiNS0_19identity_decomposerEEEEE10hipError_tT0_T1_T2_jT3_P12ihipStream_tbPNSt15iterator_traitsISK_E10value_typeEPNSQ_ISL_E10value_typeEPSM_NS1_7vsmem_tEENKUlT_SK_SL_SM_E_clISE_PiSF_SF_EESJ_SZ_SK_SL_SM_EUlSZ_E0_NS1_11comp_targetILNS1_3genE10ELNS1_11target_archE1201ELNS1_3gpuE5ELNS1_3repE0EEENS1_38merge_mergepath_config_static_selectorELNS0_4arch9wavefront6targetE1EEEvSL_, .Lfunc_end255-_ZN7rocprim17ROCPRIM_400000_NS6detail17trampoline_kernelINS0_14default_configENS1_38merge_sort_block_merge_config_selectorIiNS0_10empty_typeEEEZZNS1_27merge_sort_block_merge_implIS3_N6thrust23THRUST_200600_302600_NS6detail15normal_iteratorINS9_10device_ptrIiEEEEPS5_jNS1_19radix_merge_compareILb1ELb0EiNS0_19identity_decomposerEEEEE10hipError_tT0_T1_T2_jT3_P12ihipStream_tbPNSt15iterator_traitsISK_E10value_typeEPNSQ_ISL_E10value_typeEPSM_NS1_7vsmem_tEENKUlT_SK_SL_SM_E_clISE_PiSF_SF_EESJ_SZ_SK_SL_SM_EUlSZ_E0_NS1_11comp_targetILNS1_3genE10ELNS1_11target_archE1201ELNS1_3gpuE5ELNS1_3repE0EEENS1_38merge_mergepath_config_static_selectorELNS0_4arch9wavefront6targetE1EEEvSL_
                                        ; -- End function
	.set _ZN7rocprim17ROCPRIM_400000_NS6detail17trampoline_kernelINS0_14default_configENS1_38merge_sort_block_merge_config_selectorIiNS0_10empty_typeEEEZZNS1_27merge_sort_block_merge_implIS3_N6thrust23THRUST_200600_302600_NS6detail15normal_iteratorINS9_10device_ptrIiEEEEPS5_jNS1_19radix_merge_compareILb1ELb0EiNS0_19identity_decomposerEEEEE10hipError_tT0_T1_T2_jT3_P12ihipStream_tbPNSt15iterator_traitsISK_E10value_typeEPNSQ_ISL_E10value_typeEPSM_NS1_7vsmem_tEENKUlT_SK_SL_SM_E_clISE_PiSF_SF_EESJ_SZ_SK_SL_SM_EUlSZ_E0_NS1_11comp_targetILNS1_3genE10ELNS1_11target_archE1201ELNS1_3gpuE5ELNS1_3repE0EEENS1_38merge_mergepath_config_static_selectorELNS0_4arch9wavefront6targetE1EEEvSL_.num_vgpr, 0
	.set _ZN7rocprim17ROCPRIM_400000_NS6detail17trampoline_kernelINS0_14default_configENS1_38merge_sort_block_merge_config_selectorIiNS0_10empty_typeEEEZZNS1_27merge_sort_block_merge_implIS3_N6thrust23THRUST_200600_302600_NS6detail15normal_iteratorINS9_10device_ptrIiEEEEPS5_jNS1_19radix_merge_compareILb1ELb0EiNS0_19identity_decomposerEEEEE10hipError_tT0_T1_T2_jT3_P12ihipStream_tbPNSt15iterator_traitsISK_E10value_typeEPNSQ_ISL_E10value_typeEPSM_NS1_7vsmem_tEENKUlT_SK_SL_SM_E_clISE_PiSF_SF_EESJ_SZ_SK_SL_SM_EUlSZ_E0_NS1_11comp_targetILNS1_3genE10ELNS1_11target_archE1201ELNS1_3gpuE5ELNS1_3repE0EEENS1_38merge_mergepath_config_static_selectorELNS0_4arch9wavefront6targetE1EEEvSL_.num_agpr, 0
	.set _ZN7rocprim17ROCPRIM_400000_NS6detail17trampoline_kernelINS0_14default_configENS1_38merge_sort_block_merge_config_selectorIiNS0_10empty_typeEEEZZNS1_27merge_sort_block_merge_implIS3_N6thrust23THRUST_200600_302600_NS6detail15normal_iteratorINS9_10device_ptrIiEEEEPS5_jNS1_19radix_merge_compareILb1ELb0EiNS0_19identity_decomposerEEEEE10hipError_tT0_T1_T2_jT3_P12ihipStream_tbPNSt15iterator_traitsISK_E10value_typeEPNSQ_ISL_E10value_typeEPSM_NS1_7vsmem_tEENKUlT_SK_SL_SM_E_clISE_PiSF_SF_EESJ_SZ_SK_SL_SM_EUlSZ_E0_NS1_11comp_targetILNS1_3genE10ELNS1_11target_archE1201ELNS1_3gpuE5ELNS1_3repE0EEENS1_38merge_mergepath_config_static_selectorELNS0_4arch9wavefront6targetE1EEEvSL_.numbered_sgpr, 0
	.set _ZN7rocprim17ROCPRIM_400000_NS6detail17trampoline_kernelINS0_14default_configENS1_38merge_sort_block_merge_config_selectorIiNS0_10empty_typeEEEZZNS1_27merge_sort_block_merge_implIS3_N6thrust23THRUST_200600_302600_NS6detail15normal_iteratorINS9_10device_ptrIiEEEEPS5_jNS1_19radix_merge_compareILb1ELb0EiNS0_19identity_decomposerEEEEE10hipError_tT0_T1_T2_jT3_P12ihipStream_tbPNSt15iterator_traitsISK_E10value_typeEPNSQ_ISL_E10value_typeEPSM_NS1_7vsmem_tEENKUlT_SK_SL_SM_E_clISE_PiSF_SF_EESJ_SZ_SK_SL_SM_EUlSZ_E0_NS1_11comp_targetILNS1_3genE10ELNS1_11target_archE1201ELNS1_3gpuE5ELNS1_3repE0EEENS1_38merge_mergepath_config_static_selectorELNS0_4arch9wavefront6targetE1EEEvSL_.num_named_barrier, 0
	.set _ZN7rocprim17ROCPRIM_400000_NS6detail17trampoline_kernelINS0_14default_configENS1_38merge_sort_block_merge_config_selectorIiNS0_10empty_typeEEEZZNS1_27merge_sort_block_merge_implIS3_N6thrust23THRUST_200600_302600_NS6detail15normal_iteratorINS9_10device_ptrIiEEEEPS5_jNS1_19radix_merge_compareILb1ELb0EiNS0_19identity_decomposerEEEEE10hipError_tT0_T1_T2_jT3_P12ihipStream_tbPNSt15iterator_traitsISK_E10value_typeEPNSQ_ISL_E10value_typeEPSM_NS1_7vsmem_tEENKUlT_SK_SL_SM_E_clISE_PiSF_SF_EESJ_SZ_SK_SL_SM_EUlSZ_E0_NS1_11comp_targetILNS1_3genE10ELNS1_11target_archE1201ELNS1_3gpuE5ELNS1_3repE0EEENS1_38merge_mergepath_config_static_selectorELNS0_4arch9wavefront6targetE1EEEvSL_.private_seg_size, 0
	.set _ZN7rocprim17ROCPRIM_400000_NS6detail17trampoline_kernelINS0_14default_configENS1_38merge_sort_block_merge_config_selectorIiNS0_10empty_typeEEEZZNS1_27merge_sort_block_merge_implIS3_N6thrust23THRUST_200600_302600_NS6detail15normal_iteratorINS9_10device_ptrIiEEEEPS5_jNS1_19radix_merge_compareILb1ELb0EiNS0_19identity_decomposerEEEEE10hipError_tT0_T1_T2_jT3_P12ihipStream_tbPNSt15iterator_traitsISK_E10value_typeEPNSQ_ISL_E10value_typeEPSM_NS1_7vsmem_tEENKUlT_SK_SL_SM_E_clISE_PiSF_SF_EESJ_SZ_SK_SL_SM_EUlSZ_E0_NS1_11comp_targetILNS1_3genE10ELNS1_11target_archE1201ELNS1_3gpuE5ELNS1_3repE0EEENS1_38merge_mergepath_config_static_selectorELNS0_4arch9wavefront6targetE1EEEvSL_.uses_vcc, 0
	.set _ZN7rocprim17ROCPRIM_400000_NS6detail17trampoline_kernelINS0_14default_configENS1_38merge_sort_block_merge_config_selectorIiNS0_10empty_typeEEEZZNS1_27merge_sort_block_merge_implIS3_N6thrust23THRUST_200600_302600_NS6detail15normal_iteratorINS9_10device_ptrIiEEEEPS5_jNS1_19radix_merge_compareILb1ELb0EiNS0_19identity_decomposerEEEEE10hipError_tT0_T1_T2_jT3_P12ihipStream_tbPNSt15iterator_traitsISK_E10value_typeEPNSQ_ISL_E10value_typeEPSM_NS1_7vsmem_tEENKUlT_SK_SL_SM_E_clISE_PiSF_SF_EESJ_SZ_SK_SL_SM_EUlSZ_E0_NS1_11comp_targetILNS1_3genE10ELNS1_11target_archE1201ELNS1_3gpuE5ELNS1_3repE0EEENS1_38merge_mergepath_config_static_selectorELNS0_4arch9wavefront6targetE1EEEvSL_.uses_flat_scratch, 0
	.set _ZN7rocprim17ROCPRIM_400000_NS6detail17trampoline_kernelINS0_14default_configENS1_38merge_sort_block_merge_config_selectorIiNS0_10empty_typeEEEZZNS1_27merge_sort_block_merge_implIS3_N6thrust23THRUST_200600_302600_NS6detail15normal_iteratorINS9_10device_ptrIiEEEEPS5_jNS1_19radix_merge_compareILb1ELb0EiNS0_19identity_decomposerEEEEE10hipError_tT0_T1_T2_jT3_P12ihipStream_tbPNSt15iterator_traitsISK_E10value_typeEPNSQ_ISL_E10value_typeEPSM_NS1_7vsmem_tEENKUlT_SK_SL_SM_E_clISE_PiSF_SF_EESJ_SZ_SK_SL_SM_EUlSZ_E0_NS1_11comp_targetILNS1_3genE10ELNS1_11target_archE1201ELNS1_3gpuE5ELNS1_3repE0EEENS1_38merge_mergepath_config_static_selectorELNS0_4arch9wavefront6targetE1EEEvSL_.has_dyn_sized_stack, 0
	.set _ZN7rocprim17ROCPRIM_400000_NS6detail17trampoline_kernelINS0_14default_configENS1_38merge_sort_block_merge_config_selectorIiNS0_10empty_typeEEEZZNS1_27merge_sort_block_merge_implIS3_N6thrust23THRUST_200600_302600_NS6detail15normal_iteratorINS9_10device_ptrIiEEEEPS5_jNS1_19radix_merge_compareILb1ELb0EiNS0_19identity_decomposerEEEEE10hipError_tT0_T1_T2_jT3_P12ihipStream_tbPNSt15iterator_traitsISK_E10value_typeEPNSQ_ISL_E10value_typeEPSM_NS1_7vsmem_tEENKUlT_SK_SL_SM_E_clISE_PiSF_SF_EESJ_SZ_SK_SL_SM_EUlSZ_E0_NS1_11comp_targetILNS1_3genE10ELNS1_11target_archE1201ELNS1_3gpuE5ELNS1_3repE0EEENS1_38merge_mergepath_config_static_selectorELNS0_4arch9wavefront6targetE1EEEvSL_.has_recursion, 0
	.set _ZN7rocprim17ROCPRIM_400000_NS6detail17trampoline_kernelINS0_14default_configENS1_38merge_sort_block_merge_config_selectorIiNS0_10empty_typeEEEZZNS1_27merge_sort_block_merge_implIS3_N6thrust23THRUST_200600_302600_NS6detail15normal_iteratorINS9_10device_ptrIiEEEEPS5_jNS1_19radix_merge_compareILb1ELb0EiNS0_19identity_decomposerEEEEE10hipError_tT0_T1_T2_jT3_P12ihipStream_tbPNSt15iterator_traitsISK_E10value_typeEPNSQ_ISL_E10value_typeEPSM_NS1_7vsmem_tEENKUlT_SK_SL_SM_E_clISE_PiSF_SF_EESJ_SZ_SK_SL_SM_EUlSZ_E0_NS1_11comp_targetILNS1_3genE10ELNS1_11target_archE1201ELNS1_3gpuE5ELNS1_3repE0EEENS1_38merge_mergepath_config_static_selectorELNS0_4arch9wavefront6targetE1EEEvSL_.has_indirect_call, 0
	.section	.AMDGPU.csdata,"",@progbits
; Kernel info:
; codeLenInByte = 0
; TotalNumSgprs: 6
; NumVgprs: 0
; NumAgprs: 0
; TotalNumVgprs: 0
; ScratchSize: 0
; MemoryBound: 0
; FloatMode: 240
; IeeeMode: 1
; LDSByteSize: 0 bytes/workgroup (compile time only)
; SGPRBlocks: 0
; VGPRBlocks: 0
; NumSGPRsForWavesPerEU: 6
; NumVGPRsForWavesPerEU: 1
; AccumOffset: 4
; Occupancy: 8
; WaveLimiterHint : 0
; COMPUTE_PGM_RSRC2:SCRATCH_EN: 0
; COMPUTE_PGM_RSRC2:USER_SGPR: 2
; COMPUTE_PGM_RSRC2:TRAP_HANDLER: 0
; COMPUTE_PGM_RSRC2:TGID_X_EN: 1
; COMPUTE_PGM_RSRC2:TGID_Y_EN: 0
; COMPUTE_PGM_RSRC2:TGID_Z_EN: 0
; COMPUTE_PGM_RSRC2:TIDIG_COMP_CNT: 0
; COMPUTE_PGM_RSRC3_GFX90A:ACCUM_OFFSET: 0
; COMPUTE_PGM_RSRC3_GFX90A:TG_SPLIT: 0
	.section	.text._ZN7rocprim17ROCPRIM_400000_NS6detail17trampoline_kernelINS0_14default_configENS1_38merge_sort_block_merge_config_selectorIiNS0_10empty_typeEEEZZNS1_27merge_sort_block_merge_implIS3_N6thrust23THRUST_200600_302600_NS6detail15normal_iteratorINS9_10device_ptrIiEEEEPS5_jNS1_19radix_merge_compareILb1ELb0EiNS0_19identity_decomposerEEEEE10hipError_tT0_T1_T2_jT3_P12ihipStream_tbPNSt15iterator_traitsISK_E10value_typeEPNSQ_ISL_E10value_typeEPSM_NS1_7vsmem_tEENKUlT_SK_SL_SM_E_clISE_PiSF_SF_EESJ_SZ_SK_SL_SM_EUlSZ_E0_NS1_11comp_targetILNS1_3genE5ELNS1_11target_archE942ELNS1_3gpuE9ELNS1_3repE0EEENS1_38merge_mergepath_config_static_selectorELNS0_4arch9wavefront6targetE1EEEvSL_,"axG",@progbits,_ZN7rocprim17ROCPRIM_400000_NS6detail17trampoline_kernelINS0_14default_configENS1_38merge_sort_block_merge_config_selectorIiNS0_10empty_typeEEEZZNS1_27merge_sort_block_merge_implIS3_N6thrust23THRUST_200600_302600_NS6detail15normal_iteratorINS9_10device_ptrIiEEEEPS5_jNS1_19radix_merge_compareILb1ELb0EiNS0_19identity_decomposerEEEEE10hipError_tT0_T1_T2_jT3_P12ihipStream_tbPNSt15iterator_traitsISK_E10value_typeEPNSQ_ISL_E10value_typeEPSM_NS1_7vsmem_tEENKUlT_SK_SL_SM_E_clISE_PiSF_SF_EESJ_SZ_SK_SL_SM_EUlSZ_E0_NS1_11comp_targetILNS1_3genE5ELNS1_11target_archE942ELNS1_3gpuE9ELNS1_3repE0EEENS1_38merge_mergepath_config_static_selectorELNS0_4arch9wavefront6targetE1EEEvSL_,comdat
	.protected	_ZN7rocprim17ROCPRIM_400000_NS6detail17trampoline_kernelINS0_14default_configENS1_38merge_sort_block_merge_config_selectorIiNS0_10empty_typeEEEZZNS1_27merge_sort_block_merge_implIS3_N6thrust23THRUST_200600_302600_NS6detail15normal_iteratorINS9_10device_ptrIiEEEEPS5_jNS1_19radix_merge_compareILb1ELb0EiNS0_19identity_decomposerEEEEE10hipError_tT0_T1_T2_jT3_P12ihipStream_tbPNSt15iterator_traitsISK_E10value_typeEPNSQ_ISL_E10value_typeEPSM_NS1_7vsmem_tEENKUlT_SK_SL_SM_E_clISE_PiSF_SF_EESJ_SZ_SK_SL_SM_EUlSZ_E0_NS1_11comp_targetILNS1_3genE5ELNS1_11target_archE942ELNS1_3gpuE9ELNS1_3repE0EEENS1_38merge_mergepath_config_static_selectorELNS0_4arch9wavefront6targetE1EEEvSL_ ; -- Begin function _ZN7rocprim17ROCPRIM_400000_NS6detail17trampoline_kernelINS0_14default_configENS1_38merge_sort_block_merge_config_selectorIiNS0_10empty_typeEEEZZNS1_27merge_sort_block_merge_implIS3_N6thrust23THRUST_200600_302600_NS6detail15normal_iteratorINS9_10device_ptrIiEEEEPS5_jNS1_19radix_merge_compareILb1ELb0EiNS0_19identity_decomposerEEEEE10hipError_tT0_T1_T2_jT3_P12ihipStream_tbPNSt15iterator_traitsISK_E10value_typeEPNSQ_ISL_E10value_typeEPSM_NS1_7vsmem_tEENKUlT_SK_SL_SM_E_clISE_PiSF_SF_EESJ_SZ_SK_SL_SM_EUlSZ_E0_NS1_11comp_targetILNS1_3genE5ELNS1_11target_archE942ELNS1_3gpuE9ELNS1_3repE0EEENS1_38merge_mergepath_config_static_selectorELNS0_4arch9wavefront6targetE1EEEvSL_
	.globl	_ZN7rocprim17ROCPRIM_400000_NS6detail17trampoline_kernelINS0_14default_configENS1_38merge_sort_block_merge_config_selectorIiNS0_10empty_typeEEEZZNS1_27merge_sort_block_merge_implIS3_N6thrust23THRUST_200600_302600_NS6detail15normal_iteratorINS9_10device_ptrIiEEEEPS5_jNS1_19radix_merge_compareILb1ELb0EiNS0_19identity_decomposerEEEEE10hipError_tT0_T1_T2_jT3_P12ihipStream_tbPNSt15iterator_traitsISK_E10value_typeEPNSQ_ISL_E10value_typeEPSM_NS1_7vsmem_tEENKUlT_SK_SL_SM_E_clISE_PiSF_SF_EESJ_SZ_SK_SL_SM_EUlSZ_E0_NS1_11comp_targetILNS1_3genE5ELNS1_11target_archE942ELNS1_3gpuE9ELNS1_3repE0EEENS1_38merge_mergepath_config_static_selectorELNS0_4arch9wavefront6targetE1EEEvSL_
	.p2align	8
	.type	_ZN7rocprim17ROCPRIM_400000_NS6detail17trampoline_kernelINS0_14default_configENS1_38merge_sort_block_merge_config_selectorIiNS0_10empty_typeEEEZZNS1_27merge_sort_block_merge_implIS3_N6thrust23THRUST_200600_302600_NS6detail15normal_iteratorINS9_10device_ptrIiEEEEPS5_jNS1_19radix_merge_compareILb1ELb0EiNS0_19identity_decomposerEEEEE10hipError_tT0_T1_T2_jT3_P12ihipStream_tbPNSt15iterator_traitsISK_E10value_typeEPNSQ_ISL_E10value_typeEPSM_NS1_7vsmem_tEENKUlT_SK_SL_SM_E_clISE_PiSF_SF_EESJ_SZ_SK_SL_SM_EUlSZ_E0_NS1_11comp_targetILNS1_3genE5ELNS1_11target_archE942ELNS1_3gpuE9ELNS1_3repE0EEENS1_38merge_mergepath_config_static_selectorELNS0_4arch9wavefront6targetE1EEEvSL_,@function
_ZN7rocprim17ROCPRIM_400000_NS6detail17trampoline_kernelINS0_14default_configENS1_38merge_sort_block_merge_config_selectorIiNS0_10empty_typeEEEZZNS1_27merge_sort_block_merge_implIS3_N6thrust23THRUST_200600_302600_NS6detail15normal_iteratorINS9_10device_ptrIiEEEEPS5_jNS1_19radix_merge_compareILb1ELb0EiNS0_19identity_decomposerEEEEE10hipError_tT0_T1_T2_jT3_P12ihipStream_tbPNSt15iterator_traitsISK_E10value_typeEPNSQ_ISL_E10value_typeEPSM_NS1_7vsmem_tEENKUlT_SK_SL_SM_E_clISE_PiSF_SF_EESJ_SZ_SK_SL_SM_EUlSZ_E0_NS1_11comp_targetILNS1_3genE5ELNS1_11target_archE942ELNS1_3gpuE9ELNS1_3repE0EEENS1_38merge_mergepath_config_static_selectorELNS0_4arch9wavefront6targetE1EEEvSL_: ; @_ZN7rocprim17ROCPRIM_400000_NS6detail17trampoline_kernelINS0_14default_configENS1_38merge_sort_block_merge_config_selectorIiNS0_10empty_typeEEEZZNS1_27merge_sort_block_merge_implIS3_N6thrust23THRUST_200600_302600_NS6detail15normal_iteratorINS9_10device_ptrIiEEEEPS5_jNS1_19radix_merge_compareILb1ELb0EiNS0_19identity_decomposerEEEEE10hipError_tT0_T1_T2_jT3_P12ihipStream_tbPNSt15iterator_traitsISK_E10value_typeEPNSQ_ISL_E10value_typeEPSM_NS1_7vsmem_tEENKUlT_SK_SL_SM_E_clISE_PiSF_SF_EESJ_SZ_SK_SL_SM_EUlSZ_E0_NS1_11comp_targetILNS1_3genE5ELNS1_11target_archE942ELNS1_3gpuE9ELNS1_3repE0EEENS1_38merge_mergepath_config_static_selectorELNS0_4arch9wavefront6targetE1EEEvSL_
; %bb.0:
	.section	.rodata,"a",@progbits
	.p2align	6, 0x0
	.amdhsa_kernel _ZN7rocprim17ROCPRIM_400000_NS6detail17trampoline_kernelINS0_14default_configENS1_38merge_sort_block_merge_config_selectorIiNS0_10empty_typeEEEZZNS1_27merge_sort_block_merge_implIS3_N6thrust23THRUST_200600_302600_NS6detail15normal_iteratorINS9_10device_ptrIiEEEEPS5_jNS1_19radix_merge_compareILb1ELb0EiNS0_19identity_decomposerEEEEE10hipError_tT0_T1_T2_jT3_P12ihipStream_tbPNSt15iterator_traitsISK_E10value_typeEPNSQ_ISL_E10value_typeEPSM_NS1_7vsmem_tEENKUlT_SK_SL_SM_E_clISE_PiSF_SF_EESJ_SZ_SK_SL_SM_EUlSZ_E0_NS1_11comp_targetILNS1_3genE5ELNS1_11target_archE942ELNS1_3gpuE9ELNS1_3repE0EEENS1_38merge_mergepath_config_static_selectorELNS0_4arch9wavefront6targetE1EEEvSL_
		.amdhsa_group_segment_fixed_size 0
		.amdhsa_private_segment_fixed_size 0
		.amdhsa_kernarg_size 64
		.amdhsa_user_sgpr_count 2
		.amdhsa_user_sgpr_dispatch_ptr 0
		.amdhsa_user_sgpr_queue_ptr 0
		.amdhsa_user_sgpr_kernarg_segment_ptr 1
		.amdhsa_user_sgpr_dispatch_id 0
		.amdhsa_user_sgpr_kernarg_preload_length 0
		.amdhsa_user_sgpr_kernarg_preload_offset 0
		.amdhsa_user_sgpr_private_segment_size 0
		.amdhsa_uses_dynamic_stack 0
		.amdhsa_enable_private_segment 0
		.amdhsa_system_sgpr_workgroup_id_x 1
		.amdhsa_system_sgpr_workgroup_id_y 0
		.amdhsa_system_sgpr_workgroup_id_z 0
		.amdhsa_system_sgpr_workgroup_info 0
		.amdhsa_system_vgpr_workitem_id 0
		.amdhsa_next_free_vgpr 1
		.amdhsa_next_free_sgpr 0
		.amdhsa_accum_offset 4
		.amdhsa_reserve_vcc 0
		.amdhsa_float_round_mode_32 0
		.amdhsa_float_round_mode_16_64 0
		.amdhsa_float_denorm_mode_32 3
		.amdhsa_float_denorm_mode_16_64 3
		.amdhsa_dx10_clamp 1
		.amdhsa_ieee_mode 1
		.amdhsa_fp16_overflow 0
		.amdhsa_tg_split 0
		.amdhsa_exception_fp_ieee_invalid_op 0
		.amdhsa_exception_fp_denorm_src 0
		.amdhsa_exception_fp_ieee_div_zero 0
		.amdhsa_exception_fp_ieee_overflow 0
		.amdhsa_exception_fp_ieee_underflow 0
		.amdhsa_exception_fp_ieee_inexact 0
		.amdhsa_exception_int_div_zero 0
	.end_amdhsa_kernel
	.section	.text._ZN7rocprim17ROCPRIM_400000_NS6detail17trampoline_kernelINS0_14default_configENS1_38merge_sort_block_merge_config_selectorIiNS0_10empty_typeEEEZZNS1_27merge_sort_block_merge_implIS3_N6thrust23THRUST_200600_302600_NS6detail15normal_iteratorINS9_10device_ptrIiEEEEPS5_jNS1_19radix_merge_compareILb1ELb0EiNS0_19identity_decomposerEEEEE10hipError_tT0_T1_T2_jT3_P12ihipStream_tbPNSt15iterator_traitsISK_E10value_typeEPNSQ_ISL_E10value_typeEPSM_NS1_7vsmem_tEENKUlT_SK_SL_SM_E_clISE_PiSF_SF_EESJ_SZ_SK_SL_SM_EUlSZ_E0_NS1_11comp_targetILNS1_3genE5ELNS1_11target_archE942ELNS1_3gpuE9ELNS1_3repE0EEENS1_38merge_mergepath_config_static_selectorELNS0_4arch9wavefront6targetE1EEEvSL_,"axG",@progbits,_ZN7rocprim17ROCPRIM_400000_NS6detail17trampoline_kernelINS0_14default_configENS1_38merge_sort_block_merge_config_selectorIiNS0_10empty_typeEEEZZNS1_27merge_sort_block_merge_implIS3_N6thrust23THRUST_200600_302600_NS6detail15normal_iteratorINS9_10device_ptrIiEEEEPS5_jNS1_19radix_merge_compareILb1ELb0EiNS0_19identity_decomposerEEEEE10hipError_tT0_T1_T2_jT3_P12ihipStream_tbPNSt15iterator_traitsISK_E10value_typeEPNSQ_ISL_E10value_typeEPSM_NS1_7vsmem_tEENKUlT_SK_SL_SM_E_clISE_PiSF_SF_EESJ_SZ_SK_SL_SM_EUlSZ_E0_NS1_11comp_targetILNS1_3genE5ELNS1_11target_archE942ELNS1_3gpuE9ELNS1_3repE0EEENS1_38merge_mergepath_config_static_selectorELNS0_4arch9wavefront6targetE1EEEvSL_,comdat
.Lfunc_end256:
	.size	_ZN7rocprim17ROCPRIM_400000_NS6detail17trampoline_kernelINS0_14default_configENS1_38merge_sort_block_merge_config_selectorIiNS0_10empty_typeEEEZZNS1_27merge_sort_block_merge_implIS3_N6thrust23THRUST_200600_302600_NS6detail15normal_iteratorINS9_10device_ptrIiEEEEPS5_jNS1_19radix_merge_compareILb1ELb0EiNS0_19identity_decomposerEEEEE10hipError_tT0_T1_T2_jT3_P12ihipStream_tbPNSt15iterator_traitsISK_E10value_typeEPNSQ_ISL_E10value_typeEPSM_NS1_7vsmem_tEENKUlT_SK_SL_SM_E_clISE_PiSF_SF_EESJ_SZ_SK_SL_SM_EUlSZ_E0_NS1_11comp_targetILNS1_3genE5ELNS1_11target_archE942ELNS1_3gpuE9ELNS1_3repE0EEENS1_38merge_mergepath_config_static_selectorELNS0_4arch9wavefront6targetE1EEEvSL_, .Lfunc_end256-_ZN7rocprim17ROCPRIM_400000_NS6detail17trampoline_kernelINS0_14default_configENS1_38merge_sort_block_merge_config_selectorIiNS0_10empty_typeEEEZZNS1_27merge_sort_block_merge_implIS3_N6thrust23THRUST_200600_302600_NS6detail15normal_iteratorINS9_10device_ptrIiEEEEPS5_jNS1_19radix_merge_compareILb1ELb0EiNS0_19identity_decomposerEEEEE10hipError_tT0_T1_T2_jT3_P12ihipStream_tbPNSt15iterator_traitsISK_E10value_typeEPNSQ_ISL_E10value_typeEPSM_NS1_7vsmem_tEENKUlT_SK_SL_SM_E_clISE_PiSF_SF_EESJ_SZ_SK_SL_SM_EUlSZ_E0_NS1_11comp_targetILNS1_3genE5ELNS1_11target_archE942ELNS1_3gpuE9ELNS1_3repE0EEENS1_38merge_mergepath_config_static_selectorELNS0_4arch9wavefront6targetE1EEEvSL_
                                        ; -- End function
	.set _ZN7rocprim17ROCPRIM_400000_NS6detail17trampoline_kernelINS0_14default_configENS1_38merge_sort_block_merge_config_selectorIiNS0_10empty_typeEEEZZNS1_27merge_sort_block_merge_implIS3_N6thrust23THRUST_200600_302600_NS6detail15normal_iteratorINS9_10device_ptrIiEEEEPS5_jNS1_19radix_merge_compareILb1ELb0EiNS0_19identity_decomposerEEEEE10hipError_tT0_T1_T2_jT3_P12ihipStream_tbPNSt15iterator_traitsISK_E10value_typeEPNSQ_ISL_E10value_typeEPSM_NS1_7vsmem_tEENKUlT_SK_SL_SM_E_clISE_PiSF_SF_EESJ_SZ_SK_SL_SM_EUlSZ_E0_NS1_11comp_targetILNS1_3genE5ELNS1_11target_archE942ELNS1_3gpuE9ELNS1_3repE0EEENS1_38merge_mergepath_config_static_selectorELNS0_4arch9wavefront6targetE1EEEvSL_.num_vgpr, 0
	.set _ZN7rocprim17ROCPRIM_400000_NS6detail17trampoline_kernelINS0_14default_configENS1_38merge_sort_block_merge_config_selectorIiNS0_10empty_typeEEEZZNS1_27merge_sort_block_merge_implIS3_N6thrust23THRUST_200600_302600_NS6detail15normal_iteratorINS9_10device_ptrIiEEEEPS5_jNS1_19radix_merge_compareILb1ELb0EiNS0_19identity_decomposerEEEEE10hipError_tT0_T1_T2_jT3_P12ihipStream_tbPNSt15iterator_traitsISK_E10value_typeEPNSQ_ISL_E10value_typeEPSM_NS1_7vsmem_tEENKUlT_SK_SL_SM_E_clISE_PiSF_SF_EESJ_SZ_SK_SL_SM_EUlSZ_E0_NS1_11comp_targetILNS1_3genE5ELNS1_11target_archE942ELNS1_3gpuE9ELNS1_3repE0EEENS1_38merge_mergepath_config_static_selectorELNS0_4arch9wavefront6targetE1EEEvSL_.num_agpr, 0
	.set _ZN7rocprim17ROCPRIM_400000_NS6detail17trampoline_kernelINS0_14default_configENS1_38merge_sort_block_merge_config_selectorIiNS0_10empty_typeEEEZZNS1_27merge_sort_block_merge_implIS3_N6thrust23THRUST_200600_302600_NS6detail15normal_iteratorINS9_10device_ptrIiEEEEPS5_jNS1_19radix_merge_compareILb1ELb0EiNS0_19identity_decomposerEEEEE10hipError_tT0_T1_T2_jT3_P12ihipStream_tbPNSt15iterator_traitsISK_E10value_typeEPNSQ_ISL_E10value_typeEPSM_NS1_7vsmem_tEENKUlT_SK_SL_SM_E_clISE_PiSF_SF_EESJ_SZ_SK_SL_SM_EUlSZ_E0_NS1_11comp_targetILNS1_3genE5ELNS1_11target_archE942ELNS1_3gpuE9ELNS1_3repE0EEENS1_38merge_mergepath_config_static_selectorELNS0_4arch9wavefront6targetE1EEEvSL_.numbered_sgpr, 0
	.set _ZN7rocprim17ROCPRIM_400000_NS6detail17trampoline_kernelINS0_14default_configENS1_38merge_sort_block_merge_config_selectorIiNS0_10empty_typeEEEZZNS1_27merge_sort_block_merge_implIS3_N6thrust23THRUST_200600_302600_NS6detail15normal_iteratorINS9_10device_ptrIiEEEEPS5_jNS1_19radix_merge_compareILb1ELb0EiNS0_19identity_decomposerEEEEE10hipError_tT0_T1_T2_jT3_P12ihipStream_tbPNSt15iterator_traitsISK_E10value_typeEPNSQ_ISL_E10value_typeEPSM_NS1_7vsmem_tEENKUlT_SK_SL_SM_E_clISE_PiSF_SF_EESJ_SZ_SK_SL_SM_EUlSZ_E0_NS1_11comp_targetILNS1_3genE5ELNS1_11target_archE942ELNS1_3gpuE9ELNS1_3repE0EEENS1_38merge_mergepath_config_static_selectorELNS0_4arch9wavefront6targetE1EEEvSL_.num_named_barrier, 0
	.set _ZN7rocprim17ROCPRIM_400000_NS6detail17trampoline_kernelINS0_14default_configENS1_38merge_sort_block_merge_config_selectorIiNS0_10empty_typeEEEZZNS1_27merge_sort_block_merge_implIS3_N6thrust23THRUST_200600_302600_NS6detail15normal_iteratorINS9_10device_ptrIiEEEEPS5_jNS1_19radix_merge_compareILb1ELb0EiNS0_19identity_decomposerEEEEE10hipError_tT0_T1_T2_jT3_P12ihipStream_tbPNSt15iterator_traitsISK_E10value_typeEPNSQ_ISL_E10value_typeEPSM_NS1_7vsmem_tEENKUlT_SK_SL_SM_E_clISE_PiSF_SF_EESJ_SZ_SK_SL_SM_EUlSZ_E0_NS1_11comp_targetILNS1_3genE5ELNS1_11target_archE942ELNS1_3gpuE9ELNS1_3repE0EEENS1_38merge_mergepath_config_static_selectorELNS0_4arch9wavefront6targetE1EEEvSL_.private_seg_size, 0
	.set _ZN7rocprim17ROCPRIM_400000_NS6detail17trampoline_kernelINS0_14default_configENS1_38merge_sort_block_merge_config_selectorIiNS0_10empty_typeEEEZZNS1_27merge_sort_block_merge_implIS3_N6thrust23THRUST_200600_302600_NS6detail15normal_iteratorINS9_10device_ptrIiEEEEPS5_jNS1_19radix_merge_compareILb1ELb0EiNS0_19identity_decomposerEEEEE10hipError_tT0_T1_T2_jT3_P12ihipStream_tbPNSt15iterator_traitsISK_E10value_typeEPNSQ_ISL_E10value_typeEPSM_NS1_7vsmem_tEENKUlT_SK_SL_SM_E_clISE_PiSF_SF_EESJ_SZ_SK_SL_SM_EUlSZ_E0_NS1_11comp_targetILNS1_3genE5ELNS1_11target_archE942ELNS1_3gpuE9ELNS1_3repE0EEENS1_38merge_mergepath_config_static_selectorELNS0_4arch9wavefront6targetE1EEEvSL_.uses_vcc, 0
	.set _ZN7rocprim17ROCPRIM_400000_NS6detail17trampoline_kernelINS0_14default_configENS1_38merge_sort_block_merge_config_selectorIiNS0_10empty_typeEEEZZNS1_27merge_sort_block_merge_implIS3_N6thrust23THRUST_200600_302600_NS6detail15normal_iteratorINS9_10device_ptrIiEEEEPS5_jNS1_19radix_merge_compareILb1ELb0EiNS0_19identity_decomposerEEEEE10hipError_tT0_T1_T2_jT3_P12ihipStream_tbPNSt15iterator_traitsISK_E10value_typeEPNSQ_ISL_E10value_typeEPSM_NS1_7vsmem_tEENKUlT_SK_SL_SM_E_clISE_PiSF_SF_EESJ_SZ_SK_SL_SM_EUlSZ_E0_NS1_11comp_targetILNS1_3genE5ELNS1_11target_archE942ELNS1_3gpuE9ELNS1_3repE0EEENS1_38merge_mergepath_config_static_selectorELNS0_4arch9wavefront6targetE1EEEvSL_.uses_flat_scratch, 0
	.set _ZN7rocprim17ROCPRIM_400000_NS6detail17trampoline_kernelINS0_14default_configENS1_38merge_sort_block_merge_config_selectorIiNS0_10empty_typeEEEZZNS1_27merge_sort_block_merge_implIS3_N6thrust23THRUST_200600_302600_NS6detail15normal_iteratorINS9_10device_ptrIiEEEEPS5_jNS1_19radix_merge_compareILb1ELb0EiNS0_19identity_decomposerEEEEE10hipError_tT0_T1_T2_jT3_P12ihipStream_tbPNSt15iterator_traitsISK_E10value_typeEPNSQ_ISL_E10value_typeEPSM_NS1_7vsmem_tEENKUlT_SK_SL_SM_E_clISE_PiSF_SF_EESJ_SZ_SK_SL_SM_EUlSZ_E0_NS1_11comp_targetILNS1_3genE5ELNS1_11target_archE942ELNS1_3gpuE9ELNS1_3repE0EEENS1_38merge_mergepath_config_static_selectorELNS0_4arch9wavefront6targetE1EEEvSL_.has_dyn_sized_stack, 0
	.set _ZN7rocprim17ROCPRIM_400000_NS6detail17trampoline_kernelINS0_14default_configENS1_38merge_sort_block_merge_config_selectorIiNS0_10empty_typeEEEZZNS1_27merge_sort_block_merge_implIS3_N6thrust23THRUST_200600_302600_NS6detail15normal_iteratorINS9_10device_ptrIiEEEEPS5_jNS1_19radix_merge_compareILb1ELb0EiNS0_19identity_decomposerEEEEE10hipError_tT0_T1_T2_jT3_P12ihipStream_tbPNSt15iterator_traitsISK_E10value_typeEPNSQ_ISL_E10value_typeEPSM_NS1_7vsmem_tEENKUlT_SK_SL_SM_E_clISE_PiSF_SF_EESJ_SZ_SK_SL_SM_EUlSZ_E0_NS1_11comp_targetILNS1_3genE5ELNS1_11target_archE942ELNS1_3gpuE9ELNS1_3repE0EEENS1_38merge_mergepath_config_static_selectorELNS0_4arch9wavefront6targetE1EEEvSL_.has_recursion, 0
	.set _ZN7rocprim17ROCPRIM_400000_NS6detail17trampoline_kernelINS0_14default_configENS1_38merge_sort_block_merge_config_selectorIiNS0_10empty_typeEEEZZNS1_27merge_sort_block_merge_implIS3_N6thrust23THRUST_200600_302600_NS6detail15normal_iteratorINS9_10device_ptrIiEEEEPS5_jNS1_19radix_merge_compareILb1ELb0EiNS0_19identity_decomposerEEEEE10hipError_tT0_T1_T2_jT3_P12ihipStream_tbPNSt15iterator_traitsISK_E10value_typeEPNSQ_ISL_E10value_typeEPSM_NS1_7vsmem_tEENKUlT_SK_SL_SM_E_clISE_PiSF_SF_EESJ_SZ_SK_SL_SM_EUlSZ_E0_NS1_11comp_targetILNS1_3genE5ELNS1_11target_archE942ELNS1_3gpuE9ELNS1_3repE0EEENS1_38merge_mergepath_config_static_selectorELNS0_4arch9wavefront6targetE1EEEvSL_.has_indirect_call, 0
	.section	.AMDGPU.csdata,"",@progbits
; Kernel info:
; codeLenInByte = 0
; TotalNumSgprs: 6
; NumVgprs: 0
; NumAgprs: 0
; TotalNumVgprs: 0
; ScratchSize: 0
; MemoryBound: 0
; FloatMode: 240
; IeeeMode: 1
; LDSByteSize: 0 bytes/workgroup (compile time only)
; SGPRBlocks: 0
; VGPRBlocks: 0
; NumSGPRsForWavesPerEU: 6
; NumVGPRsForWavesPerEU: 1
; AccumOffset: 4
; Occupancy: 8
; WaveLimiterHint : 0
; COMPUTE_PGM_RSRC2:SCRATCH_EN: 0
; COMPUTE_PGM_RSRC2:USER_SGPR: 2
; COMPUTE_PGM_RSRC2:TRAP_HANDLER: 0
; COMPUTE_PGM_RSRC2:TGID_X_EN: 1
; COMPUTE_PGM_RSRC2:TGID_Y_EN: 0
; COMPUTE_PGM_RSRC2:TGID_Z_EN: 0
; COMPUTE_PGM_RSRC2:TIDIG_COMP_CNT: 0
; COMPUTE_PGM_RSRC3_GFX90A:ACCUM_OFFSET: 0
; COMPUTE_PGM_RSRC3_GFX90A:TG_SPLIT: 0
	.section	.text._ZN7rocprim17ROCPRIM_400000_NS6detail17trampoline_kernelINS0_14default_configENS1_38merge_sort_block_merge_config_selectorIiNS0_10empty_typeEEEZZNS1_27merge_sort_block_merge_implIS3_N6thrust23THRUST_200600_302600_NS6detail15normal_iteratorINS9_10device_ptrIiEEEEPS5_jNS1_19radix_merge_compareILb1ELb0EiNS0_19identity_decomposerEEEEE10hipError_tT0_T1_T2_jT3_P12ihipStream_tbPNSt15iterator_traitsISK_E10value_typeEPNSQ_ISL_E10value_typeEPSM_NS1_7vsmem_tEENKUlT_SK_SL_SM_E_clISE_PiSF_SF_EESJ_SZ_SK_SL_SM_EUlSZ_E0_NS1_11comp_targetILNS1_3genE4ELNS1_11target_archE910ELNS1_3gpuE8ELNS1_3repE0EEENS1_38merge_mergepath_config_static_selectorELNS0_4arch9wavefront6targetE1EEEvSL_,"axG",@progbits,_ZN7rocprim17ROCPRIM_400000_NS6detail17trampoline_kernelINS0_14default_configENS1_38merge_sort_block_merge_config_selectorIiNS0_10empty_typeEEEZZNS1_27merge_sort_block_merge_implIS3_N6thrust23THRUST_200600_302600_NS6detail15normal_iteratorINS9_10device_ptrIiEEEEPS5_jNS1_19radix_merge_compareILb1ELb0EiNS0_19identity_decomposerEEEEE10hipError_tT0_T1_T2_jT3_P12ihipStream_tbPNSt15iterator_traitsISK_E10value_typeEPNSQ_ISL_E10value_typeEPSM_NS1_7vsmem_tEENKUlT_SK_SL_SM_E_clISE_PiSF_SF_EESJ_SZ_SK_SL_SM_EUlSZ_E0_NS1_11comp_targetILNS1_3genE4ELNS1_11target_archE910ELNS1_3gpuE8ELNS1_3repE0EEENS1_38merge_mergepath_config_static_selectorELNS0_4arch9wavefront6targetE1EEEvSL_,comdat
	.protected	_ZN7rocprim17ROCPRIM_400000_NS6detail17trampoline_kernelINS0_14default_configENS1_38merge_sort_block_merge_config_selectorIiNS0_10empty_typeEEEZZNS1_27merge_sort_block_merge_implIS3_N6thrust23THRUST_200600_302600_NS6detail15normal_iteratorINS9_10device_ptrIiEEEEPS5_jNS1_19radix_merge_compareILb1ELb0EiNS0_19identity_decomposerEEEEE10hipError_tT0_T1_T2_jT3_P12ihipStream_tbPNSt15iterator_traitsISK_E10value_typeEPNSQ_ISL_E10value_typeEPSM_NS1_7vsmem_tEENKUlT_SK_SL_SM_E_clISE_PiSF_SF_EESJ_SZ_SK_SL_SM_EUlSZ_E0_NS1_11comp_targetILNS1_3genE4ELNS1_11target_archE910ELNS1_3gpuE8ELNS1_3repE0EEENS1_38merge_mergepath_config_static_selectorELNS0_4arch9wavefront6targetE1EEEvSL_ ; -- Begin function _ZN7rocprim17ROCPRIM_400000_NS6detail17trampoline_kernelINS0_14default_configENS1_38merge_sort_block_merge_config_selectorIiNS0_10empty_typeEEEZZNS1_27merge_sort_block_merge_implIS3_N6thrust23THRUST_200600_302600_NS6detail15normal_iteratorINS9_10device_ptrIiEEEEPS5_jNS1_19radix_merge_compareILb1ELb0EiNS0_19identity_decomposerEEEEE10hipError_tT0_T1_T2_jT3_P12ihipStream_tbPNSt15iterator_traitsISK_E10value_typeEPNSQ_ISL_E10value_typeEPSM_NS1_7vsmem_tEENKUlT_SK_SL_SM_E_clISE_PiSF_SF_EESJ_SZ_SK_SL_SM_EUlSZ_E0_NS1_11comp_targetILNS1_3genE4ELNS1_11target_archE910ELNS1_3gpuE8ELNS1_3repE0EEENS1_38merge_mergepath_config_static_selectorELNS0_4arch9wavefront6targetE1EEEvSL_
	.globl	_ZN7rocprim17ROCPRIM_400000_NS6detail17trampoline_kernelINS0_14default_configENS1_38merge_sort_block_merge_config_selectorIiNS0_10empty_typeEEEZZNS1_27merge_sort_block_merge_implIS3_N6thrust23THRUST_200600_302600_NS6detail15normal_iteratorINS9_10device_ptrIiEEEEPS5_jNS1_19radix_merge_compareILb1ELb0EiNS0_19identity_decomposerEEEEE10hipError_tT0_T1_T2_jT3_P12ihipStream_tbPNSt15iterator_traitsISK_E10value_typeEPNSQ_ISL_E10value_typeEPSM_NS1_7vsmem_tEENKUlT_SK_SL_SM_E_clISE_PiSF_SF_EESJ_SZ_SK_SL_SM_EUlSZ_E0_NS1_11comp_targetILNS1_3genE4ELNS1_11target_archE910ELNS1_3gpuE8ELNS1_3repE0EEENS1_38merge_mergepath_config_static_selectorELNS0_4arch9wavefront6targetE1EEEvSL_
	.p2align	8
	.type	_ZN7rocprim17ROCPRIM_400000_NS6detail17trampoline_kernelINS0_14default_configENS1_38merge_sort_block_merge_config_selectorIiNS0_10empty_typeEEEZZNS1_27merge_sort_block_merge_implIS3_N6thrust23THRUST_200600_302600_NS6detail15normal_iteratorINS9_10device_ptrIiEEEEPS5_jNS1_19radix_merge_compareILb1ELb0EiNS0_19identity_decomposerEEEEE10hipError_tT0_T1_T2_jT3_P12ihipStream_tbPNSt15iterator_traitsISK_E10value_typeEPNSQ_ISL_E10value_typeEPSM_NS1_7vsmem_tEENKUlT_SK_SL_SM_E_clISE_PiSF_SF_EESJ_SZ_SK_SL_SM_EUlSZ_E0_NS1_11comp_targetILNS1_3genE4ELNS1_11target_archE910ELNS1_3gpuE8ELNS1_3repE0EEENS1_38merge_mergepath_config_static_selectorELNS0_4arch9wavefront6targetE1EEEvSL_,@function
_ZN7rocprim17ROCPRIM_400000_NS6detail17trampoline_kernelINS0_14default_configENS1_38merge_sort_block_merge_config_selectorIiNS0_10empty_typeEEEZZNS1_27merge_sort_block_merge_implIS3_N6thrust23THRUST_200600_302600_NS6detail15normal_iteratorINS9_10device_ptrIiEEEEPS5_jNS1_19radix_merge_compareILb1ELb0EiNS0_19identity_decomposerEEEEE10hipError_tT0_T1_T2_jT3_P12ihipStream_tbPNSt15iterator_traitsISK_E10value_typeEPNSQ_ISL_E10value_typeEPSM_NS1_7vsmem_tEENKUlT_SK_SL_SM_E_clISE_PiSF_SF_EESJ_SZ_SK_SL_SM_EUlSZ_E0_NS1_11comp_targetILNS1_3genE4ELNS1_11target_archE910ELNS1_3gpuE8ELNS1_3repE0EEENS1_38merge_mergepath_config_static_selectorELNS0_4arch9wavefront6targetE1EEEvSL_: ; @_ZN7rocprim17ROCPRIM_400000_NS6detail17trampoline_kernelINS0_14default_configENS1_38merge_sort_block_merge_config_selectorIiNS0_10empty_typeEEEZZNS1_27merge_sort_block_merge_implIS3_N6thrust23THRUST_200600_302600_NS6detail15normal_iteratorINS9_10device_ptrIiEEEEPS5_jNS1_19radix_merge_compareILb1ELb0EiNS0_19identity_decomposerEEEEE10hipError_tT0_T1_T2_jT3_P12ihipStream_tbPNSt15iterator_traitsISK_E10value_typeEPNSQ_ISL_E10value_typeEPSM_NS1_7vsmem_tEENKUlT_SK_SL_SM_E_clISE_PiSF_SF_EESJ_SZ_SK_SL_SM_EUlSZ_E0_NS1_11comp_targetILNS1_3genE4ELNS1_11target_archE910ELNS1_3gpuE8ELNS1_3repE0EEENS1_38merge_mergepath_config_static_selectorELNS0_4arch9wavefront6targetE1EEEvSL_
; %bb.0:
	.section	.rodata,"a",@progbits
	.p2align	6, 0x0
	.amdhsa_kernel _ZN7rocprim17ROCPRIM_400000_NS6detail17trampoline_kernelINS0_14default_configENS1_38merge_sort_block_merge_config_selectorIiNS0_10empty_typeEEEZZNS1_27merge_sort_block_merge_implIS3_N6thrust23THRUST_200600_302600_NS6detail15normal_iteratorINS9_10device_ptrIiEEEEPS5_jNS1_19radix_merge_compareILb1ELb0EiNS0_19identity_decomposerEEEEE10hipError_tT0_T1_T2_jT3_P12ihipStream_tbPNSt15iterator_traitsISK_E10value_typeEPNSQ_ISL_E10value_typeEPSM_NS1_7vsmem_tEENKUlT_SK_SL_SM_E_clISE_PiSF_SF_EESJ_SZ_SK_SL_SM_EUlSZ_E0_NS1_11comp_targetILNS1_3genE4ELNS1_11target_archE910ELNS1_3gpuE8ELNS1_3repE0EEENS1_38merge_mergepath_config_static_selectorELNS0_4arch9wavefront6targetE1EEEvSL_
		.amdhsa_group_segment_fixed_size 0
		.amdhsa_private_segment_fixed_size 0
		.amdhsa_kernarg_size 64
		.amdhsa_user_sgpr_count 2
		.amdhsa_user_sgpr_dispatch_ptr 0
		.amdhsa_user_sgpr_queue_ptr 0
		.amdhsa_user_sgpr_kernarg_segment_ptr 1
		.amdhsa_user_sgpr_dispatch_id 0
		.amdhsa_user_sgpr_kernarg_preload_length 0
		.amdhsa_user_sgpr_kernarg_preload_offset 0
		.amdhsa_user_sgpr_private_segment_size 0
		.amdhsa_uses_dynamic_stack 0
		.amdhsa_enable_private_segment 0
		.amdhsa_system_sgpr_workgroup_id_x 1
		.amdhsa_system_sgpr_workgroup_id_y 0
		.amdhsa_system_sgpr_workgroup_id_z 0
		.amdhsa_system_sgpr_workgroup_info 0
		.amdhsa_system_vgpr_workitem_id 0
		.amdhsa_next_free_vgpr 1
		.amdhsa_next_free_sgpr 0
		.amdhsa_accum_offset 4
		.amdhsa_reserve_vcc 0
		.amdhsa_float_round_mode_32 0
		.amdhsa_float_round_mode_16_64 0
		.amdhsa_float_denorm_mode_32 3
		.amdhsa_float_denorm_mode_16_64 3
		.amdhsa_dx10_clamp 1
		.amdhsa_ieee_mode 1
		.amdhsa_fp16_overflow 0
		.amdhsa_tg_split 0
		.amdhsa_exception_fp_ieee_invalid_op 0
		.amdhsa_exception_fp_denorm_src 0
		.amdhsa_exception_fp_ieee_div_zero 0
		.amdhsa_exception_fp_ieee_overflow 0
		.amdhsa_exception_fp_ieee_underflow 0
		.amdhsa_exception_fp_ieee_inexact 0
		.amdhsa_exception_int_div_zero 0
	.end_amdhsa_kernel
	.section	.text._ZN7rocprim17ROCPRIM_400000_NS6detail17trampoline_kernelINS0_14default_configENS1_38merge_sort_block_merge_config_selectorIiNS0_10empty_typeEEEZZNS1_27merge_sort_block_merge_implIS3_N6thrust23THRUST_200600_302600_NS6detail15normal_iteratorINS9_10device_ptrIiEEEEPS5_jNS1_19radix_merge_compareILb1ELb0EiNS0_19identity_decomposerEEEEE10hipError_tT0_T1_T2_jT3_P12ihipStream_tbPNSt15iterator_traitsISK_E10value_typeEPNSQ_ISL_E10value_typeEPSM_NS1_7vsmem_tEENKUlT_SK_SL_SM_E_clISE_PiSF_SF_EESJ_SZ_SK_SL_SM_EUlSZ_E0_NS1_11comp_targetILNS1_3genE4ELNS1_11target_archE910ELNS1_3gpuE8ELNS1_3repE0EEENS1_38merge_mergepath_config_static_selectorELNS0_4arch9wavefront6targetE1EEEvSL_,"axG",@progbits,_ZN7rocprim17ROCPRIM_400000_NS6detail17trampoline_kernelINS0_14default_configENS1_38merge_sort_block_merge_config_selectorIiNS0_10empty_typeEEEZZNS1_27merge_sort_block_merge_implIS3_N6thrust23THRUST_200600_302600_NS6detail15normal_iteratorINS9_10device_ptrIiEEEEPS5_jNS1_19radix_merge_compareILb1ELb0EiNS0_19identity_decomposerEEEEE10hipError_tT0_T1_T2_jT3_P12ihipStream_tbPNSt15iterator_traitsISK_E10value_typeEPNSQ_ISL_E10value_typeEPSM_NS1_7vsmem_tEENKUlT_SK_SL_SM_E_clISE_PiSF_SF_EESJ_SZ_SK_SL_SM_EUlSZ_E0_NS1_11comp_targetILNS1_3genE4ELNS1_11target_archE910ELNS1_3gpuE8ELNS1_3repE0EEENS1_38merge_mergepath_config_static_selectorELNS0_4arch9wavefront6targetE1EEEvSL_,comdat
.Lfunc_end257:
	.size	_ZN7rocprim17ROCPRIM_400000_NS6detail17trampoline_kernelINS0_14default_configENS1_38merge_sort_block_merge_config_selectorIiNS0_10empty_typeEEEZZNS1_27merge_sort_block_merge_implIS3_N6thrust23THRUST_200600_302600_NS6detail15normal_iteratorINS9_10device_ptrIiEEEEPS5_jNS1_19radix_merge_compareILb1ELb0EiNS0_19identity_decomposerEEEEE10hipError_tT0_T1_T2_jT3_P12ihipStream_tbPNSt15iterator_traitsISK_E10value_typeEPNSQ_ISL_E10value_typeEPSM_NS1_7vsmem_tEENKUlT_SK_SL_SM_E_clISE_PiSF_SF_EESJ_SZ_SK_SL_SM_EUlSZ_E0_NS1_11comp_targetILNS1_3genE4ELNS1_11target_archE910ELNS1_3gpuE8ELNS1_3repE0EEENS1_38merge_mergepath_config_static_selectorELNS0_4arch9wavefront6targetE1EEEvSL_, .Lfunc_end257-_ZN7rocprim17ROCPRIM_400000_NS6detail17trampoline_kernelINS0_14default_configENS1_38merge_sort_block_merge_config_selectorIiNS0_10empty_typeEEEZZNS1_27merge_sort_block_merge_implIS3_N6thrust23THRUST_200600_302600_NS6detail15normal_iteratorINS9_10device_ptrIiEEEEPS5_jNS1_19radix_merge_compareILb1ELb0EiNS0_19identity_decomposerEEEEE10hipError_tT0_T1_T2_jT3_P12ihipStream_tbPNSt15iterator_traitsISK_E10value_typeEPNSQ_ISL_E10value_typeEPSM_NS1_7vsmem_tEENKUlT_SK_SL_SM_E_clISE_PiSF_SF_EESJ_SZ_SK_SL_SM_EUlSZ_E0_NS1_11comp_targetILNS1_3genE4ELNS1_11target_archE910ELNS1_3gpuE8ELNS1_3repE0EEENS1_38merge_mergepath_config_static_selectorELNS0_4arch9wavefront6targetE1EEEvSL_
                                        ; -- End function
	.set _ZN7rocprim17ROCPRIM_400000_NS6detail17trampoline_kernelINS0_14default_configENS1_38merge_sort_block_merge_config_selectorIiNS0_10empty_typeEEEZZNS1_27merge_sort_block_merge_implIS3_N6thrust23THRUST_200600_302600_NS6detail15normal_iteratorINS9_10device_ptrIiEEEEPS5_jNS1_19radix_merge_compareILb1ELb0EiNS0_19identity_decomposerEEEEE10hipError_tT0_T1_T2_jT3_P12ihipStream_tbPNSt15iterator_traitsISK_E10value_typeEPNSQ_ISL_E10value_typeEPSM_NS1_7vsmem_tEENKUlT_SK_SL_SM_E_clISE_PiSF_SF_EESJ_SZ_SK_SL_SM_EUlSZ_E0_NS1_11comp_targetILNS1_3genE4ELNS1_11target_archE910ELNS1_3gpuE8ELNS1_3repE0EEENS1_38merge_mergepath_config_static_selectorELNS0_4arch9wavefront6targetE1EEEvSL_.num_vgpr, 0
	.set _ZN7rocprim17ROCPRIM_400000_NS6detail17trampoline_kernelINS0_14default_configENS1_38merge_sort_block_merge_config_selectorIiNS0_10empty_typeEEEZZNS1_27merge_sort_block_merge_implIS3_N6thrust23THRUST_200600_302600_NS6detail15normal_iteratorINS9_10device_ptrIiEEEEPS5_jNS1_19radix_merge_compareILb1ELb0EiNS0_19identity_decomposerEEEEE10hipError_tT0_T1_T2_jT3_P12ihipStream_tbPNSt15iterator_traitsISK_E10value_typeEPNSQ_ISL_E10value_typeEPSM_NS1_7vsmem_tEENKUlT_SK_SL_SM_E_clISE_PiSF_SF_EESJ_SZ_SK_SL_SM_EUlSZ_E0_NS1_11comp_targetILNS1_3genE4ELNS1_11target_archE910ELNS1_3gpuE8ELNS1_3repE0EEENS1_38merge_mergepath_config_static_selectorELNS0_4arch9wavefront6targetE1EEEvSL_.num_agpr, 0
	.set _ZN7rocprim17ROCPRIM_400000_NS6detail17trampoline_kernelINS0_14default_configENS1_38merge_sort_block_merge_config_selectorIiNS0_10empty_typeEEEZZNS1_27merge_sort_block_merge_implIS3_N6thrust23THRUST_200600_302600_NS6detail15normal_iteratorINS9_10device_ptrIiEEEEPS5_jNS1_19radix_merge_compareILb1ELb0EiNS0_19identity_decomposerEEEEE10hipError_tT0_T1_T2_jT3_P12ihipStream_tbPNSt15iterator_traitsISK_E10value_typeEPNSQ_ISL_E10value_typeEPSM_NS1_7vsmem_tEENKUlT_SK_SL_SM_E_clISE_PiSF_SF_EESJ_SZ_SK_SL_SM_EUlSZ_E0_NS1_11comp_targetILNS1_3genE4ELNS1_11target_archE910ELNS1_3gpuE8ELNS1_3repE0EEENS1_38merge_mergepath_config_static_selectorELNS0_4arch9wavefront6targetE1EEEvSL_.numbered_sgpr, 0
	.set _ZN7rocprim17ROCPRIM_400000_NS6detail17trampoline_kernelINS0_14default_configENS1_38merge_sort_block_merge_config_selectorIiNS0_10empty_typeEEEZZNS1_27merge_sort_block_merge_implIS3_N6thrust23THRUST_200600_302600_NS6detail15normal_iteratorINS9_10device_ptrIiEEEEPS5_jNS1_19radix_merge_compareILb1ELb0EiNS0_19identity_decomposerEEEEE10hipError_tT0_T1_T2_jT3_P12ihipStream_tbPNSt15iterator_traitsISK_E10value_typeEPNSQ_ISL_E10value_typeEPSM_NS1_7vsmem_tEENKUlT_SK_SL_SM_E_clISE_PiSF_SF_EESJ_SZ_SK_SL_SM_EUlSZ_E0_NS1_11comp_targetILNS1_3genE4ELNS1_11target_archE910ELNS1_3gpuE8ELNS1_3repE0EEENS1_38merge_mergepath_config_static_selectorELNS0_4arch9wavefront6targetE1EEEvSL_.num_named_barrier, 0
	.set _ZN7rocprim17ROCPRIM_400000_NS6detail17trampoline_kernelINS0_14default_configENS1_38merge_sort_block_merge_config_selectorIiNS0_10empty_typeEEEZZNS1_27merge_sort_block_merge_implIS3_N6thrust23THRUST_200600_302600_NS6detail15normal_iteratorINS9_10device_ptrIiEEEEPS5_jNS1_19radix_merge_compareILb1ELb0EiNS0_19identity_decomposerEEEEE10hipError_tT0_T1_T2_jT3_P12ihipStream_tbPNSt15iterator_traitsISK_E10value_typeEPNSQ_ISL_E10value_typeEPSM_NS1_7vsmem_tEENKUlT_SK_SL_SM_E_clISE_PiSF_SF_EESJ_SZ_SK_SL_SM_EUlSZ_E0_NS1_11comp_targetILNS1_3genE4ELNS1_11target_archE910ELNS1_3gpuE8ELNS1_3repE0EEENS1_38merge_mergepath_config_static_selectorELNS0_4arch9wavefront6targetE1EEEvSL_.private_seg_size, 0
	.set _ZN7rocprim17ROCPRIM_400000_NS6detail17trampoline_kernelINS0_14default_configENS1_38merge_sort_block_merge_config_selectorIiNS0_10empty_typeEEEZZNS1_27merge_sort_block_merge_implIS3_N6thrust23THRUST_200600_302600_NS6detail15normal_iteratorINS9_10device_ptrIiEEEEPS5_jNS1_19radix_merge_compareILb1ELb0EiNS0_19identity_decomposerEEEEE10hipError_tT0_T1_T2_jT3_P12ihipStream_tbPNSt15iterator_traitsISK_E10value_typeEPNSQ_ISL_E10value_typeEPSM_NS1_7vsmem_tEENKUlT_SK_SL_SM_E_clISE_PiSF_SF_EESJ_SZ_SK_SL_SM_EUlSZ_E0_NS1_11comp_targetILNS1_3genE4ELNS1_11target_archE910ELNS1_3gpuE8ELNS1_3repE0EEENS1_38merge_mergepath_config_static_selectorELNS0_4arch9wavefront6targetE1EEEvSL_.uses_vcc, 0
	.set _ZN7rocprim17ROCPRIM_400000_NS6detail17trampoline_kernelINS0_14default_configENS1_38merge_sort_block_merge_config_selectorIiNS0_10empty_typeEEEZZNS1_27merge_sort_block_merge_implIS3_N6thrust23THRUST_200600_302600_NS6detail15normal_iteratorINS9_10device_ptrIiEEEEPS5_jNS1_19radix_merge_compareILb1ELb0EiNS0_19identity_decomposerEEEEE10hipError_tT0_T1_T2_jT3_P12ihipStream_tbPNSt15iterator_traitsISK_E10value_typeEPNSQ_ISL_E10value_typeEPSM_NS1_7vsmem_tEENKUlT_SK_SL_SM_E_clISE_PiSF_SF_EESJ_SZ_SK_SL_SM_EUlSZ_E0_NS1_11comp_targetILNS1_3genE4ELNS1_11target_archE910ELNS1_3gpuE8ELNS1_3repE0EEENS1_38merge_mergepath_config_static_selectorELNS0_4arch9wavefront6targetE1EEEvSL_.uses_flat_scratch, 0
	.set _ZN7rocprim17ROCPRIM_400000_NS6detail17trampoline_kernelINS0_14default_configENS1_38merge_sort_block_merge_config_selectorIiNS0_10empty_typeEEEZZNS1_27merge_sort_block_merge_implIS3_N6thrust23THRUST_200600_302600_NS6detail15normal_iteratorINS9_10device_ptrIiEEEEPS5_jNS1_19radix_merge_compareILb1ELb0EiNS0_19identity_decomposerEEEEE10hipError_tT0_T1_T2_jT3_P12ihipStream_tbPNSt15iterator_traitsISK_E10value_typeEPNSQ_ISL_E10value_typeEPSM_NS1_7vsmem_tEENKUlT_SK_SL_SM_E_clISE_PiSF_SF_EESJ_SZ_SK_SL_SM_EUlSZ_E0_NS1_11comp_targetILNS1_3genE4ELNS1_11target_archE910ELNS1_3gpuE8ELNS1_3repE0EEENS1_38merge_mergepath_config_static_selectorELNS0_4arch9wavefront6targetE1EEEvSL_.has_dyn_sized_stack, 0
	.set _ZN7rocprim17ROCPRIM_400000_NS6detail17trampoline_kernelINS0_14default_configENS1_38merge_sort_block_merge_config_selectorIiNS0_10empty_typeEEEZZNS1_27merge_sort_block_merge_implIS3_N6thrust23THRUST_200600_302600_NS6detail15normal_iteratorINS9_10device_ptrIiEEEEPS5_jNS1_19radix_merge_compareILb1ELb0EiNS0_19identity_decomposerEEEEE10hipError_tT0_T1_T2_jT3_P12ihipStream_tbPNSt15iterator_traitsISK_E10value_typeEPNSQ_ISL_E10value_typeEPSM_NS1_7vsmem_tEENKUlT_SK_SL_SM_E_clISE_PiSF_SF_EESJ_SZ_SK_SL_SM_EUlSZ_E0_NS1_11comp_targetILNS1_3genE4ELNS1_11target_archE910ELNS1_3gpuE8ELNS1_3repE0EEENS1_38merge_mergepath_config_static_selectorELNS0_4arch9wavefront6targetE1EEEvSL_.has_recursion, 0
	.set _ZN7rocprim17ROCPRIM_400000_NS6detail17trampoline_kernelINS0_14default_configENS1_38merge_sort_block_merge_config_selectorIiNS0_10empty_typeEEEZZNS1_27merge_sort_block_merge_implIS3_N6thrust23THRUST_200600_302600_NS6detail15normal_iteratorINS9_10device_ptrIiEEEEPS5_jNS1_19radix_merge_compareILb1ELb0EiNS0_19identity_decomposerEEEEE10hipError_tT0_T1_T2_jT3_P12ihipStream_tbPNSt15iterator_traitsISK_E10value_typeEPNSQ_ISL_E10value_typeEPSM_NS1_7vsmem_tEENKUlT_SK_SL_SM_E_clISE_PiSF_SF_EESJ_SZ_SK_SL_SM_EUlSZ_E0_NS1_11comp_targetILNS1_3genE4ELNS1_11target_archE910ELNS1_3gpuE8ELNS1_3repE0EEENS1_38merge_mergepath_config_static_selectorELNS0_4arch9wavefront6targetE1EEEvSL_.has_indirect_call, 0
	.section	.AMDGPU.csdata,"",@progbits
; Kernel info:
; codeLenInByte = 0
; TotalNumSgprs: 6
; NumVgprs: 0
; NumAgprs: 0
; TotalNumVgprs: 0
; ScratchSize: 0
; MemoryBound: 0
; FloatMode: 240
; IeeeMode: 1
; LDSByteSize: 0 bytes/workgroup (compile time only)
; SGPRBlocks: 0
; VGPRBlocks: 0
; NumSGPRsForWavesPerEU: 6
; NumVGPRsForWavesPerEU: 1
; AccumOffset: 4
; Occupancy: 8
; WaveLimiterHint : 0
; COMPUTE_PGM_RSRC2:SCRATCH_EN: 0
; COMPUTE_PGM_RSRC2:USER_SGPR: 2
; COMPUTE_PGM_RSRC2:TRAP_HANDLER: 0
; COMPUTE_PGM_RSRC2:TGID_X_EN: 1
; COMPUTE_PGM_RSRC2:TGID_Y_EN: 0
; COMPUTE_PGM_RSRC2:TGID_Z_EN: 0
; COMPUTE_PGM_RSRC2:TIDIG_COMP_CNT: 0
; COMPUTE_PGM_RSRC3_GFX90A:ACCUM_OFFSET: 0
; COMPUTE_PGM_RSRC3_GFX90A:TG_SPLIT: 0
	.section	.text._ZN7rocprim17ROCPRIM_400000_NS6detail17trampoline_kernelINS0_14default_configENS1_38merge_sort_block_merge_config_selectorIiNS0_10empty_typeEEEZZNS1_27merge_sort_block_merge_implIS3_N6thrust23THRUST_200600_302600_NS6detail15normal_iteratorINS9_10device_ptrIiEEEEPS5_jNS1_19radix_merge_compareILb1ELb0EiNS0_19identity_decomposerEEEEE10hipError_tT0_T1_T2_jT3_P12ihipStream_tbPNSt15iterator_traitsISK_E10value_typeEPNSQ_ISL_E10value_typeEPSM_NS1_7vsmem_tEENKUlT_SK_SL_SM_E_clISE_PiSF_SF_EESJ_SZ_SK_SL_SM_EUlSZ_E0_NS1_11comp_targetILNS1_3genE3ELNS1_11target_archE908ELNS1_3gpuE7ELNS1_3repE0EEENS1_38merge_mergepath_config_static_selectorELNS0_4arch9wavefront6targetE1EEEvSL_,"axG",@progbits,_ZN7rocprim17ROCPRIM_400000_NS6detail17trampoline_kernelINS0_14default_configENS1_38merge_sort_block_merge_config_selectorIiNS0_10empty_typeEEEZZNS1_27merge_sort_block_merge_implIS3_N6thrust23THRUST_200600_302600_NS6detail15normal_iteratorINS9_10device_ptrIiEEEEPS5_jNS1_19radix_merge_compareILb1ELb0EiNS0_19identity_decomposerEEEEE10hipError_tT0_T1_T2_jT3_P12ihipStream_tbPNSt15iterator_traitsISK_E10value_typeEPNSQ_ISL_E10value_typeEPSM_NS1_7vsmem_tEENKUlT_SK_SL_SM_E_clISE_PiSF_SF_EESJ_SZ_SK_SL_SM_EUlSZ_E0_NS1_11comp_targetILNS1_3genE3ELNS1_11target_archE908ELNS1_3gpuE7ELNS1_3repE0EEENS1_38merge_mergepath_config_static_selectorELNS0_4arch9wavefront6targetE1EEEvSL_,comdat
	.protected	_ZN7rocprim17ROCPRIM_400000_NS6detail17trampoline_kernelINS0_14default_configENS1_38merge_sort_block_merge_config_selectorIiNS0_10empty_typeEEEZZNS1_27merge_sort_block_merge_implIS3_N6thrust23THRUST_200600_302600_NS6detail15normal_iteratorINS9_10device_ptrIiEEEEPS5_jNS1_19radix_merge_compareILb1ELb0EiNS0_19identity_decomposerEEEEE10hipError_tT0_T1_T2_jT3_P12ihipStream_tbPNSt15iterator_traitsISK_E10value_typeEPNSQ_ISL_E10value_typeEPSM_NS1_7vsmem_tEENKUlT_SK_SL_SM_E_clISE_PiSF_SF_EESJ_SZ_SK_SL_SM_EUlSZ_E0_NS1_11comp_targetILNS1_3genE3ELNS1_11target_archE908ELNS1_3gpuE7ELNS1_3repE0EEENS1_38merge_mergepath_config_static_selectorELNS0_4arch9wavefront6targetE1EEEvSL_ ; -- Begin function _ZN7rocprim17ROCPRIM_400000_NS6detail17trampoline_kernelINS0_14default_configENS1_38merge_sort_block_merge_config_selectorIiNS0_10empty_typeEEEZZNS1_27merge_sort_block_merge_implIS3_N6thrust23THRUST_200600_302600_NS6detail15normal_iteratorINS9_10device_ptrIiEEEEPS5_jNS1_19radix_merge_compareILb1ELb0EiNS0_19identity_decomposerEEEEE10hipError_tT0_T1_T2_jT3_P12ihipStream_tbPNSt15iterator_traitsISK_E10value_typeEPNSQ_ISL_E10value_typeEPSM_NS1_7vsmem_tEENKUlT_SK_SL_SM_E_clISE_PiSF_SF_EESJ_SZ_SK_SL_SM_EUlSZ_E0_NS1_11comp_targetILNS1_3genE3ELNS1_11target_archE908ELNS1_3gpuE7ELNS1_3repE0EEENS1_38merge_mergepath_config_static_selectorELNS0_4arch9wavefront6targetE1EEEvSL_
	.globl	_ZN7rocprim17ROCPRIM_400000_NS6detail17trampoline_kernelINS0_14default_configENS1_38merge_sort_block_merge_config_selectorIiNS0_10empty_typeEEEZZNS1_27merge_sort_block_merge_implIS3_N6thrust23THRUST_200600_302600_NS6detail15normal_iteratorINS9_10device_ptrIiEEEEPS5_jNS1_19radix_merge_compareILb1ELb0EiNS0_19identity_decomposerEEEEE10hipError_tT0_T1_T2_jT3_P12ihipStream_tbPNSt15iterator_traitsISK_E10value_typeEPNSQ_ISL_E10value_typeEPSM_NS1_7vsmem_tEENKUlT_SK_SL_SM_E_clISE_PiSF_SF_EESJ_SZ_SK_SL_SM_EUlSZ_E0_NS1_11comp_targetILNS1_3genE3ELNS1_11target_archE908ELNS1_3gpuE7ELNS1_3repE0EEENS1_38merge_mergepath_config_static_selectorELNS0_4arch9wavefront6targetE1EEEvSL_
	.p2align	8
	.type	_ZN7rocprim17ROCPRIM_400000_NS6detail17trampoline_kernelINS0_14default_configENS1_38merge_sort_block_merge_config_selectorIiNS0_10empty_typeEEEZZNS1_27merge_sort_block_merge_implIS3_N6thrust23THRUST_200600_302600_NS6detail15normal_iteratorINS9_10device_ptrIiEEEEPS5_jNS1_19radix_merge_compareILb1ELb0EiNS0_19identity_decomposerEEEEE10hipError_tT0_T1_T2_jT3_P12ihipStream_tbPNSt15iterator_traitsISK_E10value_typeEPNSQ_ISL_E10value_typeEPSM_NS1_7vsmem_tEENKUlT_SK_SL_SM_E_clISE_PiSF_SF_EESJ_SZ_SK_SL_SM_EUlSZ_E0_NS1_11comp_targetILNS1_3genE3ELNS1_11target_archE908ELNS1_3gpuE7ELNS1_3repE0EEENS1_38merge_mergepath_config_static_selectorELNS0_4arch9wavefront6targetE1EEEvSL_,@function
_ZN7rocprim17ROCPRIM_400000_NS6detail17trampoline_kernelINS0_14default_configENS1_38merge_sort_block_merge_config_selectorIiNS0_10empty_typeEEEZZNS1_27merge_sort_block_merge_implIS3_N6thrust23THRUST_200600_302600_NS6detail15normal_iteratorINS9_10device_ptrIiEEEEPS5_jNS1_19radix_merge_compareILb1ELb0EiNS0_19identity_decomposerEEEEE10hipError_tT0_T1_T2_jT3_P12ihipStream_tbPNSt15iterator_traitsISK_E10value_typeEPNSQ_ISL_E10value_typeEPSM_NS1_7vsmem_tEENKUlT_SK_SL_SM_E_clISE_PiSF_SF_EESJ_SZ_SK_SL_SM_EUlSZ_E0_NS1_11comp_targetILNS1_3genE3ELNS1_11target_archE908ELNS1_3gpuE7ELNS1_3repE0EEENS1_38merge_mergepath_config_static_selectorELNS0_4arch9wavefront6targetE1EEEvSL_: ; @_ZN7rocprim17ROCPRIM_400000_NS6detail17trampoline_kernelINS0_14default_configENS1_38merge_sort_block_merge_config_selectorIiNS0_10empty_typeEEEZZNS1_27merge_sort_block_merge_implIS3_N6thrust23THRUST_200600_302600_NS6detail15normal_iteratorINS9_10device_ptrIiEEEEPS5_jNS1_19radix_merge_compareILb1ELb0EiNS0_19identity_decomposerEEEEE10hipError_tT0_T1_T2_jT3_P12ihipStream_tbPNSt15iterator_traitsISK_E10value_typeEPNSQ_ISL_E10value_typeEPSM_NS1_7vsmem_tEENKUlT_SK_SL_SM_E_clISE_PiSF_SF_EESJ_SZ_SK_SL_SM_EUlSZ_E0_NS1_11comp_targetILNS1_3genE3ELNS1_11target_archE908ELNS1_3gpuE7ELNS1_3repE0EEENS1_38merge_mergepath_config_static_selectorELNS0_4arch9wavefront6targetE1EEEvSL_
; %bb.0:
	.section	.rodata,"a",@progbits
	.p2align	6, 0x0
	.amdhsa_kernel _ZN7rocprim17ROCPRIM_400000_NS6detail17trampoline_kernelINS0_14default_configENS1_38merge_sort_block_merge_config_selectorIiNS0_10empty_typeEEEZZNS1_27merge_sort_block_merge_implIS3_N6thrust23THRUST_200600_302600_NS6detail15normal_iteratorINS9_10device_ptrIiEEEEPS5_jNS1_19radix_merge_compareILb1ELb0EiNS0_19identity_decomposerEEEEE10hipError_tT0_T1_T2_jT3_P12ihipStream_tbPNSt15iterator_traitsISK_E10value_typeEPNSQ_ISL_E10value_typeEPSM_NS1_7vsmem_tEENKUlT_SK_SL_SM_E_clISE_PiSF_SF_EESJ_SZ_SK_SL_SM_EUlSZ_E0_NS1_11comp_targetILNS1_3genE3ELNS1_11target_archE908ELNS1_3gpuE7ELNS1_3repE0EEENS1_38merge_mergepath_config_static_selectorELNS0_4arch9wavefront6targetE1EEEvSL_
		.amdhsa_group_segment_fixed_size 0
		.amdhsa_private_segment_fixed_size 0
		.amdhsa_kernarg_size 64
		.amdhsa_user_sgpr_count 2
		.amdhsa_user_sgpr_dispatch_ptr 0
		.amdhsa_user_sgpr_queue_ptr 0
		.amdhsa_user_sgpr_kernarg_segment_ptr 1
		.amdhsa_user_sgpr_dispatch_id 0
		.amdhsa_user_sgpr_kernarg_preload_length 0
		.amdhsa_user_sgpr_kernarg_preload_offset 0
		.amdhsa_user_sgpr_private_segment_size 0
		.amdhsa_uses_dynamic_stack 0
		.amdhsa_enable_private_segment 0
		.amdhsa_system_sgpr_workgroup_id_x 1
		.amdhsa_system_sgpr_workgroup_id_y 0
		.amdhsa_system_sgpr_workgroup_id_z 0
		.amdhsa_system_sgpr_workgroup_info 0
		.amdhsa_system_vgpr_workitem_id 0
		.amdhsa_next_free_vgpr 1
		.amdhsa_next_free_sgpr 0
		.amdhsa_accum_offset 4
		.amdhsa_reserve_vcc 0
		.amdhsa_float_round_mode_32 0
		.amdhsa_float_round_mode_16_64 0
		.amdhsa_float_denorm_mode_32 3
		.amdhsa_float_denorm_mode_16_64 3
		.amdhsa_dx10_clamp 1
		.amdhsa_ieee_mode 1
		.amdhsa_fp16_overflow 0
		.amdhsa_tg_split 0
		.amdhsa_exception_fp_ieee_invalid_op 0
		.amdhsa_exception_fp_denorm_src 0
		.amdhsa_exception_fp_ieee_div_zero 0
		.amdhsa_exception_fp_ieee_overflow 0
		.amdhsa_exception_fp_ieee_underflow 0
		.amdhsa_exception_fp_ieee_inexact 0
		.amdhsa_exception_int_div_zero 0
	.end_amdhsa_kernel
	.section	.text._ZN7rocprim17ROCPRIM_400000_NS6detail17trampoline_kernelINS0_14default_configENS1_38merge_sort_block_merge_config_selectorIiNS0_10empty_typeEEEZZNS1_27merge_sort_block_merge_implIS3_N6thrust23THRUST_200600_302600_NS6detail15normal_iteratorINS9_10device_ptrIiEEEEPS5_jNS1_19radix_merge_compareILb1ELb0EiNS0_19identity_decomposerEEEEE10hipError_tT0_T1_T2_jT3_P12ihipStream_tbPNSt15iterator_traitsISK_E10value_typeEPNSQ_ISL_E10value_typeEPSM_NS1_7vsmem_tEENKUlT_SK_SL_SM_E_clISE_PiSF_SF_EESJ_SZ_SK_SL_SM_EUlSZ_E0_NS1_11comp_targetILNS1_3genE3ELNS1_11target_archE908ELNS1_3gpuE7ELNS1_3repE0EEENS1_38merge_mergepath_config_static_selectorELNS0_4arch9wavefront6targetE1EEEvSL_,"axG",@progbits,_ZN7rocprim17ROCPRIM_400000_NS6detail17trampoline_kernelINS0_14default_configENS1_38merge_sort_block_merge_config_selectorIiNS0_10empty_typeEEEZZNS1_27merge_sort_block_merge_implIS3_N6thrust23THRUST_200600_302600_NS6detail15normal_iteratorINS9_10device_ptrIiEEEEPS5_jNS1_19radix_merge_compareILb1ELb0EiNS0_19identity_decomposerEEEEE10hipError_tT0_T1_T2_jT3_P12ihipStream_tbPNSt15iterator_traitsISK_E10value_typeEPNSQ_ISL_E10value_typeEPSM_NS1_7vsmem_tEENKUlT_SK_SL_SM_E_clISE_PiSF_SF_EESJ_SZ_SK_SL_SM_EUlSZ_E0_NS1_11comp_targetILNS1_3genE3ELNS1_11target_archE908ELNS1_3gpuE7ELNS1_3repE0EEENS1_38merge_mergepath_config_static_selectorELNS0_4arch9wavefront6targetE1EEEvSL_,comdat
.Lfunc_end258:
	.size	_ZN7rocprim17ROCPRIM_400000_NS6detail17trampoline_kernelINS0_14default_configENS1_38merge_sort_block_merge_config_selectorIiNS0_10empty_typeEEEZZNS1_27merge_sort_block_merge_implIS3_N6thrust23THRUST_200600_302600_NS6detail15normal_iteratorINS9_10device_ptrIiEEEEPS5_jNS1_19radix_merge_compareILb1ELb0EiNS0_19identity_decomposerEEEEE10hipError_tT0_T1_T2_jT3_P12ihipStream_tbPNSt15iterator_traitsISK_E10value_typeEPNSQ_ISL_E10value_typeEPSM_NS1_7vsmem_tEENKUlT_SK_SL_SM_E_clISE_PiSF_SF_EESJ_SZ_SK_SL_SM_EUlSZ_E0_NS1_11comp_targetILNS1_3genE3ELNS1_11target_archE908ELNS1_3gpuE7ELNS1_3repE0EEENS1_38merge_mergepath_config_static_selectorELNS0_4arch9wavefront6targetE1EEEvSL_, .Lfunc_end258-_ZN7rocprim17ROCPRIM_400000_NS6detail17trampoline_kernelINS0_14default_configENS1_38merge_sort_block_merge_config_selectorIiNS0_10empty_typeEEEZZNS1_27merge_sort_block_merge_implIS3_N6thrust23THRUST_200600_302600_NS6detail15normal_iteratorINS9_10device_ptrIiEEEEPS5_jNS1_19radix_merge_compareILb1ELb0EiNS0_19identity_decomposerEEEEE10hipError_tT0_T1_T2_jT3_P12ihipStream_tbPNSt15iterator_traitsISK_E10value_typeEPNSQ_ISL_E10value_typeEPSM_NS1_7vsmem_tEENKUlT_SK_SL_SM_E_clISE_PiSF_SF_EESJ_SZ_SK_SL_SM_EUlSZ_E0_NS1_11comp_targetILNS1_3genE3ELNS1_11target_archE908ELNS1_3gpuE7ELNS1_3repE0EEENS1_38merge_mergepath_config_static_selectorELNS0_4arch9wavefront6targetE1EEEvSL_
                                        ; -- End function
	.set _ZN7rocprim17ROCPRIM_400000_NS6detail17trampoline_kernelINS0_14default_configENS1_38merge_sort_block_merge_config_selectorIiNS0_10empty_typeEEEZZNS1_27merge_sort_block_merge_implIS3_N6thrust23THRUST_200600_302600_NS6detail15normal_iteratorINS9_10device_ptrIiEEEEPS5_jNS1_19radix_merge_compareILb1ELb0EiNS0_19identity_decomposerEEEEE10hipError_tT0_T1_T2_jT3_P12ihipStream_tbPNSt15iterator_traitsISK_E10value_typeEPNSQ_ISL_E10value_typeEPSM_NS1_7vsmem_tEENKUlT_SK_SL_SM_E_clISE_PiSF_SF_EESJ_SZ_SK_SL_SM_EUlSZ_E0_NS1_11comp_targetILNS1_3genE3ELNS1_11target_archE908ELNS1_3gpuE7ELNS1_3repE0EEENS1_38merge_mergepath_config_static_selectorELNS0_4arch9wavefront6targetE1EEEvSL_.num_vgpr, 0
	.set _ZN7rocprim17ROCPRIM_400000_NS6detail17trampoline_kernelINS0_14default_configENS1_38merge_sort_block_merge_config_selectorIiNS0_10empty_typeEEEZZNS1_27merge_sort_block_merge_implIS3_N6thrust23THRUST_200600_302600_NS6detail15normal_iteratorINS9_10device_ptrIiEEEEPS5_jNS1_19radix_merge_compareILb1ELb0EiNS0_19identity_decomposerEEEEE10hipError_tT0_T1_T2_jT3_P12ihipStream_tbPNSt15iterator_traitsISK_E10value_typeEPNSQ_ISL_E10value_typeEPSM_NS1_7vsmem_tEENKUlT_SK_SL_SM_E_clISE_PiSF_SF_EESJ_SZ_SK_SL_SM_EUlSZ_E0_NS1_11comp_targetILNS1_3genE3ELNS1_11target_archE908ELNS1_3gpuE7ELNS1_3repE0EEENS1_38merge_mergepath_config_static_selectorELNS0_4arch9wavefront6targetE1EEEvSL_.num_agpr, 0
	.set _ZN7rocprim17ROCPRIM_400000_NS6detail17trampoline_kernelINS0_14default_configENS1_38merge_sort_block_merge_config_selectorIiNS0_10empty_typeEEEZZNS1_27merge_sort_block_merge_implIS3_N6thrust23THRUST_200600_302600_NS6detail15normal_iteratorINS9_10device_ptrIiEEEEPS5_jNS1_19radix_merge_compareILb1ELb0EiNS0_19identity_decomposerEEEEE10hipError_tT0_T1_T2_jT3_P12ihipStream_tbPNSt15iterator_traitsISK_E10value_typeEPNSQ_ISL_E10value_typeEPSM_NS1_7vsmem_tEENKUlT_SK_SL_SM_E_clISE_PiSF_SF_EESJ_SZ_SK_SL_SM_EUlSZ_E0_NS1_11comp_targetILNS1_3genE3ELNS1_11target_archE908ELNS1_3gpuE7ELNS1_3repE0EEENS1_38merge_mergepath_config_static_selectorELNS0_4arch9wavefront6targetE1EEEvSL_.numbered_sgpr, 0
	.set _ZN7rocprim17ROCPRIM_400000_NS6detail17trampoline_kernelINS0_14default_configENS1_38merge_sort_block_merge_config_selectorIiNS0_10empty_typeEEEZZNS1_27merge_sort_block_merge_implIS3_N6thrust23THRUST_200600_302600_NS6detail15normal_iteratorINS9_10device_ptrIiEEEEPS5_jNS1_19radix_merge_compareILb1ELb0EiNS0_19identity_decomposerEEEEE10hipError_tT0_T1_T2_jT3_P12ihipStream_tbPNSt15iterator_traitsISK_E10value_typeEPNSQ_ISL_E10value_typeEPSM_NS1_7vsmem_tEENKUlT_SK_SL_SM_E_clISE_PiSF_SF_EESJ_SZ_SK_SL_SM_EUlSZ_E0_NS1_11comp_targetILNS1_3genE3ELNS1_11target_archE908ELNS1_3gpuE7ELNS1_3repE0EEENS1_38merge_mergepath_config_static_selectorELNS0_4arch9wavefront6targetE1EEEvSL_.num_named_barrier, 0
	.set _ZN7rocprim17ROCPRIM_400000_NS6detail17trampoline_kernelINS0_14default_configENS1_38merge_sort_block_merge_config_selectorIiNS0_10empty_typeEEEZZNS1_27merge_sort_block_merge_implIS3_N6thrust23THRUST_200600_302600_NS6detail15normal_iteratorINS9_10device_ptrIiEEEEPS5_jNS1_19radix_merge_compareILb1ELb0EiNS0_19identity_decomposerEEEEE10hipError_tT0_T1_T2_jT3_P12ihipStream_tbPNSt15iterator_traitsISK_E10value_typeEPNSQ_ISL_E10value_typeEPSM_NS1_7vsmem_tEENKUlT_SK_SL_SM_E_clISE_PiSF_SF_EESJ_SZ_SK_SL_SM_EUlSZ_E0_NS1_11comp_targetILNS1_3genE3ELNS1_11target_archE908ELNS1_3gpuE7ELNS1_3repE0EEENS1_38merge_mergepath_config_static_selectorELNS0_4arch9wavefront6targetE1EEEvSL_.private_seg_size, 0
	.set _ZN7rocprim17ROCPRIM_400000_NS6detail17trampoline_kernelINS0_14default_configENS1_38merge_sort_block_merge_config_selectorIiNS0_10empty_typeEEEZZNS1_27merge_sort_block_merge_implIS3_N6thrust23THRUST_200600_302600_NS6detail15normal_iteratorINS9_10device_ptrIiEEEEPS5_jNS1_19radix_merge_compareILb1ELb0EiNS0_19identity_decomposerEEEEE10hipError_tT0_T1_T2_jT3_P12ihipStream_tbPNSt15iterator_traitsISK_E10value_typeEPNSQ_ISL_E10value_typeEPSM_NS1_7vsmem_tEENKUlT_SK_SL_SM_E_clISE_PiSF_SF_EESJ_SZ_SK_SL_SM_EUlSZ_E0_NS1_11comp_targetILNS1_3genE3ELNS1_11target_archE908ELNS1_3gpuE7ELNS1_3repE0EEENS1_38merge_mergepath_config_static_selectorELNS0_4arch9wavefront6targetE1EEEvSL_.uses_vcc, 0
	.set _ZN7rocprim17ROCPRIM_400000_NS6detail17trampoline_kernelINS0_14default_configENS1_38merge_sort_block_merge_config_selectorIiNS0_10empty_typeEEEZZNS1_27merge_sort_block_merge_implIS3_N6thrust23THRUST_200600_302600_NS6detail15normal_iteratorINS9_10device_ptrIiEEEEPS5_jNS1_19radix_merge_compareILb1ELb0EiNS0_19identity_decomposerEEEEE10hipError_tT0_T1_T2_jT3_P12ihipStream_tbPNSt15iterator_traitsISK_E10value_typeEPNSQ_ISL_E10value_typeEPSM_NS1_7vsmem_tEENKUlT_SK_SL_SM_E_clISE_PiSF_SF_EESJ_SZ_SK_SL_SM_EUlSZ_E0_NS1_11comp_targetILNS1_3genE3ELNS1_11target_archE908ELNS1_3gpuE7ELNS1_3repE0EEENS1_38merge_mergepath_config_static_selectorELNS0_4arch9wavefront6targetE1EEEvSL_.uses_flat_scratch, 0
	.set _ZN7rocprim17ROCPRIM_400000_NS6detail17trampoline_kernelINS0_14default_configENS1_38merge_sort_block_merge_config_selectorIiNS0_10empty_typeEEEZZNS1_27merge_sort_block_merge_implIS3_N6thrust23THRUST_200600_302600_NS6detail15normal_iteratorINS9_10device_ptrIiEEEEPS5_jNS1_19radix_merge_compareILb1ELb0EiNS0_19identity_decomposerEEEEE10hipError_tT0_T1_T2_jT3_P12ihipStream_tbPNSt15iterator_traitsISK_E10value_typeEPNSQ_ISL_E10value_typeEPSM_NS1_7vsmem_tEENKUlT_SK_SL_SM_E_clISE_PiSF_SF_EESJ_SZ_SK_SL_SM_EUlSZ_E0_NS1_11comp_targetILNS1_3genE3ELNS1_11target_archE908ELNS1_3gpuE7ELNS1_3repE0EEENS1_38merge_mergepath_config_static_selectorELNS0_4arch9wavefront6targetE1EEEvSL_.has_dyn_sized_stack, 0
	.set _ZN7rocprim17ROCPRIM_400000_NS6detail17trampoline_kernelINS0_14default_configENS1_38merge_sort_block_merge_config_selectorIiNS0_10empty_typeEEEZZNS1_27merge_sort_block_merge_implIS3_N6thrust23THRUST_200600_302600_NS6detail15normal_iteratorINS9_10device_ptrIiEEEEPS5_jNS1_19radix_merge_compareILb1ELb0EiNS0_19identity_decomposerEEEEE10hipError_tT0_T1_T2_jT3_P12ihipStream_tbPNSt15iterator_traitsISK_E10value_typeEPNSQ_ISL_E10value_typeEPSM_NS1_7vsmem_tEENKUlT_SK_SL_SM_E_clISE_PiSF_SF_EESJ_SZ_SK_SL_SM_EUlSZ_E0_NS1_11comp_targetILNS1_3genE3ELNS1_11target_archE908ELNS1_3gpuE7ELNS1_3repE0EEENS1_38merge_mergepath_config_static_selectorELNS0_4arch9wavefront6targetE1EEEvSL_.has_recursion, 0
	.set _ZN7rocprim17ROCPRIM_400000_NS6detail17trampoline_kernelINS0_14default_configENS1_38merge_sort_block_merge_config_selectorIiNS0_10empty_typeEEEZZNS1_27merge_sort_block_merge_implIS3_N6thrust23THRUST_200600_302600_NS6detail15normal_iteratorINS9_10device_ptrIiEEEEPS5_jNS1_19radix_merge_compareILb1ELb0EiNS0_19identity_decomposerEEEEE10hipError_tT0_T1_T2_jT3_P12ihipStream_tbPNSt15iterator_traitsISK_E10value_typeEPNSQ_ISL_E10value_typeEPSM_NS1_7vsmem_tEENKUlT_SK_SL_SM_E_clISE_PiSF_SF_EESJ_SZ_SK_SL_SM_EUlSZ_E0_NS1_11comp_targetILNS1_3genE3ELNS1_11target_archE908ELNS1_3gpuE7ELNS1_3repE0EEENS1_38merge_mergepath_config_static_selectorELNS0_4arch9wavefront6targetE1EEEvSL_.has_indirect_call, 0
	.section	.AMDGPU.csdata,"",@progbits
; Kernel info:
; codeLenInByte = 0
; TotalNumSgprs: 6
; NumVgprs: 0
; NumAgprs: 0
; TotalNumVgprs: 0
; ScratchSize: 0
; MemoryBound: 0
; FloatMode: 240
; IeeeMode: 1
; LDSByteSize: 0 bytes/workgroup (compile time only)
; SGPRBlocks: 0
; VGPRBlocks: 0
; NumSGPRsForWavesPerEU: 6
; NumVGPRsForWavesPerEU: 1
; AccumOffset: 4
; Occupancy: 8
; WaveLimiterHint : 0
; COMPUTE_PGM_RSRC2:SCRATCH_EN: 0
; COMPUTE_PGM_RSRC2:USER_SGPR: 2
; COMPUTE_PGM_RSRC2:TRAP_HANDLER: 0
; COMPUTE_PGM_RSRC2:TGID_X_EN: 1
; COMPUTE_PGM_RSRC2:TGID_Y_EN: 0
; COMPUTE_PGM_RSRC2:TGID_Z_EN: 0
; COMPUTE_PGM_RSRC2:TIDIG_COMP_CNT: 0
; COMPUTE_PGM_RSRC3_GFX90A:ACCUM_OFFSET: 0
; COMPUTE_PGM_RSRC3_GFX90A:TG_SPLIT: 0
	.section	.text._ZN7rocprim17ROCPRIM_400000_NS6detail17trampoline_kernelINS0_14default_configENS1_38merge_sort_block_merge_config_selectorIiNS0_10empty_typeEEEZZNS1_27merge_sort_block_merge_implIS3_N6thrust23THRUST_200600_302600_NS6detail15normal_iteratorINS9_10device_ptrIiEEEEPS5_jNS1_19radix_merge_compareILb1ELb0EiNS0_19identity_decomposerEEEEE10hipError_tT0_T1_T2_jT3_P12ihipStream_tbPNSt15iterator_traitsISK_E10value_typeEPNSQ_ISL_E10value_typeEPSM_NS1_7vsmem_tEENKUlT_SK_SL_SM_E_clISE_PiSF_SF_EESJ_SZ_SK_SL_SM_EUlSZ_E0_NS1_11comp_targetILNS1_3genE2ELNS1_11target_archE906ELNS1_3gpuE6ELNS1_3repE0EEENS1_38merge_mergepath_config_static_selectorELNS0_4arch9wavefront6targetE1EEEvSL_,"axG",@progbits,_ZN7rocprim17ROCPRIM_400000_NS6detail17trampoline_kernelINS0_14default_configENS1_38merge_sort_block_merge_config_selectorIiNS0_10empty_typeEEEZZNS1_27merge_sort_block_merge_implIS3_N6thrust23THRUST_200600_302600_NS6detail15normal_iteratorINS9_10device_ptrIiEEEEPS5_jNS1_19radix_merge_compareILb1ELb0EiNS0_19identity_decomposerEEEEE10hipError_tT0_T1_T2_jT3_P12ihipStream_tbPNSt15iterator_traitsISK_E10value_typeEPNSQ_ISL_E10value_typeEPSM_NS1_7vsmem_tEENKUlT_SK_SL_SM_E_clISE_PiSF_SF_EESJ_SZ_SK_SL_SM_EUlSZ_E0_NS1_11comp_targetILNS1_3genE2ELNS1_11target_archE906ELNS1_3gpuE6ELNS1_3repE0EEENS1_38merge_mergepath_config_static_selectorELNS0_4arch9wavefront6targetE1EEEvSL_,comdat
	.protected	_ZN7rocprim17ROCPRIM_400000_NS6detail17trampoline_kernelINS0_14default_configENS1_38merge_sort_block_merge_config_selectorIiNS0_10empty_typeEEEZZNS1_27merge_sort_block_merge_implIS3_N6thrust23THRUST_200600_302600_NS6detail15normal_iteratorINS9_10device_ptrIiEEEEPS5_jNS1_19radix_merge_compareILb1ELb0EiNS0_19identity_decomposerEEEEE10hipError_tT0_T1_T2_jT3_P12ihipStream_tbPNSt15iterator_traitsISK_E10value_typeEPNSQ_ISL_E10value_typeEPSM_NS1_7vsmem_tEENKUlT_SK_SL_SM_E_clISE_PiSF_SF_EESJ_SZ_SK_SL_SM_EUlSZ_E0_NS1_11comp_targetILNS1_3genE2ELNS1_11target_archE906ELNS1_3gpuE6ELNS1_3repE0EEENS1_38merge_mergepath_config_static_selectorELNS0_4arch9wavefront6targetE1EEEvSL_ ; -- Begin function _ZN7rocprim17ROCPRIM_400000_NS6detail17trampoline_kernelINS0_14default_configENS1_38merge_sort_block_merge_config_selectorIiNS0_10empty_typeEEEZZNS1_27merge_sort_block_merge_implIS3_N6thrust23THRUST_200600_302600_NS6detail15normal_iteratorINS9_10device_ptrIiEEEEPS5_jNS1_19radix_merge_compareILb1ELb0EiNS0_19identity_decomposerEEEEE10hipError_tT0_T1_T2_jT3_P12ihipStream_tbPNSt15iterator_traitsISK_E10value_typeEPNSQ_ISL_E10value_typeEPSM_NS1_7vsmem_tEENKUlT_SK_SL_SM_E_clISE_PiSF_SF_EESJ_SZ_SK_SL_SM_EUlSZ_E0_NS1_11comp_targetILNS1_3genE2ELNS1_11target_archE906ELNS1_3gpuE6ELNS1_3repE0EEENS1_38merge_mergepath_config_static_selectorELNS0_4arch9wavefront6targetE1EEEvSL_
	.globl	_ZN7rocprim17ROCPRIM_400000_NS6detail17trampoline_kernelINS0_14default_configENS1_38merge_sort_block_merge_config_selectorIiNS0_10empty_typeEEEZZNS1_27merge_sort_block_merge_implIS3_N6thrust23THRUST_200600_302600_NS6detail15normal_iteratorINS9_10device_ptrIiEEEEPS5_jNS1_19radix_merge_compareILb1ELb0EiNS0_19identity_decomposerEEEEE10hipError_tT0_T1_T2_jT3_P12ihipStream_tbPNSt15iterator_traitsISK_E10value_typeEPNSQ_ISL_E10value_typeEPSM_NS1_7vsmem_tEENKUlT_SK_SL_SM_E_clISE_PiSF_SF_EESJ_SZ_SK_SL_SM_EUlSZ_E0_NS1_11comp_targetILNS1_3genE2ELNS1_11target_archE906ELNS1_3gpuE6ELNS1_3repE0EEENS1_38merge_mergepath_config_static_selectorELNS0_4arch9wavefront6targetE1EEEvSL_
	.p2align	8
	.type	_ZN7rocprim17ROCPRIM_400000_NS6detail17trampoline_kernelINS0_14default_configENS1_38merge_sort_block_merge_config_selectorIiNS0_10empty_typeEEEZZNS1_27merge_sort_block_merge_implIS3_N6thrust23THRUST_200600_302600_NS6detail15normal_iteratorINS9_10device_ptrIiEEEEPS5_jNS1_19radix_merge_compareILb1ELb0EiNS0_19identity_decomposerEEEEE10hipError_tT0_T1_T2_jT3_P12ihipStream_tbPNSt15iterator_traitsISK_E10value_typeEPNSQ_ISL_E10value_typeEPSM_NS1_7vsmem_tEENKUlT_SK_SL_SM_E_clISE_PiSF_SF_EESJ_SZ_SK_SL_SM_EUlSZ_E0_NS1_11comp_targetILNS1_3genE2ELNS1_11target_archE906ELNS1_3gpuE6ELNS1_3repE0EEENS1_38merge_mergepath_config_static_selectorELNS0_4arch9wavefront6targetE1EEEvSL_,@function
_ZN7rocprim17ROCPRIM_400000_NS6detail17trampoline_kernelINS0_14default_configENS1_38merge_sort_block_merge_config_selectorIiNS0_10empty_typeEEEZZNS1_27merge_sort_block_merge_implIS3_N6thrust23THRUST_200600_302600_NS6detail15normal_iteratorINS9_10device_ptrIiEEEEPS5_jNS1_19radix_merge_compareILb1ELb0EiNS0_19identity_decomposerEEEEE10hipError_tT0_T1_T2_jT3_P12ihipStream_tbPNSt15iterator_traitsISK_E10value_typeEPNSQ_ISL_E10value_typeEPSM_NS1_7vsmem_tEENKUlT_SK_SL_SM_E_clISE_PiSF_SF_EESJ_SZ_SK_SL_SM_EUlSZ_E0_NS1_11comp_targetILNS1_3genE2ELNS1_11target_archE906ELNS1_3gpuE6ELNS1_3repE0EEENS1_38merge_mergepath_config_static_selectorELNS0_4arch9wavefront6targetE1EEEvSL_: ; @_ZN7rocprim17ROCPRIM_400000_NS6detail17trampoline_kernelINS0_14default_configENS1_38merge_sort_block_merge_config_selectorIiNS0_10empty_typeEEEZZNS1_27merge_sort_block_merge_implIS3_N6thrust23THRUST_200600_302600_NS6detail15normal_iteratorINS9_10device_ptrIiEEEEPS5_jNS1_19radix_merge_compareILb1ELb0EiNS0_19identity_decomposerEEEEE10hipError_tT0_T1_T2_jT3_P12ihipStream_tbPNSt15iterator_traitsISK_E10value_typeEPNSQ_ISL_E10value_typeEPSM_NS1_7vsmem_tEENKUlT_SK_SL_SM_E_clISE_PiSF_SF_EESJ_SZ_SK_SL_SM_EUlSZ_E0_NS1_11comp_targetILNS1_3genE2ELNS1_11target_archE906ELNS1_3gpuE6ELNS1_3repE0EEENS1_38merge_mergepath_config_static_selectorELNS0_4arch9wavefront6targetE1EEEvSL_
; %bb.0:
	.section	.rodata,"a",@progbits
	.p2align	6, 0x0
	.amdhsa_kernel _ZN7rocprim17ROCPRIM_400000_NS6detail17trampoline_kernelINS0_14default_configENS1_38merge_sort_block_merge_config_selectorIiNS0_10empty_typeEEEZZNS1_27merge_sort_block_merge_implIS3_N6thrust23THRUST_200600_302600_NS6detail15normal_iteratorINS9_10device_ptrIiEEEEPS5_jNS1_19radix_merge_compareILb1ELb0EiNS0_19identity_decomposerEEEEE10hipError_tT0_T1_T2_jT3_P12ihipStream_tbPNSt15iterator_traitsISK_E10value_typeEPNSQ_ISL_E10value_typeEPSM_NS1_7vsmem_tEENKUlT_SK_SL_SM_E_clISE_PiSF_SF_EESJ_SZ_SK_SL_SM_EUlSZ_E0_NS1_11comp_targetILNS1_3genE2ELNS1_11target_archE906ELNS1_3gpuE6ELNS1_3repE0EEENS1_38merge_mergepath_config_static_selectorELNS0_4arch9wavefront6targetE1EEEvSL_
		.amdhsa_group_segment_fixed_size 0
		.amdhsa_private_segment_fixed_size 0
		.amdhsa_kernarg_size 64
		.amdhsa_user_sgpr_count 2
		.amdhsa_user_sgpr_dispatch_ptr 0
		.amdhsa_user_sgpr_queue_ptr 0
		.amdhsa_user_sgpr_kernarg_segment_ptr 1
		.amdhsa_user_sgpr_dispatch_id 0
		.amdhsa_user_sgpr_kernarg_preload_length 0
		.amdhsa_user_sgpr_kernarg_preload_offset 0
		.amdhsa_user_sgpr_private_segment_size 0
		.amdhsa_uses_dynamic_stack 0
		.amdhsa_enable_private_segment 0
		.amdhsa_system_sgpr_workgroup_id_x 1
		.amdhsa_system_sgpr_workgroup_id_y 0
		.amdhsa_system_sgpr_workgroup_id_z 0
		.amdhsa_system_sgpr_workgroup_info 0
		.amdhsa_system_vgpr_workitem_id 0
		.amdhsa_next_free_vgpr 1
		.amdhsa_next_free_sgpr 0
		.amdhsa_accum_offset 4
		.amdhsa_reserve_vcc 0
		.amdhsa_float_round_mode_32 0
		.amdhsa_float_round_mode_16_64 0
		.amdhsa_float_denorm_mode_32 3
		.amdhsa_float_denorm_mode_16_64 3
		.amdhsa_dx10_clamp 1
		.amdhsa_ieee_mode 1
		.amdhsa_fp16_overflow 0
		.amdhsa_tg_split 0
		.amdhsa_exception_fp_ieee_invalid_op 0
		.amdhsa_exception_fp_denorm_src 0
		.amdhsa_exception_fp_ieee_div_zero 0
		.amdhsa_exception_fp_ieee_overflow 0
		.amdhsa_exception_fp_ieee_underflow 0
		.amdhsa_exception_fp_ieee_inexact 0
		.amdhsa_exception_int_div_zero 0
	.end_amdhsa_kernel
	.section	.text._ZN7rocprim17ROCPRIM_400000_NS6detail17trampoline_kernelINS0_14default_configENS1_38merge_sort_block_merge_config_selectorIiNS0_10empty_typeEEEZZNS1_27merge_sort_block_merge_implIS3_N6thrust23THRUST_200600_302600_NS6detail15normal_iteratorINS9_10device_ptrIiEEEEPS5_jNS1_19radix_merge_compareILb1ELb0EiNS0_19identity_decomposerEEEEE10hipError_tT0_T1_T2_jT3_P12ihipStream_tbPNSt15iterator_traitsISK_E10value_typeEPNSQ_ISL_E10value_typeEPSM_NS1_7vsmem_tEENKUlT_SK_SL_SM_E_clISE_PiSF_SF_EESJ_SZ_SK_SL_SM_EUlSZ_E0_NS1_11comp_targetILNS1_3genE2ELNS1_11target_archE906ELNS1_3gpuE6ELNS1_3repE0EEENS1_38merge_mergepath_config_static_selectorELNS0_4arch9wavefront6targetE1EEEvSL_,"axG",@progbits,_ZN7rocprim17ROCPRIM_400000_NS6detail17trampoline_kernelINS0_14default_configENS1_38merge_sort_block_merge_config_selectorIiNS0_10empty_typeEEEZZNS1_27merge_sort_block_merge_implIS3_N6thrust23THRUST_200600_302600_NS6detail15normal_iteratorINS9_10device_ptrIiEEEEPS5_jNS1_19radix_merge_compareILb1ELb0EiNS0_19identity_decomposerEEEEE10hipError_tT0_T1_T2_jT3_P12ihipStream_tbPNSt15iterator_traitsISK_E10value_typeEPNSQ_ISL_E10value_typeEPSM_NS1_7vsmem_tEENKUlT_SK_SL_SM_E_clISE_PiSF_SF_EESJ_SZ_SK_SL_SM_EUlSZ_E0_NS1_11comp_targetILNS1_3genE2ELNS1_11target_archE906ELNS1_3gpuE6ELNS1_3repE0EEENS1_38merge_mergepath_config_static_selectorELNS0_4arch9wavefront6targetE1EEEvSL_,comdat
.Lfunc_end259:
	.size	_ZN7rocprim17ROCPRIM_400000_NS6detail17trampoline_kernelINS0_14default_configENS1_38merge_sort_block_merge_config_selectorIiNS0_10empty_typeEEEZZNS1_27merge_sort_block_merge_implIS3_N6thrust23THRUST_200600_302600_NS6detail15normal_iteratorINS9_10device_ptrIiEEEEPS5_jNS1_19radix_merge_compareILb1ELb0EiNS0_19identity_decomposerEEEEE10hipError_tT0_T1_T2_jT3_P12ihipStream_tbPNSt15iterator_traitsISK_E10value_typeEPNSQ_ISL_E10value_typeEPSM_NS1_7vsmem_tEENKUlT_SK_SL_SM_E_clISE_PiSF_SF_EESJ_SZ_SK_SL_SM_EUlSZ_E0_NS1_11comp_targetILNS1_3genE2ELNS1_11target_archE906ELNS1_3gpuE6ELNS1_3repE0EEENS1_38merge_mergepath_config_static_selectorELNS0_4arch9wavefront6targetE1EEEvSL_, .Lfunc_end259-_ZN7rocprim17ROCPRIM_400000_NS6detail17trampoline_kernelINS0_14default_configENS1_38merge_sort_block_merge_config_selectorIiNS0_10empty_typeEEEZZNS1_27merge_sort_block_merge_implIS3_N6thrust23THRUST_200600_302600_NS6detail15normal_iteratorINS9_10device_ptrIiEEEEPS5_jNS1_19radix_merge_compareILb1ELb0EiNS0_19identity_decomposerEEEEE10hipError_tT0_T1_T2_jT3_P12ihipStream_tbPNSt15iterator_traitsISK_E10value_typeEPNSQ_ISL_E10value_typeEPSM_NS1_7vsmem_tEENKUlT_SK_SL_SM_E_clISE_PiSF_SF_EESJ_SZ_SK_SL_SM_EUlSZ_E0_NS1_11comp_targetILNS1_3genE2ELNS1_11target_archE906ELNS1_3gpuE6ELNS1_3repE0EEENS1_38merge_mergepath_config_static_selectorELNS0_4arch9wavefront6targetE1EEEvSL_
                                        ; -- End function
	.set _ZN7rocprim17ROCPRIM_400000_NS6detail17trampoline_kernelINS0_14default_configENS1_38merge_sort_block_merge_config_selectorIiNS0_10empty_typeEEEZZNS1_27merge_sort_block_merge_implIS3_N6thrust23THRUST_200600_302600_NS6detail15normal_iteratorINS9_10device_ptrIiEEEEPS5_jNS1_19radix_merge_compareILb1ELb0EiNS0_19identity_decomposerEEEEE10hipError_tT0_T1_T2_jT3_P12ihipStream_tbPNSt15iterator_traitsISK_E10value_typeEPNSQ_ISL_E10value_typeEPSM_NS1_7vsmem_tEENKUlT_SK_SL_SM_E_clISE_PiSF_SF_EESJ_SZ_SK_SL_SM_EUlSZ_E0_NS1_11comp_targetILNS1_3genE2ELNS1_11target_archE906ELNS1_3gpuE6ELNS1_3repE0EEENS1_38merge_mergepath_config_static_selectorELNS0_4arch9wavefront6targetE1EEEvSL_.num_vgpr, 0
	.set _ZN7rocprim17ROCPRIM_400000_NS6detail17trampoline_kernelINS0_14default_configENS1_38merge_sort_block_merge_config_selectorIiNS0_10empty_typeEEEZZNS1_27merge_sort_block_merge_implIS3_N6thrust23THRUST_200600_302600_NS6detail15normal_iteratorINS9_10device_ptrIiEEEEPS5_jNS1_19radix_merge_compareILb1ELb0EiNS0_19identity_decomposerEEEEE10hipError_tT0_T1_T2_jT3_P12ihipStream_tbPNSt15iterator_traitsISK_E10value_typeEPNSQ_ISL_E10value_typeEPSM_NS1_7vsmem_tEENKUlT_SK_SL_SM_E_clISE_PiSF_SF_EESJ_SZ_SK_SL_SM_EUlSZ_E0_NS1_11comp_targetILNS1_3genE2ELNS1_11target_archE906ELNS1_3gpuE6ELNS1_3repE0EEENS1_38merge_mergepath_config_static_selectorELNS0_4arch9wavefront6targetE1EEEvSL_.num_agpr, 0
	.set _ZN7rocprim17ROCPRIM_400000_NS6detail17trampoline_kernelINS0_14default_configENS1_38merge_sort_block_merge_config_selectorIiNS0_10empty_typeEEEZZNS1_27merge_sort_block_merge_implIS3_N6thrust23THRUST_200600_302600_NS6detail15normal_iteratorINS9_10device_ptrIiEEEEPS5_jNS1_19radix_merge_compareILb1ELb0EiNS0_19identity_decomposerEEEEE10hipError_tT0_T1_T2_jT3_P12ihipStream_tbPNSt15iterator_traitsISK_E10value_typeEPNSQ_ISL_E10value_typeEPSM_NS1_7vsmem_tEENKUlT_SK_SL_SM_E_clISE_PiSF_SF_EESJ_SZ_SK_SL_SM_EUlSZ_E0_NS1_11comp_targetILNS1_3genE2ELNS1_11target_archE906ELNS1_3gpuE6ELNS1_3repE0EEENS1_38merge_mergepath_config_static_selectorELNS0_4arch9wavefront6targetE1EEEvSL_.numbered_sgpr, 0
	.set _ZN7rocprim17ROCPRIM_400000_NS6detail17trampoline_kernelINS0_14default_configENS1_38merge_sort_block_merge_config_selectorIiNS0_10empty_typeEEEZZNS1_27merge_sort_block_merge_implIS3_N6thrust23THRUST_200600_302600_NS6detail15normal_iteratorINS9_10device_ptrIiEEEEPS5_jNS1_19radix_merge_compareILb1ELb0EiNS0_19identity_decomposerEEEEE10hipError_tT0_T1_T2_jT3_P12ihipStream_tbPNSt15iterator_traitsISK_E10value_typeEPNSQ_ISL_E10value_typeEPSM_NS1_7vsmem_tEENKUlT_SK_SL_SM_E_clISE_PiSF_SF_EESJ_SZ_SK_SL_SM_EUlSZ_E0_NS1_11comp_targetILNS1_3genE2ELNS1_11target_archE906ELNS1_3gpuE6ELNS1_3repE0EEENS1_38merge_mergepath_config_static_selectorELNS0_4arch9wavefront6targetE1EEEvSL_.num_named_barrier, 0
	.set _ZN7rocprim17ROCPRIM_400000_NS6detail17trampoline_kernelINS0_14default_configENS1_38merge_sort_block_merge_config_selectorIiNS0_10empty_typeEEEZZNS1_27merge_sort_block_merge_implIS3_N6thrust23THRUST_200600_302600_NS6detail15normal_iteratorINS9_10device_ptrIiEEEEPS5_jNS1_19radix_merge_compareILb1ELb0EiNS0_19identity_decomposerEEEEE10hipError_tT0_T1_T2_jT3_P12ihipStream_tbPNSt15iterator_traitsISK_E10value_typeEPNSQ_ISL_E10value_typeEPSM_NS1_7vsmem_tEENKUlT_SK_SL_SM_E_clISE_PiSF_SF_EESJ_SZ_SK_SL_SM_EUlSZ_E0_NS1_11comp_targetILNS1_3genE2ELNS1_11target_archE906ELNS1_3gpuE6ELNS1_3repE0EEENS1_38merge_mergepath_config_static_selectorELNS0_4arch9wavefront6targetE1EEEvSL_.private_seg_size, 0
	.set _ZN7rocprim17ROCPRIM_400000_NS6detail17trampoline_kernelINS0_14default_configENS1_38merge_sort_block_merge_config_selectorIiNS0_10empty_typeEEEZZNS1_27merge_sort_block_merge_implIS3_N6thrust23THRUST_200600_302600_NS6detail15normal_iteratorINS9_10device_ptrIiEEEEPS5_jNS1_19radix_merge_compareILb1ELb0EiNS0_19identity_decomposerEEEEE10hipError_tT0_T1_T2_jT3_P12ihipStream_tbPNSt15iterator_traitsISK_E10value_typeEPNSQ_ISL_E10value_typeEPSM_NS1_7vsmem_tEENKUlT_SK_SL_SM_E_clISE_PiSF_SF_EESJ_SZ_SK_SL_SM_EUlSZ_E0_NS1_11comp_targetILNS1_3genE2ELNS1_11target_archE906ELNS1_3gpuE6ELNS1_3repE0EEENS1_38merge_mergepath_config_static_selectorELNS0_4arch9wavefront6targetE1EEEvSL_.uses_vcc, 0
	.set _ZN7rocprim17ROCPRIM_400000_NS6detail17trampoline_kernelINS0_14default_configENS1_38merge_sort_block_merge_config_selectorIiNS0_10empty_typeEEEZZNS1_27merge_sort_block_merge_implIS3_N6thrust23THRUST_200600_302600_NS6detail15normal_iteratorINS9_10device_ptrIiEEEEPS5_jNS1_19radix_merge_compareILb1ELb0EiNS0_19identity_decomposerEEEEE10hipError_tT0_T1_T2_jT3_P12ihipStream_tbPNSt15iterator_traitsISK_E10value_typeEPNSQ_ISL_E10value_typeEPSM_NS1_7vsmem_tEENKUlT_SK_SL_SM_E_clISE_PiSF_SF_EESJ_SZ_SK_SL_SM_EUlSZ_E0_NS1_11comp_targetILNS1_3genE2ELNS1_11target_archE906ELNS1_3gpuE6ELNS1_3repE0EEENS1_38merge_mergepath_config_static_selectorELNS0_4arch9wavefront6targetE1EEEvSL_.uses_flat_scratch, 0
	.set _ZN7rocprim17ROCPRIM_400000_NS6detail17trampoline_kernelINS0_14default_configENS1_38merge_sort_block_merge_config_selectorIiNS0_10empty_typeEEEZZNS1_27merge_sort_block_merge_implIS3_N6thrust23THRUST_200600_302600_NS6detail15normal_iteratorINS9_10device_ptrIiEEEEPS5_jNS1_19radix_merge_compareILb1ELb0EiNS0_19identity_decomposerEEEEE10hipError_tT0_T1_T2_jT3_P12ihipStream_tbPNSt15iterator_traitsISK_E10value_typeEPNSQ_ISL_E10value_typeEPSM_NS1_7vsmem_tEENKUlT_SK_SL_SM_E_clISE_PiSF_SF_EESJ_SZ_SK_SL_SM_EUlSZ_E0_NS1_11comp_targetILNS1_3genE2ELNS1_11target_archE906ELNS1_3gpuE6ELNS1_3repE0EEENS1_38merge_mergepath_config_static_selectorELNS0_4arch9wavefront6targetE1EEEvSL_.has_dyn_sized_stack, 0
	.set _ZN7rocprim17ROCPRIM_400000_NS6detail17trampoline_kernelINS0_14default_configENS1_38merge_sort_block_merge_config_selectorIiNS0_10empty_typeEEEZZNS1_27merge_sort_block_merge_implIS3_N6thrust23THRUST_200600_302600_NS6detail15normal_iteratorINS9_10device_ptrIiEEEEPS5_jNS1_19radix_merge_compareILb1ELb0EiNS0_19identity_decomposerEEEEE10hipError_tT0_T1_T2_jT3_P12ihipStream_tbPNSt15iterator_traitsISK_E10value_typeEPNSQ_ISL_E10value_typeEPSM_NS1_7vsmem_tEENKUlT_SK_SL_SM_E_clISE_PiSF_SF_EESJ_SZ_SK_SL_SM_EUlSZ_E0_NS1_11comp_targetILNS1_3genE2ELNS1_11target_archE906ELNS1_3gpuE6ELNS1_3repE0EEENS1_38merge_mergepath_config_static_selectorELNS0_4arch9wavefront6targetE1EEEvSL_.has_recursion, 0
	.set _ZN7rocprim17ROCPRIM_400000_NS6detail17trampoline_kernelINS0_14default_configENS1_38merge_sort_block_merge_config_selectorIiNS0_10empty_typeEEEZZNS1_27merge_sort_block_merge_implIS3_N6thrust23THRUST_200600_302600_NS6detail15normal_iteratorINS9_10device_ptrIiEEEEPS5_jNS1_19radix_merge_compareILb1ELb0EiNS0_19identity_decomposerEEEEE10hipError_tT0_T1_T2_jT3_P12ihipStream_tbPNSt15iterator_traitsISK_E10value_typeEPNSQ_ISL_E10value_typeEPSM_NS1_7vsmem_tEENKUlT_SK_SL_SM_E_clISE_PiSF_SF_EESJ_SZ_SK_SL_SM_EUlSZ_E0_NS1_11comp_targetILNS1_3genE2ELNS1_11target_archE906ELNS1_3gpuE6ELNS1_3repE0EEENS1_38merge_mergepath_config_static_selectorELNS0_4arch9wavefront6targetE1EEEvSL_.has_indirect_call, 0
	.section	.AMDGPU.csdata,"",@progbits
; Kernel info:
; codeLenInByte = 0
; TotalNumSgprs: 6
; NumVgprs: 0
; NumAgprs: 0
; TotalNumVgprs: 0
; ScratchSize: 0
; MemoryBound: 0
; FloatMode: 240
; IeeeMode: 1
; LDSByteSize: 0 bytes/workgroup (compile time only)
; SGPRBlocks: 0
; VGPRBlocks: 0
; NumSGPRsForWavesPerEU: 6
; NumVGPRsForWavesPerEU: 1
; AccumOffset: 4
; Occupancy: 8
; WaveLimiterHint : 0
; COMPUTE_PGM_RSRC2:SCRATCH_EN: 0
; COMPUTE_PGM_RSRC2:USER_SGPR: 2
; COMPUTE_PGM_RSRC2:TRAP_HANDLER: 0
; COMPUTE_PGM_RSRC2:TGID_X_EN: 1
; COMPUTE_PGM_RSRC2:TGID_Y_EN: 0
; COMPUTE_PGM_RSRC2:TGID_Z_EN: 0
; COMPUTE_PGM_RSRC2:TIDIG_COMP_CNT: 0
; COMPUTE_PGM_RSRC3_GFX90A:ACCUM_OFFSET: 0
; COMPUTE_PGM_RSRC3_GFX90A:TG_SPLIT: 0
	.section	.text._ZN7rocprim17ROCPRIM_400000_NS6detail17trampoline_kernelINS0_14default_configENS1_38merge_sort_block_merge_config_selectorIiNS0_10empty_typeEEEZZNS1_27merge_sort_block_merge_implIS3_N6thrust23THRUST_200600_302600_NS6detail15normal_iteratorINS9_10device_ptrIiEEEEPS5_jNS1_19radix_merge_compareILb1ELb0EiNS0_19identity_decomposerEEEEE10hipError_tT0_T1_T2_jT3_P12ihipStream_tbPNSt15iterator_traitsISK_E10value_typeEPNSQ_ISL_E10value_typeEPSM_NS1_7vsmem_tEENKUlT_SK_SL_SM_E_clISE_PiSF_SF_EESJ_SZ_SK_SL_SM_EUlSZ_E0_NS1_11comp_targetILNS1_3genE9ELNS1_11target_archE1100ELNS1_3gpuE3ELNS1_3repE0EEENS1_38merge_mergepath_config_static_selectorELNS0_4arch9wavefront6targetE1EEEvSL_,"axG",@progbits,_ZN7rocprim17ROCPRIM_400000_NS6detail17trampoline_kernelINS0_14default_configENS1_38merge_sort_block_merge_config_selectorIiNS0_10empty_typeEEEZZNS1_27merge_sort_block_merge_implIS3_N6thrust23THRUST_200600_302600_NS6detail15normal_iteratorINS9_10device_ptrIiEEEEPS5_jNS1_19radix_merge_compareILb1ELb0EiNS0_19identity_decomposerEEEEE10hipError_tT0_T1_T2_jT3_P12ihipStream_tbPNSt15iterator_traitsISK_E10value_typeEPNSQ_ISL_E10value_typeEPSM_NS1_7vsmem_tEENKUlT_SK_SL_SM_E_clISE_PiSF_SF_EESJ_SZ_SK_SL_SM_EUlSZ_E0_NS1_11comp_targetILNS1_3genE9ELNS1_11target_archE1100ELNS1_3gpuE3ELNS1_3repE0EEENS1_38merge_mergepath_config_static_selectorELNS0_4arch9wavefront6targetE1EEEvSL_,comdat
	.protected	_ZN7rocprim17ROCPRIM_400000_NS6detail17trampoline_kernelINS0_14default_configENS1_38merge_sort_block_merge_config_selectorIiNS0_10empty_typeEEEZZNS1_27merge_sort_block_merge_implIS3_N6thrust23THRUST_200600_302600_NS6detail15normal_iteratorINS9_10device_ptrIiEEEEPS5_jNS1_19radix_merge_compareILb1ELb0EiNS0_19identity_decomposerEEEEE10hipError_tT0_T1_T2_jT3_P12ihipStream_tbPNSt15iterator_traitsISK_E10value_typeEPNSQ_ISL_E10value_typeEPSM_NS1_7vsmem_tEENKUlT_SK_SL_SM_E_clISE_PiSF_SF_EESJ_SZ_SK_SL_SM_EUlSZ_E0_NS1_11comp_targetILNS1_3genE9ELNS1_11target_archE1100ELNS1_3gpuE3ELNS1_3repE0EEENS1_38merge_mergepath_config_static_selectorELNS0_4arch9wavefront6targetE1EEEvSL_ ; -- Begin function _ZN7rocprim17ROCPRIM_400000_NS6detail17trampoline_kernelINS0_14default_configENS1_38merge_sort_block_merge_config_selectorIiNS0_10empty_typeEEEZZNS1_27merge_sort_block_merge_implIS3_N6thrust23THRUST_200600_302600_NS6detail15normal_iteratorINS9_10device_ptrIiEEEEPS5_jNS1_19radix_merge_compareILb1ELb0EiNS0_19identity_decomposerEEEEE10hipError_tT0_T1_T2_jT3_P12ihipStream_tbPNSt15iterator_traitsISK_E10value_typeEPNSQ_ISL_E10value_typeEPSM_NS1_7vsmem_tEENKUlT_SK_SL_SM_E_clISE_PiSF_SF_EESJ_SZ_SK_SL_SM_EUlSZ_E0_NS1_11comp_targetILNS1_3genE9ELNS1_11target_archE1100ELNS1_3gpuE3ELNS1_3repE0EEENS1_38merge_mergepath_config_static_selectorELNS0_4arch9wavefront6targetE1EEEvSL_
	.globl	_ZN7rocprim17ROCPRIM_400000_NS6detail17trampoline_kernelINS0_14default_configENS1_38merge_sort_block_merge_config_selectorIiNS0_10empty_typeEEEZZNS1_27merge_sort_block_merge_implIS3_N6thrust23THRUST_200600_302600_NS6detail15normal_iteratorINS9_10device_ptrIiEEEEPS5_jNS1_19radix_merge_compareILb1ELb0EiNS0_19identity_decomposerEEEEE10hipError_tT0_T1_T2_jT3_P12ihipStream_tbPNSt15iterator_traitsISK_E10value_typeEPNSQ_ISL_E10value_typeEPSM_NS1_7vsmem_tEENKUlT_SK_SL_SM_E_clISE_PiSF_SF_EESJ_SZ_SK_SL_SM_EUlSZ_E0_NS1_11comp_targetILNS1_3genE9ELNS1_11target_archE1100ELNS1_3gpuE3ELNS1_3repE0EEENS1_38merge_mergepath_config_static_selectorELNS0_4arch9wavefront6targetE1EEEvSL_
	.p2align	8
	.type	_ZN7rocprim17ROCPRIM_400000_NS6detail17trampoline_kernelINS0_14default_configENS1_38merge_sort_block_merge_config_selectorIiNS0_10empty_typeEEEZZNS1_27merge_sort_block_merge_implIS3_N6thrust23THRUST_200600_302600_NS6detail15normal_iteratorINS9_10device_ptrIiEEEEPS5_jNS1_19radix_merge_compareILb1ELb0EiNS0_19identity_decomposerEEEEE10hipError_tT0_T1_T2_jT3_P12ihipStream_tbPNSt15iterator_traitsISK_E10value_typeEPNSQ_ISL_E10value_typeEPSM_NS1_7vsmem_tEENKUlT_SK_SL_SM_E_clISE_PiSF_SF_EESJ_SZ_SK_SL_SM_EUlSZ_E0_NS1_11comp_targetILNS1_3genE9ELNS1_11target_archE1100ELNS1_3gpuE3ELNS1_3repE0EEENS1_38merge_mergepath_config_static_selectorELNS0_4arch9wavefront6targetE1EEEvSL_,@function
_ZN7rocprim17ROCPRIM_400000_NS6detail17trampoline_kernelINS0_14default_configENS1_38merge_sort_block_merge_config_selectorIiNS0_10empty_typeEEEZZNS1_27merge_sort_block_merge_implIS3_N6thrust23THRUST_200600_302600_NS6detail15normal_iteratorINS9_10device_ptrIiEEEEPS5_jNS1_19radix_merge_compareILb1ELb0EiNS0_19identity_decomposerEEEEE10hipError_tT0_T1_T2_jT3_P12ihipStream_tbPNSt15iterator_traitsISK_E10value_typeEPNSQ_ISL_E10value_typeEPSM_NS1_7vsmem_tEENKUlT_SK_SL_SM_E_clISE_PiSF_SF_EESJ_SZ_SK_SL_SM_EUlSZ_E0_NS1_11comp_targetILNS1_3genE9ELNS1_11target_archE1100ELNS1_3gpuE3ELNS1_3repE0EEENS1_38merge_mergepath_config_static_selectorELNS0_4arch9wavefront6targetE1EEEvSL_: ; @_ZN7rocprim17ROCPRIM_400000_NS6detail17trampoline_kernelINS0_14default_configENS1_38merge_sort_block_merge_config_selectorIiNS0_10empty_typeEEEZZNS1_27merge_sort_block_merge_implIS3_N6thrust23THRUST_200600_302600_NS6detail15normal_iteratorINS9_10device_ptrIiEEEEPS5_jNS1_19radix_merge_compareILb1ELb0EiNS0_19identity_decomposerEEEEE10hipError_tT0_T1_T2_jT3_P12ihipStream_tbPNSt15iterator_traitsISK_E10value_typeEPNSQ_ISL_E10value_typeEPSM_NS1_7vsmem_tEENKUlT_SK_SL_SM_E_clISE_PiSF_SF_EESJ_SZ_SK_SL_SM_EUlSZ_E0_NS1_11comp_targetILNS1_3genE9ELNS1_11target_archE1100ELNS1_3gpuE3ELNS1_3repE0EEENS1_38merge_mergepath_config_static_selectorELNS0_4arch9wavefront6targetE1EEEvSL_
; %bb.0:
	.section	.rodata,"a",@progbits
	.p2align	6, 0x0
	.amdhsa_kernel _ZN7rocprim17ROCPRIM_400000_NS6detail17trampoline_kernelINS0_14default_configENS1_38merge_sort_block_merge_config_selectorIiNS0_10empty_typeEEEZZNS1_27merge_sort_block_merge_implIS3_N6thrust23THRUST_200600_302600_NS6detail15normal_iteratorINS9_10device_ptrIiEEEEPS5_jNS1_19radix_merge_compareILb1ELb0EiNS0_19identity_decomposerEEEEE10hipError_tT0_T1_T2_jT3_P12ihipStream_tbPNSt15iterator_traitsISK_E10value_typeEPNSQ_ISL_E10value_typeEPSM_NS1_7vsmem_tEENKUlT_SK_SL_SM_E_clISE_PiSF_SF_EESJ_SZ_SK_SL_SM_EUlSZ_E0_NS1_11comp_targetILNS1_3genE9ELNS1_11target_archE1100ELNS1_3gpuE3ELNS1_3repE0EEENS1_38merge_mergepath_config_static_selectorELNS0_4arch9wavefront6targetE1EEEvSL_
		.amdhsa_group_segment_fixed_size 0
		.amdhsa_private_segment_fixed_size 0
		.amdhsa_kernarg_size 64
		.amdhsa_user_sgpr_count 2
		.amdhsa_user_sgpr_dispatch_ptr 0
		.amdhsa_user_sgpr_queue_ptr 0
		.amdhsa_user_sgpr_kernarg_segment_ptr 1
		.amdhsa_user_sgpr_dispatch_id 0
		.amdhsa_user_sgpr_kernarg_preload_length 0
		.amdhsa_user_sgpr_kernarg_preload_offset 0
		.amdhsa_user_sgpr_private_segment_size 0
		.amdhsa_uses_dynamic_stack 0
		.amdhsa_enable_private_segment 0
		.amdhsa_system_sgpr_workgroup_id_x 1
		.amdhsa_system_sgpr_workgroup_id_y 0
		.amdhsa_system_sgpr_workgroup_id_z 0
		.amdhsa_system_sgpr_workgroup_info 0
		.amdhsa_system_vgpr_workitem_id 0
		.amdhsa_next_free_vgpr 1
		.amdhsa_next_free_sgpr 0
		.amdhsa_accum_offset 4
		.amdhsa_reserve_vcc 0
		.amdhsa_float_round_mode_32 0
		.amdhsa_float_round_mode_16_64 0
		.amdhsa_float_denorm_mode_32 3
		.amdhsa_float_denorm_mode_16_64 3
		.amdhsa_dx10_clamp 1
		.amdhsa_ieee_mode 1
		.amdhsa_fp16_overflow 0
		.amdhsa_tg_split 0
		.amdhsa_exception_fp_ieee_invalid_op 0
		.amdhsa_exception_fp_denorm_src 0
		.amdhsa_exception_fp_ieee_div_zero 0
		.amdhsa_exception_fp_ieee_overflow 0
		.amdhsa_exception_fp_ieee_underflow 0
		.amdhsa_exception_fp_ieee_inexact 0
		.amdhsa_exception_int_div_zero 0
	.end_amdhsa_kernel
	.section	.text._ZN7rocprim17ROCPRIM_400000_NS6detail17trampoline_kernelINS0_14default_configENS1_38merge_sort_block_merge_config_selectorIiNS0_10empty_typeEEEZZNS1_27merge_sort_block_merge_implIS3_N6thrust23THRUST_200600_302600_NS6detail15normal_iteratorINS9_10device_ptrIiEEEEPS5_jNS1_19radix_merge_compareILb1ELb0EiNS0_19identity_decomposerEEEEE10hipError_tT0_T1_T2_jT3_P12ihipStream_tbPNSt15iterator_traitsISK_E10value_typeEPNSQ_ISL_E10value_typeEPSM_NS1_7vsmem_tEENKUlT_SK_SL_SM_E_clISE_PiSF_SF_EESJ_SZ_SK_SL_SM_EUlSZ_E0_NS1_11comp_targetILNS1_3genE9ELNS1_11target_archE1100ELNS1_3gpuE3ELNS1_3repE0EEENS1_38merge_mergepath_config_static_selectorELNS0_4arch9wavefront6targetE1EEEvSL_,"axG",@progbits,_ZN7rocprim17ROCPRIM_400000_NS6detail17trampoline_kernelINS0_14default_configENS1_38merge_sort_block_merge_config_selectorIiNS0_10empty_typeEEEZZNS1_27merge_sort_block_merge_implIS3_N6thrust23THRUST_200600_302600_NS6detail15normal_iteratorINS9_10device_ptrIiEEEEPS5_jNS1_19radix_merge_compareILb1ELb0EiNS0_19identity_decomposerEEEEE10hipError_tT0_T1_T2_jT3_P12ihipStream_tbPNSt15iterator_traitsISK_E10value_typeEPNSQ_ISL_E10value_typeEPSM_NS1_7vsmem_tEENKUlT_SK_SL_SM_E_clISE_PiSF_SF_EESJ_SZ_SK_SL_SM_EUlSZ_E0_NS1_11comp_targetILNS1_3genE9ELNS1_11target_archE1100ELNS1_3gpuE3ELNS1_3repE0EEENS1_38merge_mergepath_config_static_selectorELNS0_4arch9wavefront6targetE1EEEvSL_,comdat
.Lfunc_end260:
	.size	_ZN7rocprim17ROCPRIM_400000_NS6detail17trampoline_kernelINS0_14default_configENS1_38merge_sort_block_merge_config_selectorIiNS0_10empty_typeEEEZZNS1_27merge_sort_block_merge_implIS3_N6thrust23THRUST_200600_302600_NS6detail15normal_iteratorINS9_10device_ptrIiEEEEPS5_jNS1_19radix_merge_compareILb1ELb0EiNS0_19identity_decomposerEEEEE10hipError_tT0_T1_T2_jT3_P12ihipStream_tbPNSt15iterator_traitsISK_E10value_typeEPNSQ_ISL_E10value_typeEPSM_NS1_7vsmem_tEENKUlT_SK_SL_SM_E_clISE_PiSF_SF_EESJ_SZ_SK_SL_SM_EUlSZ_E0_NS1_11comp_targetILNS1_3genE9ELNS1_11target_archE1100ELNS1_3gpuE3ELNS1_3repE0EEENS1_38merge_mergepath_config_static_selectorELNS0_4arch9wavefront6targetE1EEEvSL_, .Lfunc_end260-_ZN7rocprim17ROCPRIM_400000_NS6detail17trampoline_kernelINS0_14default_configENS1_38merge_sort_block_merge_config_selectorIiNS0_10empty_typeEEEZZNS1_27merge_sort_block_merge_implIS3_N6thrust23THRUST_200600_302600_NS6detail15normal_iteratorINS9_10device_ptrIiEEEEPS5_jNS1_19radix_merge_compareILb1ELb0EiNS0_19identity_decomposerEEEEE10hipError_tT0_T1_T2_jT3_P12ihipStream_tbPNSt15iterator_traitsISK_E10value_typeEPNSQ_ISL_E10value_typeEPSM_NS1_7vsmem_tEENKUlT_SK_SL_SM_E_clISE_PiSF_SF_EESJ_SZ_SK_SL_SM_EUlSZ_E0_NS1_11comp_targetILNS1_3genE9ELNS1_11target_archE1100ELNS1_3gpuE3ELNS1_3repE0EEENS1_38merge_mergepath_config_static_selectorELNS0_4arch9wavefront6targetE1EEEvSL_
                                        ; -- End function
	.set _ZN7rocprim17ROCPRIM_400000_NS6detail17trampoline_kernelINS0_14default_configENS1_38merge_sort_block_merge_config_selectorIiNS0_10empty_typeEEEZZNS1_27merge_sort_block_merge_implIS3_N6thrust23THRUST_200600_302600_NS6detail15normal_iteratorINS9_10device_ptrIiEEEEPS5_jNS1_19radix_merge_compareILb1ELb0EiNS0_19identity_decomposerEEEEE10hipError_tT0_T1_T2_jT3_P12ihipStream_tbPNSt15iterator_traitsISK_E10value_typeEPNSQ_ISL_E10value_typeEPSM_NS1_7vsmem_tEENKUlT_SK_SL_SM_E_clISE_PiSF_SF_EESJ_SZ_SK_SL_SM_EUlSZ_E0_NS1_11comp_targetILNS1_3genE9ELNS1_11target_archE1100ELNS1_3gpuE3ELNS1_3repE0EEENS1_38merge_mergepath_config_static_selectorELNS0_4arch9wavefront6targetE1EEEvSL_.num_vgpr, 0
	.set _ZN7rocprim17ROCPRIM_400000_NS6detail17trampoline_kernelINS0_14default_configENS1_38merge_sort_block_merge_config_selectorIiNS0_10empty_typeEEEZZNS1_27merge_sort_block_merge_implIS3_N6thrust23THRUST_200600_302600_NS6detail15normal_iteratorINS9_10device_ptrIiEEEEPS5_jNS1_19radix_merge_compareILb1ELb0EiNS0_19identity_decomposerEEEEE10hipError_tT0_T1_T2_jT3_P12ihipStream_tbPNSt15iterator_traitsISK_E10value_typeEPNSQ_ISL_E10value_typeEPSM_NS1_7vsmem_tEENKUlT_SK_SL_SM_E_clISE_PiSF_SF_EESJ_SZ_SK_SL_SM_EUlSZ_E0_NS1_11comp_targetILNS1_3genE9ELNS1_11target_archE1100ELNS1_3gpuE3ELNS1_3repE0EEENS1_38merge_mergepath_config_static_selectorELNS0_4arch9wavefront6targetE1EEEvSL_.num_agpr, 0
	.set _ZN7rocprim17ROCPRIM_400000_NS6detail17trampoline_kernelINS0_14default_configENS1_38merge_sort_block_merge_config_selectorIiNS0_10empty_typeEEEZZNS1_27merge_sort_block_merge_implIS3_N6thrust23THRUST_200600_302600_NS6detail15normal_iteratorINS9_10device_ptrIiEEEEPS5_jNS1_19radix_merge_compareILb1ELb0EiNS0_19identity_decomposerEEEEE10hipError_tT0_T1_T2_jT3_P12ihipStream_tbPNSt15iterator_traitsISK_E10value_typeEPNSQ_ISL_E10value_typeEPSM_NS1_7vsmem_tEENKUlT_SK_SL_SM_E_clISE_PiSF_SF_EESJ_SZ_SK_SL_SM_EUlSZ_E0_NS1_11comp_targetILNS1_3genE9ELNS1_11target_archE1100ELNS1_3gpuE3ELNS1_3repE0EEENS1_38merge_mergepath_config_static_selectorELNS0_4arch9wavefront6targetE1EEEvSL_.numbered_sgpr, 0
	.set _ZN7rocprim17ROCPRIM_400000_NS6detail17trampoline_kernelINS0_14default_configENS1_38merge_sort_block_merge_config_selectorIiNS0_10empty_typeEEEZZNS1_27merge_sort_block_merge_implIS3_N6thrust23THRUST_200600_302600_NS6detail15normal_iteratorINS9_10device_ptrIiEEEEPS5_jNS1_19radix_merge_compareILb1ELb0EiNS0_19identity_decomposerEEEEE10hipError_tT0_T1_T2_jT3_P12ihipStream_tbPNSt15iterator_traitsISK_E10value_typeEPNSQ_ISL_E10value_typeEPSM_NS1_7vsmem_tEENKUlT_SK_SL_SM_E_clISE_PiSF_SF_EESJ_SZ_SK_SL_SM_EUlSZ_E0_NS1_11comp_targetILNS1_3genE9ELNS1_11target_archE1100ELNS1_3gpuE3ELNS1_3repE0EEENS1_38merge_mergepath_config_static_selectorELNS0_4arch9wavefront6targetE1EEEvSL_.num_named_barrier, 0
	.set _ZN7rocprim17ROCPRIM_400000_NS6detail17trampoline_kernelINS0_14default_configENS1_38merge_sort_block_merge_config_selectorIiNS0_10empty_typeEEEZZNS1_27merge_sort_block_merge_implIS3_N6thrust23THRUST_200600_302600_NS6detail15normal_iteratorINS9_10device_ptrIiEEEEPS5_jNS1_19radix_merge_compareILb1ELb0EiNS0_19identity_decomposerEEEEE10hipError_tT0_T1_T2_jT3_P12ihipStream_tbPNSt15iterator_traitsISK_E10value_typeEPNSQ_ISL_E10value_typeEPSM_NS1_7vsmem_tEENKUlT_SK_SL_SM_E_clISE_PiSF_SF_EESJ_SZ_SK_SL_SM_EUlSZ_E0_NS1_11comp_targetILNS1_3genE9ELNS1_11target_archE1100ELNS1_3gpuE3ELNS1_3repE0EEENS1_38merge_mergepath_config_static_selectorELNS0_4arch9wavefront6targetE1EEEvSL_.private_seg_size, 0
	.set _ZN7rocprim17ROCPRIM_400000_NS6detail17trampoline_kernelINS0_14default_configENS1_38merge_sort_block_merge_config_selectorIiNS0_10empty_typeEEEZZNS1_27merge_sort_block_merge_implIS3_N6thrust23THRUST_200600_302600_NS6detail15normal_iteratorINS9_10device_ptrIiEEEEPS5_jNS1_19radix_merge_compareILb1ELb0EiNS0_19identity_decomposerEEEEE10hipError_tT0_T1_T2_jT3_P12ihipStream_tbPNSt15iterator_traitsISK_E10value_typeEPNSQ_ISL_E10value_typeEPSM_NS1_7vsmem_tEENKUlT_SK_SL_SM_E_clISE_PiSF_SF_EESJ_SZ_SK_SL_SM_EUlSZ_E0_NS1_11comp_targetILNS1_3genE9ELNS1_11target_archE1100ELNS1_3gpuE3ELNS1_3repE0EEENS1_38merge_mergepath_config_static_selectorELNS0_4arch9wavefront6targetE1EEEvSL_.uses_vcc, 0
	.set _ZN7rocprim17ROCPRIM_400000_NS6detail17trampoline_kernelINS0_14default_configENS1_38merge_sort_block_merge_config_selectorIiNS0_10empty_typeEEEZZNS1_27merge_sort_block_merge_implIS3_N6thrust23THRUST_200600_302600_NS6detail15normal_iteratorINS9_10device_ptrIiEEEEPS5_jNS1_19radix_merge_compareILb1ELb0EiNS0_19identity_decomposerEEEEE10hipError_tT0_T1_T2_jT3_P12ihipStream_tbPNSt15iterator_traitsISK_E10value_typeEPNSQ_ISL_E10value_typeEPSM_NS1_7vsmem_tEENKUlT_SK_SL_SM_E_clISE_PiSF_SF_EESJ_SZ_SK_SL_SM_EUlSZ_E0_NS1_11comp_targetILNS1_3genE9ELNS1_11target_archE1100ELNS1_3gpuE3ELNS1_3repE0EEENS1_38merge_mergepath_config_static_selectorELNS0_4arch9wavefront6targetE1EEEvSL_.uses_flat_scratch, 0
	.set _ZN7rocprim17ROCPRIM_400000_NS6detail17trampoline_kernelINS0_14default_configENS1_38merge_sort_block_merge_config_selectorIiNS0_10empty_typeEEEZZNS1_27merge_sort_block_merge_implIS3_N6thrust23THRUST_200600_302600_NS6detail15normal_iteratorINS9_10device_ptrIiEEEEPS5_jNS1_19radix_merge_compareILb1ELb0EiNS0_19identity_decomposerEEEEE10hipError_tT0_T1_T2_jT3_P12ihipStream_tbPNSt15iterator_traitsISK_E10value_typeEPNSQ_ISL_E10value_typeEPSM_NS1_7vsmem_tEENKUlT_SK_SL_SM_E_clISE_PiSF_SF_EESJ_SZ_SK_SL_SM_EUlSZ_E0_NS1_11comp_targetILNS1_3genE9ELNS1_11target_archE1100ELNS1_3gpuE3ELNS1_3repE0EEENS1_38merge_mergepath_config_static_selectorELNS0_4arch9wavefront6targetE1EEEvSL_.has_dyn_sized_stack, 0
	.set _ZN7rocprim17ROCPRIM_400000_NS6detail17trampoline_kernelINS0_14default_configENS1_38merge_sort_block_merge_config_selectorIiNS0_10empty_typeEEEZZNS1_27merge_sort_block_merge_implIS3_N6thrust23THRUST_200600_302600_NS6detail15normal_iteratorINS9_10device_ptrIiEEEEPS5_jNS1_19radix_merge_compareILb1ELb0EiNS0_19identity_decomposerEEEEE10hipError_tT0_T1_T2_jT3_P12ihipStream_tbPNSt15iterator_traitsISK_E10value_typeEPNSQ_ISL_E10value_typeEPSM_NS1_7vsmem_tEENKUlT_SK_SL_SM_E_clISE_PiSF_SF_EESJ_SZ_SK_SL_SM_EUlSZ_E0_NS1_11comp_targetILNS1_3genE9ELNS1_11target_archE1100ELNS1_3gpuE3ELNS1_3repE0EEENS1_38merge_mergepath_config_static_selectorELNS0_4arch9wavefront6targetE1EEEvSL_.has_recursion, 0
	.set _ZN7rocprim17ROCPRIM_400000_NS6detail17trampoline_kernelINS0_14default_configENS1_38merge_sort_block_merge_config_selectorIiNS0_10empty_typeEEEZZNS1_27merge_sort_block_merge_implIS3_N6thrust23THRUST_200600_302600_NS6detail15normal_iteratorINS9_10device_ptrIiEEEEPS5_jNS1_19radix_merge_compareILb1ELb0EiNS0_19identity_decomposerEEEEE10hipError_tT0_T1_T2_jT3_P12ihipStream_tbPNSt15iterator_traitsISK_E10value_typeEPNSQ_ISL_E10value_typeEPSM_NS1_7vsmem_tEENKUlT_SK_SL_SM_E_clISE_PiSF_SF_EESJ_SZ_SK_SL_SM_EUlSZ_E0_NS1_11comp_targetILNS1_3genE9ELNS1_11target_archE1100ELNS1_3gpuE3ELNS1_3repE0EEENS1_38merge_mergepath_config_static_selectorELNS0_4arch9wavefront6targetE1EEEvSL_.has_indirect_call, 0
	.section	.AMDGPU.csdata,"",@progbits
; Kernel info:
; codeLenInByte = 0
; TotalNumSgprs: 6
; NumVgprs: 0
; NumAgprs: 0
; TotalNumVgprs: 0
; ScratchSize: 0
; MemoryBound: 0
; FloatMode: 240
; IeeeMode: 1
; LDSByteSize: 0 bytes/workgroup (compile time only)
; SGPRBlocks: 0
; VGPRBlocks: 0
; NumSGPRsForWavesPerEU: 6
; NumVGPRsForWavesPerEU: 1
; AccumOffset: 4
; Occupancy: 8
; WaveLimiterHint : 0
; COMPUTE_PGM_RSRC2:SCRATCH_EN: 0
; COMPUTE_PGM_RSRC2:USER_SGPR: 2
; COMPUTE_PGM_RSRC2:TRAP_HANDLER: 0
; COMPUTE_PGM_RSRC2:TGID_X_EN: 1
; COMPUTE_PGM_RSRC2:TGID_Y_EN: 0
; COMPUTE_PGM_RSRC2:TGID_Z_EN: 0
; COMPUTE_PGM_RSRC2:TIDIG_COMP_CNT: 0
; COMPUTE_PGM_RSRC3_GFX90A:ACCUM_OFFSET: 0
; COMPUTE_PGM_RSRC3_GFX90A:TG_SPLIT: 0
	.section	.text._ZN7rocprim17ROCPRIM_400000_NS6detail17trampoline_kernelINS0_14default_configENS1_38merge_sort_block_merge_config_selectorIiNS0_10empty_typeEEEZZNS1_27merge_sort_block_merge_implIS3_N6thrust23THRUST_200600_302600_NS6detail15normal_iteratorINS9_10device_ptrIiEEEEPS5_jNS1_19radix_merge_compareILb1ELb0EiNS0_19identity_decomposerEEEEE10hipError_tT0_T1_T2_jT3_P12ihipStream_tbPNSt15iterator_traitsISK_E10value_typeEPNSQ_ISL_E10value_typeEPSM_NS1_7vsmem_tEENKUlT_SK_SL_SM_E_clISE_PiSF_SF_EESJ_SZ_SK_SL_SM_EUlSZ_E0_NS1_11comp_targetILNS1_3genE8ELNS1_11target_archE1030ELNS1_3gpuE2ELNS1_3repE0EEENS1_38merge_mergepath_config_static_selectorELNS0_4arch9wavefront6targetE1EEEvSL_,"axG",@progbits,_ZN7rocprim17ROCPRIM_400000_NS6detail17trampoline_kernelINS0_14default_configENS1_38merge_sort_block_merge_config_selectorIiNS0_10empty_typeEEEZZNS1_27merge_sort_block_merge_implIS3_N6thrust23THRUST_200600_302600_NS6detail15normal_iteratorINS9_10device_ptrIiEEEEPS5_jNS1_19radix_merge_compareILb1ELb0EiNS0_19identity_decomposerEEEEE10hipError_tT0_T1_T2_jT3_P12ihipStream_tbPNSt15iterator_traitsISK_E10value_typeEPNSQ_ISL_E10value_typeEPSM_NS1_7vsmem_tEENKUlT_SK_SL_SM_E_clISE_PiSF_SF_EESJ_SZ_SK_SL_SM_EUlSZ_E0_NS1_11comp_targetILNS1_3genE8ELNS1_11target_archE1030ELNS1_3gpuE2ELNS1_3repE0EEENS1_38merge_mergepath_config_static_selectorELNS0_4arch9wavefront6targetE1EEEvSL_,comdat
	.protected	_ZN7rocprim17ROCPRIM_400000_NS6detail17trampoline_kernelINS0_14default_configENS1_38merge_sort_block_merge_config_selectorIiNS0_10empty_typeEEEZZNS1_27merge_sort_block_merge_implIS3_N6thrust23THRUST_200600_302600_NS6detail15normal_iteratorINS9_10device_ptrIiEEEEPS5_jNS1_19radix_merge_compareILb1ELb0EiNS0_19identity_decomposerEEEEE10hipError_tT0_T1_T2_jT3_P12ihipStream_tbPNSt15iterator_traitsISK_E10value_typeEPNSQ_ISL_E10value_typeEPSM_NS1_7vsmem_tEENKUlT_SK_SL_SM_E_clISE_PiSF_SF_EESJ_SZ_SK_SL_SM_EUlSZ_E0_NS1_11comp_targetILNS1_3genE8ELNS1_11target_archE1030ELNS1_3gpuE2ELNS1_3repE0EEENS1_38merge_mergepath_config_static_selectorELNS0_4arch9wavefront6targetE1EEEvSL_ ; -- Begin function _ZN7rocprim17ROCPRIM_400000_NS6detail17trampoline_kernelINS0_14default_configENS1_38merge_sort_block_merge_config_selectorIiNS0_10empty_typeEEEZZNS1_27merge_sort_block_merge_implIS3_N6thrust23THRUST_200600_302600_NS6detail15normal_iteratorINS9_10device_ptrIiEEEEPS5_jNS1_19radix_merge_compareILb1ELb0EiNS0_19identity_decomposerEEEEE10hipError_tT0_T1_T2_jT3_P12ihipStream_tbPNSt15iterator_traitsISK_E10value_typeEPNSQ_ISL_E10value_typeEPSM_NS1_7vsmem_tEENKUlT_SK_SL_SM_E_clISE_PiSF_SF_EESJ_SZ_SK_SL_SM_EUlSZ_E0_NS1_11comp_targetILNS1_3genE8ELNS1_11target_archE1030ELNS1_3gpuE2ELNS1_3repE0EEENS1_38merge_mergepath_config_static_selectorELNS0_4arch9wavefront6targetE1EEEvSL_
	.globl	_ZN7rocprim17ROCPRIM_400000_NS6detail17trampoline_kernelINS0_14default_configENS1_38merge_sort_block_merge_config_selectorIiNS0_10empty_typeEEEZZNS1_27merge_sort_block_merge_implIS3_N6thrust23THRUST_200600_302600_NS6detail15normal_iteratorINS9_10device_ptrIiEEEEPS5_jNS1_19radix_merge_compareILb1ELb0EiNS0_19identity_decomposerEEEEE10hipError_tT0_T1_T2_jT3_P12ihipStream_tbPNSt15iterator_traitsISK_E10value_typeEPNSQ_ISL_E10value_typeEPSM_NS1_7vsmem_tEENKUlT_SK_SL_SM_E_clISE_PiSF_SF_EESJ_SZ_SK_SL_SM_EUlSZ_E0_NS1_11comp_targetILNS1_3genE8ELNS1_11target_archE1030ELNS1_3gpuE2ELNS1_3repE0EEENS1_38merge_mergepath_config_static_selectorELNS0_4arch9wavefront6targetE1EEEvSL_
	.p2align	8
	.type	_ZN7rocprim17ROCPRIM_400000_NS6detail17trampoline_kernelINS0_14default_configENS1_38merge_sort_block_merge_config_selectorIiNS0_10empty_typeEEEZZNS1_27merge_sort_block_merge_implIS3_N6thrust23THRUST_200600_302600_NS6detail15normal_iteratorINS9_10device_ptrIiEEEEPS5_jNS1_19radix_merge_compareILb1ELb0EiNS0_19identity_decomposerEEEEE10hipError_tT0_T1_T2_jT3_P12ihipStream_tbPNSt15iterator_traitsISK_E10value_typeEPNSQ_ISL_E10value_typeEPSM_NS1_7vsmem_tEENKUlT_SK_SL_SM_E_clISE_PiSF_SF_EESJ_SZ_SK_SL_SM_EUlSZ_E0_NS1_11comp_targetILNS1_3genE8ELNS1_11target_archE1030ELNS1_3gpuE2ELNS1_3repE0EEENS1_38merge_mergepath_config_static_selectorELNS0_4arch9wavefront6targetE1EEEvSL_,@function
_ZN7rocprim17ROCPRIM_400000_NS6detail17trampoline_kernelINS0_14default_configENS1_38merge_sort_block_merge_config_selectorIiNS0_10empty_typeEEEZZNS1_27merge_sort_block_merge_implIS3_N6thrust23THRUST_200600_302600_NS6detail15normal_iteratorINS9_10device_ptrIiEEEEPS5_jNS1_19radix_merge_compareILb1ELb0EiNS0_19identity_decomposerEEEEE10hipError_tT0_T1_T2_jT3_P12ihipStream_tbPNSt15iterator_traitsISK_E10value_typeEPNSQ_ISL_E10value_typeEPSM_NS1_7vsmem_tEENKUlT_SK_SL_SM_E_clISE_PiSF_SF_EESJ_SZ_SK_SL_SM_EUlSZ_E0_NS1_11comp_targetILNS1_3genE8ELNS1_11target_archE1030ELNS1_3gpuE2ELNS1_3repE0EEENS1_38merge_mergepath_config_static_selectorELNS0_4arch9wavefront6targetE1EEEvSL_: ; @_ZN7rocprim17ROCPRIM_400000_NS6detail17trampoline_kernelINS0_14default_configENS1_38merge_sort_block_merge_config_selectorIiNS0_10empty_typeEEEZZNS1_27merge_sort_block_merge_implIS3_N6thrust23THRUST_200600_302600_NS6detail15normal_iteratorINS9_10device_ptrIiEEEEPS5_jNS1_19radix_merge_compareILb1ELb0EiNS0_19identity_decomposerEEEEE10hipError_tT0_T1_T2_jT3_P12ihipStream_tbPNSt15iterator_traitsISK_E10value_typeEPNSQ_ISL_E10value_typeEPSM_NS1_7vsmem_tEENKUlT_SK_SL_SM_E_clISE_PiSF_SF_EESJ_SZ_SK_SL_SM_EUlSZ_E0_NS1_11comp_targetILNS1_3genE8ELNS1_11target_archE1030ELNS1_3gpuE2ELNS1_3repE0EEENS1_38merge_mergepath_config_static_selectorELNS0_4arch9wavefront6targetE1EEEvSL_
; %bb.0:
	.section	.rodata,"a",@progbits
	.p2align	6, 0x0
	.amdhsa_kernel _ZN7rocprim17ROCPRIM_400000_NS6detail17trampoline_kernelINS0_14default_configENS1_38merge_sort_block_merge_config_selectorIiNS0_10empty_typeEEEZZNS1_27merge_sort_block_merge_implIS3_N6thrust23THRUST_200600_302600_NS6detail15normal_iteratorINS9_10device_ptrIiEEEEPS5_jNS1_19radix_merge_compareILb1ELb0EiNS0_19identity_decomposerEEEEE10hipError_tT0_T1_T2_jT3_P12ihipStream_tbPNSt15iterator_traitsISK_E10value_typeEPNSQ_ISL_E10value_typeEPSM_NS1_7vsmem_tEENKUlT_SK_SL_SM_E_clISE_PiSF_SF_EESJ_SZ_SK_SL_SM_EUlSZ_E0_NS1_11comp_targetILNS1_3genE8ELNS1_11target_archE1030ELNS1_3gpuE2ELNS1_3repE0EEENS1_38merge_mergepath_config_static_selectorELNS0_4arch9wavefront6targetE1EEEvSL_
		.amdhsa_group_segment_fixed_size 0
		.amdhsa_private_segment_fixed_size 0
		.amdhsa_kernarg_size 64
		.amdhsa_user_sgpr_count 2
		.amdhsa_user_sgpr_dispatch_ptr 0
		.amdhsa_user_sgpr_queue_ptr 0
		.amdhsa_user_sgpr_kernarg_segment_ptr 1
		.amdhsa_user_sgpr_dispatch_id 0
		.amdhsa_user_sgpr_kernarg_preload_length 0
		.amdhsa_user_sgpr_kernarg_preload_offset 0
		.amdhsa_user_sgpr_private_segment_size 0
		.amdhsa_uses_dynamic_stack 0
		.amdhsa_enable_private_segment 0
		.amdhsa_system_sgpr_workgroup_id_x 1
		.amdhsa_system_sgpr_workgroup_id_y 0
		.amdhsa_system_sgpr_workgroup_id_z 0
		.amdhsa_system_sgpr_workgroup_info 0
		.amdhsa_system_vgpr_workitem_id 0
		.amdhsa_next_free_vgpr 1
		.amdhsa_next_free_sgpr 0
		.amdhsa_accum_offset 4
		.amdhsa_reserve_vcc 0
		.amdhsa_float_round_mode_32 0
		.amdhsa_float_round_mode_16_64 0
		.amdhsa_float_denorm_mode_32 3
		.amdhsa_float_denorm_mode_16_64 3
		.amdhsa_dx10_clamp 1
		.amdhsa_ieee_mode 1
		.amdhsa_fp16_overflow 0
		.amdhsa_tg_split 0
		.amdhsa_exception_fp_ieee_invalid_op 0
		.amdhsa_exception_fp_denorm_src 0
		.amdhsa_exception_fp_ieee_div_zero 0
		.amdhsa_exception_fp_ieee_overflow 0
		.amdhsa_exception_fp_ieee_underflow 0
		.amdhsa_exception_fp_ieee_inexact 0
		.amdhsa_exception_int_div_zero 0
	.end_amdhsa_kernel
	.section	.text._ZN7rocprim17ROCPRIM_400000_NS6detail17trampoline_kernelINS0_14default_configENS1_38merge_sort_block_merge_config_selectorIiNS0_10empty_typeEEEZZNS1_27merge_sort_block_merge_implIS3_N6thrust23THRUST_200600_302600_NS6detail15normal_iteratorINS9_10device_ptrIiEEEEPS5_jNS1_19radix_merge_compareILb1ELb0EiNS0_19identity_decomposerEEEEE10hipError_tT0_T1_T2_jT3_P12ihipStream_tbPNSt15iterator_traitsISK_E10value_typeEPNSQ_ISL_E10value_typeEPSM_NS1_7vsmem_tEENKUlT_SK_SL_SM_E_clISE_PiSF_SF_EESJ_SZ_SK_SL_SM_EUlSZ_E0_NS1_11comp_targetILNS1_3genE8ELNS1_11target_archE1030ELNS1_3gpuE2ELNS1_3repE0EEENS1_38merge_mergepath_config_static_selectorELNS0_4arch9wavefront6targetE1EEEvSL_,"axG",@progbits,_ZN7rocprim17ROCPRIM_400000_NS6detail17trampoline_kernelINS0_14default_configENS1_38merge_sort_block_merge_config_selectorIiNS0_10empty_typeEEEZZNS1_27merge_sort_block_merge_implIS3_N6thrust23THRUST_200600_302600_NS6detail15normal_iteratorINS9_10device_ptrIiEEEEPS5_jNS1_19radix_merge_compareILb1ELb0EiNS0_19identity_decomposerEEEEE10hipError_tT0_T1_T2_jT3_P12ihipStream_tbPNSt15iterator_traitsISK_E10value_typeEPNSQ_ISL_E10value_typeEPSM_NS1_7vsmem_tEENKUlT_SK_SL_SM_E_clISE_PiSF_SF_EESJ_SZ_SK_SL_SM_EUlSZ_E0_NS1_11comp_targetILNS1_3genE8ELNS1_11target_archE1030ELNS1_3gpuE2ELNS1_3repE0EEENS1_38merge_mergepath_config_static_selectorELNS0_4arch9wavefront6targetE1EEEvSL_,comdat
.Lfunc_end261:
	.size	_ZN7rocprim17ROCPRIM_400000_NS6detail17trampoline_kernelINS0_14default_configENS1_38merge_sort_block_merge_config_selectorIiNS0_10empty_typeEEEZZNS1_27merge_sort_block_merge_implIS3_N6thrust23THRUST_200600_302600_NS6detail15normal_iteratorINS9_10device_ptrIiEEEEPS5_jNS1_19radix_merge_compareILb1ELb0EiNS0_19identity_decomposerEEEEE10hipError_tT0_T1_T2_jT3_P12ihipStream_tbPNSt15iterator_traitsISK_E10value_typeEPNSQ_ISL_E10value_typeEPSM_NS1_7vsmem_tEENKUlT_SK_SL_SM_E_clISE_PiSF_SF_EESJ_SZ_SK_SL_SM_EUlSZ_E0_NS1_11comp_targetILNS1_3genE8ELNS1_11target_archE1030ELNS1_3gpuE2ELNS1_3repE0EEENS1_38merge_mergepath_config_static_selectorELNS0_4arch9wavefront6targetE1EEEvSL_, .Lfunc_end261-_ZN7rocprim17ROCPRIM_400000_NS6detail17trampoline_kernelINS0_14default_configENS1_38merge_sort_block_merge_config_selectorIiNS0_10empty_typeEEEZZNS1_27merge_sort_block_merge_implIS3_N6thrust23THRUST_200600_302600_NS6detail15normal_iteratorINS9_10device_ptrIiEEEEPS5_jNS1_19radix_merge_compareILb1ELb0EiNS0_19identity_decomposerEEEEE10hipError_tT0_T1_T2_jT3_P12ihipStream_tbPNSt15iterator_traitsISK_E10value_typeEPNSQ_ISL_E10value_typeEPSM_NS1_7vsmem_tEENKUlT_SK_SL_SM_E_clISE_PiSF_SF_EESJ_SZ_SK_SL_SM_EUlSZ_E0_NS1_11comp_targetILNS1_3genE8ELNS1_11target_archE1030ELNS1_3gpuE2ELNS1_3repE0EEENS1_38merge_mergepath_config_static_selectorELNS0_4arch9wavefront6targetE1EEEvSL_
                                        ; -- End function
	.set _ZN7rocprim17ROCPRIM_400000_NS6detail17trampoline_kernelINS0_14default_configENS1_38merge_sort_block_merge_config_selectorIiNS0_10empty_typeEEEZZNS1_27merge_sort_block_merge_implIS3_N6thrust23THRUST_200600_302600_NS6detail15normal_iteratorINS9_10device_ptrIiEEEEPS5_jNS1_19radix_merge_compareILb1ELb0EiNS0_19identity_decomposerEEEEE10hipError_tT0_T1_T2_jT3_P12ihipStream_tbPNSt15iterator_traitsISK_E10value_typeEPNSQ_ISL_E10value_typeEPSM_NS1_7vsmem_tEENKUlT_SK_SL_SM_E_clISE_PiSF_SF_EESJ_SZ_SK_SL_SM_EUlSZ_E0_NS1_11comp_targetILNS1_3genE8ELNS1_11target_archE1030ELNS1_3gpuE2ELNS1_3repE0EEENS1_38merge_mergepath_config_static_selectorELNS0_4arch9wavefront6targetE1EEEvSL_.num_vgpr, 0
	.set _ZN7rocprim17ROCPRIM_400000_NS6detail17trampoline_kernelINS0_14default_configENS1_38merge_sort_block_merge_config_selectorIiNS0_10empty_typeEEEZZNS1_27merge_sort_block_merge_implIS3_N6thrust23THRUST_200600_302600_NS6detail15normal_iteratorINS9_10device_ptrIiEEEEPS5_jNS1_19radix_merge_compareILb1ELb0EiNS0_19identity_decomposerEEEEE10hipError_tT0_T1_T2_jT3_P12ihipStream_tbPNSt15iterator_traitsISK_E10value_typeEPNSQ_ISL_E10value_typeEPSM_NS1_7vsmem_tEENKUlT_SK_SL_SM_E_clISE_PiSF_SF_EESJ_SZ_SK_SL_SM_EUlSZ_E0_NS1_11comp_targetILNS1_3genE8ELNS1_11target_archE1030ELNS1_3gpuE2ELNS1_3repE0EEENS1_38merge_mergepath_config_static_selectorELNS0_4arch9wavefront6targetE1EEEvSL_.num_agpr, 0
	.set _ZN7rocprim17ROCPRIM_400000_NS6detail17trampoline_kernelINS0_14default_configENS1_38merge_sort_block_merge_config_selectorIiNS0_10empty_typeEEEZZNS1_27merge_sort_block_merge_implIS3_N6thrust23THRUST_200600_302600_NS6detail15normal_iteratorINS9_10device_ptrIiEEEEPS5_jNS1_19radix_merge_compareILb1ELb0EiNS0_19identity_decomposerEEEEE10hipError_tT0_T1_T2_jT3_P12ihipStream_tbPNSt15iterator_traitsISK_E10value_typeEPNSQ_ISL_E10value_typeEPSM_NS1_7vsmem_tEENKUlT_SK_SL_SM_E_clISE_PiSF_SF_EESJ_SZ_SK_SL_SM_EUlSZ_E0_NS1_11comp_targetILNS1_3genE8ELNS1_11target_archE1030ELNS1_3gpuE2ELNS1_3repE0EEENS1_38merge_mergepath_config_static_selectorELNS0_4arch9wavefront6targetE1EEEvSL_.numbered_sgpr, 0
	.set _ZN7rocprim17ROCPRIM_400000_NS6detail17trampoline_kernelINS0_14default_configENS1_38merge_sort_block_merge_config_selectorIiNS0_10empty_typeEEEZZNS1_27merge_sort_block_merge_implIS3_N6thrust23THRUST_200600_302600_NS6detail15normal_iteratorINS9_10device_ptrIiEEEEPS5_jNS1_19radix_merge_compareILb1ELb0EiNS0_19identity_decomposerEEEEE10hipError_tT0_T1_T2_jT3_P12ihipStream_tbPNSt15iterator_traitsISK_E10value_typeEPNSQ_ISL_E10value_typeEPSM_NS1_7vsmem_tEENKUlT_SK_SL_SM_E_clISE_PiSF_SF_EESJ_SZ_SK_SL_SM_EUlSZ_E0_NS1_11comp_targetILNS1_3genE8ELNS1_11target_archE1030ELNS1_3gpuE2ELNS1_3repE0EEENS1_38merge_mergepath_config_static_selectorELNS0_4arch9wavefront6targetE1EEEvSL_.num_named_barrier, 0
	.set _ZN7rocprim17ROCPRIM_400000_NS6detail17trampoline_kernelINS0_14default_configENS1_38merge_sort_block_merge_config_selectorIiNS0_10empty_typeEEEZZNS1_27merge_sort_block_merge_implIS3_N6thrust23THRUST_200600_302600_NS6detail15normal_iteratorINS9_10device_ptrIiEEEEPS5_jNS1_19radix_merge_compareILb1ELb0EiNS0_19identity_decomposerEEEEE10hipError_tT0_T1_T2_jT3_P12ihipStream_tbPNSt15iterator_traitsISK_E10value_typeEPNSQ_ISL_E10value_typeEPSM_NS1_7vsmem_tEENKUlT_SK_SL_SM_E_clISE_PiSF_SF_EESJ_SZ_SK_SL_SM_EUlSZ_E0_NS1_11comp_targetILNS1_3genE8ELNS1_11target_archE1030ELNS1_3gpuE2ELNS1_3repE0EEENS1_38merge_mergepath_config_static_selectorELNS0_4arch9wavefront6targetE1EEEvSL_.private_seg_size, 0
	.set _ZN7rocprim17ROCPRIM_400000_NS6detail17trampoline_kernelINS0_14default_configENS1_38merge_sort_block_merge_config_selectorIiNS0_10empty_typeEEEZZNS1_27merge_sort_block_merge_implIS3_N6thrust23THRUST_200600_302600_NS6detail15normal_iteratorINS9_10device_ptrIiEEEEPS5_jNS1_19radix_merge_compareILb1ELb0EiNS0_19identity_decomposerEEEEE10hipError_tT0_T1_T2_jT3_P12ihipStream_tbPNSt15iterator_traitsISK_E10value_typeEPNSQ_ISL_E10value_typeEPSM_NS1_7vsmem_tEENKUlT_SK_SL_SM_E_clISE_PiSF_SF_EESJ_SZ_SK_SL_SM_EUlSZ_E0_NS1_11comp_targetILNS1_3genE8ELNS1_11target_archE1030ELNS1_3gpuE2ELNS1_3repE0EEENS1_38merge_mergepath_config_static_selectorELNS0_4arch9wavefront6targetE1EEEvSL_.uses_vcc, 0
	.set _ZN7rocprim17ROCPRIM_400000_NS6detail17trampoline_kernelINS0_14default_configENS1_38merge_sort_block_merge_config_selectorIiNS0_10empty_typeEEEZZNS1_27merge_sort_block_merge_implIS3_N6thrust23THRUST_200600_302600_NS6detail15normal_iteratorINS9_10device_ptrIiEEEEPS5_jNS1_19radix_merge_compareILb1ELb0EiNS0_19identity_decomposerEEEEE10hipError_tT0_T1_T2_jT3_P12ihipStream_tbPNSt15iterator_traitsISK_E10value_typeEPNSQ_ISL_E10value_typeEPSM_NS1_7vsmem_tEENKUlT_SK_SL_SM_E_clISE_PiSF_SF_EESJ_SZ_SK_SL_SM_EUlSZ_E0_NS1_11comp_targetILNS1_3genE8ELNS1_11target_archE1030ELNS1_3gpuE2ELNS1_3repE0EEENS1_38merge_mergepath_config_static_selectorELNS0_4arch9wavefront6targetE1EEEvSL_.uses_flat_scratch, 0
	.set _ZN7rocprim17ROCPRIM_400000_NS6detail17trampoline_kernelINS0_14default_configENS1_38merge_sort_block_merge_config_selectorIiNS0_10empty_typeEEEZZNS1_27merge_sort_block_merge_implIS3_N6thrust23THRUST_200600_302600_NS6detail15normal_iteratorINS9_10device_ptrIiEEEEPS5_jNS1_19radix_merge_compareILb1ELb0EiNS0_19identity_decomposerEEEEE10hipError_tT0_T1_T2_jT3_P12ihipStream_tbPNSt15iterator_traitsISK_E10value_typeEPNSQ_ISL_E10value_typeEPSM_NS1_7vsmem_tEENKUlT_SK_SL_SM_E_clISE_PiSF_SF_EESJ_SZ_SK_SL_SM_EUlSZ_E0_NS1_11comp_targetILNS1_3genE8ELNS1_11target_archE1030ELNS1_3gpuE2ELNS1_3repE0EEENS1_38merge_mergepath_config_static_selectorELNS0_4arch9wavefront6targetE1EEEvSL_.has_dyn_sized_stack, 0
	.set _ZN7rocprim17ROCPRIM_400000_NS6detail17trampoline_kernelINS0_14default_configENS1_38merge_sort_block_merge_config_selectorIiNS0_10empty_typeEEEZZNS1_27merge_sort_block_merge_implIS3_N6thrust23THRUST_200600_302600_NS6detail15normal_iteratorINS9_10device_ptrIiEEEEPS5_jNS1_19radix_merge_compareILb1ELb0EiNS0_19identity_decomposerEEEEE10hipError_tT0_T1_T2_jT3_P12ihipStream_tbPNSt15iterator_traitsISK_E10value_typeEPNSQ_ISL_E10value_typeEPSM_NS1_7vsmem_tEENKUlT_SK_SL_SM_E_clISE_PiSF_SF_EESJ_SZ_SK_SL_SM_EUlSZ_E0_NS1_11comp_targetILNS1_3genE8ELNS1_11target_archE1030ELNS1_3gpuE2ELNS1_3repE0EEENS1_38merge_mergepath_config_static_selectorELNS0_4arch9wavefront6targetE1EEEvSL_.has_recursion, 0
	.set _ZN7rocprim17ROCPRIM_400000_NS6detail17trampoline_kernelINS0_14default_configENS1_38merge_sort_block_merge_config_selectorIiNS0_10empty_typeEEEZZNS1_27merge_sort_block_merge_implIS3_N6thrust23THRUST_200600_302600_NS6detail15normal_iteratorINS9_10device_ptrIiEEEEPS5_jNS1_19radix_merge_compareILb1ELb0EiNS0_19identity_decomposerEEEEE10hipError_tT0_T1_T2_jT3_P12ihipStream_tbPNSt15iterator_traitsISK_E10value_typeEPNSQ_ISL_E10value_typeEPSM_NS1_7vsmem_tEENKUlT_SK_SL_SM_E_clISE_PiSF_SF_EESJ_SZ_SK_SL_SM_EUlSZ_E0_NS1_11comp_targetILNS1_3genE8ELNS1_11target_archE1030ELNS1_3gpuE2ELNS1_3repE0EEENS1_38merge_mergepath_config_static_selectorELNS0_4arch9wavefront6targetE1EEEvSL_.has_indirect_call, 0
	.section	.AMDGPU.csdata,"",@progbits
; Kernel info:
; codeLenInByte = 0
; TotalNumSgprs: 6
; NumVgprs: 0
; NumAgprs: 0
; TotalNumVgprs: 0
; ScratchSize: 0
; MemoryBound: 0
; FloatMode: 240
; IeeeMode: 1
; LDSByteSize: 0 bytes/workgroup (compile time only)
; SGPRBlocks: 0
; VGPRBlocks: 0
; NumSGPRsForWavesPerEU: 6
; NumVGPRsForWavesPerEU: 1
; AccumOffset: 4
; Occupancy: 8
; WaveLimiterHint : 0
; COMPUTE_PGM_RSRC2:SCRATCH_EN: 0
; COMPUTE_PGM_RSRC2:USER_SGPR: 2
; COMPUTE_PGM_RSRC2:TRAP_HANDLER: 0
; COMPUTE_PGM_RSRC2:TGID_X_EN: 1
; COMPUTE_PGM_RSRC2:TGID_Y_EN: 0
; COMPUTE_PGM_RSRC2:TGID_Z_EN: 0
; COMPUTE_PGM_RSRC2:TIDIG_COMP_CNT: 0
; COMPUTE_PGM_RSRC3_GFX90A:ACCUM_OFFSET: 0
; COMPUTE_PGM_RSRC3_GFX90A:TG_SPLIT: 0
	.section	.text._ZN7rocprim17ROCPRIM_400000_NS6detail17trampoline_kernelINS0_14default_configENS1_38merge_sort_block_merge_config_selectorIiNS0_10empty_typeEEEZZNS1_27merge_sort_block_merge_implIS3_N6thrust23THRUST_200600_302600_NS6detail15normal_iteratorINS9_10device_ptrIiEEEEPS5_jNS1_19radix_merge_compareILb1ELb0EiNS0_19identity_decomposerEEEEE10hipError_tT0_T1_T2_jT3_P12ihipStream_tbPNSt15iterator_traitsISK_E10value_typeEPNSQ_ISL_E10value_typeEPSM_NS1_7vsmem_tEENKUlT_SK_SL_SM_E_clISE_PiSF_SF_EESJ_SZ_SK_SL_SM_EUlSZ_E1_NS1_11comp_targetILNS1_3genE0ELNS1_11target_archE4294967295ELNS1_3gpuE0ELNS1_3repE0EEENS1_36merge_oddeven_config_static_selectorELNS0_4arch9wavefront6targetE1EEEvSL_,"axG",@progbits,_ZN7rocprim17ROCPRIM_400000_NS6detail17trampoline_kernelINS0_14default_configENS1_38merge_sort_block_merge_config_selectorIiNS0_10empty_typeEEEZZNS1_27merge_sort_block_merge_implIS3_N6thrust23THRUST_200600_302600_NS6detail15normal_iteratorINS9_10device_ptrIiEEEEPS5_jNS1_19radix_merge_compareILb1ELb0EiNS0_19identity_decomposerEEEEE10hipError_tT0_T1_T2_jT3_P12ihipStream_tbPNSt15iterator_traitsISK_E10value_typeEPNSQ_ISL_E10value_typeEPSM_NS1_7vsmem_tEENKUlT_SK_SL_SM_E_clISE_PiSF_SF_EESJ_SZ_SK_SL_SM_EUlSZ_E1_NS1_11comp_targetILNS1_3genE0ELNS1_11target_archE4294967295ELNS1_3gpuE0ELNS1_3repE0EEENS1_36merge_oddeven_config_static_selectorELNS0_4arch9wavefront6targetE1EEEvSL_,comdat
	.protected	_ZN7rocprim17ROCPRIM_400000_NS6detail17trampoline_kernelINS0_14default_configENS1_38merge_sort_block_merge_config_selectorIiNS0_10empty_typeEEEZZNS1_27merge_sort_block_merge_implIS3_N6thrust23THRUST_200600_302600_NS6detail15normal_iteratorINS9_10device_ptrIiEEEEPS5_jNS1_19radix_merge_compareILb1ELb0EiNS0_19identity_decomposerEEEEE10hipError_tT0_T1_T2_jT3_P12ihipStream_tbPNSt15iterator_traitsISK_E10value_typeEPNSQ_ISL_E10value_typeEPSM_NS1_7vsmem_tEENKUlT_SK_SL_SM_E_clISE_PiSF_SF_EESJ_SZ_SK_SL_SM_EUlSZ_E1_NS1_11comp_targetILNS1_3genE0ELNS1_11target_archE4294967295ELNS1_3gpuE0ELNS1_3repE0EEENS1_36merge_oddeven_config_static_selectorELNS0_4arch9wavefront6targetE1EEEvSL_ ; -- Begin function _ZN7rocprim17ROCPRIM_400000_NS6detail17trampoline_kernelINS0_14default_configENS1_38merge_sort_block_merge_config_selectorIiNS0_10empty_typeEEEZZNS1_27merge_sort_block_merge_implIS3_N6thrust23THRUST_200600_302600_NS6detail15normal_iteratorINS9_10device_ptrIiEEEEPS5_jNS1_19radix_merge_compareILb1ELb0EiNS0_19identity_decomposerEEEEE10hipError_tT0_T1_T2_jT3_P12ihipStream_tbPNSt15iterator_traitsISK_E10value_typeEPNSQ_ISL_E10value_typeEPSM_NS1_7vsmem_tEENKUlT_SK_SL_SM_E_clISE_PiSF_SF_EESJ_SZ_SK_SL_SM_EUlSZ_E1_NS1_11comp_targetILNS1_3genE0ELNS1_11target_archE4294967295ELNS1_3gpuE0ELNS1_3repE0EEENS1_36merge_oddeven_config_static_selectorELNS0_4arch9wavefront6targetE1EEEvSL_
	.globl	_ZN7rocprim17ROCPRIM_400000_NS6detail17trampoline_kernelINS0_14default_configENS1_38merge_sort_block_merge_config_selectorIiNS0_10empty_typeEEEZZNS1_27merge_sort_block_merge_implIS3_N6thrust23THRUST_200600_302600_NS6detail15normal_iteratorINS9_10device_ptrIiEEEEPS5_jNS1_19radix_merge_compareILb1ELb0EiNS0_19identity_decomposerEEEEE10hipError_tT0_T1_T2_jT3_P12ihipStream_tbPNSt15iterator_traitsISK_E10value_typeEPNSQ_ISL_E10value_typeEPSM_NS1_7vsmem_tEENKUlT_SK_SL_SM_E_clISE_PiSF_SF_EESJ_SZ_SK_SL_SM_EUlSZ_E1_NS1_11comp_targetILNS1_3genE0ELNS1_11target_archE4294967295ELNS1_3gpuE0ELNS1_3repE0EEENS1_36merge_oddeven_config_static_selectorELNS0_4arch9wavefront6targetE1EEEvSL_
	.p2align	8
	.type	_ZN7rocprim17ROCPRIM_400000_NS6detail17trampoline_kernelINS0_14default_configENS1_38merge_sort_block_merge_config_selectorIiNS0_10empty_typeEEEZZNS1_27merge_sort_block_merge_implIS3_N6thrust23THRUST_200600_302600_NS6detail15normal_iteratorINS9_10device_ptrIiEEEEPS5_jNS1_19radix_merge_compareILb1ELb0EiNS0_19identity_decomposerEEEEE10hipError_tT0_T1_T2_jT3_P12ihipStream_tbPNSt15iterator_traitsISK_E10value_typeEPNSQ_ISL_E10value_typeEPSM_NS1_7vsmem_tEENKUlT_SK_SL_SM_E_clISE_PiSF_SF_EESJ_SZ_SK_SL_SM_EUlSZ_E1_NS1_11comp_targetILNS1_3genE0ELNS1_11target_archE4294967295ELNS1_3gpuE0ELNS1_3repE0EEENS1_36merge_oddeven_config_static_selectorELNS0_4arch9wavefront6targetE1EEEvSL_,@function
_ZN7rocprim17ROCPRIM_400000_NS6detail17trampoline_kernelINS0_14default_configENS1_38merge_sort_block_merge_config_selectorIiNS0_10empty_typeEEEZZNS1_27merge_sort_block_merge_implIS3_N6thrust23THRUST_200600_302600_NS6detail15normal_iteratorINS9_10device_ptrIiEEEEPS5_jNS1_19radix_merge_compareILb1ELb0EiNS0_19identity_decomposerEEEEE10hipError_tT0_T1_T2_jT3_P12ihipStream_tbPNSt15iterator_traitsISK_E10value_typeEPNSQ_ISL_E10value_typeEPSM_NS1_7vsmem_tEENKUlT_SK_SL_SM_E_clISE_PiSF_SF_EESJ_SZ_SK_SL_SM_EUlSZ_E1_NS1_11comp_targetILNS1_3genE0ELNS1_11target_archE4294967295ELNS1_3gpuE0ELNS1_3repE0EEENS1_36merge_oddeven_config_static_selectorELNS0_4arch9wavefront6targetE1EEEvSL_: ; @_ZN7rocprim17ROCPRIM_400000_NS6detail17trampoline_kernelINS0_14default_configENS1_38merge_sort_block_merge_config_selectorIiNS0_10empty_typeEEEZZNS1_27merge_sort_block_merge_implIS3_N6thrust23THRUST_200600_302600_NS6detail15normal_iteratorINS9_10device_ptrIiEEEEPS5_jNS1_19radix_merge_compareILb1ELb0EiNS0_19identity_decomposerEEEEE10hipError_tT0_T1_T2_jT3_P12ihipStream_tbPNSt15iterator_traitsISK_E10value_typeEPNSQ_ISL_E10value_typeEPSM_NS1_7vsmem_tEENKUlT_SK_SL_SM_E_clISE_PiSF_SF_EESJ_SZ_SK_SL_SM_EUlSZ_E1_NS1_11comp_targetILNS1_3genE0ELNS1_11target_archE4294967295ELNS1_3gpuE0ELNS1_3repE0EEENS1_36merge_oddeven_config_static_selectorELNS0_4arch9wavefront6targetE1EEEvSL_
; %bb.0:
	s_load_dword s16, s[0:1], 0x20
	s_waitcnt lgkmcnt(0)
	s_lshr_b32 s3, s16, 8
	s_cmp_lg_u32 s2, s3
	s_cselect_b64 s[12:13], -1, 0
	s_cmp_eq_u32 s2, s3
	s_cselect_b64 s[6:7], -1, 0
	s_lshl_b32 s14, s2, 8
	s_sub_i32 s3, s16, s14
	v_cmp_gt_u32_e64 s[4:5], s3, v0
	s_or_b64 s[8:9], s[12:13], s[4:5]
	s_and_saveexec_b64 s[10:11], s[8:9]
	s_cbranch_execz .LBB262_20
; %bb.1:
	s_load_dwordx4 s[8:11], s[0:1], 0x0
	s_load_dword s17, s[0:1], 0x24
	s_mov_b32 s15, 0
	s_lshl_b64 s[0:1], s[14:15], 2
	v_lshlrev_b32_e32 v1, 2, v0
	s_waitcnt lgkmcnt(0)
	s_add_u32 s0, s8, s0
	s_addc_u32 s1, s9, s1
	global_load_dword v2, v1, s[0:1]
	s_lshr_b32 s0, s17, 8
	s_sub_i32 s1, 0, s0
	s_and_b32 s1, s2, s1
	s_and_b32 s0, s1, s0
	s_lshl_b32 s18, s1, 8
	s_sub_i32 s15, 0, s17
	s_cmp_eq_u32 s0, 0
	s_cselect_b64 s[0:1], -1, 0
	s_and_b64 s[2:3], s[0:1], exec
	s_cselect_b32 s15, s17, s15
	s_add_i32 s15, s15, s18
	s_cmp_gt_u32 s16, s15
	v_add_u32_e32 v0, s14, v0
	s_cbranch_scc1 .LBB262_3
; %bb.2:
	v_cmp_gt_u32_e32 vcc, s16, v0
	s_or_b64 s[2:3], vcc, s[12:13]
	s_and_b64 s[2:3], s[2:3], exec
	s_cbranch_execz .LBB262_4
	s_branch .LBB262_18
.LBB262_3:
	s_mov_b64 s[2:3], 0
.LBB262_4:
	s_min_u32 s12, s15, s16
	s_min_u32 s14, s18, s12
	s_add_i32 s18, s18, s12
	s_add_i32 s13, s12, s17
	v_subrev_u32_e32 v0, s18, v0
	s_min_u32 s13, s13, s16
	v_add_u32_e32 v3, s14, v0
	s_and_b64 vcc, exec, s[6:7]
	s_cbranch_vccz .LBB262_12
; %bb.5:
                                        ; implicit-def: $vgpr0
	s_and_saveexec_b64 s[6:7], s[4:5]
	s_cbranch_execz .LBB262_11
; %bb.6:
	s_cmp_ge_u32 s15, s13
	v_mov_b32_e32 v4, s12
	s_cbranch_scc1 .LBB262_10
; %bb.7:
	s_mov_b64 s[4:5], 0
	v_mov_b32_e32 v5, s13
	v_mov_b32_e32 v4, s12
	;; [unrolled: 1-line block ×3, first 2 shown]
.LBB262_8:                              ; =>This Inner Loop Header: Depth=1
	v_add_u32_e32 v0, v4, v5
	v_lshrrev_b32_e32 v0, 1, v0
	v_lshl_add_u64 v[6:7], v[0:1], 2, s[8:9]
	global_load_dword v6, v[6:7], off
	v_add_u32_e32 v7, 1, v0
	s_waitcnt vmcnt(0)
	v_cmp_gt_i32_e32 vcc, v6, v2
	s_nop 1
	v_cndmask_b32_e64 v8, 0, 1, vcc
	v_cmp_le_i32_e32 vcc, v2, v6
	s_nop 1
	v_cndmask_b32_e64 v6, 0, 1, vcc
	v_cndmask_b32_e64 v6, v6, v8, s[0:1]
	v_and_b32_e32 v6, 1, v6
	v_cmp_eq_u32_e32 vcc, 1, v6
	s_nop 1
	v_cndmask_b32_e32 v5, v0, v5, vcc
	v_cndmask_b32_e32 v4, v4, v7, vcc
	v_cmp_ge_u32_e32 vcc, v4, v5
	s_or_b64 s[4:5], vcc, s[4:5]
	s_andn2_b64 exec, exec, s[4:5]
	s_cbranch_execnz .LBB262_8
; %bb.9:
	s_or_b64 exec, exec, s[4:5]
.LBB262_10:
	v_add_u32_e32 v0, v4, v3
	s_or_b64 s[2:3], s[2:3], exec
.LBB262_11:
	s_or_b64 exec, exec, s[6:7]
	s_branch .LBB262_18
.LBB262_12:
                                        ; implicit-def: $vgpr0
	s_cbranch_execz .LBB262_18
; %bb.13:
	s_cmp_ge_u32 s15, s13
	v_mov_b32_e32 v4, s12
	s_cbranch_scc1 .LBB262_17
; %bb.14:
	s_mov_b64 s[2:3], 0
	v_mov_b32_e32 v5, s13
	v_mov_b32_e32 v4, s12
	;; [unrolled: 1-line block ×3, first 2 shown]
.LBB262_15:                             ; =>This Inner Loop Header: Depth=1
	v_add_u32_e32 v0, v4, v5
	v_lshrrev_b32_e32 v0, 1, v0
	v_lshl_add_u64 v[6:7], v[0:1], 2, s[8:9]
	global_load_dword v6, v[6:7], off
	v_add_u32_e32 v7, 1, v0
	s_waitcnt vmcnt(0)
	v_cmp_gt_i32_e32 vcc, v6, v2
	s_nop 1
	v_cndmask_b32_e64 v8, 0, 1, vcc
	v_cmp_le_i32_e32 vcc, v2, v6
	s_nop 1
	v_cndmask_b32_e64 v6, 0, 1, vcc
	v_cndmask_b32_e64 v6, v6, v8, s[0:1]
	v_and_b32_e32 v6, 1, v6
	v_cmp_eq_u32_e32 vcc, 1, v6
	s_nop 1
	v_cndmask_b32_e32 v5, v0, v5, vcc
	v_cndmask_b32_e32 v4, v4, v7, vcc
	v_cmp_ge_u32_e32 vcc, v4, v5
	s_or_b64 s[2:3], vcc, s[2:3]
	s_andn2_b64 exec, exec, s[2:3]
	s_cbranch_execnz .LBB262_15
; %bb.16:
	s_or_b64 exec, exec, s[2:3]
.LBB262_17:
	v_add_u32_e32 v0, v4, v3
	s_mov_b64 s[2:3], -1
.LBB262_18:
	s_and_b64 exec, exec, s[2:3]
	s_cbranch_execz .LBB262_20
; %bb.19:
	v_mov_b32_e32 v4, s10
	v_mov_b32_e32 v5, s11
	;; [unrolled: 1-line block ×3, first 2 shown]
	v_lshl_add_u64 v[0:1], v[0:1], 2, v[4:5]
	s_waitcnt vmcnt(0)
	global_store_dword v[0:1], v2, off
.LBB262_20:
	s_endpgm
	.section	.rodata,"a",@progbits
	.p2align	6, 0x0
	.amdhsa_kernel _ZN7rocprim17ROCPRIM_400000_NS6detail17trampoline_kernelINS0_14default_configENS1_38merge_sort_block_merge_config_selectorIiNS0_10empty_typeEEEZZNS1_27merge_sort_block_merge_implIS3_N6thrust23THRUST_200600_302600_NS6detail15normal_iteratorINS9_10device_ptrIiEEEEPS5_jNS1_19radix_merge_compareILb1ELb0EiNS0_19identity_decomposerEEEEE10hipError_tT0_T1_T2_jT3_P12ihipStream_tbPNSt15iterator_traitsISK_E10value_typeEPNSQ_ISL_E10value_typeEPSM_NS1_7vsmem_tEENKUlT_SK_SL_SM_E_clISE_PiSF_SF_EESJ_SZ_SK_SL_SM_EUlSZ_E1_NS1_11comp_targetILNS1_3genE0ELNS1_11target_archE4294967295ELNS1_3gpuE0ELNS1_3repE0EEENS1_36merge_oddeven_config_static_selectorELNS0_4arch9wavefront6targetE1EEEvSL_
		.amdhsa_group_segment_fixed_size 0
		.amdhsa_private_segment_fixed_size 0
		.amdhsa_kernarg_size 48
		.amdhsa_user_sgpr_count 2
		.amdhsa_user_sgpr_dispatch_ptr 0
		.amdhsa_user_sgpr_queue_ptr 0
		.amdhsa_user_sgpr_kernarg_segment_ptr 1
		.amdhsa_user_sgpr_dispatch_id 0
		.amdhsa_user_sgpr_kernarg_preload_length 0
		.amdhsa_user_sgpr_kernarg_preload_offset 0
		.amdhsa_user_sgpr_private_segment_size 0
		.amdhsa_uses_dynamic_stack 0
		.amdhsa_enable_private_segment 0
		.amdhsa_system_sgpr_workgroup_id_x 1
		.amdhsa_system_sgpr_workgroup_id_y 0
		.amdhsa_system_sgpr_workgroup_id_z 0
		.amdhsa_system_sgpr_workgroup_info 0
		.amdhsa_system_vgpr_workitem_id 0
		.amdhsa_next_free_vgpr 9
		.amdhsa_next_free_sgpr 19
		.amdhsa_accum_offset 12
		.amdhsa_reserve_vcc 1
		.amdhsa_float_round_mode_32 0
		.amdhsa_float_round_mode_16_64 0
		.amdhsa_float_denorm_mode_32 3
		.amdhsa_float_denorm_mode_16_64 3
		.amdhsa_dx10_clamp 1
		.amdhsa_ieee_mode 1
		.amdhsa_fp16_overflow 0
		.amdhsa_tg_split 0
		.amdhsa_exception_fp_ieee_invalid_op 0
		.amdhsa_exception_fp_denorm_src 0
		.amdhsa_exception_fp_ieee_div_zero 0
		.amdhsa_exception_fp_ieee_overflow 0
		.amdhsa_exception_fp_ieee_underflow 0
		.amdhsa_exception_fp_ieee_inexact 0
		.amdhsa_exception_int_div_zero 0
	.end_amdhsa_kernel
	.section	.text._ZN7rocprim17ROCPRIM_400000_NS6detail17trampoline_kernelINS0_14default_configENS1_38merge_sort_block_merge_config_selectorIiNS0_10empty_typeEEEZZNS1_27merge_sort_block_merge_implIS3_N6thrust23THRUST_200600_302600_NS6detail15normal_iteratorINS9_10device_ptrIiEEEEPS5_jNS1_19radix_merge_compareILb1ELb0EiNS0_19identity_decomposerEEEEE10hipError_tT0_T1_T2_jT3_P12ihipStream_tbPNSt15iterator_traitsISK_E10value_typeEPNSQ_ISL_E10value_typeEPSM_NS1_7vsmem_tEENKUlT_SK_SL_SM_E_clISE_PiSF_SF_EESJ_SZ_SK_SL_SM_EUlSZ_E1_NS1_11comp_targetILNS1_3genE0ELNS1_11target_archE4294967295ELNS1_3gpuE0ELNS1_3repE0EEENS1_36merge_oddeven_config_static_selectorELNS0_4arch9wavefront6targetE1EEEvSL_,"axG",@progbits,_ZN7rocprim17ROCPRIM_400000_NS6detail17trampoline_kernelINS0_14default_configENS1_38merge_sort_block_merge_config_selectorIiNS0_10empty_typeEEEZZNS1_27merge_sort_block_merge_implIS3_N6thrust23THRUST_200600_302600_NS6detail15normal_iteratorINS9_10device_ptrIiEEEEPS5_jNS1_19radix_merge_compareILb1ELb0EiNS0_19identity_decomposerEEEEE10hipError_tT0_T1_T2_jT3_P12ihipStream_tbPNSt15iterator_traitsISK_E10value_typeEPNSQ_ISL_E10value_typeEPSM_NS1_7vsmem_tEENKUlT_SK_SL_SM_E_clISE_PiSF_SF_EESJ_SZ_SK_SL_SM_EUlSZ_E1_NS1_11comp_targetILNS1_3genE0ELNS1_11target_archE4294967295ELNS1_3gpuE0ELNS1_3repE0EEENS1_36merge_oddeven_config_static_selectorELNS0_4arch9wavefront6targetE1EEEvSL_,comdat
.Lfunc_end262:
	.size	_ZN7rocprim17ROCPRIM_400000_NS6detail17trampoline_kernelINS0_14default_configENS1_38merge_sort_block_merge_config_selectorIiNS0_10empty_typeEEEZZNS1_27merge_sort_block_merge_implIS3_N6thrust23THRUST_200600_302600_NS6detail15normal_iteratorINS9_10device_ptrIiEEEEPS5_jNS1_19radix_merge_compareILb1ELb0EiNS0_19identity_decomposerEEEEE10hipError_tT0_T1_T2_jT3_P12ihipStream_tbPNSt15iterator_traitsISK_E10value_typeEPNSQ_ISL_E10value_typeEPSM_NS1_7vsmem_tEENKUlT_SK_SL_SM_E_clISE_PiSF_SF_EESJ_SZ_SK_SL_SM_EUlSZ_E1_NS1_11comp_targetILNS1_3genE0ELNS1_11target_archE4294967295ELNS1_3gpuE0ELNS1_3repE0EEENS1_36merge_oddeven_config_static_selectorELNS0_4arch9wavefront6targetE1EEEvSL_, .Lfunc_end262-_ZN7rocprim17ROCPRIM_400000_NS6detail17trampoline_kernelINS0_14default_configENS1_38merge_sort_block_merge_config_selectorIiNS0_10empty_typeEEEZZNS1_27merge_sort_block_merge_implIS3_N6thrust23THRUST_200600_302600_NS6detail15normal_iteratorINS9_10device_ptrIiEEEEPS5_jNS1_19radix_merge_compareILb1ELb0EiNS0_19identity_decomposerEEEEE10hipError_tT0_T1_T2_jT3_P12ihipStream_tbPNSt15iterator_traitsISK_E10value_typeEPNSQ_ISL_E10value_typeEPSM_NS1_7vsmem_tEENKUlT_SK_SL_SM_E_clISE_PiSF_SF_EESJ_SZ_SK_SL_SM_EUlSZ_E1_NS1_11comp_targetILNS1_3genE0ELNS1_11target_archE4294967295ELNS1_3gpuE0ELNS1_3repE0EEENS1_36merge_oddeven_config_static_selectorELNS0_4arch9wavefront6targetE1EEEvSL_
                                        ; -- End function
	.set _ZN7rocprim17ROCPRIM_400000_NS6detail17trampoline_kernelINS0_14default_configENS1_38merge_sort_block_merge_config_selectorIiNS0_10empty_typeEEEZZNS1_27merge_sort_block_merge_implIS3_N6thrust23THRUST_200600_302600_NS6detail15normal_iteratorINS9_10device_ptrIiEEEEPS5_jNS1_19radix_merge_compareILb1ELb0EiNS0_19identity_decomposerEEEEE10hipError_tT0_T1_T2_jT3_P12ihipStream_tbPNSt15iterator_traitsISK_E10value_typeEPNSQ_ISL_E10value_typeEPSM_NS1_7vsmem_tEENKUlT_SK_SL_SM_E_clISE_PiSF_SF_EESJ_SZ_SK_SL_SM_EUlSZ_E1_NS1_11comp_targetILNS1_3genE0ELNS1_11target_archE4294967295ELNS1_3gpuE0ELNS1_3repE0EEENS1_36merge_oddeven_config_static_selectorELNS0_4arch9wavefront6targetE1EEEvSL_.num_vgpr, 9
	.set _ZN7rocprim17ROCPRIM_400000_NS6detail17trampoline_kernelINS0_14default_configENS1_38merge_sort_block_merge_config_selectorIiNS0_10empty_typeEEEZZNS1_27merge_sort_block_merge_implIS3_N6thrust23THRUST_200600_302600_NS6detail15normal_iteratorINS9_10device_ptrIiEEEEPS5_jNS1_19radix_merge_compareILb1ELb0EiNS0_19identity_decomposerEEEEE10hipError_tT0_T1_T2_jT3_P12ihipStream_tbPNSt15iterator_traitsISK_E10value_typeEPNSQ_ISL_E10value_typeEPSM_NS1_7vsmem_tEENKUlT_SK_SL_SM_E_clISE_PiSF_SF_EESJ_SZ_SK_SL_SM_EUlSZ_E1_NS1_11comp_targetILNS1_3genE0ELNS1_11target_archE4294967295ELNS1_3gpuE0ELNS1_3repE0EEENS1_36merge_oddeven_config_static_selectorELNS0_4arch9wavefront6targetE1EEEvSL_.num_agpr, 0
	.set _ZN7rocprim17ROCPRIM_400000_NS6detail17trampoline_kernelINS0_14default_configENS1_38merge_sort_block_merge_config_selectorIiNS0_10empty_typeEEEZZNS1_27merge_sort_block_merge_implIS3_N6thrust23THRUST_200600_302600_NS6detail15normal_iteratorINS9_10device_ptrIiEEEEPS5_jNS1_19radix_merge_compareILb1ELb0EiNS0_19identity_decomposerEEEEE10hipError_tT0_T1_T2_jT3_P12ihipStream_tbPNSt15iterator_traitsISK_E10value_typeEPNSQ_ISL_E10value_typeEPSM_NS1_7vsmem_tEENKUlT_SK_SL_SM_E_clISE_PiSF_SF_EESJ_SZ_SK_SL_SM_EUlSZ_E1_NS1_11comp_targetILNS1_3genE0ELNS1_11target_archE4294967295ELNS1_3gpuE0ELNS1_3repE0EEENS1_36merge_oddeven_config_static_selectorELNS0_4arch9wavefront6targetE1EEEvSL_.numbered_sgpr, 19
	.set _ZN7rocprim17ROCPRIM_400000_NS6detail17trampoline_kernelINS0_14default_configENS1_38merge_sort_block_merge_config_selectorIiNS0_10empty_typeEEEZZNS1_27merge_sort_block_merge_implIS3_N6thrust23THRUST_200600_302600_NS6detail15normal_iteratorINS9_10device_ptrIiEEEEPS5_jNS1_19radix_merge_compareILb1ELb0EiNS0_19identity_decomposerEEEEE10hipError_tT0_T1_T2_jT3_P12ihipStream_tbPNSt15iterator_traitsISK_E10value_typeEPNSQ_ISL_E10value_typeEPSM_NS1_7vsmem_tEENKUlT_SK_SL_SM_E_clISE_PiSF_SF_EESJ_SZ_SK_SL_SM_EUlSZ_E1_NS1_11comp_targetILNS1_3genE0ELNS1_11target_archE4294967295ELNS1_3gpuE0ELNS1_3repE0EEENS1_36merge_oddeven_config_static_selectorELNS0_4arch9wavefront6targetE1EEEvSL_.num_named_barrier, 0
	.set _ZN7rocprim17ROCPRIM_400000_NS6detail17trampoline_kernelINS0_14default_configENS1_38merge_sort_block_merge_config_selectorIiNS0_10empty_typeEEEZZNS1_27merge_sort_block_merge_implIS3_N6thrust23THRUST_200600_302600_NS6detail15normal_iteratorINS9_10device_ptrIiEEEEPS5_jNS1_19radix_merge_compareILb1ELb0EiNS0_19identity_decomposerEEEEE10hipError_tT0_T1_T2_jT3_P12ihipStream_tbPNSt15iterator_traitsISK_E10value_typeEPNSQ_ISL_E10value_typeEPSM_NS1_7vsmem_tEENKUlT_SK_SL_SM_E_clISE_PiSF_SF_EESJ_SZ_SK_SL_SM_EUlSZ_E1_NS1_11comp_targetILNS1_3genE0ELNS1_11target_archE4294967295ELNS1_3gpuE0ELNS1_3repE0EEENS1_36merge_oddeven_config_static_selectorELNS0_4arch9wavefront6targetE1EEEvSL_.private_seg_size, 0
	.set _ZN7rocprim17ROCPRIM_400000_NS6detail17trampoline_kernelINS0_14default_configENS1_38merge_sort_block_merge_config_selectorIiNS0_10empty_typeEEEZZNS1_27merge_sort_block_merge_implIS3_N6thrust23THRUST_200600_302600_NS6detail15normal_iteratorINS9_10device_ptrIiEEEEPS5_jNS1_19radix_merge_compareILb1ELb0EiNS0_19identity_decomposerEEEEE10hipError_tT0_T1_T2_jT3_P12ihipStream_tbPNSt15iterator_traitsISK_E10value_typeEPNSQ_ISL_E10value_typeEPSM_NS1_7vsmem_tEENKUlT_SK_SL_SM_E_clISE_PiSF_SF_EESJ_SZ_SK_SL_SM_EUlSZ_E1_NS1_11comp_targetILNS1_3genE0ELNS1_11target_archE4294967295ELNS1_3gpuE0ELNS1_3repE0EEENS1_36merge_oddeven_config_static_selectorELNS0_4arch9wavefront6targetE1EEEvSL_.uses_vcc, 1
	.set _ZN7rocprim17ROCPRIM_400000_NS6detail17trampoline_kernelINS0_14default_configENS1_38merge_sort_block_merge_config_selectorIiNS0_10empty_typeEEEZZNS1_27merge_sort_block_merge_implIS3_N6thrust23THRUST_200600_302600_NS6detail15normal_iteratorINS9_10device_ptrIiEEEEPS5_jNS1_19radix_merge_compareILb1ELb0EiNS0_19identity_decomposerEEEEE10hipError_tT0_T1_T2_jT3_P12ihipStream_tbPNSt15iterator_traitsISK_E10value_typeEPNSQ_ISL_E10value_typeEPSM_NS1_7vsmem_tEENKUlT_SK_SL_SM_E_clISE_PiSF_SF_EESJ_SZ_SK_SL_SM_EUlSZ_E1_NS1_11comp_targetILNS1_3genE0ELNS1_11target_archE4294967295ELNS1_3gpuE0ELNS1_3repE0EEENS1_36merge_oddeven_config_static_selectorELNS0_4arch9wavefront6targetE1EEEvSL_.uses_flat_scratch, 0
	.set _ZN7rocprim17ROCPRIM_400000_NS6detail17trampoline_kernelINS0_14default_configENS1_38merge_sort_block_merge_config_selectorIiNS0_10empty_typeEEEZZNS1_27merge_sort_block_merge_implIS3_N6thrust23THRUST_200600_302600_NS6detail15normal_iteratorINS9_10device_ptrIiEEEEPS5_jNS1_19radix_merge_compareILb1ELb0EiNS0_19identity_decomposerEEEEE10hipError_tT0_T1_T2_jT3_P12ihipStream_tbPNSt15iterator_traitsISK_E10value_typeEPNSQ_ISL_E10value_typeEPSM_NS1_7vsmem_tEENKUlT_SK_SL_SM_E_clISE_PiSF_SF_EESJ_SZ_SK_SL_SM_EUlSZ_E1_NS1_11comp_targetILNS1_3genE0ELNS1_11target_archE4294967295ELNS1_3gpuE0ELNS1_3repE0EEENS1_36merge_oddeven_config_static_selectorELNS0_4arch9wavefront6targetE1EEEvSL_.has_dyn_sized_stack, 0
	.set _ZN7rocprim17ROCPRIM_400000_NS6detail17trampoline_kernelINS0_14default_configENS1_38merge_sort_block_merge_config_selectorIiNS0_10empty_typeEEEZZNS1_27merge_sort_block_merge_implIS3_N6thrust23THRUST_200600_302600_NS6detail15normal_iteratorINS9_10device_ptrIiEEEEPS5_jNS1_19radix_merge_compareILb1ELb0EiNS0_19identity_decomposerEEEEE10hipError_tT0_T1_T2_jT3_P12ihipStream_tbPNSt15iterator_traitsISK_E10value_typeEPNSQ_ISL_E10value_typeEPSM_NS1_7vsmem_tEENKUlT_SK_SL_SM_E_clISE_PiSF_SF_EESJ_SZ_SK_SL_SM_EUlSZ_E1_NS1_11comp_targetILNS1_3genE0ELNS1_11target_archE4294967295ELNS1_3gpuE0ELNS1_3repE0EEENS1_36merge_oddeven_config_static_selectorELNS0_4arch9wavefront6targetE1EEEvSL_.has_recursion, 0
	.set _ZN7rocprim17ROCPRIM_400000_NS6detail17trampoline_kernelINS0_14default_configENS1_38merge_sort_block_merge_config_selectorIiNS0_10empty_typeEEEZZNS1_27merge_sort_block_merge_implIS3_N6thrust23THRUST_200600_302600_NS6detail15normal_iteratorINS9_10device_ptrIiEEEEPS5_jNS1_19radix_merge_compareILb1ELb0EiNS0_19identity_decomposerEEEEE10hipError_tT0_T1_T2_jT3_P12ihipStream_tbPNSt15iterator_traitsISK_E10value_typeEPNSQ_ISL_E10value_typeEPSM_NS1_7vsmem_tEENKUlT_SK_SL_SM_E_clISE_PiSF_SF_EESJ_SZ_SK_SL_SM_EUlSZ_E1_NS1_11comp_targetILNS1_3genE0ELNS1_11target_archE4294967295ELNS1_3gpuE0ELNS1_3repE0EEENS1_36merge_oddeven_config_static_selectorELNS0_4arch9wavefront6targetE1EEEvSL_.has_indirect_call, 0
	.section	.AMDGPU.csdata,"",@progbits
; Kernel info:
; codeLenInByte = 584
; TotalNumSgprs: 25
; NumVgprs: 9
; NumAgprs: 0
; TotalNumVgprs: 9
; ScratchSize: 0
; MemoryBound: 0
; FloatMode: 240
; IeeeMode: 1
; LDSByteSize: 0 bytes/workgroup (compile time only)
; SGPRBlocks: 3
; VGPRBlocks: 1
; NumSGPRsForWavesPerEU: 25
; NumVGPRsForWavesPerEU: 9
; AccumOffset: 12
; Occupancy: 8
; WaveLimiterHint : 0
; COMPUTE_PGM_RSRC2:SCRATCH_EN: 0
; COMPUTE_PGM_RSRC2:USER_SGPR: 2
; COMPUTE_PGM_RSRC2:TRAP_HANDLER: 0
; COMPUTE_PGM_RSRC2:TGID_X_EN: 1
; COMPUTE_PGM_RSRC2:TGID_Y_EN: 0
; COMPUTE_PGM_RSRC2:TGID_Z_EN: 0
; COMPUTE_PGM_RSRC2:TIDIG_COMP_CNT: 0
; COMPUTE_PGM_RSRC3_GFX90A:ACCUM_OFFSET: 2
; COMPUTE_PGM_RSRC3_GFX90A:TG_SPLIT: 0
	.section	.text._ZN7rocprim17ROCPRIM_400000_NS6detail17trampoline_kernelINS0_14default_configENS1_38merge_sort_block_merge_config_selectorIiNS0_10empty_typeEEEZZNS1_27merge_sort_block_merge_implIS3_N6thrust23THRUST_200600_302600_NS6detail15normal_iteratorINS9_10device_ptrIiEEEEPS5_jNS1_19radix_merge_compareILb1ELb0EiNS0_19identity_decomposerEEEEE10hipError_tT0_T1_T2_jT3_P12ihipStream_tbPNSt15iterator_traitsISK_E10value_typeEPNSQ_ISL_E10value_typeEPSM_NS1_7vsmem_tEENKUlT_SK_SL_SM_E_clISE_PiSF_SF_EESJ_SZ_SK_SL_SM_EUlSZ_E1_NS1_11comp_targetILNS1_3genE10ELNS1_11target_archE1201ELNS1_3gpuE5ELNS1_3repE0EEENS1_36merge_oddeven_config_static_selectorELNS0_4arch9wavefront6targetE1EEEvSL_,"axG",@progbits,_ZN7rocprim17ROCPRIM_400000_NS6detail17trampoline_kernelINS0_14default_configENS1_38merge_sort_block_merge_config_selectorIiNS0_10empty_typeEEEZZNS1_27merge_sort_block_merge_implIS3_N6thrust23THRUST_200600_302600_NS6detail15normal_iteratorINS9_10device_ptrIiEEEEPS5_jNS1_19radix_merge_compareILb1ELb0EiNS0_19identity_decomposerEEEEE10hipError_tT0_T1_T2_jT3_P12ihipStream_tbPNSt15iterator_traitsISK_E10value_typeEPNSQ_ISL_E10value_typeEPSM_NS1_7vsmem_tEENKUlT_SK_SL_SM_E_clISE_PiSF_SF_EESJ_SZ_SK_SL_SM_EUlSZ_E1_NS1_11comp_targetILNS1_3genE10ELNS1_11target_archE1201ELNS1_3gpuE5ELNS1_3repE0EEENS1_36merge_oddeven_config_static_selectorELNS0_4arch9wavefront6targetE1EEEvSL_,comdat
	.protected	_ZN7rocprim17ROCPRIM_400000_NS6detail17trampoline_kernelINS0_14default_configENS1_38merge_sort_block_merge_config_selectorIiNS0_10empty_typeEEEZZNS1_27merge_sort_block_merge_implIS3_N6thrust23THRUST_200600_302600_NS6detail15normal_iteratorINS9_10device_ptrIiEEEEPS5_jNS1_19radix_merge_compareILb1ELb0EiNS0_19identity_decomposerEEEEE10hipError_tT0_T1_T2_jT3_P12ihipStream_tbPNSt15iterator_traitsISK_E10value_typeEPNSQ_ISL_E10value_typeEPSM_NS1_7vsmem_tEENKUlT_SK_SL_SM_E_clISE_PiSF_SF_EESJ_SZ_SK_SL_SM_EUlSZ_E1_NS1_11comp_targetILNS1_3genE10ELNS1_11target_archE1201ELNS1_3gpuE5ELNS1_3repE0EEENS1_36merge_oddeven_config_static_selectorELNS0_4arch9wavefront6targetE1EEEvSL_ ; -- Begin function _ZN7rocprim17ROCPRIM_400000_NS6detail17trampoline_kernelINS0_14default_configENS1_38merge_sort_block_merge_config_selectorIiNS0_10empty_typeEEEZZNS1_27merge_sort_block_merge_implIS3_N6thrust23THRUST_200600_302600_NS6detail15normal_iteratorINS9_10device_ptrIiEEEEPS5_jNS1_19radix_merge_compareILb1ELb0EiNS0_19identity_decomposerEEEEE10hipError_tT0_T1_T2_jT3_P12ihipStream_tbPNSt15iterator_traitsISK_E10value_typeEPNSQ_ISL_E10value_typeEPSM_NS1_7vsmem_tEENKUlT_SK_SL_SM_E_clISE_PiSF_SF_EESJ_SZ_SK_SL_SM_EUlSZ_E1_NS1_11comp_targetILNS1_3genE10ELNS1_11target_archE1201ELNS1_3gpuE5ELNS1_3repE0EEENS1_36merge_oddeven_config_static_selectorELNS0_4arch9wavefront6targetE1EEEvSL_
	.globl	_ZN7rocprim17ROCPRIM_400000_NS6detail17trampoline_kernelINS0_14default_configENS1_38merge_sort_block_merge_config_selectorIiNS0_10empty_typeEEEZZNS1_27merge_sort_block_merge_implIS3_N6thrust23THRUST_200600_302600_NS6detail15normal_iteratorINS9_10device_ptrIiEEEEPS5_jNS1_19radix_merge_compareILb1ELb0EiNS0_19identity_decomposerEEEEE10hipError_tT0_T1_T2_jT3_P12ihipStream_tbPNSt15iterator_traitsISK_E10value_typeEPNSQ_ISL_E10value_typeEPSM_NS1_7vsmem_tEENKUlT_SK_SL_SM_E_clISE_PiSF_SF_EESJ_SZ_SK_SL_SM_EUlSZ_E1_NS1_11comp_targetILNS1_3genE10ELNS1_11target_archE1201ELNS1_3gpuE5ELNS1_3repE0EEENS1_36merge_oddeven_config_static_selectorELNS0_4arch9wavefront6targetE1EEEvSL_
	.p2align	8
	.type	_ZN7rocprim17ROCPRIM_400000_NS6detail17trampoline_kernelINS0_14default_configENS1_38merge_sort_block_merge_config_selectorIiNS0_10empty_typeEEEZZNS1_27merge_sort_block_merge_implIS3_N6thrust23THRUST_200600_302600_NS6detail15normal_iteratorINS9_10device_ptrIiEEEEPS5_jNS1_19radix_merge_compareILb1ELb0EiNS0_19identity_decomposerEEEEE10hipError_tT0_T1_T2_jT3_P12ihipStream_tbPNSt15iterator_traitsISK_E10value_typeEPNSQ_ISL_E10value_typeEPSM_NS1_7vsmem_tEENKUlT_SK_SL_SM_E_clISE_PiSF_SF_EESJ_SZ_SK_SL_SM_EUlSZ_E1_NS1_11comp_targetILNS1_3genE10ELNS1_11target_archE1201ELNS1_3gpuE5ELNS1_3repE0EEENS1_36merge_oddeven_config_static_selectorELNS0_4arch9wavefront6targetE1EEEvSL_,@function
_ZN7rocprim17ROCPRIM_400000_NS6detail17trampoline_kernelINS0_14default_configENS1_38merge_sort_block_merge_config_selectorIiNS0_10empty_typeEEEZZNS1_27merge_sort_block_merge_implIS3_N6thrust23THRUST_200600_302600_NS6detail15normal_iteratorINS9_10device_ptrIiEEEEPS5_jNS1_19radix_merge_compareILb1ELb0EiNS0_19identity_decomposerEEEEE10hipError_tT0_T1_T2_jT3_P12ihipStream_tbPNSt15iterator_traitsISK_E10value_typeEPNSQ_ISL_E10value_typeEPSM_NS1_7vsmem_tEENKUlT_SK_SL_SM_E_clISE_PiSF_SF_EESJ_SZ_SK_SL_SM_EUlSZ_E1_NS1_11comp_targetILNS1_3genE10ELNS1_11target_archE1201ELNS1_3gpuE5ELNS1_3repE0EEENS1_36merge_oddeven_config_static_selectorELNS0_4arch9wavefront6targetE1EEEvSL_: ; @_ZN7rocprim17ROCPRIM_400000_NS6detail17trampoline_kernelINS0_14default_configENS1_38merge_sort_block_merge_config_selectorIiNS0_10empty_typeEEEZZNS1_27merge_sort_block_merge_implIS3_N6thrust23THRUST_200600_302600_NS6detail15normal_iteratorINS9_10device_ptrIiEEEEPS5_jNS1_19radix_merge_compareILb1ELb0EiNS0_19identity_decomposerEEEEE10hipError_tT0_T1_T2_jT3_P12ihipStream_tbPNSt15iterator_traitsISK_E10value_typeEPNSQ_ISL_E10value_typeEPSM_NS1_7vsmem_tEENKUlT_SK_SL_SM_E_clISE_PiSF_SF_EESJ_SZ_SK_SL_SM_EUlSZ_E1_NS1_11comp_targetILNS1_3genE10ELNS1_11target_archE1201ELNS1_3gpuE5ELNS1_3repE0EEENS1_36merge_oddeven_config_static_selectorELNS0_4arch9wavefront6targetE1EEEvSL_
; %bb.0:
	.section	.rodata,"a",@progbits
	.p2align	6, 0x0
	.amdhsa_kernel _ZN7rocprim17ROCPRIM_400000_NS6detail17trampoline_kernelINS0_14default_configENS1_38merge_sort_block_merge_config_selectorIiNS0_10empty_typeEEEZZNS1_27merge_sort_block_merge_implIS3_N6thrust23THRUST_200600_302600_NS6detail15normal_iteratorINS9_10device_ptrIiEEEEPS5_jNS1_19radix_merge_compareILb1ELb0EiNS0_19identity_decomposerEEEEE10hipError_tT0_T1_T2_jT3_P12ihipStream_tbPNSt15iterator_traitsISK_E10value_typeEPNSQ_ISL_E10value_typeEPSM_NS1_7vsmem_tEENKUlT_SK_SL_SM_E_clISE_PiSF_SF_EESJ_SZ_SK_SL_SM_EUlSZ_E1_NS1_11comp_targetILNS1_3genE10ELNS1_11target_archE1201ELNS1_3gpuE5ELNS1_3repE0EEENS1_36merge_oddeven_config_static_selectorELNS0_4arch9wavefront6targetE1EEEvSL_
		.amdhsa_group_segment_fixed_size 0
		.amdhsa_private_segment_fixed_size 0
		.amdhsa_kernarg_size 48
		.amdhsa_user_sgpr_count 2
		.amdhsa_user_sgpr_dispatch_ptr 0
		.amdhsa_user_sgpr_queue_ptr 0
		.amdhsa_user_sgpr_kernarg_segment_ptr 1
		.amdhsa_user_sgpr_dispatch_id 0
		.amdhsa_user_sgpr_kernarg_preload_length 0
		.amdhsa_user_sgpr_kernarg_preload_offset 0
		.amdhsa_user_sgpr_private_segment_size 0
		.amdhsa_uses_dynamic_stack 0
		.amdhsa_enable_private_segment 0
		.amdhsa_system_sgpr_workgroup_id_x 1
		.amdhsa_system_sgpr_workgroup_id_y 0
		.amdhsa_system_sgpr_workgroup_id_z 0
		.amdhsa_system_sgpr_workgroup_info 0
		.amdhsa_system_vgpr_workitem_id 0
		.amdhsa_next_free_vgpr 1
		.amdhsa_next_free_sgpr 0
		.amdhsa_accum_offset 4
		.amdhsa_reserve_vcc 0
		.amdhsa_float_round_mode_32 0
		.amdhsa_float_round_mode_16_64 0
		.amdhsa_float_denorm_mode_32 3
		.amdhsa_float_denorm_mode_16_64 3
		.amdhsa_dx10_clamp 1
		.amdhsa_ieee_mode 1
		.amdhsa_fp16_overflow 0
		.amdhsa_tg_split 0
		.amdhsa_exception_fp_ieee_invalid_op 0
		.amdhsa_exception_fp_denorm_src 0
		.amdhsa_exception_fp_ieee_div_zero 0
		.amdhsa_exception_fp_ieee_overflow 0
		.amdhsa_exception_fp_ieee_underflow 0
		.amdhsa_exception_fp_ieee_inexact 0
		.amdhsa_exception_int_div_zero 0
	.end_amdhsa_kernel
	.section	.text._ZN7rocprim17ROCPRIM_400000_NS6detail17trampoline_kernelINS0_14default_configENS1_38merge_sort_block_merge_config_selectorIiNS0_10empty_typeEEEZZNS1_27merge_sort_block_merge_implIS3_N6thrust23THRUST_200600_302600_NS6detail15normal_iteratorINS9_10device_ptrIiEEEEPS5_jNS1_19radix_merge_compareILb1ELb0EiNS0_19identity_decomposerEEEEE10hipError_tT0_T1_T2_jT3_P12ihipStream_tbPNSt15iterator_traitsISK_E10value_typeEPNSQ_ISL_E10value_typeEPSM_NS1_7vsmem_tEENKUlT_SK_SL_SM_E_clISE_PiSF_SF_EESJ_SZ_SK_SL_SM_EUlSZ_E1_NS1_11comp_targetILNS1_3genE10ELNS1_11target_archE1201ELNS1_3gpuE5ELNS1_3repE0EEENS1_36merge_oddeven_config_static_selectorELNS0_4arch9wavefront6targetE1EEEvSL_,"axG",@progbits,_ZN7rocprim17ROCPRIM_400000_NS6detail17trampoline_kernelINS0_14default_configENS1_38merge_sort_block_merge_config_selectorIiNS0_10empty_typeEEEZZNS1_27merge_sort_block_merge_implIS3_N6thrust23THRUST_200600_302600_NS6detail15normal_iteratorINS9_10device_ptrIiEEEEPS5_jNS1_19radix_merge_compareILb1ELb0EiNS0_19identity_decomposerEEEEE10hipError_tT0_T1_T2_jT3_P12ihipStream_tbPNSt15iterator_traitsISK_E10value_typeEPNSQ_ISL_E10value_typeEPSM_NS1_7vsmem_tEENKUlT_SK_SL_SM_E_clISE_PiSF_SF_EESJ_SZ_SK_SL_SM_EUlSZ_E1_NS1_11comp_targetILNS1_3genE10ELNS1_11target_archE1201ELNS1_3gpuE5ELNS1_3repE0EEENS1_36merge_oddeven_config_static_selectorELNS0_4arch9wavefront6targetE1EEEvSL_,comdat
.Lfunc_end263:
	.size	_ZN7rocprim17ROCPRIM_400000_NS6detail17trampoline_kernelINS0_14default_configENS1_38merge_sort_block_merge_config_selectorIiNS0_10empty_typeEEEZZNS1_27merge_sort_block_merge_implIS3_N6thrust23THRUST_200600_302600_NS6detail15normal_iteratorINS9_10device_ptrIiEEEEPS5_jNS1_19radix_merge_compareILb1ELb0EiNS0_19identity_decomposerEEEEE10hipError_tT0_T1_T2_jT3_P12ihipStream_tbPNSt15iterator_traitsISK_E10value_typeEPNSQ_ISL_E10value_typeEPSM_NS1_7vsmem_tEENKUlT_SK_SL_SM_E_clISE_PiSF_SF_EESJ_SZ_SK_SL_SM_EUlSZ_E1_NS1_11comp_targetILNS1_3genE10ELNS1_11target_archE1201ELNS1_3gpuE5ELNS1_3repE0EEENS1_36merge_oddeven_config_static_selectorELNS0_4arch9wavefront6targetE1EEEvSL_, .Lfunc_end263-_ZN7rocprim17ROCPRIM_400000_NS6detail17trampoline_kernelINS0_14default_configENS1_38merge_sort_block_merge_config_selectorIiNS0_10empty_typeEEEZZNS1_27merge_sort_block_merge_implIS3_N6thrust23THRUST_200600_302600_NS6detail15normal_iteratorINS9_10device_ptrIiEEEEPS5_jNS1_19radix_merge_compareILb1ELb0EiNS0_19identity_decomposerEEEEE10hipError_tT0_T1_T2_jT3_P12ihipStream_tbPNSt15iterator_traitsISK_E10value_typeEPNSQ_ISL_E10value_typeEPSM_NS1_7vsmem_tEENKUlT_SK_SL_SM_E_clISE_PiSF_SF_EESJ_SZ_SK_SL_SM_EUlSZ_E1_NS1_11comp_targetILNS1_3genE10ELNS1_11target_archE1201ELNS1_3gpuE5ELNS1_3repE0EEENS1_36merge_oddeven_config_static_selectorELNS0_4arch9wavefront6targetE1EEEvSL_
                                        ; -- End function
	.set _ZN7rocprim17ROCPRIM_400000_NS6detail17trampoline_kernelINS0_14default_configENS1_38merge_sort_block_merge_config_selectorIiNS0_10empty_typeEEEZZNS1_27merge_sort_block_merge_implIS3_N6thrust23THRUST_200600_302600_NS6detail15normal_iteratorINS9_10device_ptrIiEEEEPS5_jNS1_19radix_merge_compareILb1ELb0EiNS0_19identity_decomposerEEEEE10hipError_tT0_T1_T2_jT3_P12ihipStream_tbPNSt15iterator_traitsISK_E10value_typeEPNSQ_ISL_E10value_typeEPSM_NS1_7vsmem_tEENKUlT_SK_SL_SM_E_clISE_PiSF_SF_EESJ_SZ_SK_SL_SM_EUlSZ_E1_NS1_11comp_targetILNS1_3genE10ELNS1_11target_archE1201ELNS1_3gpuE5ELNS1_3repE0EEENS1_36merge_oddeven_config_static_selectorELNS0_4arch9wavefront6targetE1EEEvSL_.num_vgpr, 0
	.set _ZN7rocprim17ROCPRIM_400000_NS6detail17trampoline_kernelINS0_14default_configENS1_38merge_sort_block_merge_config_selectorIiNS0_10empty_typeEEEZZNS1_27merge_sort_block_merge_implIS3_N6thrust23THRUST_200600_302600_NS6detail15normal_iteratorINS9_10device_ptrIiEEEEPS5_jNS1_19radix_merge_compareILb1ELb0EiNS0_19identity_decomposerEEEEE10hipError_tT0_T1_T2_jT3_P12ihipStream_tbPNSt15iterator_traitsISK_E10value_typeEPNSQ_ISL_E10value_typeEPSM_NS1_7vsmem_tEENKUlT_SK_SL_SM_E_clISE_PiSF_SF_EESJ_SZ_SK_SL_SM_EUlSZ_E1_NS1_11comp_targetILNS1_3genE10ELNS1_11target_archE1201ELNS1_3gpuE5ELNS1_3repE0EEENS1_36merge_oddeven_config_static_selectorELNS0_4arch9wavefront6targetE1EEEvSL_.num_agpr, 0
	.set _ZN7rocprim17ROCPRIM_400000_NS6detail17trampoline_kernelINS0_14default_configENS1_38merge_sort_block_merge_config_selectorIiNS0_10empty_typeEEEZZNS1_27merge_sort_block_merge_implIS3_N6thrust23THRUST_200600_302600_NS6detail15normal_iteratorINS9_10device_ptrIiEEEEPS5_jNS1_19radix_merge_compareILb1ELb0EiNS0_19identity_decomposerEEEEE10hipError_tT0_T1_T2_jT3_P12ihipStream_tbPNSt15iterator_traitsISK_E10value_typeEPNSQ_ISL_E10value_typeEPSM_NS1_7vsmem_tEENKUlT_SK_SL_SM_E_clISE_PiSF_SF_EESJ_SZ_SK_SL_SM_EUlSZ_E1_NS1_11comp_targetILNS1_3genE10ELNS1_11target_archE1201ELNS1_3gpuE5ELNS1_3repE0EEENS1_36merge_oddeven_config_static_selectorELNS0_4arch9wavefront6targetE1EEEvSL_.numbered_sgpr, 0
	.set _ZN7rocprim17ROCPRIM_400000_NS6detail17trampoline_kernelINS0_14default_configENS1_38merge_sort_block_merge_config_selectorIiNS0_10empty_typeEEEZZNS1_27merge_sort_block_merge_implIS3_N6thrust23THRUST_200600_302600_NS6detail15normal_iteratorINS9_10device_ptrIiEEEEPS5_jNS1_19radix_merge_compareILb1ELb0EiNS0_19identity_decomposerEEEEE10hipError_tT0_T1_T2_jT3_P12ihipStream_tbPNSt15iterator_traitsISK_E10value_typeEPNSQ_ISL_E10value_typeEPSM_NS1_7vsmem_tEENKUlT_SK_SL_SM_E_clISE_PiSF_SF_EESJ_SZ_SK_SL_SM_EUlSZ_E1_NS1_11comp_targetILNS1_3genE10ELNS1_11target_archE1201ELNS1_3gpuE5ELNS1_3repE0EEENS1_36merge_oddeven_config_static_selectorELNS0_4arch9wavefront6targetE1EEEvSL_.num_named_barrier, 0
	.set _ZN7rocprim17ROCPRIM_400000_NS6detail17trampoline_kernelINS0_14default_configENS1_38merge_sort_block_merge_config_selectorIiNS0_10empty_typeEEEZZNS1_27merge_sort_block_merge_implIS3_N6thrust23THRUST_200600_302600_NS6detail15normal_iteratorINS9_10device_ptrIiEEEEPS5_jNS1_19radix_merge_compareILb1ELb0EiNS0_19identity_decomposerEEEEE10hipError_tT0_T1_T2_jT3_P12ihipStream_tbPNSt15iterator_traitsISK_E10value_typeEPNSQ_ISL_E10value_typeEPSM_NS1_7vsmem_tEENKUlT_SK_SL_SM_E_clISE_PiSF_SF_EESJ_SZ_SK_SL_SM_EUlSZ_E1_NS1_11comp_targetILNS1_3genE10ELNS1_11target_archE1201ELNS1_3gpuE5ELNS1_3repE0EEENS1_36merge_oddeven_config_static_selectorELNS0_4arch9wavefront6targetE1EEEvSL_.private_seg_size, 0
	.set _ZN7rocprim17ROCPRIM_400000_NS6detail17trampoline_kernelINS0_14default_configENS1_38merge_sort_block_merge_config_selectorIiNS0_10empty_typeEEEZZNS1_27merge_sort_block_merge_implIS3_N6thrust23THRUST_200600_302600_NS6detail15normal_iteratorINS9_10device_ptrIiEEEEPS5_jNS1_19radix_merge_compareILb1ELb0EiNS0_19identity_decomposerEEEEE10hipError_tT0_T1_T2_jT3_P12ihipStream_tbPNSt15iterator_traitsISK_E10value_typeEPNSQ_ISL_E10value_typeEPSM_NS1_7vsmem_tEENKUlT_SK_SL_SM_E_clISE_PiSF_SF_EESJ_SZ_SK_SL_SM_EUlSZ_E1_NS1_11comp_targetILNS1_3genE10ELNS1_11target_archE1201ELNS1_3gpuE5ELNS1_3repE0EEENS1_36merge_oddeven_config_static_selectorELNS0_4arch9wavefront6targetE1EEEvSL_.uses_vcc, 0
	.set _ZN7rocprim17ROCPRIM_400000_NS6detail17trampoline_kernelINS0_14default_configENS1_38merge_sort_block_merge_config_selectorIiNS0_10empty_typeEEEZZNS1_27merge_sort_block_merge_implIS3_N6thrust23THRUST_200600_302600_NS6detail15normal_iteratorINS9_10device_ptrIiEEEEPS5_jNS1_19radix_merge_compareILb1ELb0EiNS0_19identity_decomposerEEEEE10hipError_tT0_T1_T2_jT3_P12ihipStream_tbPNSt15iterator_traitsISK_E10value_typeEPNSQ_ISL_E10value_typeEPSM_NS1_7vsmem_tEENKUlT_SK_SL_SM_E_clISE_PiSF_SF_EESJ_SZ_SK_SL_SM_EUlSZ_E1_NS1_11comp_targetILNS1_3genE10ELNS1_11target_archE1201ELNS1_3gpuE5ELNS1_3repE0EEENS1_36merge_oddeven_config_static_selectorELNS0_4arch9wavefront6targetE1EEEvSL_.uses_flat_scratch, 0
	.set _ZN7rocprim17ROCPRIM_400000_NS6detail17trampoline_kernelINS0_14default_configENS1_38merge_sort_block_merge_config_selectorIiNS0_10empty_typeEEEZZNS1_27merge_sort_block_merge_implIS3_N6thrust23THRUST_200600_302600_NS6detail15normal_iteratorINS9_10device_ptrIiEEEEPS5_jNS1_19radix_merge_compareILb1ELb0EiNS0_19identity_decomposerEEEEE10hipError_tT0_T1_T2_jT3_P12ihipStream_tbPNSt15iterator_traitsISK_E10value_typeEPNSQ_ISL_E10value_typeEPSM_NS1_7vsmem_tEENKUlT_SK_SL_SM_E_clISE_PiSF_SF_EESJ_SZ_SK_SL_SM_EUlSZ_E1_NS1_11comp_targetILNS1_3genE10ELNS1_11target_archE1201ELNS1_3gpuE5ELNS1_3repE0EEENS1_36merge_oddeven_config_static_selectorELNS0_4arch9wavefront6targetE1EEEvSL_.has_dyn_sized_stack, 0
	.set _ZN7rocprim17ROCPRIM_400000_NS6detail17trampoline_kernelINS0_14default_configENS1_38merge_sort_block_merge_config_selectorIiNS0_10empty_typeEEEZZNS1_27merge_sort_block_merge_implIS3_N6thrust23THRUST_200600_302600_NS6detail15normal_iteratorINS9_10device_ptrIiEEEEPS5_jNS1_19radix_merge_compareILb1ELb0EiNS0_19identity_decomposerEEEEE10hipError_tT0_T1_T2_jT3_P12ihipStream_tbPNSt15iterator_traitsISK_E10value_typeEPNSQ_ISL_E10value_typeEPSM_NS1_7vsmem_tEENKUlT_SK_SL_SM_E_clISE_PiSF_SF_EESJ_SZ_SK_SL_SM_EUlSZ_E1_NS1_11comp_targetILNS1_3genE10ELNS1_11target_archE1201ELNS1_3gpuE5ELNS1_3repE0EEENS1_36merge_oddeven_config_static_selectorELNS0_4arch9wavefront6targetE1EEEvSL_.has_recursion, 0
	.set _ZN7rocprim17ROCPRIM_400000_NS6detail17trampoline_kernelINS0_14default_configENS1_38merge_sort_block_merge_config_selectorIiNS0_10empty_typeEEEZZNS1_27merge_sort_block_merge_implIS3_N6thrust23THRUST_200600_302600_NS6detail15normal_iteratorINS9_10device_ptrIiEEEEPS5_jNS1_19radix_merge_compareILb1ELb0EiNS0_19identity_decomposerEEEEE10hipError_tT0_T1_T2_jT3_P12ihipStream_tbPNSt15iterator_traitsISK_E10value_typeEPNSQ_ISL_E10value_typeEPSM_NS1_7vsmem_tEENKUlT_SK_SL_SM_E_clISE_PiSF_SF_EESJ_SZ_SK_SL_SM_EUlSZ_E1_NS1_11comp_targetILNS1_3genE10ELNS1_11target_archE1201ELNS1_3gpuE5ELNS1_3repE0EEENS1_36merge_oddeven_config_static_selectorELNS0_4arch9wavefront6targetE1EEEvSL_.has_indirect_call, 0
	.section	.AMDGPU.csdata,"",@progbits
; Kernel info:
; codeLenInByte = 0
; TotalNumSgprs: 6
; NumVgprs: 0
; NumAgprs: 0
; TotalNumVgprs: 0
; ScratchSize: 0
; MemoryBound: 0
; FloatMode: 240
; IeeeMode: 1
; LDSByteSize: 0 bytes/workgroup (compile time only)
; SGPRBlocks: 0
; VGPRBlocks: 0
; NumSGPRsForWavesPerEU: 6
; NumVGPRsForWavesPerEU: 1
; AccumOffset: 4
; Occupancy: 8
; WaveLimiterHint : 0
; COMPUTE_PGM_RSRC2:SCRATCH_EN: 0
; COMPUTE_PGM_RSRC2:USER_SGPR: 2
; COMPUTE_PGM_RSRC2:TRAP_HANDLER: 0
; COMPUTE_PGM_RSRC2:TGID_X_EN: 1
; COMPUTE_PGM_RSRC2:TGID_Y_EN: 0
; COMPUTE_PGM_RSRC2:TGID_Z_EN: 0
; COMPUTE_PGM_RSRC2:TIDIG_COMP_CNT: 0
; COMPUTE_PGM_RSRC3_GFX90A:ACCUM_OFFSET: 0
; COMPUTE_PGM_RSRC3_GFX90A:TG_SPLIT: 0
	.section	.text._ZN7rocprim17ROCPRIM_400000_NS6detail17trampoline_kernelINS0_14default_configENS1_38merge_sort_block_merge_config_selectorIiNS0_10empty_typeEEEZZNS1_27merge_sort_block_merge_implIS3_N6thrust23THRUST_200600_302600_NS6detail15normal_iteratorINS9_10device_ptrIiEEEEPS5_jNS1_19radix_merge_compareILb1ELb0EiNS0_19identity_decomposerEEEEE10hipError_tT0_T1_T2_jT3_P12ihipStream_tbPNSt15iterator_traitsISK_E10value_typeEPNSQ_ISL_E10value_typeEPSM_NS1_7vsmem_tEENKUlT_SK_SL_SM_E_clISE_PiSF_SF_EESJ_SZ_SK_SL_SM_EUlSZ_E1_NS1_11comp_targetILNS1_3genE5ELNS1_11target_archE942ELNS1_3gpuE9ELNS1_3repE0EEENS1_36merge_oddeven_config_static_selectorELNS0_4arch9wavefront6targetE1EEEvSL_,"axG",@progbits,_ZN7rocprim17ROCPRIM_400000_NS6detail17trampoline_kernelINS0_14default_configENS1_38merge_sort_block_merge_config_selectorIiNS0_10empty_typeEEEZZNS1_27merge_sort_block_merge_implIS3_N6thrust23THRUST_200600_302600_NS6detail15normal_iteratorINS9_10device_ptrIiEEEEPS5_jNS1_19radix_merge_compareILb1ELb0EiNS0_19identity_decomposerEEEEE10hipError_tT0_T1_T2_jT3_P12ihipStream_tbPNSt15iterator_traitsISK_E10value_typeEPNSQ_ISL_E10value_typeEPSM_NS1_7vsmem_tEENKUlT_SK_SL_SM_E_clISE_PiSF_SF_EESJ_SZ_SK_SL_SM_EUlSZ_E1_NS1_11comp_targetILNS1_3genE5ELNS1_11target_archE942ELNS1_3gpuE9ELNS1_3repE0EEENS1_36merge_oddeven_config_static_selectorELNS0_4arch9wavefront6targetE1EEEvSL_,comdat
	.protected	_ZN7rocprim17ROCPRIM_400000_NS6detail17trampoline_kernelINS0_14default_configENS1_38merge_sort_block_merge_config_selectorIiNS0_10empty_typeEEEZZNS1_27merge_sort_block_merge_implIS3_N6thrust23THRUST_200600_302600_NS6detail15normal_iteratorINS9_10device_ptrIiEEEEPS5_jNS1_19radix_merge_compareILb1ELb0EiNS0_19identity_decomposerEEEEE10hipError_tT0_T1_T2_jT3_P12ihipStream_tbPNSt15iterator_traitsISK_E10value_typeEPNSQ_ISL_E10value_typeEPSM_NS1_7vsmem_tEENKUlT_SK_SL_SM_E_clISE_PiSF_SF_EESJ_SZ_SK_SL_SM_EUlSZ_E1_NS1_11comp_targetILNS1_3genE5ELNS1_11target_archE942ELNS1_3gpuE9ELNS1_3repE0EEENS1_36merge_oddeven_config_static_selectorELNS0_4arch9wavefront6targetE1EEEvSL_ ; -- Begin function _ZN7rocprim17ROCPRIM_400000_NS6detail17trampoline_kernelINS0_14default_configENS1_38merge_sort_block_merge_config_selectorIiNS0_10empty_typeEEEZZNS1_27merge_sort_block_merge_implIS3_N6thrust23THRUST_200600_302600_NS6detail15normal_iteratorINS9_10device_ptrIiEEEEPS5_jNS1_19radix_merge_compareILb1ELb0EiNS0_19identity_decomposerEEEEE10hipError_tT0_T1_T2_jT3_P12ihipStream_tbPNSt15iterator_traitsISK_E10value_typeEPNSQ_ISL_E10value_typeEPSM_NS1_7vsmem_tEENKUlT_SK_SL_SM_E_clISE_PiSF_SF_EESJ_SZ_SK_SL_SM_EUlSZ_E1_NS1_11comp_targetILNS1_3genE5ELNS1_11target_archE942ELNS1_3gpuE9ELNS1_3repE0EEENS1_36merge_oddeven_config_static_selectorELNS0_4arch9wavefront6targetE1EEEvSL_
	.globl	_ZN7rocprim17ROCPRIM_400000_NS6detail17trampoline_kernelINS0_14default_configENS1_38merge_sort_block_merge_config_selectorIiNS0_10empty_typeEEEZZNS1_27merge_sort_block_merge_implIS3_N6thrust23THRUST_200600_302600_NS6detail15normal_iteratorINS9_10device_ptrIiEEEEPS5_jNS1_19radix_merge_compareILb1ELb0EiNS0_19identity_decomposerEEEEE10hipError_tT0_T1_T2_jT3_P12ihipStream_tbPNSt15iterator_traitsISK_E10value_typeEPNSQ_ISL_E10value_typeEPSM_NS1_7vsmem_tEENKUlT_SK_SL_SM_E_clISE_PiSF_SF_EESJ_SZ_SK_SL_SM_EUlSZ_E1_NS1_11comp_targetILNS1_3genE5ELNS1_11target_archE942ELNS1_3gpuE9ELNS1_3repE0EEENS1_36merge_oddeven_config_static_selectorELNS0_4arch9wavefront6targetE1EEEvSL_
	.p2align	8
	.type	_ZN7rocprim17ROCPRIM_400000_NS6detail17trampoline_kernelINS0_14default_configENS1_38merge_sort_block_merge_config_selectorIiNS0_10empty_typeEEEZZNS1_27merge_sort_block_merge_implIS3_N6thrust23THRUST_200600_302600_NS6detail15normal_iteratorINS9_10device_ptrIiEEEEPS5_jNS1_19radix_merge_compareILb1ELb0EiNS0_19identity_decomposerEEEEE10hipError_tT0_T1_T2_jT3_P12ihipStream_tbPNSt15iterator_traitsISK_E10value_typeEPNSQ_ISL_E10value_typeEPSM_NS1_7vsmem_tEENKUlT_SK_SL_SM_E_clISE_PiSF_SF_EESJ_SZ_SK_SL_SM_EUlSZ_E1_NS1_11comp_targetILNS1_3genE5ELNS1_11target_archE942ELNS1_3gpuE9ELNS1_3repE0EEENS1_36merge_oddeven_config_static_selectorELNS0_4arch9wavefront6targetE1EEEvSL_,@function
_ZN7rocprim17ROCPRIM_400000_NS6detail17trampoline_kernelINS0_14default_configENS1_38merge_sort_block_merge_config_selectorIiNS0_10empty_typeEEEZZNS1_27merge_sort_block_merge_implIS3_N6thrust23THRUST_200600_302600_NS6detail15normal_iteratorINS9_10device_ptrIiEEEEPS5_jNS1_19radix_merge_compareILb1ELb0EiNS0_19identity_decomposerEEEEE10hipError_tT0_T1_T2_jT3_P12ihipStream_tbPNSt15iterator_traitsISK_E10value_typeEPNSQ_ISL_E10value_typeEPSM_NS1_7vsmem_tEENKUlT_SK_SL_SM_E_clISE_PiSF_SF_EESJ_SZ_SK_SL_SM_EUlSZ_E1_NS1_11comp_targetILNS1_3genE5ELNS1_11target_archE942ELNS1_3gpuE9ELNS1_3repE0EEENS1_36merge_oddeven_config_static_selectorELNS0_4arch9wavefront6targetE1EEEvSL_: ; @_ZN7rocprim17ROCPRIM_400000_NS6detail17trampoline_kernelINS0_14default_configENS1_38merge_sort_block_merge_config_selectorIiNS0_10empty_typeEEEZZNS1_27merge_sort_block_merge_implIS3_N6thrust23THRUST_200600_302600_NS6detail15normal_iteratorINS9_10device_ptrIiEEEEPS5_jNS1_19radix_merge_compareILb1ELb0EiNS0_19identity_decomposerEEEEE10hipError_tT0_T1_T2_jT3_P12ihipStream_tbPNSt15iterator_traitsISK_E10value_typeEPNSQ_ISL_E10value_typeEPSM_NS1_7vsmem_tEENKUlT_SK_SL_SM_E_clISE_PiSF_SF_EESJ_SZ_SK_SL_SM_EUlSZ_E1_NS1_11comp_targetILNS1_3genE5ELNS1_11target_archE942ELNS1_3gpuE9ELNS1_3repE0EEENS1_36merge_oddeven_config_static_selectorELNS0_4arch9wavefront6targetE1EEEvSL_
; %bb.0:
	.section	.rodata,"a",@progbits
	.p2align	6, 0x0
	.amdhsa_kernel _ZN7rocprim17ROCPRIM_400000_NS6detail17trampoline_kernelINS0_14default_configENS1_38merge_sort_block_merge_config_selectorIiNS0_10empty_typeEEEZZNS1_27merge_sort_block_merge_implIS3_N6thrust23THRUST_200600_302600_NS6detail15normal_iteratorINS9_10device_ptrIiEEEEPS5_jNS1_19radix_merge_compareILb1ELb0EiNS0_19identity_decomposerEEEEE10hipError_tT0_T1_T2_jT3_P12ihipStream_tbPNSt15iterator_traitsISK_E10value_typeEPNSQ_ISL_E10value_typeEPSM_NS1_7vsmem_tEENKUlT_SK_SL_SM_E_clISE_PiSF_SF_EESJ_SZ_SK_SL_SM_EUlSZ_E1_NS1_11comp_targetILNS1_3genE5ELNS1_11target_archE942ELNS1_3gpuE9ELNS1_3repE0EEENS1_36merge_oddeven_config_static_selectorELNS0_4arch9wavefront6targetE1EEEvSL_
		.amdhsa_group_segment_fixed_size 0
		.amdhsa_private_segment_fixed_size 0
		.amdhsa_kernarg_size 48
		.amdhsa_user_sgpr_count 2
		.amdhsa_user_sgpr_dispatch_ptr 0
		.amdhsa_user_sgpr_queue_ptr 0
		.amdhsa_user_sgpr_kernarg_segment_ptr 1
		.amdhsa_user_sgpr_dispatch_id 0
		.amdhsa_user_sgpr_kernarg_preload_length 0
		.amdhsa_user_sgpr_kernarg_preload_offset 0
		.amdhsa_user_sgpr_private_segment_size 0
		.amdhsa_uses_dynamic_stack 0
		.amdhsa_enable_private_segment 0
		.amdhsa_system_sgpr_workgroup_id_x 1
		.amdhsa_system_sgpr_workgroup_id_y 0
		.amdhsa_system_sgpr_workgroup_id_z 0
		.amdhsa_system_sgpr_workgroup_info 0
		.amdhsa_system_vgpr_workitem_id 0
		.amdhsa_next_free_vgpr 1
		.amdhsa_next_free_sgpr 0
		.amdhsa_accum_offset 4
		.amdhsa_reserve_vcc 0
		.amdhsa_float_round_mode_32 0
		.amdhsa_float_round_mode_16_64 0
		.amdhsa_float_denorm_mode_32 3
		.amdhsa_float_denorm_mode_16_64 3
		.amdhsa_dx10_clamp 1
		.amdhsa_ieee_mode 1
		.amdhsa_fp16_overflow 0
		.amdhsa_tg_split 0
		.amdhsa_exception_fp_ieee_invalid_op 0
		.amdhsa_exception_fp_denorm_src 0
		.amdhsa_exception_fp_ieee_div_zero 0
		.amdhsa_exception_fp_ieee_overflow 0
		.amdhsa_exception_fp_ieee_underflow 0
		.amdhsa_exception_fp_ieee_inexact 0
		.amdhsa_exception_int_div_zero 0
	.end_amdhsa_kernel
	.section	.text._ZN7rocprim17ROCPRIM_400000_NS6detail17trampoline_kernelINS0_14default_configENS1_38merge_sort_block_merge_config_selectorIiNS0_10empty_typeEEEZZNS1_27merge_sort_block_merge_implIS3_N6thrust23THRUST_200600_302600_NS6detail15normal_iteratorINS9_10device_ptrIiEEEEPS5_jNS1_19radix_merge_compareILb1ELb0EiNS0_19identity_decomposerEEEEE10hipError_tT0_T1_T2_jT3_P12ihipStream_tbPNSt15iterator_traitsISK_E10value_typeEPNSQ_ISL_E10value_typeEPSM_NS1_7vsmem_tEENKUlT_SK_SL_SM_E_clISE_PiSF_SF_EESJ_SZ_SK_SL_SM_EUlSZ_E1_NS1_11comp_targetILNS1_3genE5ELNS1_11target_archE942ELNS1_3gpuE9ELNS1_3repE0EEENS1_36merge_oddeven_config_static_selectorELNS0_4arch9wavefront6targetE1EEEvSL_,"axG",@progbits,_ZN7rocprim17ROCPRIM_400000_NS6detail17trampoline_kernelINS0_14default_configENS1_38merge_sort_block_merge_config_selectorIiNS0_10empty_typeEEEZZNS1_27merge_sort_block_merge_implIS3_N6thrust23THRUST_200600_302600_NS6detail15normal_iteratorINS9_10device_ptrIiEEEEPS5_jNS1_19radix_merge_compareILb1ELb0EiNS0_19identity_decomposerEEEEE10hipError_tT0_T1_T2_jT3_P12ihipStream_tbPNSt15iterator_traitsISK_E10value_typeEPNSQ_ISL_E10value_typeEPSM_NS1_7vsmem_tEENKUlT_SK_SL_SM_E_clISE_PiSF_SF_EESJ_SZ_SK_SL_SM_EUlSZ_E1_NS1_11comp_targetILNS1_3genE5ELNS1_11target_archE942ELNS1_3gpuE9ELNS1_3repE0EEENS1_36merge_oddeven_config_static_selectorELNS0_4arch9wavefront6targetE1EEEvSL_,comdat
.Lfunc_end264:
	.size	_ZN7rocprim17ROCPRIM_400000_NS6detail17trampoline_kernelINS0_14default_configENS1_38merge_sort_block_merge_config_selectorIiNS0_10empty_typeEEEZZNS1_27merge_sort_block_merge_implIS3_N6thrust23THRUST_200600_302600_NS6detail15normal_iteratorINS9_10device_ptrIiEEEEPS5_jNS1_19radix_merge_compareILb1ELb0EiNS0_19identity_decomposerEEEEE10hipError_tT0_T1_T2_jT3_P12ihipStream_tbPNSt15iterator_traitsISK_E10value_typeEPNSQ_ISL_E10value_typeEPSM_NS1_7vsmem_tEENKUlT_SK_SL_SM_E_clISE_PiSF_SF_EESJ_SZ_SK_SL_SM_EUlSZ_E1_NS1_11comp_targetILNS1_3genE5ELNS1_11target_archE942ELNS1_3gpuE9ELNS1_3repE0EEENS1_36merge_oddeven_config_static_selectorELNS0_4arch9wavefront6targetE1EEEvSL_, .Lfunc_end264-_ZN7rocprim17ROCPRIM_400000_NS6detail17trampoline_kernelINS0_14default_configENS1_38merge_sort_block_merge_config_selectorIiNS0_10empty_typeEEEZZNS1_27merge_sort_block_merge_implIS3_N6thrust23THRUST_200600_302600_NS6detail15normal_iteratorINS9_10device_ptrIiEEEEPS5_jNS1_19radix_merge_compareILb1ELb0EiNS0_19identity_decomposerEEEEE10hipError_tT0_T1_T2_jT3_P12ihipStream_tbPNSt15iterator_traitsISK_E10value_typeEPNSQ_ISL_E10value_typeEPSM_NS1_7vsmem_tEENKUlT_SK_SL_SM_E_clISE_PiSF_SF_EESJ_SZ_SK_SL_SM_EUlSZ_E1_NS1_11comp_targetILNS1_3genE5ELNS1_11target_archE942ELNS1_3gpuE9ELNS1_3repE0EEENS1_36merge_oddeven_config_static_selectorELNS0_4arch9wavefront6targetE1EEEvSL_
                                        ; -- End function
	.set _ZN7rocprim17ROCPRIM_400000_NS6detail17trampoline_kernelINS0_14default_configENS1_38merge_sort_block_merge_config_selectorIiNS0_10empty_typeEEEZZNS1_27merge_sort_block_merge_implIS3_N6thrust23THRUST_200600_302600_NS6detail15normal_iteratorINS9_10device_ptrIiEEEEPS5_jNS1_19radix_merge_compareILb1ELb0EiNS0_19identity_decomposerEEEEE10hipError_tT0_T1_T2_jT3_P12ihipStream_tbPNSt15iterator_traitsISK_E10value_typeEPNSQ_ISL_E10value_typeEPSM_NS1_7vsmem_tEENKUlT_SK_SL_SM_E_clISE_PiSF_SF_EESJ_SZ_SK_SL_SM_EUlSZ_E1_NS1_11comp_targetILNS1_3genE5ELNS1_11target_archE942ELNS1_3gpuE9ELNS1_3repE0EEENS1_36merge_oddeven_config_static_selectorELNS0_4arch9wavefront6targetE1EEEvSL_.num_vgpr, 0
	.set _ZN7rocprim17ROCPRIM_400000_NS6detail17trampoline_kernelINS0_14default_configENS1_38merge_sort_block_merge_config_selectorIiNS0_10empty_typeEEEZZNS1_27merge_sort_block_merge_implIS3_N6thrust23THRUST_200600_302600_NS6detail15normal_iteratorINS9_10device_ptrIiEEEEPS5_jNS1_19radix_merge_compareILb1ELb0EiNS0_19identity_decomposerEEEEE10hipError_tT0_T1_T2_jT3_P12ihipStream_tbPNSt15iterator_traitsISK_E10value_typeEPNSQ_ISL_E10value_typeEPSM_NS1_7vsmem_tEENKUlT_SK_SL_SM_E_clISE_PiSF_SF_EESJ_SZ_SK_SL_SM_EUlSZ_E1_NS1_11comp_targetILNS1_3genE5ELNS1_11target_archE942ELNS1_3gpuE9ELNS1_3repE0EEENS1_36merge_oddeven_config_static_selectorELNS0_4arch9wavefront6targetE1EEEvSL_.num_agpr, 0
	.set _ZN7rocprim17ROCPRIM_400000_NS6detail17trampoline_kernelINS0_14default_configENS1_38merge_sort_block_merge_config_selectorIiNS0_10empty_typeEEEZZNS1_27merge_sort_block_merge_implIS3_N6thrust23THRUST_200600_302600_NS6detail15normal_iteratorINS9_10device_ptrIiEEEEPS5_jNS1_19radix_merge_compareILb1ELb0EiNS0_19identity_decomposerEEEEE10hipError_tT0_T1_T2_jT3_P12ihipStream_tbPNSt15iterator_traitsISK_E10value_typeEPNSQ_ISL_E10value_typeEPSM_NS1_7vsmem_tEENKUlT_SK_SL_SM_E_clISE_PiSF_SF_EESJ_SZ_SK_SL_SM_EUlSZ_E1_NS1_11comp_targetILNS1_3genE5ELNS1_11target_archE942ELNS1_3gpuE9ELNS1_3repE0EEENS1_36merge_oddeven_config_static_selectorELNS0_4arch9wavefront6targetE1EEEvSL_.numbered_sgpr, 0
	.set _ZN7rocprim17ROCPRIM_400000_NS6detail17trampoline_kernelINS0_14default_configENS1_38merge_sort_block_merge_config_selectorIiNS0_10empty_typeEEEZZNS1_27merge_sort_block_merge_implIS3_N6thrust23THRUST_200600_302600_NS6detail15normal_iteratorINS9_10device_ptrIiEEEEPS5_jNS1_19radix_merge_compareILb1ELb0EiNS0_19identity_decomposerEEEEE10hipError_tT0_T1_T2_jT3_P12ihipStream_tbPNSt15iterator_traitsISK_E10value_typeEPNSQ_ISL_E10value_typeEPSM_NS1_7vsmem_tEENKUlT_SK_SL_SM_E_clISE_PiSF_SF_EESJ_SZ_SK_SL_SM_EUlSZ_E1_NS1_11comp_targetILNS1_3genE5ELNS1_11target_archE942ELNS1_3gpuE9ELNS1_3repE0EEENS1_36merge_oddeven_config_static_selectorELNS0_4arch9wavefront6targetE1EEEvSL_.num_named_barrier, 0
	.set _ZN7rocprim17ROCPRIM_400000_NS6detail17trampoline_kernelINS0_14default_configENS1_38merge_sort_block_merge_config_selectorIiNS0_10empty_typeEEEZZNS1_27merge_sort_block_merge_implIS3_N6thrust23THRUST_200600_302600_NS6detail15normal_iteratorINS9_10device_ptrIiEEEEPS5_jNS1_19radix_merge_compareILb1ELb0EiNS0_19identity_decomposerEEEEE10hipError_tT0_T1_T2_jT3_P12ihipStream_tbPNSt15iterator_traitsISK_E10value_typeEPNSQ_ISL_E10value_typeEPSM_NS1_7vsmem_tEENKUlT_SK_SL_SM_E_clISE_PiSF_SF_EESJ_SZ_SK_SL_SM_EUlSZ_E1_NS1_11comp_targetILNS1_3genE5ELNS1_11target_archE942ELNS1_3gpuE9ELNS1_3repE0EEENS1_36merge_oddeven_config_static_selectorELNS0_4arch9wavefront6targetE1EEEvSL_.private_seg_size, 0
	.set _ZN7rocprim17ROCPRIM_400000_NS6detail17trampoline_kernelINS0_14default_configENS1_38merge_sort_block_merge_config_selectorIiNS0_10empty_typeEEEZZNS1_27merge_sort_block_merge_implIS3_N6thrust23THRUST_200600_302600_NS6detail15normal_iteratorINS9_10device_ptrIiEEEEPS5_jNS1_19radix_merge_compareILb1ELb0EiNS0_19identity_decomposerEEEEE10hipError_tT0_T1_T2_jT3_P12ihipStream_tbPNSt15iterator_traitsISK_E10value_typeEPNSQ_ISL_E10value_typeEPSM_NS1_7vsmem_tEENKUlT_SK_SL_SM_E_clISE_PiSF_SF_EESJ_SZ_SK_SL_SM_EUlSZ_E1_NS1_11comp_targetILNS1_3genE5ELNS1_11target_archE942ELNS1_3gpuE9ELNS1_3repE0EEENS1_36merge_oddeven_config_static_selectorELNS0_4arch9wavefront6targetE1EEEvSL_.uses_vcc, 0
	.set _ZN7rocprim17ROCPRIM_400000_NS6detail17trampoline_kernelINS0_14default_configENS1_38merge_sort_block_merge_config_selectorIiNS0_10empty_typeEEEZZNS1_27merge_sort_block_merge_implIS3_N6thrust23THRUST_200600_302600_NS6detail15normal_iteratorINS9_10device_ptrIiEEEEPS5_jNS1_19radix_merge_compareILb1ELb0EiNS0_19identity_decomposerEEEEE10hipError_tT0_T1_T2_jT3_P12ihipStream_tbPNSt15iterator_traitsISK_E10value_typeEPNSQ_ISL_E10value_typeEPSM_NS1_7vsmem_tEENKUlT_SK_SL_SM_E_clISE_PiSF_SF_EESJ_SZ_SK_SL_SM_EUlSZ_E1_NS1_11comp_targetILNS1_3genE5ELNS1_11target_archE942ELNS1_3gpuE9ELNS1_3repE0EEENS1_36merge_oddeven_config_static_selectorELNS0_4arch9wavefront6targetE1EEEvSL_.uses_flat_scratch, 0
	.set _ZN7rocprim17ROCPRIM_400000_NS6detail17trampoline_kernelINS0_14default_configENS1_38merge_sort_block_merge_config_selectorIiNS0_10empty_typeEEEZZNS1_27merge_sort_block_merge_implIS3_N6thrust23THRUST_200600_302600_NS6detail15normal_iteratorINS9_10device_ptrIiEEEEPS5_jNS1_19radix_merge_compareILb1ELb0EiNS0_19identity_decomposerEEEEE10hipError_tT0_T1_T2_jT3_P12ihipStream_tbPNSt15iterator_traitsISK_E10value_typeEPNSQ_ISL_E10value_typeEPSM_NS1_7vsmem_tEENKUlT_SK_SL_SM_E_clISE_PiSF_SF_EESJ_SZ_SK_SL_SM_EUlSZ_E1_NS1_11comp_targetILNS1_3genE5ELNS1_11target_archE942ELNS1_3gpuE9ELNS1_3repE0EEENS1_36merge_oddeven_config_static_selectorELNS0_4arch9wavefront6targetE1EEEvSL_.has_dyn_sized_stack, 0
	.set _ZN7rocprim17ROCPRIM_400000_NS6detail17trampoline_kernelINS0_14default_configENS1_38merge_sort_block_merge_config_selectorIiNS0_10empty_typeEEEZZNS1_27merge_sort_block_merge_implIS3_N6thrust23THRUST_200600_302600_NS6detail15normal_iteratorINS9_10device_ptrIiEEEEPS5_jNS1_19radix_merge_compareILb1ELb0EiNS0_19identity_decomposerEEEEE10hipError_tT0_T1_T2_jT3_P12ihipStream_tbPNSt15iterator_traitsISK_E10value_typeEPNSQ_ISL_E10value_typeEPSM_NS1_7vsmem_tEENKUlT_SK_SL_SM_E_clISE_PiSF_SF_EESJ_SZ_SK_SL_SM_EUlSZ_E1_NS1_11comp_targetILNS1_3genE5ELNS1_11target_archE942ELNS1_3gpuE9ELNS1_3repE0EEENS1_36merge_oddeven_config_static_selectorELNS0_4arch9wavefront6targetE1EEEvSL_.has_recursion, 0
	.set _ZN7rocprim17ROCPRIM_400000_NS6detail17trampoline_kernelINS0_14default_configENS1_38merge_sort_block_merge_config_selectorIiNS0_10empty_typeEEEZZNS1_27merge_sort_block_merge_implIS3_N6thrust23THRUST_200600_302600_NS6detail15normal_iteratorINS9_10device_ptrIiEEEEPS5_jNS1_19radix_merge_compareILb1ELb0EiNS0_19identity_decomposerEEEEE10hipError_tT0_T1_T2_jT3_P12ihipStream_tbPNSt15iterator_traitsISK_E10value_typeEPNSQ_ISL_E10value_typeEPSM_NS1_7vsmem_tEENKUlT_SK_SL_SM_E_clISE_PiSF_SF_EESJ_SZ_SK_SL_SM_EUlSZ_E1_NS1_11comp_targetILNS1_3genE5ELNS1_11target_archE942ELNS1_3gpuE9ELNS1_3repE0EEENS1_36merge_oddeven_config_static_selectorELNS0_4arch9wavefront6targetE1EEEvSL_.has_indirect_call, 0
	.section	.AMDGPU.csdata,"",@progbits
; Kernel info:
; codeLenInByte = 0
; TotalNumSgprs: 6
; NumVgprs: 0
; NumAgprs: 0
; TotalNumVgprs: 0
; ScratchSize: 0
; MemoryBound: 0
; FloatMode: 240
; IeeeMode: 1
; LDSByteSize: 0 bytes/workgroup (compile time only)
; SGPRBlocks: 0
; VGPRBlocks: 0
; NumSGPRsForWavesPerEU: 6
; NumVGPRsForWavesPerEU: 1
; AccumOffset: 4
; Occupancy: 8
; WaveLimiterHint : 0
; COMPUTE_PGM_RSRC2:SCRATCH_EN: 0
; COMPUTE_PGM_RSRC2:USER_SGPR: 2
; COMPUTE_PGM_RSRC2:TRAP_HANDLER: 0
; COMPUTE_PGM_RSRC2:TGID_X_EN: 1
; COMPUTE_PGM_RSRC2:TGID_Y_EN: 0
; COMPUTE_PGM_RSRC2:TGID_Z_EN: 0
; COMPUTE_PGM_RSRC2:TIDIG_COMP_CNT: 0
; COMPUTE_PGM_RSRC3_GFX90A:ACCUM_OFFSET: 0
; COMPUTE_PGM_RSRC3_GFX90A:TG_SPLIT: 0
	.section	.text._ZN7rocprim17ROCPRIM_400000_NS6detail17trampoline_kernelINS0_14default_configENS1_38merge_sort_block_merge_config_selectorIiNS0_10empty_typeEEEZZNS1_27merge_sort_block_merge_implIS3_N6thrust23THRUST_200600_302600_NS6detail15normal_iteratorINS9_10device_ptrIiEEEEPS5_jNS1_19radix_merge_compareILb1ELb0EiNS0_19identity_decomposerEEEEE10hipError_tT0_T1_T2_jT3_P12ihipStream_tbPNSt15iterator_traitsISK_E10value_typeEPNSQ_ISL_E10value_typeEPSM_NS1_7vsmem_tEENKUlT_SK_SL_SM_E_clISE_PiSF_SF_EESJ_SZ_SK_SL_SM_EUlSZ_E1_NS1_11comp_targetILNS1_3genE4ELNS1_11target_archE910ELNS1_3gpuE8ELNS1_3repE0EEENS1_36merge_oddeven_config_static_selectorELNS0_4arch9wavefront6targetE1EEEvSL_,"axG",@progbits,_ZN7rocprim17ROCPRIM_400000_NS6detail17trampoline_kernelINS0_14default_configENS1_38merge_sort_block_merge_config_selectorIiNS0_10empty_typeEEEZZNS1_27merge_sort_block_merge_implIS3_N6thrust23THRUST_200600_302600_NS6detail15normal_iteratorINS9_10device_ptrIiEEEEPS5_jNS1_19radix_merge_compareILb1ELb0EiNS0_19identity_decomposerEEEEE10hipError_tT0_T1_T2_jT3_P12ihipStream_tbPNSt15iterator_traitsISK_E10value_typeEPNSQ_ISL_E10value_typeEPSM_NS1_7vsmem_tEENKUlT_SK_SL_SM_E_clISE_PiSF_SF_EESJ_SZ_SK_SL_SM_EUlSZ_E1_NS1_11comp_targetILNS1_3genE4ELNS1_11target_archE910ELNS1_3gpuE8ELNS1_3repE0EEENS1_36merge_oddeven_config_static_selectorELNS0_4arch9wavefront6targetE1EEEvSL_,comdat
	.protected	_ZN7rocprim17ROCPRIM_400000_NS6detail17trampoline_kernelINS0_14default_configENS1_38merge_sort_block_merge_config_selectorIiNS0_10empty_typeEEEZZNS1_27merge_sort_block_merge_implIS3_N6thrust23THRUST_200600_302600_NS6detail15normal_iteratorINS9_10device_ptrIiEEEEPS5_jNS1_19radix_merge_compareILb1ELb0EiNS0_19identity_decomposerEEEEE10hipError_tT0_T1_T2_jT3_P12ihipStream_tbPNSt15iterator_traitsISK_E10value_typeEPNSQ_ISL_E10value_typeEPSM_NS1_7vsmem_tEENKUlT_SK_SL_SM_E_clISE_PiSF_SF_EESJ_SZ_SK_SL_SM_EUlSZ_E1_NS1_11comp_targetILNS1_3genE4ELNS1_11target_archE910ELNS1_3gpuE8ELNS1_3repE0EEENS1_36merge_oddeven_config_static_selectorELNS0_4arch9wavefront6targetE1EEEvSL_ ; -- Begin function _ZN7rocprim17ROCPRIM_400000_NS6detail17trampoline_kernelINS0_14default_configENS1_38merge_sort_block_merge_config_selectorIiNS0_10empty_typeEEEZZNS1_27merge_sort_block_merge_implIS3_N6thrust23THRUST_200600_302600_NS6detail15normal_iteratorINS9_10device_ptrIiEEEEPS5_jNS1_19radix_merge_compareILb1ELb0EiNS0_19identity_decomposerEEEEE10hipError_tT0_T1_T2_jT3_P12ihipStream_tbPNSt15iterator_traitsISK_E10value_typeEPNSQ_ISL_E10value_typeEPSM_NS1_7vsmem_tEENKUlT_SK_SL_SM_E_clISE_PiSF_SF_EESJ_SZ_SK_SL_SM_EUlSZ_E1_NS1_11comp_targetILNS1_3genE4ELNS1_11target_archE910ELNS1_3gpuE8ELNS1_3repE0EEENS1_36merge_oddeven_config_static_selectorELNS0_4arch9wavefront6targetE1EEEvSL_
	.globl	_ZN7rocprim17ROCPRIM_400000_NS6detail17trampoline_kernelINS0_14default_configENS1_38merge_sort_block_merge_config_selectorIiNS0_10empty_typeEEEZZNS1_27merge_sort_block_merge_implIS3_N6thrust23THRUST_200600_302600_NS6detail15normal_iteratorINS9_10device_ptrIiEEEEPS5_jNS1_19radix_merge_compareILb1ELb0EiNS0_19identity_decomposerEEEEE10hipError_tT0_T1_T2_jT3_P12ihipStream_tbPNSt15iterator_traitsISK_E10value_typeEPNSQ_ISL_E10value_typeEPSM_NS1_7vsmem_tEENKUlT_SK_SL_SM_E_clISE_PiSF_SF_EESJ_SZ_SK_SL_SM_EUlSZ_E1_NS1_11comp_targetILNS1_3genE4ELNS1_11target_archE910ELNS1_3gpuE8ELNS1_3repE0EEENS1_36merge_oddeven_config_static_selectorELNS0_4arch9wavefront6targetE1EEEvSL_
	.p2align	8
	.type	_ZN7rocprim17ROCPRIM_400000_NS6detail17trampoline_kernelINS0_14default_configENS1_38merge_sort_block_merge_config_selectorIiNS0_10empty_typeEEEZZNS1_27merge_sort_block_merge_implIS3_N6thrust23THRUST_200600_302600_NS6detail15normal_iteratorINS9_10device_ptrIiEEEEPS5_jNS1_19radix_merge_compareILb1ELb0EiNS0_19identity_decomposerEEEEE10hipError_tT0_T1_T2_jT3_P12ihipStream_tbPNSt15iterator_traitsISK_E10value_typeEPNSQ_ISL_E10value_typeEPSM_NS1_7vsmem_tEENKUlT_SK_SL_SM_E_clISE_PiSF_SF_EESJ_SZ_SK_SL_SM_EUlSZ_E1_NS1_11comp_targetILNS1_3genE4ELNS1_11target_archE910ELNS1_3gpuE8ELNS1_3repE0EEENS1_36merge_oddeven_config_static_selectorELNS0_4arch9wavefront6targetE1EEEvSL_,@function
_ZN7rocprim17ROCPRIM_400000_NS6detail17trampoline_kernelINS0_14default_configENS1_38merge_sort_block_merge_config_selectorIiNS0_10empty_typeEEEZZNS1_27merge_sort_block_merge_implIS3_N6thrust23THRUST_200600_302600_NS6detail15normal_iteratorINS9_10device_ptrIiEEEEPS5_jNS1_19radix_merge_compareILb1ELb0EiNS0_19identity_decomposerEEEEE10hipError_tT0_T1_T2_jT3_P12ihipStream_tbPNSt15iterator_traitsISK_E10value_typeEPNSQ_ISL_E10value_typeEPSM_NS1_7vsmem_tEENKUlT_SK_SL_SM_E_clISE_PiSF_SF_EESJ_SZ_SK_SL_SM_EUlSZ_E1_NS1_11comp_targetILNS1_3genE4ELNS1_11target_archE910ELNS1_3gpuE8ELNS1_3repE0EEENS1_36merge_oddeven_config_static_selectorELNS0_4arch9wavefront6targetE1EEEvSL_: ; @_ZN7rocprim17ROCPRIM_400000_NS6detail17trampoline_kernelINS0_14default_configENS1_38merge_sort_block_merge_config_selectorIiNS0_10empty_typeEEEZZNS1_27merge_sort_block_merge_implIS3_N6thrust23THRUST_200600_302600_NS6detail15normal_iteratorINS9_10device_ptrIiEEEEPS5_jNS1_19radix_merge_compareILb1ELb0EiNS0_19identity_decomposerEEEEE10hipError_tT0_T1_T2_jT3_P12ihipStream_tbPNSt15iterator_traitsISK_E10value_typeEPNSQ_ISL_E10value_typeEPSM_NS1_7vsmem_tEENKUlT_SK_SL_SM_E_clISE_PiSF_SF_EESJ_SZ_SK_SL_SM_EUlSZ_E1_NS1_11comp_targetILNS1_3genE4ELNS1_11target_archE910ELNS1_3gpuE8ELNS1_3repE0EEENS1_36merge_oddeven_config_static_selectorELNS0_4arch9wavefront6targetE1EEEvSL_
; %bb.0:
	.section	.rodata,"a",@progbits
	.p2align	6, 0x0
	.amdhsa_kernel _ZN7rocprim17ROCPRIM_400000_NS6detail17trampoline_kernelINS0_14default_configENS1_38merge_sort_block_merge_config_selectorIiNS0_10empty_typeEEEZZNS1_27merge_sort_block_merge_implIS3_N6thrust23THRUST_200600_302600_NS6detail15normal_iteratorINS9_10device_ptrIiEEEEPS5_jNS1_19radix_merge_compareILb1ELb0EiNS0_19identity_decomposerEEEEE10hipError_tT0_T1_T2_jT3_P12ihipStream_tbPNSt15iterator_traitsISK_E10value_typeEPNSQ_ISL_E10value_typeEPSM_NS1_7vsmem_tEENKUlT_SK_SL_SM_E_clISE_PiSF_SF_EESJ_SZ_SK_SL_SM_EUlSZ_E1_NS1_11comp_targetILNS1_3genE4ELNS1_11target_archE910ELNS1_3gpuE8ELNS1_3repE0EEENS1_36merge_oddeven_config_static_selectorELNS0_4arch9wavefront6targetE1EEEvSL_
		.amdhsa_group_segment_fixed_size 0
		.amdhsa_private_segment_fixed_size 0
		.amdhsa_kernarg_size 48
		.amdhsa_user_sgpr_count 2
		.amdhsa_user_sgpr_dispatch_ptr 0
		.amdhsa_user_sgpr_queue_ptr 0
		.amdhsa_user_sgpr_kernarg_segment_ptr 1
		.amdhsa_user_sgpr_dispatch_id 0
		.amdhsa_user_sgpr_kernarg_preload_length 0
		.amdhsa_user_sgpr_kernarg_preload_offset 0
		.amdhsa_user_sgpr_private_segment_size 0
		.amdhsa_uses_dynamic_stack 0
		.amdhsa_enable_private_segment 0
		.amdhsa_system_sgpr_workgroup_id_x 1
		.amdhsa_system_sgpr_workgroup_id_y 0
		.amdhsa_system_sgpr_workgroup_id_z 0
		.amdhsa_system_sgpr_workgroup_info 0
		.amdhsa_system_vgpr_workitem_id 0
		.amdhsa_next_free_vgpr 1
		.amdhsa_next_free_sgpr 0
		.amdhsa_accum_offset 4
		.amdhsa_reserve_vcc 0
		.amdhsa_float_round_mode_32 0
		.amdhsa_float_round_mode_16_64 0
		.amdhsa_float_denorm_mode_32 3
		.amdhsa_float_denorm_mode_16_64 3
		.amdhsa_dx10_clamp 1
		.amdhsa_ieee_mode 1
		.amdhsa_fp16_overflow 0
		.amdhsa_tg_split 0
		.amdhsa_exception_fp_ieee_invalid_op 0
		.amdhsa_exception_fp_denorm_src 0
		.amdhsa_exception_fp_ieee_div_zero 0
		.amdhsa_exception_fp_ieee_overflow 0
		.amdhsa_exception_fp_ieee_underflow 0
		.amdhsa_exception_fp_ieee_inexact 0
		.amdhsa_exception_int_div_zero 0
	.end_amdhsa_kernel
	.section	.text._ZN7rocprim17ROCPRIM_400000_NS6detail17trampoline_kernelINS0_14default_configENS1_38merge_sort_block_merge_config_selectorIiNS0_10empty_typeEEEZZNS1_27merge_sort_block_merge_implIS3_N6thrust23THRUST_200600_302600_NS6detail15normal_iteratorINS9_10device_ptrIiEEEEPS5_jNS1_19radix_merge_compareILb1ELb0EiNS0_19identity_decomposerEEEEE10hipError_tT0_T1_T2_jT3_P12ihipStream_tbPNSt15iterator_traitsISK_E10value_typeEPNSQ_ISL_E10value_typeEPSM_NS1_7vsmem_tEENKUlT_SK_SL_SM_E_clISE_PiSF_SF_EESJ_SZ_SK_SL_SM_EUlSZ_E1_NS1_11comp_targetILNS1_3genE4ELNS1_11target_archE910ELNS1_3gpuE8ELNS1_3repE0EEENS1_36merge_oddeven_config_static_selectorELNS0_4arch9wavefront6targetE1EEEvSL_,"axG",@progbits,_ZN7rocprim17ROCPRIM_400000_NS6detail17trampoline_kernelINS0_14default_configENS1_38merge_sort_block_merge_config_selectorIiNS0_10empty_typeEEEZZNS1_27merge_sort_block_merge_implIS3_N6thrust23THRUST_200600_302600_NS6detail15normal_iteratorINS9_10device_ptrIiEEEEPS5_jNS1_19radix_merge_compareILb1ELb0EiNS0_19identity_decomposerEEEEE10hipError_tT0_T1_T2_jT3_P12ihipStream_tbPNSt15iterator_traitsISK_E10value_typeEPNSQ_ISL_E10value_typeEPSM_NS1_7vsmem_tEENKUlT_SK_SL_SM_E_clISE_PiSF_SF_EESJ_SZ_SK_SL_SM_EUlSZ_E1_NS1_11comp_targetILNS1_3genE4ELNS1_11target_archE910ELNS1_3gpuE8ELNS1_3repE0EEENS1_36merge_oddeven_config_static_selectorELNS0_4arch9wavefront6targetE1EEEvSL_,comdat
.Lfunc_end265:
	.size	_ZN7rocprim17ROCPRIM_400000_NS6detail17trampoline_kernelINS0_14default_configENS1_38merge_sort_block_merge_config_selectorIiNS0_10empty_typeEEEZZNS1_27merge_sort_block_merge_implIS3_N6thrust23THRUST_200600_302600_NS6detail15normal_iteratorINS9_10device_ptrIiEEEEPS5_jNS1_19radix_merge_compareILb1ELb0EiNS0_19identity_decomposerEEEEE10hipError_tT0_T1_T2_jT3_P12ihipStream_tbPNSt15iterator_traitsISK_E10value_typeEPNSQ_ISL_E10value_typeEPSM_NS1_7vsmem_tEENKUlT_SK_SL_SM_E_clISE_PiSF_SF_EESJ_SZ_SK_SL_SM_EUlSZ_E1_NS1_11comp_targetILNS1_3genE4ELNS1_11target_archE910ELNS1_3gpuE8ELNS1_3repE0EEENS1_36merge_oddeven_config_static_selectorELNS0_4arch9wavefront6targetE1EEEvSL_, .Lfunc_end265-_ZN7rocprim17ROCPRIM_400000_NS6detail17trampoline_kernelINS0_14default_configENS1_38merge_sort_block_merge_config_selectorIiNS0_10empty_typeEEEZZNS1_27merge_sort_block_merge_implIS3_N6thrust23THRUST_200600_302600_NS6detail15normal_iteratorINS9_10device_ptrIiEEEEPS5_jNS1_19radix_merge_compareILb1ELb0EiNS0_19identity_decomposerEEEEE10hipError_tT0_T1_T2_jT3_P12ihipStream_tbPNSt15iterator_traitsISK_E10value_typeEPNSQ_ISL_E10value_typeEPSM_NS1_7vsmem_tEENKUlT_SK_SL_SM_E_clISE_PiSF_SF_EESJ_SZ_SK_SL_SM_EUlSZ_E1_NS1_11comp_targetILNS1_3genE4ELNS1_11target_archE910ELNS1_3gpuE8ELNS1_3repE0EEENS1_36merge_oddeven_config_static_selectorELNS0_4arch9wavefront6targetE1EEEvSL_
                                        ; -- End function
	.set _ZN7rocprim17ROCPRIM_400000_NS6detail17trampoline_kernelINS0_14default_configENS1_38merge_sort_block_merge_config_selectorIiNS0_10empty_typeEEEZZNS1_27merge_sort_block_merge_implIS3_N6thrust23THRUST_200600_302600_NS6detail15normal_iteratorINS9_10device_ptrIiEEEEPS5_jNS1_19radix_merge_compareILb1ELb0EiNS0_19identity_decomposerEEEEE10hipError_tT0_T1_T2_jT3_P12ihipStream_tbPNSt15iterator_traitsISK_E10value_typeEPNSQ_ISL_E10value_typeEPSM_NS1_7vsmem_tEENKUlT_SK_SL_SM_E_clISE_PiSF_SF_EESJ_SZ_SK_SL_SM_EUlSZ_E1_NS1_11comp_targetILNS1_3genE4ELNS1_11target_archE910ELNS1_3gpuE8ELNS1_3repE0EEENS1_36merge_oddeven_config_static_selectorELNS0_4arch9wavefront6targetE1EEEvSL_.num_vgpr, 0
	.set _ZN7rocprim17ROCPRIM_400000_NS6detail17trampoline_kernelINS0_14default_configENS1_38merge_sort_block_merge_config_selectorIiNS0_10empty_typeEEEZZNS1_27merge_sort_block_merge_implIS3_N6thrust23THRUST_200600_302600_NS6detail15normal_iteratorINS9_10device_ptrIiEEEEPS5_jNS1_19radix_merge_compareILb1ELb0EiNS0_19identity_decomposerEEEEE10hipError_tT0_T1_T2_jT3_P12ihipStream_tbPNSt15iterator_traitsISK_E10value_typeEPNSQ_ISL_E10value_typeEPSM_NS1_7vsmem_tEENKUlT_SK_SL_SM_E_clISE_PiSF_SF_EESJ_SZ_SK_SL_SM_EUlSZ_E1_NS1_11comp_targetILNS1_3genE4ELNS1_11target_archE910ELNS1_3gpuE8ELNS1_3repE0EEENS1_36merge_oddeven_config_static_selectorELNS0_4arch9wavefront6targetE1EEEvSL_.num_agpr, 0
	.set _ZN7rocprim17ROCPRIM_400000_NS6detail17trampoline_kernelINS0_14default_configENS1_38merge_sort_block_merge_config_selectorIiNS0_10empty_typeEEEZZNS1_27merge_sort_block_merge_implIS3_N6thrust23THRUST_200600_302600_NS6detail15normal_iteratorINS9_10device_ptrIiEEEEPS5_jNS1_19radix_merge_compareILb1ELb0EiNS0_19identity_decomposerEEEEE10hipError_tT0_T1_T2_jT3_P12ihipStream_tbPNSt15iterator_traitsISK_E10value_typeEPNSQ_ISL_E10value_typeEPSM_NS1_7vsmem_tEENKUlT_SK_SL_SM_E_clISE_PiSF_SF_EESJ_SZ_SK_SL_SM_EUlSZ_E1_NS1_11comp_targetILNS1_3genE4ELNS1_11target_archE910ELNS1_3gpuE8ELNS1_3repE0EEENS1_36merge_oddeven_config_static_selectorELNS0_4arch9wavefront6targetE1EEEvSL_.numbered_sgpr, 0
	.set _ZN7rocprim17ROCPRIM_400000_NS6detail17trampoline_kernelINS0_14default_configENS1_38merge_sort_block_merge_config_selectorIiNS0_10empty_typeEEEZZNS1_27merge_sort_block_merge_implIS3_N6thrust23THRUST_200600_302600_NS6detail15normal_iteratorINS9_10device_ptrIiEEEEPS5_jNS1_19radix_merge_compareILb1ELb0EiNS0_19identity_decomposerEEEEE10hipError_tT0_T1_T2_jT3_P12ihipStream_tbPNSt15iterator_traitsISK_E10value_typeEPNSQ_ISL_E10value_typeEPSM_NS1_7vsmem_tEENKUlT_SK_SL_SM_E_clISE_PiSF_SF_EESJ_SZ_SK_SL_SM_EUlSZ_E1_NS1_11comp_targetILNS1_3genE4ELNS1_11target_archE910ELNS1_3gpuE8ELNS1_3repE0EEENS1_36merge_oddeven_config_static_selectorELNS0_4arch9wavefront6targetE1EEEvSL_.num_named_barrier, 0
	.set _ZN7rocprim17ROCPRIM_400000_NS6detail17trampoline_kernelINS0_14default_configENS1_38merge_sort_block_merge_config_selectorIiNS0_10empty_typeEEEZZNS1_27merge_sort_block_merge_implIS3_N6thrust23THRUST_200600_302600_NS6detail15normal_iteratorINS9_10device_ptrIiEEEEPS5_jNS1_19radix_merge_compareILb1ELb0EiNS0_19identity_decomposerEEEEE10hipError_tT0_T1_T2_jT3_P12ihipStream_tbPNSt15iterator_traitsISK_E10value_typeEPNSQ_ISL_E10value_typeEPSM_NS1_7vsmem_tEENKUlT_SK_SL_SM_E_clISE_PiSF_SF_EESJ_SZ_SK_SL_SM_EUlSZ_E1_NS1_11comp_targetILNS1_3genE4ELNS1_11target_archE910ELNS1_3gpuE8ELNS1_3repE0EEENS1_36merge_oddeven_config_static_selectorELNS0_4arch9wavefront6targetE1EEEvSL_.private_seg_size, 0
	.set _ZN7rocprim17ROCPRIM_400000_NS6detail17trampoline_kernelINS0_14default_configENS1_38merge_sort_block_merge_config_selectorIiNS0_10empty_typeEEEZZNS1_27merge_sort_block_merge_implIS3_N6thrust23THRUST_200600_302600_NS6detail15normal_iteratorINS9_10device_ptrIiEEEEPS5_jNS1_19radix_merge_compareILb1ELb0EiNS0_19identity_decomposerEEEEE10hipError_tT0_T1_T2_jT3_P12ihipStream_tbPNSt15iterator_traitsISK_E10value_typeEPNSQ_ISL_E10value_typeEPSM_NS1_7vsmem_tEENKUlT_SK_SL_SM_E_clISE_PiSF_SF_EESJ_SZ_SK_SL_SM_EUlSZ_E1_NS1_11comp_targetILNS1_3genE4ELNS1_11target_archE910ELNS1_3gpuE8ELNS1_3repE0EEENS1_36merge_oddeven_config_static_selectorELNS0_4arch9wavefront6targetE1EEEvSL_.uses_vcc, 0
	.set _ZN7rocprim17ROCPRIM_400000_NS6detail17trampoline_kernelINS0_14default_configENS1_38merge_sort_block_merge_config_selectorIiNS0_10empty_typeEEEZZNS1_27merge_sort_block_merge_implIS3_N6thrust23THRUST_200600_302600_NS6detail15normal_iteratorINS9_10device_ptrIiEEEEPS5_jNS1_19radix_merge_compareILb1ELb0EiNS0_19identity_decomposerEEEEE10hipError_tT0_T1_T2_jT3_P12ihipStream_tbPNSt15iterator_traitsISK_E10value_typeEPNSQ_ISL_E10value_typeEPSM_NS1_7vsmem_tEENKUlT_SK_SL_SM_E_clISE_PiSF_SF_EESJ_SZ_SK_SL_SM_EUlSZ_E1_NS1_11comp_targetILNS1_3genE4ELNS1_11target_archE910ELNS1_3gpuE8ELNS1_3repE0EEENS1_36merge_oddeven_config_static_selectorELNS0_4arch9wavefront6targetE1EEEvSL_.uses_flat_scratch, 0
	.set _ZN7rocprim17ROCPRIM_400000_NS6detail17trampoline_kernelINS0_14default_configENS1_38merge_sort_block_merge_config_selectorIiNS0_10empty_typeEEEZZNS1_27merge_sort_block_merge_implIS3_N6thrust23THRUST_200600_302600_NS6detail15normal_iteratorINS9_10device_ptrIiEEEEPS5_jNS1_19radix_merge_compareILb1ELb0EiNS0_19identity_decomposerEEEEE10hipError_tT0_T1_T2_jT3_P12ihipStream_tbPNSt15iterator_traitsISK_E10value_typeEPNSQ_ISL_E10value_typeEPSM_NS1_7vsmem_tEENKUlT_SK_SL_SM_E_clISE_PiSF_SF_EESJ_SZ_SK_SL_SM_EUlSZ_E1_NS1_11comp_targetILNS1_3genE4ELNS1_11target_archE910ELNS1_3gpuE8ELNS1_3repE0EEENS1_36merge_oddeven_config_static_selectorELNS0_4arch9wavefront6targetE1EEEvSL_.has_dyn_sized_stack, 0
	.set _ZN7rocprim17ROCPRIM_400000_NS6detail17trampoline_kernelINS0_14default_configENS1_38merge_sort_block_merge_config_selectorIiNS0_10empty_typeEEEZZNS1_27merge_sort_block_merge_implIS3_N6thrust23THRUST_200600_302600_NS6detail15normal_iteratorINS9_10device_ptrIiEEEEPS5_jNS1_19radix_merge_compareILb1ELb0EiNS0_19identity_decomposerEEEEE10hipError_tT0_T1_T2_jT3_P12ihipStream_tbPNSt15iterator_traitsISK_E10value_typeEPNSQ_ISL_E10value_typeEPSM_NS1_7vsmem_tEENKUlT_SK_SL_SM_E_clISE_PiSF_SF_EESJ_SZ_SK_SL_SM_EUlSZ_E1_NS1_11comp_targetILNS1_3genE4ELNS1_11target_archE910ELNS1_3gpuE8ELNS1_3repE0EEENS1_36merge_oddeven_config_static_selectorELNS0_4arch9wavefront6targetE1EEEvSL_.has_recursion, 0
	.set _ZN7rocprim17ROCPRIM_400000_NS6detail17trampoline_kernelINS0_14default_configENS1_38merge_sort_block_merge_config_selectorIiNS0_10empty_typeEEEZZNS1_27merge_sort_block_merge_implIS3_N6thrust23THRUST_200600_302600_NS6detail15normal_iteratorINS9_10device_ptrIiEEEEPS5_jNS1_19radix_merge_compareILb1ELb0EiNS0_19identity_decomposerEEEEE10hipError_tT0_T1_T2_jT3_P12ihipStream_tbPNSt15iterator_traitsISK_E10value_typeEPNSQ_ISL_E10value_typeEPSM_NS1_7vsmem_tEENKUlT_SK_SL_SM_E_clISE_PiSF_SF_EESJ_SZ_SK_SL_SM_EUlSZ_E1_NS1_11comp_targetILNS1_3genE4ELNS1_11target_archE910ELNS1_3gpuE8ELNS1_3repE0EEENS1_36merge_oddeven_config_static_selectorELNS0_4arch9wavefront6targetE1EEEvSL_.has_indirect_call, 0
	.section	.AMDGPU.csdata,"",@progbits
; Kernel info:
; codeLenInByte = 0
; TotalNumSgprs: 6
; NumVgprs: 0
; NumAgprs: 0
; TotalNumVgprs: 0
; ScratchSize: 0
; MemoryBound: 0
; FloatMode: 240
; IeeeMode: 1
; LDSByteSize: 0 bytes/workgroup (compile time only)
; SGPRBlocks: 0
; VGPRBlocks: 0
; NumSGPRsForWavesPerEU: 6
; NumVGPRsForWavesPerEU: 1
; AccumOffset: 4
; Occupancy: 8
; WaveLimiterHint : 0
; COMPUTE_PGM_RSRC2:SCRATCH_EN: 0
; COMPUTE_PGM_RSRC2:USER_SGPR: 2
; COMPUTE_PGM_RSRC2:TRAP_HANDLER: 0
; COMPUTE_PGM_RSRC2:TGID_X_EN: 1
; COMPUTE_PGM_RSRC2:TGID_Y_EN: 0
; COMPUTE_PGM_RSRC2:TGID_Z_EN: 0
; COMPUTE_PGM_RSRC2:TIDIG_COMP_CNT: 0
; COMPUTE_PGM_RSRC3_GFX90A:ACCUM_OFFSET: 0
; COMPUTE_PGM_RSRC3_GFX90A:TG_SPLIT: 0
	.section	.text._ZN7rocprim17ROCPRIM_400000_NS6detail17trampoline_kernelINS0_14default_configENS1_38merge_sort_block_merge_config_selectorIiNS0_10empty_typeEEEZZNS1_27merge_sort_block_merge_implIS3_N6thrust23THRUST_200600_302600_NS6detail15normal_iteratorINS9_10device_ptrIiEEEEPS5_jNS1_19radix_merge_compareILb1ELb0EiNS0_19identity_decomposerEEEEE10hipError_tT0_T1_T2_jT3_P12ihipStream_tbPNSt15iterator_traitsISK_E10value_typeEPNSQ_ISL_E10value_typeEPSM_NS1_7vsmem_tEENKUlT_SK_SL_SM_E_clISE_PiSF_SF_EESJ_SZ_SK_SL_SM_EUlSZ_E1_NS1_11comp_targetILNS1_3genE3ELNS1_11target_archE908ELNS1_3gpuE7ELNS1_3repE0EEENS1_36merge_oddeven_config_static_selectorELNS0_4arch9wavefront6targetE1EEEvSL_,"axG",@progbits,_ZN7rocprim17ROCPRIM_400000_NS6detail17trampoline_kernelINS0_14default_configENS1_38merge_sort_block_merge_config_selectorIiNS0_10empty_typeEEEZZNS1_27merge_sort_block_merge_implIS3_N6thrust23THRUST_200600_302600_NS6detail15normal_iteratorINS9_10device_ptrIiEEEEPS5_jNS1_19radix_merge_compareILb1ELb0EiNS0_19identity_decomposerEEEEE10hipError_tT0_T1_T2_jT3_P12ihipStream_tbPNSt15iterator_traitsISK_E10value_typeEPNSQ_ISL_E10value_typeEPSM_NS1_7vsmem_tEENKUlT_SK_SL_SM_E_clISE_PiSF_SF_EESJ_SZ_SK_SL_SM_EUlSZ_E1_NS1_11comp_targetILNS1_3genE3ELNS1_11target_archE908ELNS1_3gpuE7ELNS1_3repE0EEENS1_36merge_oddeven_config_static_selectorELNS0_4arch9wavefront6targetE1EEEvSL_,comdat
	.protected	_ZN7rocprim17ROCPRIM_400000_NS6detail17trampoline_kernelINS0_14default_configENS1_38merge_sort_block_merge_config_selectorIiNS0_10empty_typeEEEZZNS1_27merge_sort_block_merge_implIS3_N6thrust23THRUST_200600_302600_NS6detail15normal_iteratorINS9_10device_ptrIiEEEEPS5_jNS1_19radix_merge_compareILb1ELb0EiNS0_19identity_decomposerEEEEE10hipError_tT0_T1_T2_jT3_P12ihipStream_tbPNSt15iterator_traitsISK_E10value_typeEPNSQ_ISL_E10value_typeEPSM_NS1_7vsmem_tEENKUlT_SK_SL_SM_E_clISE_PiSF_SF_EESJ_SZ_SK_SL_SM_EUlSZ_E1_NS1_11comp_targetILNS1_3genE3ELNS1_11target_archE908ELNS1_3gpuE7ELNS1_3repE0EEENS1_36merge_oddeven_config_static_selectorELNS0_4arch9wavefront6targetE1EEEvSL_ ; -- Begin function _ZN7rocprim17ROCPRIM_400000_NS6detail17trampoline_kernelINS0_14default_configENS1_38merge_sort_block_merge_config_selectorIiNS0_10empty_typeEEEZZNS1_27merge_sort_block_merge_implIS3_N6thrust23THRUST_200600_302600_NS6detail15normal_iteratorINS9_10device_ptrIiEEEEPS5_jNS1_19radix_merge_compareILb1ELb0EiNS0_19identity_decomposerEEEEE10hipError_tT0_T1_T2_jT3_P12ihipStream_tbPNSt15iterator_traitsISK_E10value_typeEPNSQ_ISL_E10value_typeEPSM_NS1_7vsmem_tEENKUlT_SK_SL_SM_E_clISE_PiSF_SF_EESJ_SZ_SK_SL_SM_EUlSZ_E1_NS1_11comp_targetILNS1_3genE3ELNS1_11target_archE908ELNS1_3gpuE7ELNS1_3repE0EEENS1_36merge_oddeven_config_static_selectorELNS0_4arch9wavefront6targetE1EEEvSL_
	.globl	_ZN7rocprim17ROCPRIM_400000_NS6detail17trampoline_kernelINS0_14default_configENS1_38merge_sort_block_merge_config_selectorIiNS0_10empty_typeEEEZZNS1_27merge_sort_block_merge_implIS3_N6thrust23THRUST_200600_302600_NS6detail15normal_iteratorINS9_10device_ptrIiEEEEPS5_jNS1_19radix_merge_compareILb1ELb0EiNS0_19identity_decomposerEEEEE10hipError_tT0_T1_T2_jT3_P12ihipStream_tbPNSt15iterator_traitsISK_E10value_typeEPNSQ_ISL_E10value_typeEPSM_NS1_7vsmem_tEENKUlT_SK_SL_SM_E_clISE_PiSF_SF_EESJ_SZ_SK_SL_SM_EUlSZ_E1_NS1_11comp_targetILNS1_3genE3ELNS1_11target_archE908ELNS1_3gpuE7ELNS1_3repE0EEENS1_36merge_oddeven_config_static_selectorELNS0_4arch9wavefront6targetE1EEEvSL_
	.p2align	8
	.type	_ZN7rocprim17ROCPRIM_400000_NS6detail17trampoline_kernelINS0_14default_configENS1_38merge_sort_block_merge_config_selectorIiNS0_10empty_typeEEEZZNS1_27merge_sort_block_merge_implIS3_N6thrust23THRUST_200600_302600_NS6detail15normal_iteratorINS9_10device_ptrIiEEEEPS5_jNS1_19radix_merge_compareILb1ELb0EiNS0_19identity_decomposerEEEEE10hipError_tT0_T1_T2_jT3_P12ihipStream_tbPNSt15iterator_traitsISK_E10value_typeEPNSQ_ISL_E10value_typeEPSM_NS1_7vsmem_tEENKUlT_SK_SL_SM_E_clISE_PiSF_SF_EESJ_SZ_SK_SL_SM_EUlSZ_E1_NS1_11comp_targetILNS1_3genE3ELNS1_11target_archE908ELNS1_3gpuE7ELNS1_3repE0EEENS1_36merge_oddeven_config_static_selectorELNS0_4arch9wavefront6targetE1EEEvSL_,@function
_ZN7rocprim17ROCPRIM_400000_NS6detail17trampoline_kernelINS0_14default_configENS1_38merge_sort_block_merge_config_selectorIiNS0_10empty_typeEEEZZNS1_27merge_sort_block_merge_implIS3_N6thrust23THRUST_200600_302600_NS6detail15normal_iteratorINS9_10device_ptrIiEEEEPS5_jNS1_19radix_merge_compareILb1ELb0EiNS0_19identity_decomposerEEEEE10hipError_tT0_T1_T2_jT3_P12ihipStream_tbPNSt15iterator_traitsISK_E10value_typeEPNSQ_ISL_E10value_typeEPSM_NS1_7vsmem_tEENKUlT_SK_SL_SM_E_clISE_PiSF_SF_EESJ_SZ_SK_SL_SM_EUlSZ_E1_NS1_11comp_targetILNS1_3genE3ELNS1_11target_archE908ELNS1_3gpuE7ELNS1_3repE0EEENS1_36merge_oddeven_config_static_selectorELNS0_4arch9wavefront6targetE1EEEvSL_: ; @_ZN7rocprim17ROCPRIM_400000_NS6detail17trampoline_kernelINS0_14default_configENS1_38merge_sort_block_merge_config_selectorIiNS0_10empty_typeEEEZZNS1_27merge_sort_block_merge_implIS3_N6thrust23THRUST_200600_302600_NS6detail15normal_iteratorINS9_10device_ptrIiEEEEPS5_jNS1_19radix_merge_compareILb1ELb0EiNS0_19identity_decomposerEEEEE10hipError_tT0_T1_T2_jT3_P12ihipStream_tbPNSt15iterator_traitsISK_E10value_typeEPNSQ_ISL_E10value_typeEPSM_NS1_7vsmem_tEENKUlT_SK_SL_SM_E_clISE_PiSF_SF_EESJ_SZ_SK_SL_SM_EUlSZ_E1_NS1_11comp_targetILNS1_3genE3ELNS1_11target_archE908ELNS1_3gpuE7ELNS1_3repE0EEENS1_36merge_oddeven_config_static_selectorELNS0_4arch9wavefront6targetE1EEEvSL_
; %bb.0:
	.section	.rodata,"a",@progbits
	.p2align	6, 0x0
	.amdhsa_kernel _ZN7rocprim17ROCPRIM_400000_NS6detail17trampoline_kernelINS0_14default_configENS1_38merge_sort_block_merge_config_selectorIiNS0_10empty_typeEEEZZNS1_27merge_sort_block_merge_implIS3_N6thrust23THRUST_200600_302600_NS6detail15normal_iteratorINS9_10device_ptrIiEEEEPS5_jNS1_19radix_merge_compareILb1ELb0EiNS0_19identity_decomposerEEEEE10hipError_tT0_T1_T2_jT3_P12ihipStream_tbPNSt15iterator_traitsISK_E10value_typeEPNSQ_ISL_E10value_typeEPSM_NS1_7vsmem_tEENKUlT_SK_SL_SM_E_clISE_PiSF_SF_EESJ_SZ_SK_SL_SM_EUlSZ_E1_NS1_11comp_targetILNS1_3genE3ELNS1_11target_archE908ELNS1_3gpuE7ELNS1_3repE0EEENS1_36merge_oddeven_config_static_selectorELNS0_4arch9wavefront6targetE1EEEvSL_
		.amdhsa_group_segment_fixed_size 0
		.amdhsa_private_segment_fixed_size 0
		.amdhsa_kernarg_size 48
		.amdhsa_user_sgpr_count 2
		.amdhsa_user_sgpr_dispatch_ptr 0
		.amdhsa_user_sgpr_queue_ptr 0
		.amdhsa_user_sgpr_kernarg_segment_ptr 1
		.amdhsa_user_sgpr_dispatch_id 0
		.amdhsa_user_sgpr_kernarg_preload_length 0
		.amdhsa_user_sgpr_kernarg_preload_offset 0
		.amdhsa_user_sgpr_private_segment_size 0
		.amdhsa_uses_dynamic_stack 0
		.amdhsa_enable_private_segment 0
		.amdhsa_system_sgpr_workgroup_id_x 1
		.amdhsa_system_sgpr_workgroup_id_y 0
		.amdhsa_system_sgpr_workgroup_id_z 0
		.amdhsa_system_sgpr_workgroup_info 0
		.amdhsa_system_vgpr_workitem_id 0
		.amdhsa_next_free_vgpr 1
		.amdhsa_next_free_sgpr 0
		.amdhsa_accum_offset 4
		.amdhsa_reserve_vcc 0
		.amdhsa_float_round_mode_32 0
		.amdhsa_float_round_mode_16_64 0
		.amdhsa_float_denorm_mode_32 3
		.amdhsa_float_denorm_mode_16_64 3
		.amdhsa_dx10_clamp 1
		.amdhsa_ieee_mode 1
		.amdhsa_fp16_overflow 0
		.amdhsa_tg_split 0
		.amdhsa_exception_fp_ieee_invalid_op 0
		.amdhsa_exception_fp_denorm_src 0
		.amdhsa_exception_fp_ieee_div_zero 0
		.amdhsa_exception_fp_ieee_overflow 0
		.amdhsa_exception_fp_ieee_underflow 0
		.amdhsa_exception_fp_ieee_inexact 0
		.amdhsa_exception_int_div_zero 0
	.end_amdhsa_kernel
	.section	.text._ZN7rocprim17ROCPRIM_400000_NS6detail17trampoline_kernelINS0_14default_configENS1_38merge_sort_block_merge_config_selectorIiNS0_10empty_typeEEEZZNS1_27merge_sort_block_merge_implIS3_N6thrust23THRUST_200600_302600_NS6detail15normal_iteratorINS9_10device_ptrIiEEEEPS5_jNS1_19radix_merge_compareILb1ELb0EiNS0_19identity_decomposerEEEEE10hipError_tT0_T1_T2_jT3_P12ihipStream_tbPNSt15iterator_traitsISK_E10value_typeEPNSQ_ISL_E10value_typeEPSM_NS1_7vsmem_tEENKUlT_SK_SL_SM_E_clISE_PiSF_SF_EESJ_SZ_SK_SL_SM_EUlSZ_E1_NS1_11comp_targetILNS1_3genE3ELNS1_11target_archE908ELNS1_3gpuE7ELNS1_3repE0EEENS1_36merge_oddeven_config_static_selectorELNS0_4arch9wavefront6targetE1EEEvSL_,"axG",@progbits,_ZN7rocprim17ROCPRIM_400000_NS6detail17trampoline_kernelINS0_14default_configENS1_38merge_sort_block_merge_config_selectorIiNS0_10empty_typeEEEZZNS1_27merge_sort_block_merge_implIS3_N6thrust23THRUST_200600_302600_NS6detail15normal_iteratorINS9_10device_ptrIiEEEEPS5_jNS1_19radix_merge_compareILb1ELb0EiNS0_19identity_decomposerEEEEE10hipError_tT0_T1_T2_jT3_P12ihipStream_tbPNSt15iterator_traitsISK_E10value_typeEPNSQ_ISL_E10value_typeEPSM_NS1_7vsmem_tEENKUlT_SK_SL_SM_E_clISE_PiSF_SF_EESJ_SZ_SK_SL_SM_EUlSZ_E1_NS1_11comp_targetILNS1_3genE3ELNS1_11target_archE908ELNS1_3gpuE7ELNS1_3repE0EEENS1_36merge_oddeven_config_static_selectorELNS0_4arch9wavefront6targetE1EEEvSL_,comdat
.Lfunc_end266:
	.size	_ZN7rocprim17ROCPRIM_400000_NS6detail17trampoline_kernelINS0_14default_configENS1_38merge_sort_block_merge_config_selectorIiNS0_10empty_typeEEEZZNS1_27merge_sort_block_merge_implIS3_N6thrust23THRUST_200600_302600_NS6detail15normal_iteratorINS9_10device_ptrIiEEEEPS5_jNS1_19radix_merge_compareILb1ELb0EiNS0_19identity_decomposerEEEEE10hipError_tT0_T1_T2_jT3_P12ihipStream_tbPNSt15iterator_traitsISK_E10value_typeEPNSQ_ISL_E10value_typeEPSM_NS1_7vsmem_tEENKUlT_SK_SL_SM_E_clISE_PiSF_SF_EESJ_SZ_SK_SL_SM_EUlSZ_E1_NS1_11comp_targetILNS1_3genE3ELNS1_11target_archE908ELNS1_3gpuE7ELNS1_3repE0EEENS1_36merge_oddeven_config_static_selectorELNS0_4arch9wavefront6targetE1EEEvSL_, .Lfunc_end266-_ZN7rocprim17ROCPRIM_400000_NS6detail17trampoline_kernelINS0_14default_configENS1_38merge_sort_block_merge_config_selectorIiNS0_10empty_typeEEEZZNS1_27merge_sort_block_merge_implIS3_N6thrust23THRUST_200600_302600_NS6detail15normal_iteratorINS9_10device_ptrIiEEEEPS5_jNS1_19radix_merge_compareILb1ELb0EiNS0_19identity_decomposerEEEEE10hipError_tT0_T1_T2_jT3_P12ihipStream_tbPNSt15iterator_traitsISK_E10value_typeEPNSQ_ISL_E10value_typeEPSM_NS1_7vsmem_tEENKUlT_SK_SL_SM_E_clISE_PiSF_SF_EESJ_SZ_SK_SL_SM_EUlSZ_E1_NS1_11comp_targetILNS1_3genE3ELNS1_11target_archE908ELNS1_3gpuE7ELNS1_3repE0EEENS1_36merge_oddeven_config_static_selectorELNS0_4arch9wavefront6targetE1EEEvSL_
                                        ; -- End function
	.set _ZN7rocprim17ROCPRIM_400000_NS6detail17trampoline_kernelINS0_14default_configENS1_38merge_sort_block_merge_config_selectorIiNS0_10empty_typeEEEZZNS1_27merge_sort_block_merge_implIS3_N6thrust23THRUST_200600_302600_NS6detail15normal_iteratorINS9_10device_ptrIiEEEEPS5_jNS1_19radix_merge_compareILb1ELb0EiNS0_19identity_decomposerEEEEE10hipError_tT0_T1_T2_jT3_P12ihipStream_tbPNSt15iterator_traitsISK_E10value_typeEPNSQ_ISL_E10value_typeEPSM_NS1_7vsmem_tEENKUlT_SK_SL_SM_E_clISE_PiSF_SF_EESJ_SZ_SK_SL_SM_EUlSZ_E1_NS1_11comp_targetILNS1_3genE3ELNS1_11target_archE908ELNS1_3gpuE7ELNS1_3repE0EEENS1_36merge_oddeven_config_static_selectorELNS0_4arch9wavefront6targetE1EEEvSL_.num_vgpr, 0
	.set _ZN7rocprim17ROCPRIM_400000_NS6detail17trampoline_kernelINS0_14default_configENS1_38merge_sort_block_merge_config_selectorIiNS0_10empty_typeEEEZZNS1_27merge_sort_block_merge_implIS3_N6thrust23THRUST_200600_302600_NS6detail15normal_iteratorINS9_10device_ptrIiEEEEPS5_jNS1_19radix_merge_compareILb1ELb0EiNS0_19identity_decomposerEEEEE10hipError_tT0_T1_T2_jT3_P12ihipStream_tbPNSt15iterator_traitsISK_E10value_typeEPNSQ_ISL_E10value_typeEPSM_NS1_7vsmem_tEENKUlT_SK_SL_SM_E_clISE_PiSF_SF_EESJ_SZ_SK_SL_SM_EUlSZ_E1_NS1_11comp_targetILNS1_3genE3ELNS1_11target_archE908ELNS1_3gpuE7ELNS1_3repE0EEENS1_36merge_oddeven_config_static_selectorELNS0_4arch9wavefront6targetE1EEEvSL_.num_agpr, 0
	.set _ZN7rocprim17ROCPRIM_400000_NS6detail17trampoline_kernelINS0_14default_configENS1_38merge_sort_block_merge_config_selectorIiNS0_10empty_typeEEEZZNS1_27merge_sort_block_merge_implIS3_N6thrust23THRUST_200600_302600_NS6detail15normal_iteratorINS9_10device_ptrIiEEEEPS5_jNS1_19radix_merge_compareILb1ELb0EiNS0_19identity_decomposerEEEEE10hipError_tT0_T1_T2_jT3_P12ihipStream_tbPNSt15iterator_traitsISK_E10value_typeEPNSQ_ISL_E10value_typeEPSM_NS1_7vsmem_tEENKUlT_SK_SL_SM_E_clISE_PiSF_SF_EESJ_SZ_SK_SL_SM_EUlSZ_E1_NS1_11comp_targetILNS1_3genE3ELNS1_11target_archE908ELNS1_3gpuE7ELNS1_3repE0EEENS1_36merge_oddeven_config_static_selectorELNS0_4arch9wavefront6targetE1EEEvSL_.numbered_sgpr, 0
	.set _ZN7rocprim17ROCPRIM_400000_NS6detail17trampoline_kernelINS0_14default_configENS1_38merge_sort_block_merge_config_selectorIiNS0_10empty_typeEEEZZNS1_27merge_sort_block_merge_implIS3_N6thrust23THRUST_200600_302600_NS6detail15normal_iteratorINS9_10device_ptrIiEEEEPS5_jNS1_19radix_merge_compareILb1ELb0EiNS0_19identity_decomposerEEEEE10hipError_tT0_T1_T2_jT3_P12ihipStream_tbPNSt15iterator_traitsISK_E10value_typeEPNSQ_ISL_E10value_typeEPSM_NS1_7vsmem_tEENKUlT_SK_SL_SM_E_clISE_PiSF_SF_EESJ_SZ_SK_SL_SM_EUlSZ_E1_NS1_11comp_targetILNS1_3genE3ELNS1_11target_archE908ELNS1_3gpuE7ELNS1_3repE0EEENS1_36merge_oddeven_config_static_selectorELNS0_4arch9wavefront6targetE1EEEvSL_.num_named_barrier, 0
	.set _ZN7rocprim17ROCPRIM_400000_NS6detail17trampoline_kernelINS0_14default_configENS1_38merge_sort_block_merge_config_selectorIiNS0_10empty_typeEEEZZNS1_27merge_sort_block_merge_implIS3_N6thrust23THRUST_200600_302600_NS6detail15normal_iteratorINS9_10device_ptrIiEEEEPS5_jNS1_19radix_merge_compareILb1ELb0EiNS0_19identity_decomposerEEEEE10hipError_tT0_T1_T2_jT3_P12ihipStream_tbPNSt15iterator_traitsISK_E10value_typeEPNSQ_ISL_E10value_typeEPSM_NS1_7vsmem_tEENKUlT_SK_SL_SM_E_clISE_PiSF_SF_EESJ_SZ_SK_SL_SM_EUlSZ_E1_NS1_11comp_targetILNS1_3genE3ELNS1_11target_archE908ELNS1_3gpuE7ELNS1_3repE0EEENS1_36merge_oddeven_config_static_selectorELNS0_4arch9wavefront6targetE1EEEvSL_.private_seg_size, 0
	.set _ZN7rocprim17ROCPRIM_400000_NS6detail17trampoline_kernelINS0_14default_configENS1_38merge_sort_block_merge_config_selectorIiNS0_10empty_typeEEEZZNS1_27merge_sort_block_merge_implIS3_N6thrust23THRUST_200600_302600_NS6detail15normal_iteratorINS9_10device_ptrIiEEEEPS5_jNS1_19radix_merge_compareILb1ELb0EiNS0_19identity_decomposerEEEEE10hipError_tT0_T1_T2_jT3_P12ihipStream_tbPNSt15iterator_traitsISK_E10value_typeEPNSQ_ISL_E10value_typeEPSM_NS1_7vsmem_tEENKUlT_SK_SL_SM_E_clISE_PiSF_SF_EESJ_SZ_SK_SL_SM_EUlSZ_E1_NS1_11comp_targetILNS1_3genE3ELNS1_11target_archE908ELNS1_3gpuE7ELNS1_3repE0EEENS1_36merge_oddeven_config_static_selectorELNS0_4arch9wavefront6targetE1EEEvSL_.uses_vcc, 0
	.set _ZN7rocprim17ROCPRIM_400000_NS6detail17trampoline_kernelINS0_14default_configENS1_38merge_sort_block_merge_config_selectorIiNS0_10empty_typeEEEZZNS1_27merge_sort_block_merge_implIS3_N6thrust23THRUST_200600_302600_NS6detail15normal_iteratorINS9_10device_ptrIiEEEEPS5_jNS1_19radix_merge_compareILb1ELb0EiNS0_19identity_decomposerEEEEE10hipError_tT0_T1_T2_jT3_P12ihipStream_tbPNSt15iterator_traitsISK_E10value_typeEPNSQ_ISL_E10value_typeEPSM_NS1_7vsmem_tEENKUlT_SK_SL_SM_E_clISE_PiSF_SF_EESJ_SZ_SK_SL_SM_EUlSZ_E1_NS1_11comp_targetILNS1_3genE3ELNS1_11target_archE908ELNS1_3gpuE7ELNS1_3repE0EEENS1_36merge_oddeven_config_static_selectorELNS0_4arch9wavefront6targetE1EEEvSL_.uses_flat_scratch, 0
	.set _ZN7rocprim17ROCPRIM_400000_NS6detail17trampoline_kernelINS0_14default_configENS1_38merge_sort_block_merge_config_selectorIiNS0_10empty_typeEEEZZNS1_27merge_sort_block_merge_implIS3_N6thrust23THRUST_200600_302600_NS6detail15normal_iteratorINS9_10device_ptrIiEEEEPS5_jNS1_19radix_merge_compareILb1ELb0EiNS0_19identity_decomposerEEEEE10hipError_tT0_T1_T2_jT3_P12ihipStream_tbPNSt15iterator_traitsISK_E10value_typeEPNSQ_ISL_E10value_typeEPSM_NS1_7vsmem_tEENKUlT_SK_SL_SM_E_clISE_PiSF_SF_EESJ_SZ_SK_SL_SM_EUlSZ_E1_NS1_11comp_targetILNS1_3genE3ELNS1_11target_archE908ELNS1_3gpuE7ELNS1_3repE0EEENS1_36merge_oddeven_config_static_selectorELNS0_4arch9wavefront6targetE1EEEvSL_.has_dyn_sized_stack, 0
	.set _ZN7rocprim17ROCPRIM_400000_NS6detail17trampoline_kernelINS0_14default_configENS1_38merge_sort_block_merge_config_selectorIiNS0_10empty_typeEEEZZNS1_27merge_sort_block_merge_implIS3_N6thrust23THRUST_200600_302600_NS6detail15normal_iteratorINS9_10device_ptrIiEEEEPS5_jNS1_19radix_merge_compareILb1ELb0EiNS0_19identity_decomposerEEEEE10hipError_tT0_T1_T2_jT3_P12ihipStream_tbPNSt15iterator_traitsISK_E10value_typeEPNSQ_ISL_E10value_typeEPSM_NS1_7vsmem_tEENKUlT_SK_SL_SM_E_clISE_PiSF_SF_EESJ_SZ_SK_SL_SM_EUlSZ_E1_NS1_11comp_targetILNS1_3genE3ELNS1_11target_archE908ELNS1_3gpuE7ELNS1_3repE0EEENS1_36merge_oddeven_config_static_selectorELNS0_4arch9wavefront6targetE1EEEvSL_.has_recursion, 0
	.set _ZN7rocprim17ROCPRIM_400000_NS6detail17trampoline_kernelINS0_14default_configENS1_38merge_sort_block_merge_config_selectorIiNS0_10empty_typeEEEZZNS1_27merge_sort_block_merge_implIS3_N6thrust23THRUST_200600_302600_NS6detail15normal_iteratorINS9_10device_ptrIiEEEEPS5_jNS1_19radix_merge_compareILb1ELb0EiNS0_19identity_decomposerEEEEE10hipError_tT0_T1_T2_jT3_P12ihipStream_tbPNSt15iterator_traitsISK_E10value_typeEPNSQ_ISL_E10value_typeEPSM_NS1_7vsmem_tEENKUlT_SK_SL_SM_E_clISE_PiSF_SF_EESJ_SZ_SK_SL_SM_EUlSZ_E1_NS1_11comp_targetILNS1_3genE3ELNS1_11target_archE908ELNS1_3gpuE7ELNS1_3repE0EEENS1_36merge_oddeven_config_static_selectorELNS0_4arch9wavefront6targetE1EEEvSL_.has_indirect_call, 0
	.section	.AMDGPU.csdata,"",@progbits
; Kernel info:
; codeLenInByte = 0
; TotalNumSgprs: 6
; NumVgprs: 0
; NumAgprs: 0
; TotalNumVgprs: 0
; ScratchSize: 0
; MemoryBound: 0
; FloatMode: 240
; IeeeMode: 1
; LDSByteSize: 0 bytes/workgroup (compile time only)
; SGPRBlocks: 0
; VGPRBlocks: 0
; NumSGPRsForWavesPerEU: 6
; NumVGPRsForWavesPerEU: 1
; AccumOffset: 4
; Occupancy: 8
; WaveLimiterHint : 0
; COMPUTE_PGM_RSRC2:SCRATCH_EN: 0
; COMPUTE_PGM_RSRC2:USER_SGPR: 2
; COMPUTE_PGM_RSRC2:TRAP_HANDLER: 0
; COMPUTE_PGM_RSRC2:TGID_X_EN: 1
; COMPUTE_PGM_RSRC2:TGID_Y_EN: 0
; COMPUTE_PGM_RSRC2:TGID_Z_EN: 0
; COMPUTE_PGM_RSRC2:TIDIG_COMP_CNT: 0
; COMPUTE_PGM_RSRC3_GFX90A:ACCUM_OFFSET: 0
; COMPUTE_PGM_RSRC3_GFX90A:TG_SPLIT: 0
	.section	.text._ZN7rocprim17ROCPRIM_400000_NS6detail17trampoline_kernelINS0_14default_configENS1_38merge_sort_block_merge_config_selectorIiNS0_10empty_typeEEEZZNS1_27merge_sort_block_merge_implIS3_N6thrust23THRUST_200600_302600_NS6detail15normal_iteratorINS9_10device_ptrIiEEEEPS5_jNS1_19radix_merge_compareILb1ELb0EiNS0_19identity_decomposerEEEEE10hipError_tT0_T1_T2_jT3_P12ihipStream_tbPNSt15iterator_traitsISK_E10value_typeEPNSQ_ISL_E10value_typeEPSM_NS1_7vsmem_tEENKUlT_SK_SL_SM_E_clISE_PiSF_SF_EESJ_SZ_SK_SL_SM_EUlSZ_E1_NS1_11comp_targetILNS1_3genE2ELNS1_11target_archE906ELNS1_3gpuE6ELNS1_3repE0EEENS1_36merge_oddeven_config_static_selectorELNS0_4arch9wavefront6targetE1EEEvSL_,"axG",@progbits,_ZN7rocprim17ROCPRIM_400000_NS6detail17trampoline_kernelINS0_14default_configENS1_38merge_sort_block_merge_config_selectorIiNS0_10empty_typeEEEZZNS1_27merge_sort_block_merge_implIS3_N6thrust23THRUST_200600_302600_NS6detail15normal_iteratorINS9_10device_ptrIiEEEEPS5_jNS1_19radix_merge_compareILb1ELb0EiNS0_19identity_decomposerEEEEE10hipError_tT0_T1_T2_jT3_P12ihipStream_tbPNSt15iterator_traitsISK_E10value_typeEPNSQ_ISL_E10value_typeEPSM_NS1_7vsmem_tEENKUlT_SK_SL_SM_E_clISE_PiSF_SF_EESJ_SZ_SK_SL_SM_EUlSZ_E1_NS1_11comp_targetILNS1_3genE2ELNS1_11target_archE906ELNS1_3gpuE6ELNS1_3repE0EEENS1_36merge_oddeven_config_static_selectorELNS0_4arch9wavefront6targetE1EEEvSL_,comdat
	.protected	_ZN7rocprim17ROCPRIM_400000_NS6detail17trampoline_kernelINS0_14default_configENS1_38merge_sort_block_merge_config_selectorIiNS0_10empty_typeEEEZZNS1_27merge_sort_block_merge_implIS3_N6thrust23THRUST_200600_302600_NS6detail15normal_iteratorINS9_10device_ptrIiEEEEPS5_jNS1_19radix_merge_compareILb1ELb0EiNS0_19identity_decomposerEEEEE10hipError_tT0_T1_T2_jT3_P12ihipStream_tbPNSt15iterator_traitsISK_E10value_typeEPNSQ_ISL_E10value_typeEPSM_NS1_7vsmem_tEENKUlT_SK_SL_SM_E_clISE_PiSF_SF_EESJ_SZ_SK_SL_SM_EUlSZ_E1_NS1_11comp_targetILNS1_3genE2ELNS1_11target_archE906ELNS1_3gpuE6ELNS1_3repE0EEENS1_36merge_oddeven_config_static_selectorELNS0_4arch9wavefront6targetE1EEEvSL_ ; -- Begin function _ZN7rocprim17ROCPRIM_400000_NS6detail17trampoline_kernelINS0_14default_configENS1_38merge_sort_block_merge_config_selectorIiNS0_10empty_typeEEEZZNS1_27merge_sort_block_merge_implIS3_N6thrust23THRUST_200600_302600_NS6detail15normal_iteratorINS9_10device_ptrIiEEEEPS5_jNS1_19radix_merge_compareILb1ELb0EiNS0_19identity_decomposerEEEEE10hipError_tT0_T1_T2_jT3_P12ihipStream_tbPNSt15iterator_traitsISK_E10value_typeEPNSQ_ISL_E10value_typeEPSM_NS1_7vsmem_tEENKUlT_SK_SL_SM_E_clISE_PiSF_SF_EESJ_SZ_SK_SL_SM_EUlSZ_E1_NS1_11comp_targetILNS1_3genE2ELNS1_11target_archE906ELNS1_3gpuE6ELNS1_3repE0EEENS1_36merge_oddeven_config_static_selectorELNS0_4arch9wavefront6targetE1EEEvSL_
	.globl	_ZN7rocprim17ROCPRIM_400000_NS6detail17trampoline_kernelINS0_14default_configENS1_38merge_sort_block_merge_config_selectorIiNS0_10empty_typeEEEZZNS1_27merge_sort_block_merge_implIS3_N6thrust23THRUST_200600_302600_NS6detail15normal_iteratorINS9_10device_ptrIiEEEEPS5_jNS1_19radix_merge_compareILb1ELb0EiNS0_19identity_decomposerEEEEE10hipError_tT0_T1_T2_jT3_P12ihipStream_tbPNSt15iterator_traitsISK_E10value_typeEPNSQ_ISL_E10value_typeEPSM_NS1_7vsmem_tEENKUlT_SK_SL_SM_E_clISE_PiSF_SF_EESJ_SZ_SK_SL_SM_EUlSZ_E1_NS1_11comp_targetILNS1_3genE2ELNS1_11target_archE906ELNS1_3gpuE6ELNS1_3repE0EEENS1_36merge_oddeven_config_static_selectorELNS0_4arch9wavefront6targetE1EEEvSL_
	.p2align	8
	.type	_ZN7rocprim17ROCPRIM_400000_NS6detail17trampoline_kernelINS0_14default_configENS1_38merge_sort_block_merge_config_selectorIiNS0_10empty_typeEEEZZNS1_27merge_sort_block_merge_implIS3_N6thrust23THRUST_200600_302600_NS6detail15normal_iteratorINS9_10device_ptrIiEEEEPS5_jNS1_19radix_merge_compareILb1ELb0EiNS0_19identity_decomposerEEEEE10hipError_tT0_T1_T2_jT3_P12ihipStream_tbPNSt15iterator_traitsISK_E10value_typeEPNSQ_ISL_E10value_typeEPSM_NS1_7vsmem_tEENKUlT_SK_SL_SM_E_clISE_PiSF_SF_EESJ_SZ_SK_SL_SM_EUlSZ_E1_NS1_11comp_targetILNS1_3genE2ELNS1_11target_archE906ELNS1_3gpuE6ELNS1_3repE0EEENS1_36merge_oddeven_config_static_selectorELNS0_4arch9wavefront6targetE1EEEvSL_,@function
_ZN7rocprim17ROCPRIM_400000_NS6detail17trampoline_kernelINS0_14default_configENS1_38merge_sort_block_merge_config_selectorIiNS0_10empty_typeEEEZZNS1_27merge_sort_block_merge_implIS3_N6thrust23THRUST_200600_302600_NS6detail15normal_iteratorINS9_10device_ptrIiEEEEPS5_jNS1_19radix_merge_compareILb1ELb0EiNS0_19identity_decomposerEEEEE10hipError_tT0_T1_T2_jT3_P12ihipStream_tbPNSt15iterator_traitsISK_E10value_typeEPNSQ_ISL_E10value_typeEPSM_NS1_7vsmem_tEENKUlT_SK_SL_SM_E_clISE_PiSF_SF_EESJ_SZ_SK_SL_SM_EUlSZ_E1_NS1_11comp_targetILNS1_3genE2ELNS1_11target_archE906ELNS1_3gpuE6ELNS1_3repE0EEENS1_36merge_oddeven_config_static_selectorELNS0_4arch9wavefront6targetE1EEEvSL_: ; @_ZN7rocprim17ROCPRIM_400000_NS6detail17trampoline_kernelINS0_14default_configENS1_38merge_sort_block_merge_config_selectorIiNS0_10empty_typeEEEZZNS1_27merge_sort_block_merge_implIS3_N6thrust23THRUST_200600_302600_NS6detail15normal_iteratorINS9_10device_ptrIiEEEEPS5_jNS1_19radix_merge_compareILb1ELb0EiNS0_19identity_decomposerEEEEE10hipError_tT0_T1_T2_jT3_P12ihipStream_tbPNSt15iterator_traitsISK_E10value_typeEPNSQ_ISL_E10value_typeEPSM_NS1_7vsmem_tEENKUlT_SK_SL_SM_E_clISE_PiSF_SF_EESJ_SZ_SK_SL_SM_EUlSZ_E1_NS1_11comp_targetILNS1_3genE2ELNS1_11target_archE906ELNS1_3gpuE6ELNS1_3repE0EEENS1_36merge_oddeven_config_static_selectorELNS0_4arch9wavefront6targetE1EEEvSL_
; %bb.0:
	.section	.rodata,"a",@progbits
	.p2align	6, 0x0
	.amdhsa_kernel _ZN7rocprim17ROCPRIM_400000_NS6detail17trampoline_kernelINS0_14default_configENS1_38merge_sort_block_merge_config_selectorIiNS0_10empty_typeEEEZZNS1_27merge_sort_block_merge_implIS3_N6thrust23THRUST_200600_302600_NS6detail15normal_iteratorINS9_10device_ptrIiEEEEPS5_jNS1_19radix_merge_compareILb1ELb0EiNS0_19identity_decomposerEEEEE10hipError_tT0_T1_T2_jT3_P12ihipStream_tbPNSt15iterator_traitsISK_E10value_typeEPNSQ_ISL_E10value_typeEPSM_NS1_7vsmem_tEENKUlT_SK_SL_SM_E_clISE_PiSF_SF_EESJ_SZ_SK_SL_SM_EUlSZ_E1_NS1_11comp_targetILNS1_3genE2ELNS1_11target_archE906ELNS1_3gpuE6ELNS1_3repE0EEENS1_36merge_oddeven_config_static_selectorELNS0_4arch9wavefront6targetE1EEEvSL_
		.amdhsa_group_segment_fixed_size 0
		.amdhsa_private_segment_fixed_size 0
		.amdhsa_kernarg_size 48
		.amdhsa_user_sgpr_count 2
		.amdhsa_user_sgpr_dispatch_ptr 0
		.amdhsa_user_sgpr_queue_ptr 0
		.amdhsa_user_sgpr_kernarg_segment_ptr 1
		.amdhsa_user_sgpr_dispatch_id 0
		.amdhsa_user_sgpr_kernarg_preload_length 0
		.amdhsa_user_sgpr_kernarg_preload_offset 0
		.amdhsa_user_sgpr_private_segment_size 0
		.amdhsa_uses_dynamic_stack 0
		.amdhsa_enable_private_segment 0
		.amdhsa_system_sgpr_workgroup_id_x 1
		.amdhsa_system_sgpr_workgroup_id_y 0
		.amdhsa_system_sgpr_workgroup_id_z 0
		.amdhsa_system_sgpr_workgroup_info 0
		.amdhsa_system_vgpr_workitem_id 0
		.amdhsa_next_free_vgpr 1
		.amdhsa_next_free_sgpr 0
		.amdhsa_accum_offset 4
		.amdhsa_reserve_vcc 0
		.amdhsa_float_round_mode_32 0
		.amdhsa_float_round_mode_16_64 0
		.amdhsa_float_denorm_mode_32 3
		.amdhsa_float_denorm_mode_16_64 3
		.amdhsa_dx10_clamp 1
		.amdhsa_ieee_mode 1
		.amdhsa_fp16_overflow 0
		.amdhsa_tg_split 0
		.amdhsa_exception_fp_ieee_invalid_op 0
		.amdhsa_exception_fp_denorm_src 0
		.amdhsa_exception_fp_ieee_div_zero 0
		.amdhsa_exception_fp_ieee_overflow 0
		.amdhsa_exception_fp_ieee_underflow 0
		.amdhsa_exception_fp_ieee_inexact 0
		.amdhsa_exception_int_div_zero 0
	.end_amdhsa_kernel
	.section	.text._ZN7rocprim17ROCPRIM_400000_NS6detail17trampoline_kernelINS0_14default_configENS1_38merge_sort_block_merge_config_selectorIiNS0_10empty_typeEEEZZNS1_27merge_sort_block_merge_implIS3_N6thrust23THRUST_200600_302600_NS6detail15normal_iteratorINS9_10device_ptrIiEEEEPS5_jNS1_19radix_merge_compareILb1ELb0EiNS0_19identity_decomposerEEEEE10hipError_tT0_T1_T2_jT3_P12ihipStream_tbPNSt15iterator_traitsISK_E10value_typeEPNSQ_ISL_E10value_typeEPSM_NS1_7vsmem_tEENKUlT_SK_SL_SM_E_clISE_PiSF_SF_EESJ_SZ_SK_SL_SM_EUlSZ_E1_NS1_11comp_targetILNS1_3genE2ELNS1_11target_archE906ELNS1_3gpuE6ELNS1_3repE0EEENS1_36merge_oddeven_config_static_selectorELNS0_4arch9wavefront6targetE1EEEvSL_,"axG",@progbits,_ZN7rocprim17ROCPRIM_400000_NS6detail17trampoline_kernelINS0_14default_configENS1_38merge_sort_block_merge_config_selectorIiNS0_10empty_typeEEEZZNS1_27merge_sort_block_merge_implIS3_N6thrust23THRUST_200600_302600_NS6detail15normal_iteratorINS9_10device_ptrIiEEEEPS5_jNS1_19radix_merge_compareILb1ELb0EiNS0_19identity_decomposerEEEEE10hipError_tT0_T1_T2_jT3_P12ihipStream_tbPNSt15iterator_traitsISK_E10value_typeEPNSQ_ISL_E10value_typeEPSM_NS1_7vsmem_tEENKUlT_SK_SL_SM_E_clISE_PiSF_SF_EESJ_SZ_SK_SL_SM_EUlSZ_E1_NS1_11comp_targetILNS1_3genE2ELNS1_11target_archE906ELNS1_3gpuE6ELNS1_3repE0EEENS1_36merge_oddeven_config_static_selectorELNS0_4arch9wavefront6targetE1EEEvSL_,comdat
.Lfunc_end267:
	.size	_ZN7rocprim17ROCPRIM_400000_NS6detail17trampoline_kernelINS0_14default_configENS1_38merge_sort_block_merge_config_selectorIiNS0_10empty_typeEEEZZNS1_27merge_sort_block_merge_implIS3_N6thrust23THRUST_200600_302600_NS6detail15normal_iteratorINS9_10device_ptrIiEEEEPS5_jNS1_19radix_merge_compareILb1ELb0EiNS0_19identity_decomposerEEEEE10hipError_tT0_T1_T2_jT3_P12ihipStream_tbPNSt15iterator_traitsISK_E10value_typeEPNSQ_ISL_E10value_typeEPSM_NS1_7vsmem_tEENKUlT_SK_SL_SM_E_clISE_PiSF_SF_EESJ_SZ_SK_SL_SM_EUlSZ_E1_NS1_11comp_targetILNS1_3genE2ELNS1_11target_archE906ELNS1_3gpuE6ELNS1_3repE0EEENS1_36merge_oddeven_config_static_selectorELNS0_4arch9wavefront6targetE1EEEvSL_, .Lfunc_end267-_ZN7rocprim17ROCPRIM_400000_NS6detail17trampoline_kernelINS0_14default_configENS1_38merge_sort_block_merge_config_selectorIiNS0_10empty_typeEEEZZNS1_27merge_sort_block_merge_implIS3_N6thrust23THRUST_200600_302600_NS6detail15normal_iteratorINS9_10device_ptrIiEEEEPS5_jNS1_19radix_merge_compareILb1ELb0EiNS0_19identity_decomposerEEEEE10hipError_tT0_T1_T2_jT3_P12ihipStream_tbPNSt15iterator_traitsISK_E10value_typeEPNSQ_ISL_E10value_typeEPSM_NS1_7vsmem_tEENKUlT_SK_SL_SM_E_clISE_PiSF_SF_EESJ_SZ_SK_SL_SM_EUlSZ_E1_NS1_11comp_targetILNS1_3genE2ELNS1_11target_archE906ELNS1_3gpuE6ELNS1_3repE0EEENS1_36merge_oddeven_config_static_selectorELNS0_4arch9wavefront6targetE1EEEvSL_
                                        ; -- End function
	.set _ZN7rocprim17ROCPRIM_400000_NS6detail17trampoline_kernelINS0_14default_configENS1_38merge_sort_block_merge_config_selectorIiNS0_10empty_typeEEEZZNS1_27merge_sort_block_merge_implIS3_N6thrust23THRUST_200600_302600_NS6detail15normal_iteratorINS9_10device_ptrIiEEEEPS5_jNS1_19radix_merge_compareILb1ELb0EiNS0_19identity_decomposerEEEEE10hipError_tT0_T1_T2_jT3_P12ihipStream_tbPNSt15iterator_traitsISK_E10value_typeEPNSQ_ISL_E10value_typeEPSM_NS1_7vsmem_tEENKUlT_SK_SL_SM_E_clISE_PiSF_SF_EESJ_SZ_SK_SL_SM_EUlSZ_E1_NS1_11comp_targetILNS1_3genE2ELNS1_11target_archE906ELNS1_3gpuE6ELNS1_3repE0EEENS1_36merge_oddeven_config_static_selectorELNS0_4arch9wavefront6targetE1EEEvSL_.num_vgpr, 0
	.set _ZN7rocprim17ROCPRIM_400000_NS6detail17trampoline_kernelINS0_14default_configENS1_38merge_sort_block_merge_config_selectorIiNS0_10empty_typeEEEZZNS1_27merge_sort_block_merge_implIS3_N6thrust23THRUST_200600_302600_NS6detail15normal_iteratorINS9_10device_ptrIiEEEEPS5_jNS1_19radix_merge_compareILb1ELb0EiNS0_19identity_decomposerEEEEE10hipError_tT0_T1_T2_jT3_P12ihipStream_tbPNSt15iterator_traitsISK_E10value_typeEPNSQ_ISL_E10value_typeEPSM_NS1_7vsmem_tEENKUlT_SK_SL_SM_E_clISE_PiSF_SF_EESJ_SZ_SK_SL_SM_EUlSZ_E1_NS1_11comp_targetILNS1_3genE2ELNS1_11target_archE906ELNS1_3gpuE6ELNS1_3repE0EEENS1_36merge_oddeven_config_static_selectorELNS0_4arch9wavefront6targetE1EEEvSL_.num_agpr, 0
	.set _ZN7rocprim17ROCPRIM_400000_NS6detail17trampoline_kernelINS0_14default_configENS1_38merge_sort_block_merge_config_selectorIiNS0_10empty_typeEEEZZNS1_27merge_sort_block_merge_implIS3_N6thrust23THRUST_200600_302600_NS6detail15normal_iteratorINS9_10device_ptrIiEEEEPS5_jNS1_19radix_merge_compareILb1ELb0EiNS0_19identity_decomposerEEEEE10hipError_tT0_T1_T2_jT3_P12ihipStream_tbPNSt15iterator_traitsISK_E10value_typeEPNSQ_ISL_E10value_typeEPSM_NS1_7vsmem_tEENKUlT_SK_SL_SM_E_clISE_PiSF_SF_EESJ_SZ_SK_SL_SM_EUlSZ_E1_NS1_11comp_targetILNS1_3genE2ELNS1_11target_archE906ELNS1_3gpuE6ELNS1_3repE0EEENS1_36merge_oddeven_config_static_selectorELNS0_4arch9wavefront6targetE1EEEvSL_.numbered_sgpr, 0
	.set _ZN7rocprim17ROCPRIM_400000_NS6detail17trampoline_kernelINS0_14default_configENS1_38merge_sort_block_merge_config_selectorIiNS0_10empty_typeEEEZZNS1_27merge_sort_block_merge_implIS3_N6thrust23THRUST_200600_302600_NS6detail15normal_iteratorINS9_10device_ptrIiEEEEPS5_jNS1_19radix_merge_compareILb1ELb0EiNS0_19identity_decomposerEEEEE10hipError_tT0_T1_T2_jT3_P12ihipStream_tbPNSt15iterator_traitsISK_E10value_typeEPNSQ_ISL_E10value_typeEPSM_NS1_7vsmem_tEENKUlT_SK_SL_SM_E_clISE_PiSF_SF_EESJ_SZ_SK_SL_SM_EUlSZ_E1_NS1_11comp_targetILNS1_3genE2ELNS1_11target_archE906ELNS1_3gpuE6ELNS1_3repE0EEENS1_36merge_oddeven_config_static_selectorELNS0_4arch9wavefront6targetE1EEEvSL_.num_named_barrier, 0
	.set _ZN7rocprim17ROCPRIM_400000_NS6detail17trampoline_kernelINS0_14default_configENS1_38merge_sort_block_merge_config_selectorIiNS0_10empty_typeEEEZZNS1_27merge_sort_block_merge_implIS3_N6thrust23THRUST_200600_302600_NS6detail15normal_iteratorINS9_10device_ptrIiEEEEPS5_jNS1_19radix_merge_compareILb1ELb0EiNS0_19identity_decomposerEEEEE10hipError_tT0_T1_T2_jT3_P12ihipStream_tbPNSt15iterator_traitsISK_E10value_typeEPNSQ_ISL_E10value_typeEPSM_NS1_7vsmem_tEENKUlT_SK_SL_SM_E_clISE_PiSF_SF_EESJ_SZ_SK_SL_SM_EUlSZ_E1_NS1_11comp_targetILNS1_3genE2ELNS1_11target_archE906ELNS1_3gpuE6ELNS1_3repE0EEENS1_36merge_oddeven_config_static_selectorELNS0_4arch9wavefront6targetE1EEEvSL_.private_seg_size, 0
	.set _ZN7rocprim17ROCPRIM_400000_NS6detail17trampoline_kernelINS0_14default_configENS1_38merge_sort_block_merge_config_selectorIiNS0_10empty_typeEEEZZNS1_27merge_sort_block_merge_implIS3_N6thrust23THRUST_200600_302600_NS6detail15normal_iteratorINS9_10device_ptrIiEEEEPS5_jNS1_19radix_merge_compareILb1ELb0EiNS0_19identity_decomposerEEEEE10hipError_tT0_T1_T2_jT3_P12ihipStream_tbPNSt15iterator_traitsISK_E10value_typeEPNSQ_ISL_E10value_typeEPSM_NS1_7vsmem_tEENKUlT_SK_SL_SM_E_clISE_PiSF_SF_EESJ_SZ_SK_SL_SM_EUlSZ_E1_NS1_11comp_targetILNS1_3genE2ELNS1_11target_archE906ELNS1_3gpuE6ELNS1_3repE0EEENS1_36merge_oddeven_config_static_selectorELNS0_4arch9wavefront6targetE1EEEvSL_.uses_vcc, 0
	.set _ZN7rocprim17ROCPRIM_400000_NS6detail17trampoline_kernelINS0_14default_configENS1_38merge_sort_block_merge_config_selectorIiNS0_10empty_typeEEEZZNS1_27merge_sort_block_merge_implIS3_N6thrust23THRUST_200600_302600_NS6detail15normal_iteratorINS9_10device_ptrIiEEEEPS5_jNS1_19radix_merge_compareILb1ELb0EiNS0_19identity_decomposerEEEEE10hipError_tT0_T1_T2_jT3_P12ihipStream_tbPNSt15iterator_traitsISK_E10value_typeEPNSQ_ISL_E10value_typeEPSM_NS1_7vsmem_tEENKUlT_SK_SL_SM_E_clISE_PiSF_SF_EESJ_SZ_SK_SL_SM_EUlSZ_E1_NS1_11comp_targetILNS1_3genE2ELNS1_11target_archE906ELNS1_3gpuE6ELNS1_3repE0EEENS1_36merge_oddeven_config_static_selectorELNS0_4arch9wavefront6targetE1EEEvSL_.uses_flat_scratch, 0
	.set _ZN7rocprim17ROCPRIM_400000_NS6detail17trampoline_kernelINS0_14default_configENS1_38merge_sort_block_merge_config_selectorIiNS0_10empty_typeEEEZZNS1_27merge_sort_block_merge_implIS3_N6thrust23THRUST_200600_302600_NS6detail15normal_iteratorINS9_10device_ptrIiEEEEPS5_jNS1_19radix_merge_compareILb1ELb0EiNS0_19identity_decomposerEEEEE10hipError_tT0_T1_T2_jT3_P12ihipStream_tbPNSt15iterator_traitsISK_E10value_typeEPNSQ_ISL_E10value_typeEPSM_NS1_7vsmem_tEENKUlT_SK_SL_SM_E_clISE_PiSF_SF_EESJ_SZ_SK_SL_SM_EUlSZ_E1_NS1_11comp_targetILNS1_3genE2ELNS1_11target_archE906ELNS1_3gpuE6ELNS1_3repE0EEENS1_36merge_oddeven_config_static_selectorELNS0_4arch9wavefront6targetE1EEEvSL_.has_dyn_sized_stack, 0
	.set _ZN7rocprim17ROCPRIM_400000_NS6detail17trampoline_kernelINS0_14default_configENS1_38merge_sort_block_merge_config_selectorIiNS0_10empty_typeEEEZZNS1_27merge_sort_block_merge_implIS3_N6thrust23THRUST_200600_302600_NS6detail15normal_iteratorINS9_10device_ptrIiEEEEPS5_jNS1_19radix_merge_compareILb1ELb0EiNS0_19identity_decomposerEEEEE10hipError_tT0_T1_T2_jT3_P12ihipStream_tbPNSt15iterator_traitsISK_E10value_typeEPNSQ_ISL_E10value_typeEPSM_NS1_7vsmem_tEENKUlT_SK_SL_SM_E_clISE_PiSF_SF_EESJ_SZ_SK_SL_SM_EUlSZ_E1_NS1_11comp_targetILNS1_3genE2ELNS1_11target_archE906ELNS1_3gpuE6ELNS1_3repE0EEENS1_36merge_oddeven_config_static_selectorELNS0_4arch9wavefront6targetE1EEEvSL_.has_recursion, 0
	.set _ZN7rocprim17ROCPRIM_400000_NS6detail17trampoline_kernelINS0_14default_configENS1_38merge_sort_block_merge_config_selectorIiNS0_10empty_typeEEEZZNS1_27merge_sort_block_merge_implIS3_N6thrust23THRUST_200600_302600_NS6detail15normal_iteratorINS9_10device_ptrIiEEEEPS5_jNS1_19radix_merge_compareILb1ELb0EiNS0_19identity_decomposerEEEEE10hipError_tT0_T1_T2_jT3_P12ihipStream_tbPNSt15iterator_traitsISK_E10value_typeEPNSQ_ISL_E10value_typeEPSM_NS1_7vsmem_tEENKUlT_SK_SL_SM_E_clISE_PiSF_SF_EESJ_SZ_SK_SL_SM_EUlSZ_E1_NS1_11comp_targetILNS1_3genE2ELNS1_11target_archE906ELNS1_3gpuE6ELNS1_3repE0EEENS1_36merge_oddeven_config_static_selectorELNS0_4arch9wavefront6targetE1EEEvSL_.has_indirect_call, 0
	.section	.AMDGPU.csdata,"",@progbits
; Kernel info:
; codeLenInByte = 0
; TotalNumSgprs: 6
; NumVgprs: 0
; NumAgprs: 0
; TotalNumVgprs: 0
; ScratchSize: 0
; MemoryBound: 0
; FloatMode: 240
; IeeeMode: 1
; LDSByteSize: 0 bytes/workgroup (compile time only)
; SGPRBlocks: 0
; VGPRBlocks: 0
; NumSGPRsForWavesPerEU: 6
; NumVGPRsForWavesPerEU: 1
; AccumOffset: 4
; Occupancy: 8
; WaveLimiterHint : 0
; COMPUTE_PGM_RSRC2:SCRATCH_EN: 0
; COMPUTE_PGM_RSRC2:USER_SGPR: 2
; COMPUTE_PGM_RSRC2:TRAP_HANDLER: 0
; COMPUTE_PGM_RSRC2:TGID_X_EN: 1
; COMPUTE_PGM_RSRC2:TGID_Y_EN: 0
; COMPUTE_PGM_RSRC2:TGID_Z_EN: 0
; COMPUTE_PGM_RSRC2:TIDIG_COMP_CNT: 0
; COMPUTE_PGM_RSRC3_GFX90A:ACCUM_OFFSET: 0
; COMPUTE_PGM_RSRC3_GFX90A:TG_SPLIT: 0
	.section	.text._ZN7rocprim17ROCPRIM_400000_NS6detail17trampoline_kernelINS0_14default_configENS1_38merge_sort_block_merge_config_selectorIiNS0_10empty_typeEEEZZNS1_27merge_sort_block_merge_implIS3_N6thrust23THRUST_200600_302600_NS6detail15normal_iteratorINS9_10device_ptrIiEEEEPS5_jNS1_19radix_merge_compareILb1ELb0EiNS0_19identity_decomposerEEEEE10hipError_tT0_T1_T2_jT3_P12ihipStream_tbPNSt15iterator_traitsISK_E10value_typeEPNSQ_ISL_E10value_typeEPSM_NS1_7vsmem_tEENKUlT_SK_SL_SM_E_clISE_PiSF_SF_EESJ_SZ_SK_SL_SM_EUlSZ_E1_NS1_11comp_targetILNS1_3genE9ELNS1_11target_archE1100ELNS1_3gpuE3ELNS1_3repE0EEENS1_36merge_oddeven_config_static_selectorELNS0_4arch9wavefront6targetE1EEEvSL_,"axG",@progbits,_ZN7rocprim17ROCPRIM_400000_NS6detail17trampoline_kernelINS0_14default_configENS1_38merge_sort_block_merge_config_selectorIiNS0_10empty_typeEEEZZNS1_27merge_sort_block_merge_implIS3_N6thrust23THRUST_200600_302600_NS6detail15normal_iteratorINS9_10device_ptrIiEEEEPS5_jNS1_19radix_merge_compareILb1ELb0EiNS0_19identity_decomposerEEEEE10hipError_tT0_T1_T2_jT3_P12ihipStream_tbPNSt15iterator_traitsISK_E10value_typeEPNSQ_ISL_E10value_typeEPSM_NS1_7vsmem_tEENKUlT_SK_SL_SM_E_clISE_PiSF_SF_EESJ_SZ_SK_SL_SM_EUlSZ_E1_NS1_11comp_targetILNS1_3genE9ELNS1_11target_archE1100ELNS1_3gpuE3ELNS1_3repE0EEENS1_36merge_oddeven_config_static_selectorELNS0_4arch9wavefront6targetE1EEEvSL_,comdat
	.protected	_ZN7rocprim17ROCPRIM_400000_NS6detail17trampoline_kernelINS0_14default_configENS1_38merge_sort_block_merge_config_selectorIiNS0_10empty_typeEEEZZNS1_27merge_sort_block_merge_implIS3_N6thrust23THRUST_200600_302600_NS6detail15normal_iteratorINS9_10device_ptrIiEEEEPS5_jNS1_19radix_merge_compareILb1ELb0EiNS0_19identity_decomposerEEEEE10hipError_tT0_T1_T2_jT3_P12ihipStream_tbPNSt15iterator_traitsISK_E10value_typeEPNSQ_ISL_E10value_typeEPSM_NS1_7vsmem_tEENKUlT_SK_SL_SM_E_clISE_PiSF_SF_EESJ_SZ_SK_SL_SM_EUlSZ_E1_NS1_11comp_targetILNS1_3genE9ELNS1_11target_archE1100ELNS1_3gpuE3ELNS1_3repE0EEENS1_36merge_oddeven_config_static_selectorELNS0_4arch9wavefront6targetE1EEEvSL_ ; -- Begin function _ZN7rocprim17ROCPRIM_400000_NS6detail17trampoline_kernelINS0_14default_configENS1_38merge_sort_block_merge_config_selectorIiNS0_10empty_typeEEEZZNS1_27merge_sort_block_merge_implIS3_N6thrust23THRUST_200600_302600_NS6detail15normal_iteratorINS9_10device_ptrIiEEEEPS5_jNS1_19radix_merge_compareILb1ELb0EiNS0_19identity_decomposerEEEEE10hipError_tT0_T1_T2_jT3_P12ihipStream_tbPNSt15iterator_traitsISK_E10value_typeEPNSQ_ISL_E10value_typeEPSM_NS1_7vsmem_tEENKUlT_SK_SL_SM_E_clISE_PiSF_SF_EESJ_SZ_SK_SL_SM_EUlSZ_E1_NS1_11comp_targetILNS1_3genE9ELNS1_11target_archE1100ELNS1_3gpuE3ELNS1_3repE0EEENS1_36merge_oddeven_config_static_selectorELNS0_4arch9wavefront6targetE1EEEvSL_
	.globl	_ZN7rocprim17ROCPRIM_400000_NS6detail17trampoline_kernelINS0_14default_configENS1_38merge_sort_block_merge_config_selectorIiNS0_10empty_typeEEEZZNS1_27merge_sort_block_merge_implIS3_N6thrust23THRUST_200600_302600_NS6detail15normal_iteratorINS9_10device_ptrIiEEEEPS5_jNS1_19radix_merge_compareILb1ELb0EiNS0_19identity_decomposerEEEEE10hipError_tT0_T1_T2_jT3_P12ihipStream_tbPNSt15iterator_traitsISK_E10value_typeEPNSQ_ISL_E10value_typeEPSM_NS1_7vsmem_tEENKUlT_SK_SL_SM_E_clISE_PiSF_SF_EESJ_SZ_SK_SL_SM_EUlSZ_E1_NS1_11comp_targetILNS1_3genE9ELNS1_11target_archE1100ELNS1_3gpuE3ELNS1_3repE0EEENS1_36merge_oddeven_config_static_selectorELNS0_4arch9wavefront6targetE1EEEvSL_
	.p2align	8
	.type	_ZN7rocprim17ROCPRIM_400000_NS6detail17trampoline_kernelINS0_14default_configENS1_38merge_sort_block_merge_config_selectorIiNS0_10empty_typeEEEZZNS1_27merge_sort_block_merge_implIS3_N6thrust23THRUST_200600_302600_NS6detail15normal_iteratorINS9_10device_ptrIiEEEEPS5_jNS1_19radix_merge_compareILb1ELb0EiNS0_19identity_decomposerEEEEE10hipError_tT0_T1_T2_jT3_P12ihipStream_tbPNSt15iterator_traitsISK_E10value_typeEPNSQ_ISL_E10value_typeEPSM_NS1_7vsmem_tEENKUlT_SK_SL_SM_E_clISE_PiSF_SF_EESJ_SZ_SK_SL_SM_EUlSZ_E1_NS1_11comp_targetILNS1_3genE9ELNS1_11target_archE1100ELNS1_3gpuE3ELNS1_3repE0EEENS1_36merge_oddeven_config_static_selectorELNS0_4arch9wavefront6targetE1EEEvSL_,@function
_ZN7rocprim17ROCPRIM_400000_NS6detail17trampoline_kernelINS0_14default_configENS1_38merge_sort_block_merge_config_selectorIiNS0_10empty_typeEEEZZNS1_27merge_sort_block_merge_implIS3_N6thrust23THRUST_200600_302600_NS6detail15normal_iteratorINS9_10device_ptrIiEEEEPS5_jNS1_19radix_merge_compareILb1ELb0EiNS0_19identity_decomposerEEEEE10hipError_tT0_T1_T2_jT3_P12ihipStream_tbPNSt15iterator_traitsISK_E10value_typeEPNSQ_ISL_E10value_typeEPSM_NS1_7vsmem_tEENKUlT_SK_SL_SM_E_clISE_PiSF_SF_EESJ_SZ_SK_SL_SM_EUlSZ_E1_NS1_11comp_targetILNS1_3genE9ELNS1_11target_archE1100ELNS1_3gpuE3ELNS1_3repE0EEENS1_36merge_oddeven_config_static_selectorELNS0_4arch9wavefront6targetE1EEEvSL_: ; @_ZN7rocprim17ROCPRIM_400000_NS6detail17trampoline_kernelINS0_14default_configENS1_38merge_sort_block_merge_config_selectorIiNS0_10empty_typeEEEZZNS1_27merge_sort_block_merge_implIS3_N6thrust23THRUST_200600_302600_NS6detail15normal_iteratorINS9_10device_ptrIiEEEEPS5_jNS1_19radix_merge_compareILb1ELb0EiNS0_19identity_decomposerEEEEE10hipError_tT0_T1_T2_jT3_P12ihipStream_tbPNSt15iterator_traitsISK_E10value_typeEPNSQ_ISL_E10value_typeEPSM_NS1_7vsmem_tEENKUlT_SK_SL_SM_E_clISE_PiSF_SF_EESJ_SZ_SK_SL_SM_EUlSZ_E1_NS1_11comp_targetILNS1_3genE9ELNS1_11target_archE1100ELNS1_3gpuE3ELNS1_3repE0EEENS1_36merge_oddeven_config_static_selectorELNS0_4arch9wavefront6targetE1EEEvSL_
; %bb.0:
	.section	.rodata,"a",@progbits
	.p2align	6, 0x0
	.amdhsa_kernel _ZN7rocprim17ROCPRIM_400000_NS6detail17trampoline_kernelINS0_14default_configENS1_38merge_sort_block_merge_config_selectorIiNS0_10empty_typeEEEZZNS1_27merge_sort_block_merge_implIS3_N6thrust23THRUST_200600_302600_NS6detail15normal_iteratorINS9_10device_ptrIiEEEEPS5_jNS1_19radix_merge_compareILb1ELb0EiNS0_19identity_decomposerEEEEE10hipError_tT0_T1_T2_jT3_P12ihipStream_tbPNSt15iterator_traitsISK_E10value_typeEPNSQ_ISL_E10value_typeEPSM_NS1_7vsmem_tEENKUlT_SK_SL_SM_E_clISE_PiSF_SF_EESJ_SZ_SK_SL_SM_EUlSZ_E1_NS1_11comp_targetILNS1_3genE9ELNS1_11target_archE1100ELNS1_3gpuE3ELNS1_3repE0EEENS1_36merge_oddeven_config_static_selectorELNS0_4arch9wavefront6targetE1EEEvSL_
		.amdhsa_group_segment_fixed_size 0
		.amdhsa_private_segment_fixed_size 0
		.amdhsa_kernarg_size 48
		.amdhsa_user_sgpr_count 2
		.amdhsa_user_sgpr_dispatch_ptr 0
		.amdhsa_user_sgpr_queue_ptr 0
		.amdhsa_user_sgpr_kernarg_segment_ptr 1
		.amdhsa_user_sgpr_dispatch_id 0
		.amdhsa_user_sgpr_kernarg_preload_length 0
		.amdhsa_user_sgpr_kernarg_preload_offset 0
		.amdhsa_user_sgpr_private_segment_size 0
		.amdhsa_uses_dynamic_stack 0
		.amdhsa_enable_private_segment 0
		.amdhsa_system_sgpr_workgroup_id_x 1
		.amdhsa_system_sgpr_workgroup_id_y 0
		.amdhsa_system_sgpr_workgroup_id_z 0
		.amdhsa_system_sgpr_workgroup_info 0
		.amdhsa_system_vgpr_workitem_id 0
		.amdhsa_next_free_vgpr 1
		.amdhsa_next_free_sgpr 0
		.amdhsa_accum_offset 4
		.amdhsa_reserve_vcc 0
		.amdhsa_float_round_mode_32 0
		.amdhsa_float_round_mode_16_64 0
		.amdhsa_float_denorm_mode_32 3
		.amdhsa_float_denorm_mode_16_64 3
		.amdhsa_dx10_clamp 1
		.amdhsa_ieee_mode 1
		.amdhsa_fp16_overflow 0
		.amdhsa_tg_split 0
		.amdhsa_exception_fp_ieee_invalid_op 0
		.amdhsa_exception_fp_denorm_src 0
		.amdhsa_exception_fp_ieee_div_zero 0
		.amdhsa_exception_fp_ieee_overflow 0
		.amdhsa_exception_fp_ieee_underflow 0
		.amdhsa_exception_fp_ieee_inexact 0
		.amdhsa_exception_int_div_zero 0
	.end_amdhsa_kernel
	.section	.text._ZN7rocprim17ROCPRIM_400000_NS6detail17trampoline_kernelINS0_14default_configENS1_38merge_sort_block_merge_config_selectorIiNS0_10empty_typeEEEZZNS1_27merge_sort_block_merge_implIS3_N6thrust23THRUST_200600_302600_NS6detail15normal_iteratorINS9_10device_ptrIiEEEEPS5_jNS1_19radix_merge_compareILb1ELb0EiNS0_19identity_decomposerEEEEE10hipError_tT0_T1_T2_jT3_P12ihipStream_tbPNSt15iterator_traitsISK_E10value_typeEPNSQ_ISL_E10value_typeEPSM_NS1_7vsmem_tEENKUlT_SK_SL_SM_E_clISE_PiSF_SF_EESJ_SZ_SK_SL_SM_EUlSZ_E1_NS1_11comp_targetILNS1_3genE9ELNS1_11target_archE1100ELNS1_3gpuE3ELNS1_3repE0EEENS1_36merge_oddeven_config_static_selectorELNS0_4arch9wavefront6targetE1EEEvSL_,"axG",@progbits,_ZN7rocprim17ROCPRIM_400000_NS6detail17trampoline_kernelINS0_14default_configENS1_38merge_sort_block_merge_config_selectorIiNS0_10empty_typeEEEZZNS1_27merge_sort_block_merge_implIS3_N6thrust23THRUST_200600_302600_NS6detail15normal_iteratorINS9_10device_ptrIiEEEEPS5_jNS1_19radix_merge_compareILb1ELb0EiNS0_19identity_decomposerEEEEE10hipError_tT0_T1_T2_jT3_P12ihipStream_tbPNSt15iterator_traitsISK_E10value_typeEPNSQ_ISL_E10value_typeEPSM_NS1_7vsmem_tEENKUlT_SK_SL_SM_E_clISE_PiSF_SF_EESJ_SZ_SK_SL_SM_EUlSZ_E1_NS1_11comp_targetILNS1_3genE9ELNS1_11target_archE1100ELNS1_3gpuE3ELNS1_3repE0EEENS1_36merge_oddeven_config_static_selectorELNS0_4arch9wavefront6targetE1EEEvSL_,comdat
.Lfunc_end268:
	.size	_ZN7rocprim17ROCPRIM_400000_NS6detail17trampoline_kernelINS0_14default_configENS1_38merge_sort_block_merge_config_selectorIiNS0_10empty_typeEEEZZNS1_27merge_sort_block_merge_implIS3_N6thrust23THRUST_200600_302600_NS6detail15normal_iteratorINS9_10device_ptrIiEEEEPS5_jNS1_19radix_merge_compareILb1ELb0EiNS0_19identity_decomposerEEEEE10hipError_tT0_T1_T2_jT3_P12ihipStream_tbPNSt15iterator_traitsISK_E10value_typeEPNSQ_ISL_E10value_typeEPSM_NS1_7vsmem_tEENKUlT_SK_SL_SM_E_clISE_PiSF_SF_EESJ_SZ_SK_SL_SM_EUlSZ_E1_NS1_11comp_targetILNS1_3genE9ELNS1_11target_archE1100ELNS1_3gpuE3ELNS1_3repE0EEENS1_36merge_oddeven_config_static_selectorELNS0_4arch9wavefront6targetE1EEEvSL_, .Lfunc_end268-_ZN7rocprim17ROCPRIM_400000_NS6detail17trampoline_kernelINS0_14default_configENS1_38merge_sort_block_merge_config_selectorIiNS0_10empty_typeEEEZZNS1_27merge_sort_block_merge_implIS3_N6thrust23THRUST_200600_302600_NS6detail15normal_iteratorINS9_10device_ptrIiEEEEPS5_jNS1_19radix_merge_compareILb1ELb0EiNS0_19identity_decomposerEEEEE10hipError_tT0_T1_T2_jT3_P12ihipStream_tbPNSt15iterator_traitsISK_E10value_typeEPNSQ_ISL_E10value_typeEPSM_NS1_7vsmem_tEENKUlT_SK_SL_SM_E_clISE_PiSF_SF_EESJ_SZ_SK_SL_SM_EUlSZ_E1_NS1_11comp_targetILNS1_3genE9ELNS1_11target_archE1100ELNS1_3gpuE3ELNS1_3repE0EEENS1_36merge_oddeven_config_static_selectorELNS0_4arch9wavefront6targetE1EEEvSL_
                                        ; -- End function
	.set _ZN7rocprim17ROCPRIM_400000_NS6detail17trampoline_kernelINS0_14default_configENS1_38merge_sort_block_merge_config_selectorIiNS0_10empty_typeEEEZZNS1_27merge_sort_block_merge_implIS3_N6thrust23THRUST_200600_302600_NS6detail15normal_iteratorINS9_10device_ptrIiEEEEPS5_jNS1_19radix_merge_compareILb1ELb0EiNS0_19identity_decomposerEEEEE10hipError_tT0_T1_T2_jT3_P12ihipStream_tbPNSt15iterator_traitsISK_E10value_typeEPNSQ_ISL_E10value_typeEPSM_NS1_7vsmem_tEENKUlT_SK_SL_SM_E_clISE_PiSF_SF_EESJ_SZ_SK_SL_SM_EUlSZ_E1_NS1_11comp_targetILNS1_3genE9ELNS1_11target_archE1100ELNS1_3gpuE3ELNS1_3repE0EEENS1_36merge_oddeven_config_static_selectorELNS0_4arch9wavefront6targetE1EEEvSL_.num_vgpr, 0
	.set _ZN7rocprim17ROCPRIM_400000_NS6detail17trampoline_kernelINS0_14default_configENS1_38merge_sort_block_merge_config_selectorIiNS0_10empty_typeEEEZZNS1_27merge_sort_block_merge_implIS3_N6thrust23THRUST_200600_302600_NS6detail15normal_iteratorINS9_10device_ptrIiEEEEPS5_jNS1_19radix_merge_compareILb1ELb0EiNS0_19identity_decomposerEEEEE10hipError_tT0_T1_T2_jT3_P12ihipStream_tbPNSt15iterator_traitsISK_E10value_typeEPNSQ_ISL_E10value_typeEPSM_NS1_7vsmem_tEENKUlT_SK_SL_SM_E_clISE_PiSF_SF_EESJ_SZ_SK_SL_SM_EUlSZ_E1_NS1_11comp_targetILNS1_3genE9ELNS1_11target_archE1100ELNS1_3gpuE3ELNS1_3repE0EEENS1_36merge_oddeven_config_static_selectorELNS0_4arch9wavefront6targetE1EEEvSL_.num_agpr, 0
	.set _ZN7rocprim17ROCPRIM_400000_NS6detail17trampoline_kernelINS0_14default_configENS1_38merge_sort_block_merge_config_selectorIiNS0_10empty_typeEEEZZNS1_27merge_sort_block_merge_implIS3_N6thrust23THRUST_200600_302600_NS6detail15normal_iteratorINS9_10device_ptrIiEEEEPS5_jNS1_19radix_merge_compareILb1ELb0EiNS0_19identity_decomposerEEEEE10hipError_tT0_T1_T2_jT3_P12ihipStream_tbPNSt15iterator_traitsISK_E10value_typeEPNSQ_ISL_E10value_typeEPSM_NS1_7vsmem_tEENKUlT_SK_SL_SM_E_clISE_PiSF_SF_EESJ_SZ_SK_SL_SM_EUlSZ_E1_NS1_11comp_targetILNS1_3genE9ELNS1_11target_archE1100ELNS1_3gpuE3ELNS1_3repE0EEENS1_36merge_oddeven_config_static_selectorELNS0_4arch9wavefront6targetE1EEEvSL_.numbered_sgpr, 0
	.set _ZN7rocprim17ROCPRIM_400000_NS6detail17trampoline_kernelINS0_14default_configENS1_38merge_sort_block_merge_config_selectorIiNS0_10empty_typeEEEZZNS1_27merge_sort_block_merge_implIS3_N6thrust23THRUST_200600_302600_NS6detail15normal_iteratorINS9_10device_ptrIiEEEEPS5_jNS1_19radix_merge_compareILb1ELb0EiNS0_19identity_decomposerEEEEE10hipError_tT0_T1_T2_jT3_P12ihipStream_tbPNSt15iterator_traitsISK_E10value_typeEPNSQ_ISL_E10value_typeEPSM_NS1_7vsmem_tEENKUlT_SK_SL_SM_E_clISE_PiSF_SF_EESJ_SZ_SK_SL_SM_EUlSZ_E1_NS1_11comp_targetILNS1_3genE9ELNS1_11target_archE1100ELNS1_3gpuE3ELNS1_3repE0EEENS1_36merge_oddeven_config_static_selectorELNS0_4arch9wavefront6targetE1EEEvSL_.num_named_barrier, 0
	.set _ZN7rocprim17ROCPRIM_400000_NS6detail17trampoline_kernelINS0_14default_configENS1_38merge_sort_block_merge_config_selectorIiNS0_10empty_typeEEEZZNS1_27merge_sort_block_merge_implIS3_N6thrust23THRUST_200600_302600_NS6detail15normal_iteratorINS9_10device_ptrIiEEEEPS5_jNS1_19radix_merge_compareILb1ELb0EiNS0_19identity_decomposerEEEEE10hipError_tT0_T1_T2_jT3_P12ihipStream_tbPNSt15iterator_traitsISK_E10value_typeEPNSQ_ISL_E10value_typeEPSM_NS1_7vsmem_tEENKUlT_SK_SL_SM_E_clISE_PiSF_SF_EESJ_SZ_SK_SL_SM_EUlSZ_E1_NS1_11comp_targetILNS1_3genE9ELNS1_11target_archE1100ELNS1_3gpuE3ELNS1_3repE0EEENS1_36merge_oddeven_config_static_selectorELNS0_4arch9wavefront6targetE1EEEvSL_.private_seg_size, 0
	.set _ZN7rocprim17ROCPRIM_400000_NS6detail17trampoline_kernelINS0_14default_configENS1_38merge_sort_block_merge_config_selectorIiNS0_10empty_typeEEEZZNS1_27merge_sort_block_merge_implIS3_N6thrust23THRUST_200600_302600_NS6detail15normal_iteratorINS9_10device_ptrIiEEEEPS5_jNS1_19radix_merge_compareILb1ELb0EiNS0_19identity_decomposerEEEEE10hipError_tT0_T1_T2_jT3_P12ihipStream_tbPNSt15iterator_traitsISK_E10value_typeEPNSQ_ISL_E10value_typeEPSM_NS1_7vsmem_tEENKUlT_SK_SL_SM_E_clISE_PiSF_SF_EESJ_SZ_SK_SL_SM_EUlSZ_E1_NS1_11comp_targetILNS1_3genE9ELNS1_11target_archE1100ELNS1_3gpuE3ELNS1_3repE0EEENS1_36merge_oddeven_config_static_selectorELNS0_4arch9wavefront6targetE1EEEvSL_.uses_vcc, 0
	.set _ZN7rocprim17ROCPRIM_400000_NS6detail17trampoline_kernelINS0_14default_configENS1_38merge_sort_block_merge_config_selectorIiNS0_10empty_typeEEEZZNS1_27merge_sort_block_merge_implIS3_N6thrust23THRUST_200600_302600_NS6detail15normal_iteratorINS9_10device_ptrIiEEEEPS5_jNS1_19radix_merge_compareILb1ELb0EiNS0_19identity_decomposerEEEEE10hipError_tT0_T1_T2_jT3_P12ihipStream_tbPNSt15iterator_traitsISK_E10value_typeEPNSQ_ISL_E10value_typeEPSM_NS1_7vsmem_tEENKUlT_SK_SL_SM_E_clISE_PiSF_SF_EESJ_SZ_SK_SL_SM_EUlSZ_E1_NS1_11comp_targetILNS1_3genE9ELNS1_11target_archE1100ELNS1_3gpuE3ELNS1_3repE0EEENS1_36merge_oddeven_config_static_selectorELNS0_4arch9wavefront6targetE1EEEvSL_.uses_flat_scratch, 0
	.set _ZN7rocprim17ROCPRIM_400000_NS6detail17trampoline_kernelINS0_14default_configENS1_38merge_sort_block_merge_config_selectorIiNS0_10empty_typeEEEZZNS1_27merge_sort_block_merge_implIS3_N6thrust23THRUST_200600_302600_NS6detail15normal_iteratorINS9_10device_ptrIiEEEEPS5_jNS1_19radix_merge_compareILb1ELb0EiNS0_19identity_decomposerEEEEE10hipError_tT0_T1_T2_jT3_P12ihipStream_tbPNSt15iterator_traitsISK_E10value_typeEPNSQ_ISL_E10value_typeEPSM_NS1_7vsmem_tEENKUlT_SK_SL_SM_E_clISE_PiSF_SF_EESJ_SZ_SK_SL_SM_EUlSZ_E1_NS1_11comp_targetILNS1_3genE9ELNS1_11target_archE1100ELNS1_3gpuE3ELNS1_3repE0EEENS1_36merge_oddeven_config_static_selectorELNS0_4arch9wavefront6targetE1EEEvSL_.has_dyn_sized_stack, 0
	.set _ZN7rocprim17ROCPRIM_400000_NS6detail17trampoline_kernelINS0_14default_configENS1_38merge_sort_block_merge_config_selectorIiNS0_10empty_typeEEEZZNS1_27merge_sort_block_merge_implIS3_N6thrust23THRUST_200600_302600_NS6detail15normal_iteratorINS9_10device_ptrIiEEEEPS5_jNS1_19radix_merge_compareILb1ELb0EiNS0_19identity_decomposerEEEEE10hipError_tT0_T1_T2_jT3_P12ihipStream_tbPNSt15iterator_traitsISK_E10value_typeEPNSQ_ISL_E10value_typeEPSM_NS1_7vsmem_tEENKUlT_SK_SL_SM_E_clISE_PiSF_SF_EESJ_SZ_SK_SL_SM_EUlSZ_E1_NS1_11comp_targetILNS1_3genE9ELNS1_11target_archE1100ELNS1_3gpuE3ELNS1_3repE0EEENS1_36merge_oddeven_config_static_selectorELNS0_4arch9wavefront6targetE1EEEvSL_.has_recursion, 0
	.set _ZN7rocprim17ROCPRIM_400000_NS6detail17trampoline_kernelINS0_14default_configENS1_38merge_sort_block_merge_config_selectorIiNS0_10empty_typeEEEZZNS1_27merge_sort_block_merge_implIS3_N6thrust23THRUST_200600_302600_NS6detail15normal_iteratorINS9_10device_ptrIiEEEEPS5_jNS1_19radix_merge_compareILb1ELb0EiNS0_19identity_decomposerEEEEE10hipError_tT0_T1_T2_jT3_P12ihipStream_tbPNSt15iterator_traitsISK_E10value_typeEPNSQ_ISL_E10value_typeEPSM_NS1_7vsmem_tEENKUlT_SK_SL_SM_E_clISE_PiSF_SF_EESJ_SZ_SK_SL_SM_EUlSZ_E1_NS1_11comp_targetILNS1_3genE9ELNS1_11target_archE1100ELNS1_3gpuE3ELNS1_3repE0EEENS1_36merge_oddeven_config_static_selectorELNS0_4arch9wavefront6targetE1EEEvSL_.has_indirect_call, 0
	.section	.AMDGPU.csdata,"",@progbits
; Kernel info:
; codeLenInByte = 0
; TotalNumSgprs: 6
; NumVgprs: 0
; NumAgprs: 0
; TotalNumVgprs: 0
; ScratchSize: 0
; MemoryBound: 0
; FloatMode: 240
; IeeeMode: 1
; LDSByteSize: 0 bytes/workgroup (compile time only)
; SGPRBlocks: 0
; VGPRBlocks: 0
; NumSGPRsForWavesPerEU: 6
; NumVGPRsForWavesPerEU: 1
; AccumOffset: 4
; Occupancy: 8
; WaveLimiterHint : 0
; COMPUTE_PGM_RSRC2:SCRATCH_EN: 0
; COMPUTE_PGM_RSRC2:USER_SGPR: 2
; COMPUTE_PGM_RSRC2:TRAP_HANDLER: 0
; COMPUTE_PGM_RSRC2:TGID_X_EN: 1
; COMPUTE_PGM_RSRC2:TGID_Y_EN: 0
; COMPUTE_PGM_RSRC2:TGID_Z_EN: 0
; COMPUTE_PGM_RSRC2:TIDIG_COMP_CNT: 0
; COMPUTE_PGM_RSRC3_GFX90A:ACCUM_OFFSET: 0
; COMPUTE_PGM_RSRC3_GFX90A:TG_SPLIT: 0
	.section	.text._ZN7rocprim17ROCPRIM_400000_NS6detail17trampoline_kernelINS0_14default_configENS1_38merge_sort_block_merge_config_selectorIiNS0_10empty_typeEEEZZNS1_27merge_sort_block_merge_implIS3_N6thrust23THRUST_200600_302600_NS6detail15normal_iteratorINS9_10device_ptrIiEEEEPS5_jNS1_19radix_merge_compareILb1ELb0EiNS0_19identity_decomposerEEEEE10hipError_tT0_T1_T2_jT3_P12ihipStream_tbPNSt15iterator_traitsISK_E10value_typeEPNSQ_ISL_E10value_typeEPSM_NS1_7vsmem_tEENKUlT_SK_SL_SM_E_clISE_PiSF_SF_EESJ_SZ_SK_SL_SM_EUlSZ_E1_NS1_11comp_targetILNS1_3genE8ELNS1_11target_archE1030ELNS1_3gpuE2ELNS1_3repE0EEENS1_36merge_oddeven_config_static_selectorELNS0_4arch9wavefront6targetE1EEEvSL_,"axG",@progbits,_ZN7rocprim17ROCPRIM_400000_NS6detail17trampoline_kernelINS0_14default_configENS1_38merge_sort_block_merge_config_selectorIiNS0_10empty_typeEEEZZNS1_27merge_sort_block_merge_implIS3_N6thrust23THRUST_200600_302600_NS6detail15normal_iteratorINS9_10device_ptrIiEEEEPS5_jNS1_19radix_merge_compareILb1ELb0EiNS0_19identity_decomposerEEEEE10hipError_tT0_T1_T2_jT3_P12ihipStream_tbPNSt15iterator_traitsISK_E10value_typeEPNSQ_ISL_E10value_typeEPSM_NS1_7vsmem_tEENKUlT_SK_SL_SM_E_clISE_PiSF_SF_EESJ_SZ_SK_SL_SM_EUlSZ_E1_NS1_11comp_targetILNS1_3genE8ELNS1_11target_archE1030ELNS1_3gpuE2ELNS1_3repE0EEENS1_36merge_oddeven_config_static_selectorELNS0_4arch9wavefront6targetE1EEEvSL_,comdat
	.protected	_ZN7rocprim17ROCPRIM_400000_NS6detail17trampoline_kernelINS0_14default_configENS1_38merge_sort_block_merge_config_selectorIiNS0_10empty_typeEEEZZNS1_27merge_sort_block_merge_implIS3_N6thrust23THRUST_200600_302600_NS6detail15normal_iteratorINS9_10device_ptrIiEEEEPS5_jNS1_19radix_merge_compareILb1ELb0EiNS0_19identity_decomposerEEEEE10hipError_tT0_T1_T2_jT3_P12ihipStream_tbPNSt15iterator_traitsISK_E10value_typeEPNSQ_ISL_E10value_typeEPSM_NS1_7vsmem_tEENKUlT_SK_SL_SM_E_clISE_PiSF_SF_EESJ_SZ_SK_SL_SM_EUlSZ_E1_NS1_11comp_targetILNS1_3genE8ELNS1_11target_archE1030ELNS1_3gpuE2ELNS1_3repE0EEENS1_36merge_oddeven_config_static_selectorELNS0_4arch9wavefront6targetE1EEEvSL_ ; -- Begin function _ZN7rocprim17ROCPRIM_400000_NS6detail17trampoline_kernelINS0_14default_configENS1_38merge_sort_block_merge_config_selectorIiNS0_10empty_typeEEEZZNS1_27merge_sort_block_merge_implIS3_N6thrust23THRUST_200600_302600_NS6detail15normal_iteratorINS9_10device_ptrIiEEEEPS5_jNS1_19radix_merge_compareILb1ELb0EiNS0_19identity_decomposerEEEEE10hipError_tT0_T1_T2_jT3_P12ihipStream_tbPNSt15iterator_traitsISK_E10value_typeEPNSQ_ISL_E10value_typeEPSM_NS1_7vsmem_tEENKUlT_SK_SL_SM_E_clISE_PiSF_SF_EESJ_SZ_SK_SL_SM_EUlSZ_E1_NS1_11comp_targetILNS1_3genE8ELNS1_11target_archE1030ELNS1_3gpuE2ELNS1_3repE0EEENS1_36merge_oddeven_config_static_selectorELNS0_4arch9wavefront6targetE1EEEvSL_
	.globl	_ZN7rocprim17ROCPRIM_400000_NS6detail17trampoline_kernelINS0_14default_configENS1_38merge_sort_block_merge_config_selectorIiNS0_10empty_typeEEEZZNS1_27merge_sort_block_merge_implIS3_N6thrust23THRUST_200600_302600_NS6detail15normal_iteratorINS9_10device_ptrIiEEEEPS5_jNS1_19radix_merge_compareILb1ELb0EiNS0_19identity_decomposerEEEEE10hipError_tT0_T1_T2_jT3_P12ihipStream_tbPNSt15iterator_traitsISK_E10value_typeEPNSQ_ISL_E10value_typeEPSM_NS1_7vsmem_tEENKUlT_SK_SL_SM_E_clISE_PiSF_SF_EESJ_SZ_SK_SL_SM_EUlSZ_E1_NS1_11comp_targetILNS1_3genE8ELNS1_11target_archE1030ELNS1_3gpuE2ELNS1_3repE0EEENS1_36merge_oddeven_config_static_selectorELNS0_4arch9wavefront6targetE1EEEvSL_
	.p2align	8
	.type	_ZN7rocprim17ROCPRIM_400000_NS6detail17trampoline_kernelINS0_14default_configENS1_38merge_sort_block_merge_config_selectorIiNS0_10empty_typeEEEZZNS1_27merge_sort_block_merge_implIS3_N6thrust23THRUST_200600_302600_NS6detail15normal_iteratorINS9_10device_ptrIiEEEEPS5_jNS1_19radix_merge_compareILb1ELb0EiNS0_19identity_decomposerEEEEE10hipError_tT0_T1_T2_jT3_P12ihipStream_tbPNSt15iterator_traitsISK_E10value_typeEPNSQ_ISL_E10value_typeEPSM_NS1_7vsmem_tEENKUlT_SK_SL_SM_E_clISE_PiSF_SF_EESJ_SZ_SK_SL_SM_EUlSZ_E1_NS1_11comp_targetILNS1_3genE8ELNS1_11target_archE1030ELNS1_3gpuE2ELNS1_3repE0EEENS1_36merge_oddeven_config_static_selectorELNS0_4arch9wavefront6targetE1EEEvSL_,@function
_ZN7rocprim17ROCPRIM_400000_NS6detail17trampoline_kernelINS0_14default_configENS1_38merge_sort_block_merge_config_selectorIiNS0_10empty_typeEEEZZNS1_27merge_sort_block_merge_implIS3_N6thrust23THRUST_200600_302600_NS6detail15normal_iteratorINS9_10device_ptrIiEEEEPS5_jNS1_19radix_merge_compareILb1ELb0EiNS0_19identity_decomposerEEEEE10hipError_tT0_T1_T2_jT3_P12ihipStream_tbPNSt15iterator_traitsISK_E10value_typeEPNSQ_ISL_E10value_typeEPSM_NS1_7vsmem_tEENKUlT_SK_SL_SM_E_clISE_PiSF_SF_EESJ_SZ_SK_SL_SM_EUlSZ_E1_NS1_11comp_targetILNS1_3genE8ELNS1_11target_archE1030ELNS1_3gpuE2ELNS1_3repE0EEENS1_36merge_oddeven_config_static_selectorELNS0_4arch9wavefront6targetE1EEEvSL_: ; @_ZN7rocprim17ROCPRIM_400000_NS6detail17trampoline_kernelINS0_14default_configENS1_38merge_sort_block_merge_config_selectorIiNS0_10empty_typeEEEZZNS1_27merge_sort_block_merge_implIS3_N6thrust23THRUST_200600_302600_NS6detail15normal_iteratorINS9_10device_ptrIiEEEEPS5_jNS1_19radix_merge_compareILb1ELb0EiNS0_19identity_decomposerEEEEE10hipError_tT0_T1_T2_jT3_P12ihipStream_tbPNSt15iterator_traitsISK_E10value_typeEPNSQ_ISL_E10value_typeEPSM_NS1_7vsmem_tEENKUlT_SK_SL_SM_E_clISE_PiSF_SF_EESJ_SZ_SK_SL_SM_EUlSZ_E1_NS1_11comp_targetILNS1_3genE8ELNS1_11target_archE1030ELNS1_3gpuE2ELNS1_3repE0EEENS1_36merge_oddeven_config_static_selectorELNS0_4arch9wavefront6targetE1EEEvSL_
; %bb.0:
	.section	.rodata,"a",@progbits
	.p2align	6, 0x0
	.amdhsa_kernel _ZN7rocprim17ROCPRIM_400000_NS6detail17trampoline_kernelINS0_14default_configENS1_38merge_sort_block_merge_config_selectorIiNS0_10empty_typeEEEZZNS1_27merge_sort_block_merge_implIS3_N6thrust23THRUST_200600_302600_NS6detail15normal_iteratorINS9_10device_ptrIiEEEEPS5_jNS1_19radix_merge_compareILb1ELb0EiNS0_19identity_decomposerEEEEE10hipError_tT0_T1_T2_jT3_P12ihipStream_tbPNSt15iterator_traitsISK_E10value_typeEPNSQ_ISL_E10value_typeEPSM_NS1_7vsmem_tEENKUlT_SK_SL_SM_E_clISE_PiSF_SF_EESJ_SZ_SK_SL_SM_EUlSZ_E1_NS1_11comp_targetILNS1_3genE8ELNS1_11target_archE1030ELNS1_3gpuE2ELNS1_3repE0EEENS1_36merge_oddeven_config_static_selectorELNS0_4arch9wavefront6targetE1EEEvSL_
		.amdhsa_group_segment_fixed_size 0
		.amdhsa_private_segment_fixed_size 0
		.amdhsa_kernarg_size 48
		.amdhsa_user_sgpr_count 2
		.amdhsa_user_sgpr_dispatch_ptr 0
		.amdhsa_user_sgpr_queue_ptr 0
		.amdhsa_user_sgpr_kernarg_segment_ptr 1
		.amdhsa_user_sgpr_dispatch_id 0
		.amdhsa_user_sgpr_kernarg_preload_length 0
		.amdhsa_user_sgpr_kernarg_preload_offset 0
		.amdhsa_user_sgpr_private_segment_size 0
		.amdhsa_uses_dynamic_stack 0
		.amdhsa_enable_private_segment 0
		.amdhsa_system_sgpr_workgroup_id_x 1
		.amdhsa_system_sgpr_workgroup_id_y 0
		.amdhsa_system_sgpr_workgroup_id_z 0
		.amdhsa_system_sgpr_workgroup_info 0
		.amdhsa_system_vgpr_workitem_id 0
		.amdhsa_next_free_vgpr 1
		.amdhsa_next_free_sgpr 0
		.amdhsa_accum_offset 4
		.amdhsa_reserve_vcc 0
		.amdhsa_float_round_mode_32 0
		.amdhsa_float_round_mode_16_64 0
		.amdhsa_float_denorm_mode_32 3
		.amdhsa_float_denorm_mode_16_64 3
		.amdhsa_dx10_clamp 1
		.amdhsa_ieee_mode 1
		.amdhsa_fp16_overflow 0
		.amdhsa_tg_split 0
		.amdhsa_exception_fp_ieee_invalid_op 0
		.amdhsa_exception_fp_denorm_src 0
		.amdhsa_exception_fp_ieee_div_zero 0
		.amdhsa_exception_fp_ieee_overflow 0
		.amdhsa_exception_fp_ieee_underflow 0
		.amdhsa_exception_fp_ieee_inexact 0
		.amdhsa_exception_int_div_zero 0
	.end_amdhsa_kernel
	.section	.text._ZN7rocprim17ROCPRIM_400000_NS6detail17trampoline_kernelINS0_14default_configENS1_38merge_sort_block_merge_config_selectorIiNS0_10empty_typeEEEZZNS1_27merge_sort_block_merge_implIS3_N6thrust23THRUST_200600_302600_NS6detail15normal_iteratorINS9_10device_ptrIiEEEEPS5_jNS1_19radix_merge_compareILb1ELb0EiNS0_19identity_decomposerEEEEE10hipError_tT0_T1_T2_jT3_P12ihipStream_tbPNSt15iterator_traitsISK_E10value_typeEPNSQ_ISL_E10value_typeEPSM_NS1_7vsmem_tEENKUlT_SK_SL_SM_E_clISE_PiSF_SF_EESJ_SZ_SK_SL_SM_EUlSZ_E1_NS1_11comp_targetILNS1_3genE8ELNS1_11target_archE1030ELNS1_3gpuE2ELNS1_3repE0EEENS1_36merge_oddeven_config_static_selectorELNS0_4arch9wavefront6targetE1EEEvSL_,"axG",@progbits,_ZN7rocprim17ROCPRIM_400000_NS6detail17trampoline_kernelINS0_14default_configENS1_38merge_sort_block_merge_config_selectorIiNS0_10empty_typeEEEZZNS1_27merge_sort_block_merge_implIS3_N6thrust23THRUST_200600_302600_NS6detail15normal_iteratorINS9_10device_ptrIiEEEEPS5_jNS1_19radix_merge_compareILb1ELb0EiNS0_19identity_decomposerEEEEE10hipError_tT0_T1_T2_jT3_P12ihipStream_tbPNSt15iterator_traitsISK_E10value_typeEPNSQ_ISL_E10value_typeEPSM_NS1_7vsmem_tEENKUlT_SK_SL_SM_E_clISE_PiSF_SF_EESJ_SZ_SK_SL_SM_EUlSZ_E1_NS1_11comp_targetILNS1_3genE8ELNS1_11target_archE1030ELNS1_3gpuE2ELNS1_3repE0EEENS1_36merge_oddeven_config_static_selectorELNS0_4arch9wavefront6targetE1EEEvSL_,comdat
.Lfunc_end269:
	.size	_ZN7rocprim17ROCPRIM_400000_NS6detail17trampoline_kernelINS0_14default_configENS1_38merge_sort_block_merge_config_selectorIiNS0_10empty_typeEEEZZNS1_27merge_sort_block_merge_implIS3_N6thrust23THRUST_200600_302600_NS6detail15normal_iteratorINS9_10device_ptrIiEEEEPS5_jNS1_19radix_merge_compareILb1ELb0EiNS0_19identity_decomposerEEEEE10hipError_tT0_T1_T2_jT3_P12ihipStream_tbPNSt15iterator_traitsISK_E10value_typeEPNSQ_ISL_E10value_typeEPSM_NS1_7vsmem_tEENKUlT_SK_SL_SM_E_clISE_PiSF_SF_EESJ_SZ_SK_SL_SM_EUlSZ_E1_NS1_11comp_targetILNS1_3genE8ELNS1_11target_archE1030ELNS1_3gpuE2ELNS1_3repE0EEENS1_36merge_oddeven_config_static_selectorELNS0_4arch9wavefront6targetE1EEEvSL_, .Lfunc_end269-_ZN7rocprim17ROCPRIM_400000_NS6detail17trampoline_kernelINS0_14default_configENS1_38merge_sort_block_merge_config_selectorIiNS0_10empty_typeEEEZZNS1_27merge_sort_block_merge_implIS3_N6thrust23THRUST_200600_302600_NS6detail15normal_iteratorINS9_10device_ptrIiEEEEPS5_jNS1_19radix_merge_compareILb1ELb0EiNS0_19identity_decomposerEEEEE10hipError_tT0_T1_T2_jT3_P12ihipStream_tbPNSt15iterator_traitsISK_E10value_typeEPNSQ_ISL_E10value_typeEPSM_NS1_7vsmem_tEENKUlT_SK_SL_SM_E_clISE_PiSF_SF_EESJ_SZ_SK_SL_SM_EUlSZ_E1_NS1_11comp_targetILNS1_3genE8ELNS1_11target_archE1030ELNS1_3gpuE2ELNS1_3repE0EEENS1_36merge_oddeven_config_static_selectorELNS0_4arch9wavefront6targetE1EEEvSL_
                                        ; -- End function
	.set _ZN7rocprim17ROCPRIM_400000_NS6detail17trampoline_kernelINS0_14default_configENS1_38merge_sort_block_merge_config_selectorIiNS0_10empty_typeEEEZZNS1_27merge_sort_block_merge_implIS3_N6thrust23THRUST_200600_302600_NS6detail15normal_iteratorINS9_10device_ptrIiEEEEPS5_jNS1_19radix_merge_compareILb1ELb0EiNS0_19identity_decomposerEEEEE10hipError_tT0_T1_T2_jT3_P12ihipStream_tbPNSt15iterator_traitsISK_E10value_typeEPNSQ_ISL_E10value_typeEPSM_NS1_7vsmem_tEENKUlT_SK_SL_SM_E_clISE_PiSF_SF_EESJ_SZ_SK_SL_SM_EUlSZ_E1_NS1_11comp_targetILNS1_3genE8ELNS1_11target_archE1030ELNS1_3gpuE2ELNS1_3repE0EEENS1_36merge_oddeven_config_static_selectorELNS0_4arch9wavefront6targetE1EEEvSL_.num_vgpr, 0
	.set _ZN7rocprim17ROCPRIM_400000_NS6detail17trampoline_kernelINS0_14default_configENS1_38merge_sort_block_merge_config_selectorIiNS0_10empty_typeEEEZZNS1_27merge_sort_block_merge_implIS3_N6thrust23THRUST_200600_302600_NS6detail15normal_iteratorINS9_10device_ptrIiEEEEPS5_jNS1_19radix_merge_compareILb1ELb0EiNS0_19identity_decomposerEEEEE10hipError_tT0_T1_T2_jT3_P12ihipStream_tbPNSt15iterator_traitsISK_E10value_typeEPNSQ_ISL_E10value_typeEPSM_NS1_7vsmem_tEENKUlT_SK_SL_SM_E_clISE_PiSF_SF_EESJ_SZ_SK_SL_SM_EUlSZ_E1_NS1_11comp_targetILNS1_3genE8ELNS1_11target_archE1030ELNS1_3gpuE2ELNS1_3repE0EEENS1_36merge_oddeven_config_static_selectorELNS0_4arch9wavefront6targetE1EEEvSL_.num_agpr, 0
	.set _ZN7rocprim17ROCPRIM_400000_NS6detail17trampoline_kernelINS0_14default_configENS1_38merge_sort_block_merge_config_selectorIiNS0_10empty_typeEEEZZNS1_27merge_sort_block_merge_implIS3_N6thrust23THRUST_200600_302600_NS6detail15normal_iteratorINS9_10device_ptrIiEEEEPS5_jNS1_19radix_merge_compareILb1ELb0EiNS0_19identity_decomposerEEEEE10hipError_tT0_T1_T2_jT3_P12ihipStream_tbPNSt15iterator_traitsISK_E10value_typeEPNSQ_ISL_E10value_typeEPSM_NS1_7vsmem_tEENKUlT_SK_SL_SM_E_clISE_PiSF_SF_EESJ_SZ_SK_SL_SM_EUlSZ_E1_NS1_11comp_targetILNS1_3genE8ELNS1_11target_archE1030ELNS1_3gpuE2ELNS1_3repE0EEENS1_36merge_oddeven_config_static_selectorELNS0_4arch9wavefront6targetE1EEEvSL_.numbered_sgpr, 0
	.set _ZN7rocprim17ROCPRIM_400000_NS6detail17trampoline_kernelINS0_14default_configENS1_38merge_sort_block_merge_config_selectorIiNS0_10empty_typeEEEZZNS1_27merge_sort_block_merge_implIS3_N6thrust23THRUST_200600_302600_NS6detail15normal_iteratorINS9_10device_ptrIiEEEEPS5_jNS1_19radix_merge_compareILb1ELb0EiNS0_19identity_decomposerEEEEE10hipError_tT0_T1_T2_jT3_P12ihipStream_tbPNSt15iterator_traitsISK_E10value_typeEPNSQ_ISL_E10value_typeEPSM_NS1_7vsmem_tEENKUlT_SK_SL_SM_E_clISE_PiSF_SF_EESJ_SZ_SK_SL_SM_EUlSZ_E1_NS1_11comp_targetILNS1_3genE8ELNS1_11target_archE1030ELNS1_3gpuE2ELNS1_3repE0EEENS1_36merge_oddeven_config_static_selectorELNS0_4arch9wavefront6targetE1EEEvSL_.num_named_barrier, 0
	.set _ZN7rocprim17ROCPRIM_400000_NS6detail17trampoline_kernelINS0_14default_configENS1_38merge_sort_block_merge_config_selectorIiNS0_10empty_typeEEEZZNS1_27merge_sort_block_merge_implIS3_N6thrust23THRUST_200600_302600_NS6detail15normal_iteratorINS9_10device_ptrIiEEEEPS5_jNS1_19radix_merge_compareILb1ELb0EiNS0_19identity_decomposerEEEEE10hipError_tT0_T1_T2_jT3_P12ihipStream_tbPNSt15iterator_traitsISK_E10value_typeEPNSQ_ISL_E10value_typeEPSM_NS1_7vsmem_tEENKUlT_SK_SL_SM_E_clISE_PiSF_SF_EESJ_SZ_SK_SL_SM_EUlSZ_E1_NS1_11comp_targetILNS1_3genE8ELNS1_11target_archE1030ELNS1_3gpuE2ELNS1_3repE0EEENS1_36merge_oddeven_config_static_selectorELNS0_4arch9wavefront6targetE1EEEvSL_.private_seg_size, 0
	.set _ZN7rocprim17ROCPRIM_400000_NS6detail17trampoline_kernelINS0_14default_configENS1_38merge_sort_block_merge_config_selectorIiNS0_10empty_typeEEEZZNS1_27merge_sort_block_merge_implIS3_N6thrust23THRUST_200600_302600_NS6detail15normal_iteratorINS9_10device_ptrIiEEEEPS5_jNS1_19radix_merge_compareILb1ELb0EiNS0_19identity_decomposerEEEEE10hipError_tT0_T1_T2_jT3_P12ihipStream_tbPNSt15iterator_traitsISK_E10value_typeEPNSQ_ISL_E10value_typeEPSM_NS1_7vsmem_tEENKUlT_SK_SL_SM_E_clISE_PiSF_SF_EESJ_SZ_SK_SL_SM_EUlSZ_E1_NS1_11comp_targetILNS1_3genE8ELNS1_11target_archE1030ELNS1_3gpuE2ELNS1_3repE0EEENS1_36merge_oddeven_config_static_selectorELNS0_4arch9wavefront6targetE1EEEvSL_.uses_vcc, 0
	.set _ZN7rocprim17ROCPRIM_400000_NS6detail17trampoline_kernelINS0_14default_configENS1_38merge_sort_block_merge_config_selectorIiNS0_10empty_typeEEEZZNS1_27merge_sort_block_merge_implIS3_N6thrust23THRUST_200600_302600_NS6detail15normal_iteratorINS9_10device_ptrIiEEEEPS5_jNS1_19radix_merge_compareILb1ELb0EiNS0_19identity_decomposerEEEEE10hipError_tT0_T1_T2_jT3_P12ihipStream_tbPNSt15iterator_traitsISK_E10value_typeEPNSQ_ISL_E10value_typeEPSM_NS1_7vsmem_tEENKUlT_SK_SL_SM_E_clISE_PiSF_SF_EESJ_SZ_SK_SL_SM_EUlSZ_E1_NS1_11comp_targetILNS1_3genE8ELNS1_11target_archE1030ELNS1_3gpuE2ELNS1_3repE0EEENS1_36merge_oddeven_config_static_selectorELNS0_4arch9wavefront6targetE1EEEvSL_.uses_flat_scratch, 0
	.set _ZN7rocprim17ROCPRIM_400000_NS6detail17trampoline_kernelINS0_14default_configENS1_38merge_sort_block_merge_config_selectorIiNS0_10empty_typeEEEZZNS1_27merge_sort_block_merge_implIS3_N6thrust23THRUST_200600_302600_NS6detail15normal_iteratorINS9_10device_ptrIiEEEEPS5_jNS1_19radix_merge_compareILb1ELb0EiNS0_19identity_decomposerEEEEE10hipError_tT0_T1_T2_jT3_P12ihipStream_tbPNSt15iterator_traitsISK_E10value_typeEPNSQ_ISL_E10value_typeEPSM_NS1_7vsmem_tEENKUlT_SK_SL_SM_E_clISE_PiSF_SF_EESJ_SZ_SK_SL_SM_EUlSZ_E1_NS1_11comp_targetILNS1_3genE8ELNS1_11target_archE1030ELNS1_3gpuE2ELNS1_3repE0EEENS1_36merge_oddeven_config_static_selectorELNS0_4arch9wavefront6targetE1EEEvSL_.has_dyn_sized_stack, 0
	.set _ZN7rocprim17ROCPRIM_400000_NS6detail17trampoline_kernelINS0_14default_configENS1_38merge_sort_block_merge_config_selectorIiNS0_10empty_typeEEEZZNS1_27merge_sort_block_merge_implIS3_N6thrust23THRUST_200600_302600_NS6detail15normal_iteratorINS9_10device_ptrIiEEEEPS5_jNS1_19radix_merge_compareILb1ELb0EiNS0_19identity_decomposerEEEEE10hipError_tT0_T1_T2_jT3_P12ihipStream_tbPNSt15iterator_traitsISK_E10value_typeEPNSQ_ISL_E10value_typeEPSM_NS1_7vsmem_tEENKUlT_SK_SL_SM_E_clISE_PiSF_SF_EESJ_SZ_SK_SL_SM_EUlSZ_E1_NS1_11comp_targetILNS1_3genE8ELNS1_11target_archE1030ELNS1_3gpuE2ELNS1_3repE0EEENS1_36merge_oddeven_config_static_selectorELNS0_4arch9wavefront6targetE1EEEvSL_.has_recursion, 0
	.set _ZN7rocprim17ROCPRIM_400000_NS6detail17trampoline_kernelINS0_14default_configENS1_38merge_sort_block_merge_config_selectorIiNS0_10empty_typeEEEZZNS1_27merge_sort_block_merge_implIS3_N6thrust23THRUST_200600_302600_NS6detail15normal_iteratorINS9_10device_ptrIiEEEEPS5_jNS1_19radix_merge_compareILb1ELb0EiNS0_19identity_decomposerEEEEE10hipError_tT0_T1_T2_jT3_P12ihipStream_tbPNSt15iterator_traitsISK_E10value_typeEPNSQ_ISL_E10value_typeEPSM_NS1_7vsmem_tEENKUlT_SK_SL_SM_E_clISE_PiSF_SF_EESJ_SZ_SK_SL_SM_EUlSZ_E1_NS1_11comp_targetILNS1_3genE8ELNS1_11target_archE1030ELNS1_3gpuE2ELNS1_3repE0EEENS1_36merge_oddeven_config_static_selectorELNS0_4arch9wavefront6targetE1EEEvSL_.has_indirect_call, 0
	.section	.AMDGPU.csdata,"",@progbits
; Kernel info:
; codeLenInByte = 0
; TotalNumSgprs: 6
; NumVgprs: 0
; NumAgprs: 0
; TotalNumVgprs: 0
; ScratchSize: 0
; MemoryBound: 0
; FloatMode: 240
; IeeeMode: 1
; LDSByteSize: 0 bytes/workgroup (compile time only)
; SGPRBlocks: 0
; VGPRBlocks: 0
; NumSGPRsForWavesPerEU: 6
; NumVGPRsForWavesPerEU: 1
; AccumOffset: 4
; Occupancy: 8
; WaveLimiterHint : 0
; COMPUTE_PGM_RSRC2:SCRATCH_EN: 0
; COMPUTE_PGM_RSRC2:USER_SGPR: 2
; COMPUTE_PGM_RSRC2:TRAP_HANDLER: 0
; COMPUTE_PGM_RSRC2:TGID_X_EN: 1
; COMPUTE_PGM_RSRC2:TGID_Y_EN: 0
; COMPUTE_PGM_RSRC2:TGID_Z_EN: 0
; COMPUTE_PGM_RSRC2:TIDIG_COMP_CNT: 0
; COMPUTE_PGM_RSRC3_GFX90A:ACCUM_OFFSET: 0
; COMPUTE_PGM_RSRC3_GFX90A:TG_SPLIT: 0
	.section	.text._ZN7rocprim17ROCPRIM_400000_NS6detail17trampoline_kernelINS0_14default_configENS1_38merge_sort_block_merge_config_selectorIiNS0_10empty_typeEEEZZNS1_27merge_sort_block_merge_implIS3_N6thrust23THRUST_200600_302600_NS6detail15normal_iteratorINS9_10device_ptrIiEEEEPS5_jNS1_19radix_merge_compareILb1ELb1EiNS0_19identity_decomposerEEEEE10hipError_tT0_T1_T2_jT3_P12ihipStream_tbPNSt15iterator_traitsISK_E10value_typeEPNSQ_ISL_E10value_typeEPSM_NS1_7vsmem_tEENKUlT_SK_SL_SM_E_clIPiSE_SF_SF_EESJ_SZ_SK_SL_SM_EUlSZ_E_NS1_11comp_targetILNS1_3genE0ELNS1_11target_archE4294967295ELNS1_3gpuE0ELNS1_3repE0EEENS1_48merge_mergepath_partition_config_static_selectorELNS0_4arch9wavefront6targetE1EEEvSL_,"axG",@progbits,_ZN7rocprim17ROCPRIM_400000_NS6detail17trampoline_kernelINS0_14default_configENS1_38merge_sort_block_merge_config_selectorIiNS0_10empty_typeEEEZZNS1_27merge_sort_block_merge_implIS3_N6thrust23THRUST_200600_302600_NS6detail15normal_iteratorINS9_10device_ptrIiEEEEPS5_jNS1_19radix_merge_compareILb1ELb1EiNS0_19identity_decomposerEEEEE10hipError_tT0_T1_T2_jT3_P12ihipStream_tbPNSt15iterator_traitsISK_E10value_typeEPNSQ_ISL_E10value_typeEPSM_NS1_7vsmem_tEENKUlT_SK_SL_SM_E_clIPiSE_SF_SF_EESJ_SZ_SK_SL_SM_EUlSZ_E_NS1_11comp_targetILNS1_3genE0ELNS1_11target_archE4294967295ELNS1_3gpuE0ELNS1_3repE0EEENS1_48merge_mergepath_partition_config_static_selectorELNS0_4arch9wavefront6targetE1EEEvSL_,comdat
	.protected	_ZN7rocprim17ROCPRIM_400000_NS6detail17trampoline_kernelINS0_14default_configENS1_38merge_sort_block_merge_config_selectorIiNS0_10empty_typeEEEZZNS1_27merge_sort_block_merge_implIS3_N6thrust23THRUST_200600_302600_NS6detail15normal_iteratorINS9_10device_ptrIiEEEEPS5_jNS1_19radix_merge_compareILb1ELb1EiNS0_19identity_decomposerEEEEE10hipError_tT0_T1_T2_jT3_P12ihipStream_tbPNSt15iterator_traitsISK_E10value_typeEPNSQ_ISL_E10value_typeEPSM_NS1_7vsmem_tEENKUlT_SK_SL_SM_E_clIPiSE_SF_SF_EESJ_SZ_SK_SL_SM_EUlSZ_E_NS1_11comp_targetILNS1_3genE0ELNS1_11target_archE4294967295ELNS1_3gpuE0ELNS1_3repE0EEENS1_48merge_mergepath_partition_config_static_selectorELNS0_4arch9wavefront6targetE1EEEvSL_ ; -- Begin function _ZN7rocprim17ROCPRIM_400000_NS6detail17trampoline_kernelINS0_14default_configENS1_38merge_sort_block_merge_config_selectorIiNS0_10empty_typeEEEZZNS1_27merge_sort_block_merge_implIS3_N6thrust23THRUST_200600_302600_NS6detail15normal_iteratorINS9_10device_ptrIiEEEEPS5_jNS1_19radix_merge_compareILb1ELb1EiNS0_19identity_decomposerEEEEE10hipError_tT0_T1_T2_jT3_P12ihipStream_tbPNSt15iterator_traitsISK_E10value_typeEPNSQ_ISL_E10value_typeEPSM_NS1_7vsmem_tEENKUlT_SK_SL_SM_E_clIPiSE_SF_SF_EESJ_SZ_SK_SL_SM_EUlSZ_E_NS1_11comp_targetILNS1_3genE0ELNS1_11target_archE4294967295ELNS1_3gpuE0ELNS1_3repE0EEENS1_48merge_mergepath_partition_config_static_selectorELNS0_4arch9wavefront6targetE1EEEvSL_
	.globl	_ZN7rocprim17ROCPRIM_400000_NS6detail17trampoline_kernelINS0_14default_configENS1_38merge_sort_block_merge_config_selectorIiNS0_10empty_typeEEEZZNS1_27merge_sort_block_merge_implIS3_N6thrust23THRUST_200600_302600_NS6detail15normal_iteratorINS9_10device_ptrIiEEEEPS5_jNS1_19radix_merge_compareILb1ELb1EiNS0_19identity_decomposerEEEEE10hipError_tT0_T1_T2_jT3_P12ihipStream_tbPNSt15iterator_traitsISK_E10value_typeEPNSQ_ISL_E10value_typeEPSM_NS1_7vsmem_tEENKUlT_SK_SL_SM_E_clIPiSE_SF_SF_EESJ_SZ_SK_SL_SM_EUlSZ_E_NS1_11comp_targetILNS1_3genE0ELNS1_11target_archE4294967295ELNS1_3gpuE0ELNS1_3repE0EEENS1_48merge_mergepath_partition_config_static_selectorELNS0_4arch9wavefront6targetE1EEEvSL_
	.p2align	8
	.type	_ZN7rocprim17ROCPRIM_400000_NS6detail17trampoline_kernelINS0_14default_configENS1_38merge_sort_block_merge_config_selectorIiNS0_10empty_typeEEEZZNS1_27merge_sort_block_merge_implIS3_N6thrust23THRUST_200600_302600_NS6detail15normal_iteratorINS9_10device_ptrIiEEEEPS5_jNS1_19radix_merge_compareILb1ELb1EiNS0_19identity_decomposerEEEEE10hipError_tT0_T1_T2_jT3_P12ihipStream_tbPNSt15iterator_traitsISK_E10value_typeEPNSQ_ISL_E10value_typeEPSM_NS1_7vsmem_tEENKUlT_SK_SL_SM_E_clIPiSE_SF_SF_EESJ_SZ_SK_SL_SM_EUlSZ_E_NS1_11comp_targetILNS1_3genE0ELNS1_11target_archE4294967295ELNS1_3gpuE0ELNS1_3repE0EEENS1_48merge_mergepath_partition_config_static_selectorELNS0_4arch9wavefront6targetE1EEEvSL_,@function
_ZN7rocprim17ROCPRIM_400000_NS6detail17trampoline_kernelINS0_14default_configENS1_38merge_sort_block_merge_config_selectorIiNS0_10empty_typeEEEZZNS1_27merge_sort_block_merge_implIS3_N6thrust23THRUST_200600_302600_NS6detail15normal_iteratorINS9_10device_ptrIiEEEEPS5_jNS1_19radix_merge_compareILb1ELb1EiNS0_19identity_decomposerEEEEE10hipError_tT0_T1_T2_jT3_P12ihipStream_tbPNSt15iterator_traitsISK_E10value_typeEPNSQ_ISL_E10value_typeEPSM_NS1_7vsmem_tEENKUlT_SK_SL_SM_E_clIPiSE_SF_SF_EESJ_SZ_SK_SL_SM_EUlSZ_E_NS1_11comp_targetILNS1_3genE0ELNS1_11target_archE4294967295ELNS1_3gpuE0ELNS1_3repE0EEENS1_48merge_mergepath_partition_config_static_selectorELNS0_4arch9wavefront6targetE1EEEvSL_: ; @_ZN7rocprim17ROCPRIM_400000_NS6detail17trampoline_kernelINS0_14default_configENS1_38merge_sort_block_merge_config_selectorIiNS0_10empty_typeEEEZZNS1_27merge_sort_block_merge_implIS3_N6thrust23THRUST_200600_302600_NS6detail15normal_iteratorINS9_10device_ptrIiEEEEPS5_jNS1_19radix_merge_compareILb1ELb1EiNS0_19identity_decomposerEEEEE10hipError_tT0_T1_T2_jT3_P12ihipStream_tbPNSt15iterator_traitsISK_E10value_typeEPNSQ_ISL_E10value_typeEPSM_NS1_7vsmem_tEENKUlT_SK_SL_SM_E_clIPiSE_SF_SF_EESJ_SZ_SK_SL_SM_EUlSZ_E_NS1_11comp_targetILNS1_3genE0ELNS1_11target_archE4294967295ELNS1_3gpuE0ELNS1_3repE0EEENS1_48merge_mergepath_partition_config_static_selectorELNS0_4arch9wavefront6targetE1EEEvSL_
; %bb.0:
	s_load_dword s3, s[0:1], 0x0
	v_lshl_or_b32 v0, s2, 7, v0
	s_waitcnt lgkmcnt(0)
	v_cmp_gt_u32_e32 vcc, s3, v0
	s_and_saveexec_b64 s[2:3], vcc
	s_cbranch_execz .LBB270_6
; %bb.1:
	s_load_dwordx2 s[4:5], s[0:1], 0x4
	s_load_dwordx2 s[2:3], s[0:1], 0x20
	s_waitcnt lgkmcnt(0)
	s_lshr_b32 s6, s4, 9
	s_and_b32 s6, s6, 0x7ffffe
	s_add_i32 s7, s6, -1
	s_sub_i32 s6, 0, s6
	v_and_b32_e32 v1, s6, v0
	v_lshlrev_b32_e32 v1, 10, v1
	v_min_u32_e32 v2, s5, v1
	v_add_u32_e32 v1, s4, v1
	v_min_u32_e32 v4, s5, v1
	v_add_u32_e32 v1, s4, v4
	v_and_b32_e32 v3, s7, v0
	v_min_u32_e32 v1, s5, v1
	v_sub_u32_e32 v5, v1, v2
	v_lshlrev_b32_e32 v3, 10, v3
	v_min_u32_e32 v10, v5, v3
	v_sub_u32_e32 v3, v4, v2
	v_sub_u32_e32 v1, v1, v4
	v_sub_u32_e64 v1, v10, v1 clamp
	v_min_u32_e32 v11, v10, v3
	v_cmp_lt_u32_e32 vcc, v1, v11
	s_and_saveexec_b64 s[4:5], vcc
	s_cbranch_execz .LBB270_5
; %bb.2:
	s_load_dwordx2 s[8:9], s[0:1], 0x10
	s_load_dword s6, s[0:1], 0x18
	v_mov_b32_e32 v5, 0
	v_mov_b32_e32 v3, v5
	s_mov_b64 s[0:1], 0
	s_waitcnt lgkmcnt(0)
	v_lshl_add_u64 v[6:7], v[2:3], 2, s[8:9]
	v_lshl_add_u64 v[8:9], v[4:5], 2, s[8:9]
.LBB270_3:                              ; =>This Inner Loop Header: Depth=1
	v_add_u32_e32 v3, v11, v1
	v_lshrrev_b32_e32 v4, 1, v3
	v_mov_b32_e32 v13, v5
	v_xad_u32 v12, v4, -1, v10
	v_lshl_add_u64 v[14:15], v[4:5], 2, v[6:7]
	v_lshl_add_u64 v[12:13], v[12:13], 2, v[8:9]
	global_load_dword v3, v[14:15], off
	global_load_dword v16, v[12:13], off
	v_add_u32_e32 v12, 1, v4
	s_waitcnt vmcnt(1)
	v_and_b32_e32 v3, s6, v3
	s_waitcnt vmcnt(0)
	v_and_b32_e32 v13, s6, v16
	v_cmp_gt_i32_e32 vcc, v13, v3
	s_nop 1
	v_cndmask_b32_e32 v11, v11, v4, vcc
	v_cndmask_b32_e32 v1, v12, v1, vcc
	v_cmp_ge_u32_e32 vcc, v1, v11
	s_or_b64 s[0:1], vcc, s[0:1]
	s_andn2_b64 exec, exec, s[0:1]
	s_cbranch_execnz .LBB270_3
; %bb.4:
	s_or_b64 exec, exec, s[0:1]
.LBB270_5:
	s_or_b64 exec, exec, s[4:5]
	v_add_u32_e32 v2, v1, v2
	v_mov_b32_e32 v1, 0
	v_lshl_add_u64 v[0:1], v[0:1], 2, s[2:3]
	global_store_dword v[0:1], v2, off
.LBB270_6:
	s_endpgm
	.section	.rodata,"a",@progbits
	.p2align	6, 0x0
	.amdhsa_kernel _ZN7rocprim17ROCPRIM_400000_NS6detail17trampoline_kernelINS0_14default_configENS1_38merge_sort_block_merge_config_selectorIiNS0_10empty_typeEEEZZNS1_27merge_sort_block_merge_implIS3_N6thrust23THRUST_200600_302600_NS6detail15normal_iteratorINS9_10device_ptrIiEEEEPS5_jNS1_19radix_merge_compareILb1ELb1EiNS0_19identity_decomposerEEEEE10hipError_tT0_T1_T2_jT3_P12ihipStream_tbPNSt15iterator_traitsISK_E10value_typeEPNSQ_ISL_E10value_typeEPSM_NS1_7vsmem_tEENKUlT_SK_SL_SM_E_clIPiSE_SF_SF_EESJ_SZ_SK_SL_SM_EUlSZ_E_NS1_11comp_targetILNS1_3genE0ELNS1_11target_archE4294967295ELNS1_3gpuE0ELNS1_3repE0EEENS1_48merge_mergepath_partition_config_static_selectorELNS0_4arch9wavefront6targetE1EEEvSL_
		.amdhsa_group_segment_fixed_size 0
		.amdhsa_private_segment_fixed_size 0
		.amdhsa_kernarg_size 40
		.amdhsa_user_sgpr_count 2
		.amdhsa_user_sgpr_dispatch_ptr 0
		.amdhsa_user_sgpr_queue_ptr 0
		.amdhsa_user_sgpr_kernarg_segment_ptr 1
		.amdhsa_user_sgpr_dispatch_id 0
		.amdhsa_user_sgpr_kernarg_preload_length 0
		.amdhsa_user_sgpr_kernarg_preload_offset 0
		.amdhsa_user_sgpr_private_segment_size 0
		.amdhsa_uses_dynamic_stack 0
		.amdhsa_enable_private_segment 0
		.amdhsa_system_sgpr_workgroup_id_x 1
		.amdhsa_system_sgpr_workgroup_id_y 0
		.amdhsa_system_sgpr_workgroup_id_z 0
		.amdhsa_system_sgpr_workgroup_info 0
		.amdhsa_system_vgpr_workitem_id 0
		.amdhsa_next_free_vgpr 17
		.amdhsa_next_free_sgpr 10
		.amdhsa_accum_offset 20
		.amdhsa_reserve_vcc 1
		.amdhsa_float_round_mode_32 0
		.amdhsa_float_round_mode_16_64 0
		.amdhsa_float_denorm_mode_32 3
		.amdhsa_float_denorm_mode_16_64 3
		.amdhsa_dx10_clamp 1
		.amdhsa_ieee_mode 1
		.amdhsa_fp16_overflow 0
		.amdhsa_tg_split 0
		.amdhsa_exception_fp_ieee_invalid_op 0
		.amdhsa_exception_fp_denorm_src 0
		.amdhsa_exception_fp_ieee_div_zero 0
		.amdhsa_exception_fp_ieee_overflow 0
		.amdhsa_exception_fp_ieee_underflow 0
		.amdhsa_exception_fp_ieee_inexact 0
		.amdhsa_exception_int_div_zero 0
	.end_amdhsa_kernel
	.section	.text._ZN7rocprim17ROCPRIM_400000_NS6detail17trampoline_kernelINS0_14default_configENS1_38merge_sort_block_merge_config_selectorIiNS0_10empty_typeEEEZZNS1_27merge_sort_block_merge_implIS3_N6thrust23THRUST_200600_302600_NS6detail15normal_iteratorINS9_10device_ptrIiEEEEPS5_jNS1_19radix_merge_compareILb1ELb1EiNS0_19identity_decomposerEEEEE10hipError_tT0_T1_T2_jT3_P12ihipStream_tbPNSt15iterator_traitsISK_E10value_typeEPNSQ_ISL_E10value_typeEPSM_NS1_7vsmem_tEENKUlT_SK_SL_SM_E_clIPiSE_SF_SF_EESJ_SZ_SK_SL_SM_EUlSZ_E_NS1_11comp_targetILNS1_3genE0ELNS1_11target_archE4294967295ELNS1_3gpuE0ELNS1_3repE0EEENS1_48merge_mergepath_partition_config_static_selectorELNS0_4arch9wavefront6targetE1EEEvSL_,"axG",@progbits,_ZN7rocprim17ROCPRIM_400000_NS6detail17trampoline_kernelINS0_14default_configENS1_38merge_sort_block_merge_config_selectorIiNS0_10empty_typeEEEZZNS1_27merge_sort_block_merge_implIS3_N6thrust23THRUST_200600_302600_NS6detail15normal_iteratorINS9_10device_ptrIiEEEEPS5_jNS1_19radix_merge_compareILb1ELb1EiNS0_19identity_decomposerEEEEE10hipError_tT0_T1_T2_jT3_P12ihipStream_tbPNSt15iterator_traitsISK_E10value_typeEPNSQ_ISL_E10value_typeEPSM_NS1_7vsmem_tEENKUlT_SK_SL_SM_E_clIPiSE_SF_SF_EESJ_SZ_SK_SL_SM_EUlSZ_E_NS1_11comp_targetILNS1_3genE0ELNS1_11target_archE4294967295ELNS1_3gpuE0ELNS1_3repE0EEENS1_48merge_mergepath_partition_config_static_selectorELNS0_4arch9wavefront6targetE1EEEvSL_,comdat
.Lfunc_end270:
	.size	_ZN7rocprim17ROCPRIM_400000_NS6detail17trampoline_kernelINS0_14default_configENS1_38merge_sort_block_merge_config_selectorIiNS0_10empty_typeEEEZZNS1_27merge_sort_block_merge_implIS3_N6thrust23THRUST_200600_302600_NS6detail15normal_iteratorINS9_10device_ptrIiEEEEPS5_jNS1_19radix_merge_compareILb1ELb1EiNS0_19identity_decomposerEEEEE10hipError_tT0_T1_T2_jT3_P12ihipStream_tbPNSt15iterator_traitsISK_E10value_typeEPNSQ_ISL_E10value_typeEPSM_NS1_7vsmem_tEENKUlT_SK_SL_SM_E_clIPiSE_SF_SF_EESJ_SZ_SK_SL_SM_EUlSZ_E_NS1_11comp_targetILNS1_3genE0ELNS1_11target_archE4294967295ELNS1_3gpuE0ELNS1_3repE0EEENS1_48merge_mergepath_partition_config_static_selectorELNS0_4arch9wavefront6targetE1EEEvSL_, .Lfunc_end270-_ZN7rocprim17ROCPRIM_400000_NS6detail17trampoline_kernelINS0_14default_configENS1_38merge_sort_block_merge_config_selectorIiNS0_10empty_typeEEEZZNS1_27merge_sort_block_merge_implIS3_N6thrust23THRUST_200600_302600_NS6detail15normal_iteratorINS9_10device_ptrIiEEEEPS5_jNS1_19radix_merge_compareILb1ELb1EiNS0_19identity_decomposerEEEEE10hipError_tT0_T1_T2_jT3_P12ihipStream_tbPNSt15iterator_traitsISK_E10value_typeEPNSQ_ISL_E10value_typeEPSM_NS1_7vsmem_tEENKUlT_SK_SL_SM_E_clIPiSE_SF_SF_EESJ_SZ_SK_SL_SM_EUlSZ_E_NS1_11comp_targetILNS1_3genE0ELNS1_11target_archE4294967295ELNS1_3gpuE0ELNS1_3repE0EEENS1_48merge_mergepath_partition_config_static_selectorELNS0_4arch9wavefront6targetE1EEEvSL_
                                        ; -- End function
	.set _ZN7rocprim17ROCPRIM_400000_NS6detail17trampoline_kernelINS0_14default_configENS1_38merge_sort_block_merge_config_selectorIiNS0_10empty_typeEEEZZNS1_27merge_sort_block_merge_implIS3_N6thrust23THRUST_200600_302600_NS6detail15normal_iteratorINS9_10device_ptrIiEEEEPS5_jNS1_19radix_merge_compareILb1ELb1EiNS0_19identity_decomposerEEEEE10hipError_tT0_T1_T2_jT3_P12ihipStream_tbPNSt15iterator_traitsISK_E10value_typeEPNSQ_ISL_E10value_typeEPSM_NS1_7vsmem_tEENKUlT_SK_SL_SM_E_clIPiSE_SF_SF_EESJ_SZ_SK_SL_SM_EUlSZ_E_NS1_11comp_targetILNS1_3genE0ELNS1_11target_archE4294967295ELNS1_3gpuE0ELNS1_3repE0EEENS1_48merge_mergepath_partition_config_static_selectorELNS0_4arch9wavefront6targetE1EEEvSL_.num_vgpr, 17
	.set _ZN7rocprim17ROCPRIM_400000_NS6detail17trampoline_kernelINS0_14default_configENS1_38merge_sort_block_merge_config_selectorIiNS0_10empty_typeEEEZZNS1_27merge_sort_block_merge_implIS3_N6thrust23THRUST_200600_302600_NS6detail15normal_iteratorINS9_10device_ptrIiEEEEPS5_jNS1_19radix_merge_compareILb1ELb1EiNS0_19identity_decomposerEEEEE10hipError_tT0_T1_T2_jT3_P12ihipStream_tbPNSt15iterator_traitsISK_E10value_typeEPNSQ_ISL_E10value_typeEPSM_NS1_7vsmem_tEENKUlT_SK_SL_SM_E_clIPiSE_SF_SF_EESJ_SZ_SK_SL_SM_EUlSZ_E_NS1_11comp_targetILNS1_3genE0ELNS1_11target_archE4294967295ELNS1_3gpuE0ELNS1_3repE0EEENS1_48merge_mergepath_partition_config_static_selectorELNS0_4arch9wavefront6targetE1EEEvSL_.num_agpr, 0
	.set _ZN7rocprim17ROCPRIM_400000_NS6detail17trampoline_kernelINS0_14default_configENS1_38merge_sort_block_merge_config_selectorIiNS0_10empty_typeEEEZZNS1_27merge_sort_block_merge_implIS3_N6thrust23THRUST_200600_302600_NS6detail15normal_iteratorINS9_10device_ptrIiEEEEPS5_jNS1_19radix_merge_compareILb1ELb1EiNS0_19identity_decomposerEEEEE10hipError_tT0_T1_T2_jT3_P12ihipStream_tbPNSt15iterator_traitsISK_E10value_typeEPNSQ_ISL_E10value_typeEPSM_NS1_7vsmem_tEENKUlT_SK_SL_SM_E_clIPiSE_SF_SF_EESJ_SZ_SK_SL_SM_EUlSZ_E_NS1_11comp_targetILNS1_3genE0ELNS1_11target_archE4294967295ELNS1_3gpuE0ELNS1_3repE0EEENS1_48merge_mergepath_partition_config_static_selectorELNS0_4arch9wavefront6targetE1EEEvSL_.numbered_sgpr, 10
	.set _ZN7rocprim17ROCPRIM_400000_NS6detail17trampoline_kernelINS0_14default_configENS1_38merge_sort_block_merge_config_selectorIiNS0_10empty_typeEEEZZNS1_27merge_sort_block_merge_implIS3_N6thrust23THRUST_200600_302600_NS6detail15normal_iteratorINS9_10device_ptrIiEEEEPS5_jNS1_19radix_merge_compareILb1ELb1EiNS0_19identity_decomposerEEEEE10hipError_tT0_T1_T2_jT3_P12ihipStream_tbPNSt15iterator_traitsISK_E10value_typeEPNSQ_ISL_E10value_typeEPSM_NS1_7vsmem_tEENKUlT_SK_SL_SM_E_clIPiSE_SF_SF_EESJ_SZ_SK_SL_SM_EUlSZ_E_NS1_11comp_targetILNS1_3genE0ELNS1_11target_archE4294967295ELNS1_3gpuE0ELNS1_3repE0EEENS1_48merge_mergepath_partition_config_static_selectorELNS0_4arch9wavefront6targetE1EEEvSL_.num_named_barrier, 0
	.set _ZN7rocprim17ROCPRIM_400000_NS6detail17trampoline_kernelINS0_14default_configENS1_38merge_sort_block_merge_config_selectorIiNS0_10empty_typeEEEZZNS1_27merge_sort_block_merge_implIS3_N6thrust23THRUST_200600_302600_NS6detail15normal_iteratorINS9_10device_ptrIiEEEEPS5_jNS1_19radix_merge_compareILb1ELb1EiNS0_19identity_decomposerEEEEE10hipError_tT0_T1_T2_jT3_P12ihipStream_tbPNSt15iterator_traitsISK_E10value_typeEPNSQ_ISL_E10value_typeEPSM_NS1_7vsmem_tEENKUlT_SK_SL_SM_E_clIPiSE_SF_SF_EESJ_SZ_SK_SL_SM_EUlSZ_E_NS1_11comp_targetILNS1_3genE0ELNS1_11target_archE4294967295ELNS1_3gpuE0ELNS1_3repE0EEENS1_48merge_mergepath_partition_config_static_selectorELNS0_4arch9wavefront6targetE1EEEvSL_.private_seg_size, 0
	.set _ZN7rocprim17ROCPRIM_400000_NS6detail17trampoline_kernelINS0_14default_configENS1_38merge_sort_block_merge_config_selectorIiNS0_10empty_typeEEEZZNS1_27merge_sort_block_merge_implIS3_N6thrust23THRUST_200600_302600_NS6detail15normal_iteratorINS9_10device_ptrIiEEEEPS5_jNS1_19radix_merge_compareILb1ELb1EiNS0_19identity_decomposerEEEEE10hipError_tT0_T1_T2_jT3_P12ihipStream_tbPNSt15iterator_traitsISK_E10value_typeEPNSQ_ISL_E10value_typeEPSM_NS1_7vsmem_tEENKUlT_SK_SL_SM_E_clIPiSE_SF_SF_EESJ_SZ_SK_SL_SM_EUlSZ_E_NS1_11comp_targetILNS1_3genE0ELNS1_11target_archE4294967295ELNS1_3gpuE0ELNS1_3repE0EEENS1_48merge_mergepath_partition_config_static_selectorELNS0_4arch9wavefront6targetE1EEEvSL_.uses_vcc, 1
	.set _ZN7rocprim17ROCPRIM_400000_NS6detail17trampoline_kernelINS0_14default_configENS1_38merge_sort_block_merge_config_selectorIiNS0_10empty_typeEEEZZNS1_27merge_sort_block_merge_implIS3_N6thrust23THRUST_200600_302600_NS6detail15normal_iteratorINS9_10device_ptrIiEEEEPS5_jNS1_19radix_merge_compareILb1ELb1EiNS0_19identity_decomposerEEEEE10hipError_tT0_T1_T2_jT3_P12ihipStream_tbPNSt15iterator_traitsISK_E10value_typeEPNSQ_ISL_E10value_typeEPSM_NS1_7vsmem_tEENKUlT_SK_SL_SM_E_clIPiSE_SF_SF_EESJ_SZ_SK_SL_SM_EUlSZ_E_NS1_11comp_targetILNS1_3genE0ELNS1_11target_archE4294967295ELNS1_3gpuE0ELNS1_3repE0EEENS1_48merge_mergepath_partition_config_static_selectorELNS0_4arch9wavefront6targetE1EEEvSL_.uses_flat_scratch, 0
	.set _ZN7rocprim17ROCPRIM_400000_NS6detail17trampoline_kernelINS0_14default_configENS1_38merge_sort_block_merge_config_selectorIiNS0_10empty_typeEEEZZNS1_27merge_sort_block_merge_implIS3_N6thrust23THRUST_200600_302600_NS6detail15normal_iteratorINS9_10device_ptrIiEEEEPS5_jNS1_19radix_merge_compareILb1ELb1EiNS0_19identity_decomposerEEEEE10hipError_tT0_T1_T2_jT3_P12ihipStream_tbPNSt15iterator_traitsISK_E10value_typeEPNSQ_ISL_E10value_typeEPSM_NS1_7vsmem_tEENKUlT_SK_SL_SM_E_clIPiSE_SF_SF_EESJ_SZ_SK_SL_SM_EUlSZ_E_NS1_11comp_targetILNS1_3genE0ELNS1_11target_archE4294967295ELNS1_3gpuE0ELNS1_3repE0EEENS1_48merge_mergepath_partition_config_static_selectorELNS0_4arch9wavefront6targetE1EEEvSL_.has_dyn_sized_stack, 0
	.set _ZN7rocprim17ROCPRIM_400000_NS6detail17trampoline_kernelINS0_14default_configENS1_38merge_sort_block_merge_config_selectorIiNS0_10empty_typeEEEZZNS1_27merge_sort_block_merge_implIS3_N6thrust23THRUST_200600_302600_NS6detail15normal_iteratorINS9_10device_ptrIiEEEEPS5_jNS1_19radix_merge_compareILb1ELb1EiNS0_19identity_decomposerEEEEE10hipError_tT0_T1_T2_jT3_P12ihipStream_tbPNSt15iterator_traitsISK_E10value_typeEPNSQ_ISL_E10value_typeEPSM_NS1_7vsmem_tEENKUlT_SK_SL_SM_E_clIPiSE_SF_SF_EESJ_SZ_SK_SL_SM_EUlSZ_E_NS1_11comp_targetILNS1_3genE0ELNS1_11target_archE4294967295ELNS1_3gpuE0ELNS1_3repE0EEENS1_48merge_mergepath_partition_config_static_selectorELNS0_4arch9wavefront6targetE1EEEvSL_.has_recursion, 0
	.set _ZN7rocprim17ROCPRIM_400000_NS6detail17trampoline_kernelINS0_14default_configENS1_38merge_sort_block_merge_config_selectorIiNS0_10empty_typeEEEZZNS1_27merge_sort_block_merge_implIS3_N6thrust23THRUST_200600_302600_NS6detail15normal_iteratorINS9_10device_ptrIiEEEEPS5_jNS1_19radix_merge_compareILb1ELb1EiNS0_19identity_decomposerEEEEE10hipError_tT0_T1_T2_jT3_P12ihipStream_tbPNSt15iterator_traitsISK_E10value_typeEPNSQ_ISL_E10value_typeEPSM_NS1_7vsmem_tEENKUlT_SK_SL_SM_E_clIPiSE_SF_SF_EESJ_SZ_SK_SL_SM_EUlSZ_E_NS1_11comp_targetILNS1_3genE0ELNS1_11target_archE4294967295ELNS1_3gpuE0ELNS1_3repE0EEENS1_48merge_mergepath_partition_config_static_selectorELNS0_4arch9wavefront6targetE1EEEvSL_.has_indirect_call, 0
	.section	.AMDGPU.csdata,"",@progbits
; Kernel info:
; codeLenInByte = 336
; TotalNumSgprs: 16
; NumVgprs: 17
; NumAgprs: 0
; TotalNumVgprs: 17
; ScratchSize: 0
; MemoryBound: 0
; FloatMode: 240
; IeeeMode: 1
; LDSByteSize: 0 bytes/workgroup (compile time only)
; SGPRBlocks: 1
; VGPRBlocks: 2
; NumSGPRsForWavesPerEU: 16
; NumVGPRsForWavesPerEU: 17
; AccumOffset: 20
; Occupancy: 8
; WaveLimiterHint : 0
; COMPUTE_PGM_RSRC2:SCRATCH_EN: 0
; COMPUTE_PGM_RSRC2:USER_SGPR: 2
; COMPUTE_PGM_RSRC2:TRAP_HANDLER: 0
; COMPUTE_PGM_RSRC2:TGID_X_EN: 1
; COMPUTE_PGM_RSRC2:TGID_Y_EN: 0
; COMPUTE_PGM_RSRC2:TGID_Z_EN: 0
; COMPUTE_PGM_RSRC2:TIDIG_COMP_CNT: 0
; COMPUTE_PGM_RSRC3_GFX90A:ACCUM_OFFSET: 4
; COMPUTE_PGM_RSRC3_GFX90A:TG_SPLIT: 0
	.section	.text._ZN7rocprim17ROCPRIM_400000_NS6detail17trampoline_kernelINS0_14default_configENS1_38merge_sort_block_merge_config_selectorIiNS0_10empty_typeEEEZZNS1_27merge_sort_block_merge_implIS3_N6thrust23THRUST_200600_302600_NS6detail15normal_iteratorINS9_10device_ptrIiEEEEPS5_jNS1_19radix_merge_compareILb1ELb1EiNS0_19identity_decomposerEEEEE10hipError_tT0_T1_T2_jT3_P12ihipStream_tbPNSt15iterator_traitsISK_E10value_typeEPNSQ_ISL_E10value_typeEPSM_NS1_7vsmem_tEENKUlT_SK_SL_SM_E_clIPiSE_SF_SF_EESJ_SZ_SK_SL_SM_EUlSZ_E_NS1_11comp_targetILNS1_3genE10ELNS1_11target_archE1201ELNS1_3gpuE5ELNS1_3repE0EEENS1_48merge_mergepath_partition_config_static_selectorELNS0_4arch9wavefront6targetE1EEEvSL_,"axG",@progbits,_ZN7rocprim17ROCPRIM_400000_NS6detail17trampoline_kernelINS0_14default_configENS1_38merge_sort_block_merge_config_selectorIiNS0_10empty_typeEEEZZNS1_27merge_sort_block_merge_implIS3_N6thrust23THRUST_200600_302600_NS6detail15normal_iteratorINS9_10device_ptrIiEEEEPS5_jNS1_19radix_merge_compareILb1ELb1EiNS0_19identity_decomposerEEEEE10hipError_tT0_T1_T2_jT3_P12ihipStream_tbPNSt15iterator_traitsISK_E10value_typeEPNSQ_ISL_E10value_typeEPSM_NS1_7vsmem_tEENKUlT_SK_SL_SM_E_clIPiSE_SF_SF_EESJ_SZ_SK_SL_SM_EUlSZ_E_NS1_11comp_targetILNS1_3genE10ELNS1_11target_archE1201ELNS1_3gpuE5ELNS1_3repE0EEENS1_48merge_mergepath_partition_config_static_selectorELNS0_4arch9wavefront6targetE1EEEvSL_,comdat
	.protected	_ZN7rocprim17ROCPRIM_400000_NS6detail17trampoline_kernelINS0_14default_configENS1_38merge_sort_block_merge_config_selectorIiNS0_10empty_typeEEEZZNS1_27merge_sort_block_merge_implIS3_N6thrust23THRUST_200600_302600_NS6detail15normal_iteratorINS9_10device_ptrIiEEEEPS5_jNS1_19radix_merge_compareILb1ELb1EiNS0_19identity_decomposerEEEEE10hipError_tT0_T1_T2_jT3_P12ihipStream_tbPNSt15iterator_traitsISK_E10value_typeEPNSQ_ISL_E10value_typeEPSM_NS1_7vsmem_tEENKUlT_SK_SL_SM_E_clIPiSE_SF_SF_EESJ_SZ_SK_SL_SM_EUlSZ_E_NS1_11comp_targetILNS1_3genE10ELNS1_11target_archE1201ELNS1_3gpuE5ELNS1_3repE0EEENS1_48merge_mergepath_partition_config_static_selectorELNS0_4arch9wavefront6targetE1EEEvSL_ ; -- Begin function _ZN7rocprim17ROCPRIM_400000_NS6detail17trampoline_kernelINS0_14default_configENS1_38merge_sort_block_merge_config_selectorIiNS0_10empty_typeEEEZZNS1_27merge_sort_block_merge_implIS3_N6thrust23THRUST_200600_302600_NS6detail15normal_iteratorINS9_10device_ptrIiEEEEPS5_jNS1_19radix_merge_compareILb1ELb1EiNS0_19identity_decomposerEEEEE10hipError_tT0_T1_T2_jT3_P12ihipStream_tbPNSt15iterator_traitsISK_E10value_typeEPNSQ_ISL_E10value_typeEPSM_NS1_7vsmem_tEENKUlT_SK_SL_SM_E_clIPiSE_SF_SF_EESJ_SZ_SK_SL_SM_EUlSZ_E_NS1_11comp_targetILNS1_3genE10ELNS1_11target_archE1201ELNS1_3gpuE5ELNS1_3repE0EEENS1_48merge_mergepath_partition_config_static_selectorELNS0_4arch9wavefront6targetE1EEEvSL_
	.globl	_ZN7rocprim17ROCPRIM_400000_NS6detail17trampoline_kernelINS0_14default_configENS1_38merge_sort_block_merge_config_selectorIiNS0_10empty_typeEEEZZNS1_27merge_sort_block_merge_implIS3_N6thrust23THRUST_200600_302600_NS6detail15normal_iteratorINS9_10device_ptrIiEEEEPS5_jNS1_19radix_merge_compareILb1ELb1EiNS0_19identity_decomposerEEEEE10hipError_tT0_T1_T2_jT3_P12ihipStream_tbPNSt15iterator_traitsISK_E10value_typeEPNSQ_ISL_E10value_typeEPSM_NS1_7vsmem_tEENKUlT_SK_SL_SM_E_clIPiSE_SF_SF_EESJ_SZ_SK_SL_SM_EUlSZ_E_NS1_11comp_targetILNS1_3genE10ELNS1_11target_archE1201ELNS1_3gpuE5ELNS1_3repE0EEENS1_48merge_mergepath_partition_config_static_selectorELNS0_4arch9wavefront6targetE1EEEvSL_
	.p2align	8
	.type	_ZN7rocprim17ROCPRIM_400000_NS6detail17trampoline_kernelINS0_14default_configENS1_38merge_sort_block_merge_config_selectorIiNS0_10empty_typeEEEZZNS1_27merge_sort_block_merge_implIS3_N6thrust23THRUST_200600_302600_NS6detail15normal_iteratorINS9_10device_ptrIiEEEEPS5_jNS1_19radix_merge_compareILb1ELb1EiNS0_19identity_decomposerEEEEE10hipError_tT0_T1_T2_jT3_P12ihipStream_tbPNSt15iterator_traitsISK_E10value_typeEPNSQ_ISL_E10value_typeEPSM_NS1_7vsmem_tEENKUlT_SK_SL_SM_E_clIPiSE_SF_SF_EESJ_SZ_SK_SL_SM_EUlSZ_E_NS1_11comp_targetILNS1_3genE10ELNS1_11target_archE1201ELNS1_3gpuE5ELNS1_3repE0EEENS1_48merge_mergepath_partition_config_static_selectorELNS0_4arch9wavefront6targetE1EEEvSL_,@function
_ZN7rocprim17ROCPRIM_400000_NS6detail17trampoline_kernelINS0_14default_configENS1_38merge_sort_block_merge_config_selectorIiNS0_10empty_typeEEEZZNS1_27merge_sort_block_merge_implIS3_N6thrust23THRUST_200600_302600_NS6detail15normal_iteratorINS9_10device_ptrIiEEEEPS5_jNS1_19radix_merge_compareILb1ELb1EiNS0_19identity_decomposerEEEEE10hipError_tT0_T1_T2_jT3_P12ihipStream_tbPNSt15iterator_traitsISK_E10value_typeEPNSQ_ISL_E10value_typeEPSM_NS1_7vsmem_tEENKUlT_SK_SL_SM_E_clIPiSE_SF_SF_EESJ_SZ_SK_SL_SM_EUlSZ_E_NS1_11comp_targetILNS1_3genE10ELNS1_11target_archE1201ELNS1_3gpuE5ELNS1_3repE0EEENS1_48merge_mergepath_partition_config_static_selectorELNS0_4arch9wavefront6targetE1EEEvSL_: ; @_ZN7rocprim17ROCPRIM_400000_NS6detail17trampoline_kernelINS0_14default_configENS1_38merge_sort_block_merge_config_selectorIiNS0_10empty_typeEEEZZNS1_27merge_sort_block_merge_implIS3_N6thrust23THRUST_200600_302600_NS6detail15normal_iteratorINS9_10device_ptrIiEEEEPS5_jNS1_19radix_merge_compareILb1ELb1EiNS0_19identity_decomposerEEEEE10hipError_tT0_T1_T2_jT3_P12ihipStream_tbPNSt15iterator_traitsISK_E10value_typeEPNSQ_ISL_E10value_typeEPSM_NS1_7vsmem_tEENKUlT_SK_SL_SM_E_clIPiSE_SF_SF_EESJ_SZ_SK_SL_SM_EUlSZ_E_NS1_11comp_targetILNS1_3genE10ELNS1_11target_archE1201ELNS1_3gpuE5ELNS1_3repE0EEENS1_48merge_mergepath_partition_config_static_selectorELNS0_4arch9wavefront6targetE1EEEvSL_
; %bb.0:
	.section	.rodata,"a",@progbits
	.p2align	6, 0x0
	.amdhsa_kernel _ZN7rocprim17ROCPRIM_400000_NS6detail17trampoline_kernelINS0_14default_configENS1_38merge_sort_block_merge_config_selectorIiNS0_10empty_typeEEEZZNS1_27merge_sort_block_merge_implIS3_N6thrust23THRUST_200600_302600_NS6detail15normal_iteratorINS9_10device_ptrIiEEEEPS5_jNS1_19radix_merge_compareILb1ELb1EiNS0_19identity_decomposerEEEEE10hipError_tT0_T1_T2_jT3_P12ihipStream_tbPNSt15iterator_traitsISK_E10value_typeEPNSQ_ISL_E10value_typeEPSM_NS1_7vsmem_tEENKUlT_SK_SL_SM_E_clIPiSE_SF_SF_EESJ_SZ_SK_SL_SM_EUlSZ_E_NS1_11comp_targetILNS1_3genE10ELNS1_11target_archE1201ELNS1_3gpuE5ELNS1_3repE0EEENS1_48merge_mergepath_partition_config_static_selectorELNS0_4arch9wavefront6targetE1EEEvSL_
		.amdhsa_group_segment_fixed_size 0
		.amdhsa_private_segment_fixed_size 0
		.amdhsa_kernarg_size 40
		.amdhsa_user_sgpr_count 2
		.amdhsa_user_sgpr_dispatch_ptr 0
		.amdhsa_user_sgpr_queue_ptr 0
		.amdhsa_user_sgpr_kernarg_segment_ptr 1
		.amdhsa_user_sgpr_dispatch_id 0
		.amdhsa_user_sgpr_kernarg_preload_length 0
		.amdhsa_user_sgpr_kernarg_preload_offset 0
		.amdhsa_user_sgpr_private_segment_size 0
		.amdhsa_uses_dynamic_stack 0
		.amdhsa_enable_private_segment 0
		.amdhsa_system_sgpr_workgroup_id_x 1
		.amdhsa_system_sgpr_workgroup_id_y 0
		.amdhsa_system_sgpr_workgroup_id_z 0
		.amdhsa_system_sgpr_workgroup_info 0
		.amdhsa_system_vgpr_workitem_id 0
		.amdhsa_next_free_vgpr 1
		.amdhsa_next_free_sgpr 0
		.amdhsa_accum_offset 4
		.amdhsa_reserve_vcc 0
		.amdhsa_float_round_mode_32 0
		.amdhsa_float_round_mode_16_64 0
		.amdhsa_float_denorm_mode_32 3
		.amdhsa_float_denorm_mode_16_64 3
		.amdhsa_dx10_clamp 1
		.amdhsa_ieee_mode 1
		.amdhsa_fp16_overflow 0
		.amdhsa_tg_split 0
		.amdhsa_exception_fp_ieee_invalid_op 0
		.amdhsa_exception_fp_denorm_src 0
		.amdhsa_exception_fp_ieee_div_zero 0
		.amdhsa_exception_fp_ieee_overflow 0
		.amdhsa_exception_fp_ieee_underflow 0
		.amdhsa_exception_fp_ieee_inexact 0
		.amdhsa_exception_int_div_zero 0
	.end_amdhsa_kernel
	.section	.text._ZN7rocprim17ROCPRIM_400000_NS6detail17trampoline_kernelINS0_14default_configENS1_38merge_sort_block_merge_config_selectorIiNS0_10empty_typeEEEZZNS1_27merge_sort_block_merge_implIS3_N6thrust23THRUST_200600_302600_NS6detail15normal_iteratorINS9_10device_ptrIiEEEEPS5_jNS1_19radix_merge_compareILb1ELb1EiNS0_19identity_decomposerEEEEE10hipError_tT0_T1_T2_jT3_P12ihipStream_tbPNSt15iterator_traitsISK_E10value_typeEPNSQ_ISL_E10value_typeEPSM_NS1_7vsmem_tEENKUlT_SK_SL_SM_E_clIPiSE_SF_SF_EESJ_SZ_SK_SL_SM_EUlSZ_E_NS1_11comp_targetILNS1_3genE10ELNS1_11target_archE1201ELNS1_3gpuE5ELNS1_3repE0EEENS1_48merge_mergepath_partition_config_static_selectorELNS0_4arch9wavefront6targetE1EEEvSL_,"axG",@progbits,_ZN7rocprim17ROCPRIM_400000_NS6detail17trampoline_kernelINS0_14default_configENS1_38merge_sort_block_merge_config_selectorIiNS0_10empty_typeEEEZZNS1_27merge_sort_block_merge_implIS3_N6thrust23THRUST_200600_302600_NS6detail15normal_iteratorINS9_10device_ptrIiEEEEPS5_jNS1_19radix_merge_compareILb1ELb1EiNS0_19identity_decomposerEEEEE10hipError_tT0_T1_T2_jT3_P12ihipStream_tbPNSt15iterator_traitsISK_E10value_typeEPNSQ_ISL_E10value_typeEPSM_NS1_7vsmem_tEENKUlT_SK_SL_SM_E_clIPiSE_SF_SF_EESJ_SZ_SK_SL_SM_EUlSZ_E_NS1_11comp_targetILNS1_3genE10ELNS1_11target_archE1201ELNS1_3gpuE5ELNS1_3repE0EEENS1_48merge_mergepath_partition_config_static_selectorELNS0_4arch9wavefront6targetE1EEEvSL_,comdat
.Lfunc_end271:
	.size	_ZN7rocprim17ROCPRIM_400000_NS6detail17trampoline_kernelINS0_14default_configENS1_38merge_sort_block_merge_config_selectorIiNS0_10empty_typeEEEZZNS1_27merge_sort_block_merge_implIS3_N6thrust23THRUST_200600_302600_NS6detail15normal_iteratorINS9_10device_ptrIiEEEEPS5_jNS1_19radix_merge_compareILb1ELb1EiNS0_19identity_decomposerEEEEE10hipError_tT0_T1_T2_jT3_P12ihipStream_tbPNSt15iterator_traitsISK_E10value_typeEPNSQ_ISL_E10value_typeEPSM_NS1_7vsmem_tEENKUlT_SK_SL_SM_E_clIPiSE_SF_SF_EESJ_SZ_SK_SL_SM_EUlSZ_E_NS1_11comp_targetILNS1_3genE10ELNS1_11target_archE1201ELNS1_3gpuE5ELNS1_3repE0EEENS1_48merge_mergepath_partition_config_static_selectorELNS0_4arch9wavefront6targetE1EEEvSL_, .Lfunc_end271-_ZN7rocprim17ROCPRIM_400000_NS6detail17trampoline_kernelINS0_14default_configENS1_38merge_sort_block_merge_config_selectorIiNS0_10empty_typeEEEZZNS1_27merge_sort_block_merge_implIS3_N6thrust23THRUST_200600_302600_NS6detail15normal_iteratorINS9_10device_ptrIiEEEEPS5_jNS1_19radix_merge_compareILb1ELb1EiNS0_19identity_decomposerEEEEE10hipError_tT0_T1_T2_jT3_P12ihipStream_tbPNSt15iterator_traitsISK_E10value_typeEPNSQ_ISL_E10value_typeEPSM_NS1_7vsmem_tEENKUlT_SK_SL_SM_E_clIPiSE_SF_SF_EESJ_SZ_SK_SL_SM_EUlSZ_E_NS1_11comp_targetILNS1_3genE10ELNS1_11target_archE1201ELNS1_3gpuE5ELNS1_3repE0EEENS1_48merge_mergepath_partition_config_static_selectorELNS0_4arch9wavefront6targetE1EEEvSL_
                                        ; -- End function
	.set _ZN7rocprim17ROCPRIM_400000_NS6detail17trampoline_kernelINS0_14default_configENS1_38merge_sort_block_merge_config_selectorIiNS0_10empty_typeEEEZZNS1_27merge_sort_block_merge_implIS3_N6thrust23THRUST_200600_302600_NS6detail15normal_iteratorINS9_10device_ptrIiEEEEPS5_jNS1_19radix_merge_compareILb1ELb1EiNS0_19identity_decomposerEEEEE10hipError_tT0_T1_T2_jT3_P12ihipStream_tbPNSt15iterator_traitsISK_E10value_typeEPNSQ_ISL_E10value_typeEPSM_NS1_7vsmem_tEENKUlT_SK_SL_SM_E_clIPiSE_SF_SF_EESJ_SZ_SK_SL_SM_EUlSZ_E_NS1_11comp_targetILNS1_3genE10ELNS1_11target_archE1201ELNS1_3gpuE5ELNS1_3repE0EEENS1_48merge_mergepath_partition_config_static_selectorELNS0_4arch9wavefront6targetE1EEEvSL_.num_vgpr, 0
	.set _ZN7rocprim17ROCPRIM_400000_NS6detail17trampoline_kernelINS0_14default_configENS1_38merge_sort_block_merge_config_selectorIiNS0_10empty_typeEEEZZNS1_27merge_sort_block_merge_implIS3_N6thrust23THRUST_200600_302600_NS6detail15normal_iteratorINS9_10device_ptrIiEEEEPS5_jNS1_19radix_merge_compareILb1ELb1EiNS0_19identity_decomposerEEEEE10hipError_tT0_T1_T2_jT3_P12ihipStream_tbPNSt15iterator_traitsISK_E10value_typeEPNSQ_ISL_E10value_typeEPSM_NS1_7vsmem_tEENKUlT_SK_SL_SM_E_clIPiSE_SF_SF_EESJ_SZ_SK_SL_SM_EUlSZ_E_NS1_11comp_targetILNS1_3genE10ELNS1_11target_archE1201ELNS1_3gpuE5ELNS1_3repE0EEENS1_48merge_mergepath_partition_config_static_selectorELNS0_4arch9wavefront6targetE1EEEvSL_.num_agpr, 0
	.set _ZN7rocprim17ROCPRIM_400000_NS6detail17trampoline_kernelINS0_14default_configENS1_38merge_sort_block_merge_config_selectorIiNS0_10empty_typeEEEZZNS1_27merge_sort_block_merge_implIS3_N6thrust23THRUST_200600_302600_NS6detail15normal_iteratorINS9_10device_ptrIiEEEEPS5_jNS1_19radix_merge_compareILb1ELb1EiNS0_19identity_decomposerEEEEE10hipError_tT0_T1_T2_jT3_P12ihipStream_tbPNSt15iterator_traitsISK_E10value_typeEPNSQ_ISL_E10value_typeEPSM_NS1_7vsmem_tEENKUlT_SK_SL_SM_E_clIPiSE_SF_SF_EESJ_SZ_SK_SL_SM_EUlSZ_E_NS1_11comp_targetILNS1_3genE10ELNS1_11target_archE1201ELNS1_3gpuE5ELNS1_3repE0EEENS1_48merge_mergepath_partition_config_static_selectorELNS0_4arch9wavefront6targetE1EEEvSL_.numbered_sgpr, 0
	.set _ZN7rocprim17ROCPRIM_400000_NS6detail17trampoline_kernelINS0_14default_configENS1_38merge_sort_block_merge_config_selectorIiNS0_10empty_typeEEEZZNS1_27merge_sort_block_merge_implIS3_N6thrust23THRUST_200600_302600_NS6detail15normal_iteratorINS9_10device_ptrIiEEEEPS5_jNS1_19radix_merge_compareILb1ELb1EiNS0_19identity_decomposerEEEEE10hipError_tT0_T1_T2_jT3_P12ihipStream_tbPNSt15iterator_traitsISK_E10value_typeEPNSQ_ISL_E10value_typeEPSM_NS1_7vsmem_tEENKUlT_SK_SL_SM_E_clIPiSE_SF_SF_EESJ_SZ_SK_SL_SM_EUlSZ_E_NS1_11comp_targetILNS1_3genE10ELNS1_11target_archE1201ELNS1_3gpuE5ELNS1_3repE0EEENS1_48merge_mergepath_partition_config_static_selectorELNS0_4arch9wavefront6targetE1EEEvSL_.num_named_barrier, 0
	.set _ZN7rocprim17ROCPRIM_400000_NS6detail17trampoline_kernelINS0_14default_configENS1_38merge_sort_block_merge_config_selectorIiNS0_10empty_typeEEEZZNS1_27merge_sort_block_merge_implIS3_N6thrust23THRUST_200600_302600_NS6detail15normal_iteratorINS9_10device_ptrIiEEEEPS5_jNS1_19radix_merge_compareILb1ELb1EiNS0_19identity_decomposerEEEEE10hipError_tT0_T1_T2_jT3_P12ihipStream_tbPNSt15iterator_traitsISK_E10value_typeEPNSQ_ISL_E10value_typeEPSM_NS1_7vsmem_tEENKUlT_SK_SL_SM_E_clIPiSE_SF_SF_EESJ_SZ_SK_SL_SM_EUlSZ_E_NS1_11comp_targetILNS1_3genE10ELNS1_11target_archE1201ELNS1_3gpuE5ELNS1_3repE0EEENS1_48merge_mergepath_partition_config_static_selectorELNS0_4arch9wavefront6targetE1EEEvSL_.private_seg_size, 0
	.set _ZN7rocprim17ROCPRIM_400000_NS6detail17trampoline_kernelINS0_14default_configENS1_38merge_sort_block_merge_config_selectorIiNS0_10empty_typeEEEZZNS1_27merge_sort_block_merge_implIS3_N6thrust23THRUST_200600_302600_NS6detail15normal_iteratorINS9_10device_ptrIiEEEEPS5_jNS1_19radix_merge_compareILb1ELb1EiNS0_19identity_decomposerEEEEE10hipError_tT0_T1_T2_jT3_P12ihipStream_tbPNSt15iterator_traitsISK_E10value_typeEPNSQ_ISL_E10value_typeEPSM_NS1_7vsmem_tEENKUlT_SK_SL_SM_E_clIPiSE_SF_SF_EESJ_SZ_SK_SL_SM_EUlSZ_E_NS1_11comp_targetILNS1_3genE10ELNS1_11target_archE1201ELNS1_3gpuE5ELNS1_3repE0EEENS1_48merge_mergepath_partition_config_static_selectorELNS0_4arch9wavefront6targetE1EEEvSL_.uses_vcc, 0
	.set _ZN7rocprim17ROCPRIM_400000_NS6detail17trampoline_kernelINS0_14default_configENS1_38merge_sort_block_merge_config_selectorIiNS0_10empty_typeEEEZZNS1_27merge_sort_block_merge_implIS3_N6thrust23THRUST_200600_302600_NS6detail15normal_iteratorINS9_10device_ptrIiEEEEPS5_jNS1_19radix_merge_compareILb1ELb1EiNS0_19identity_decomposerEEEEE10hipError_tT0_T1_T2_jT3_P12ihipStream_tbPNSt15iterator_traitsISK_E10value_typeEPNSQ_ISL_E10value_typeEPSM_NS1_7vsmem_tEENKUlT_SK_SL_SM_E_clIPiSE_SF_SF_EESJ_SZ_SK_SL_SM_EUlSZ_E_NS1_11comp_targetILNS1_3genE10ELNS1_11target_archE1201ELNS1_3gpuE5ELNS1_3repE0EEENS1_48merge_mergepath_partition_config_static_selectorELNS0_4arch9wavefront6targetE1EEEvSL_.uses_flat_scratch, 0
	.set _ZN7rocprim17ROCPRIM_400000_NS6detail17trampoline_kernelINS0_14default_configENS1_38merge_sort_block_merge_config_selectorIiNS0_10empty_typeEEEZZNS1_27merge_sort_block_merge_implIS3_N6thrust23THRUST_200600_302600_NS6detail15normal_iteratorINS9_10device_ptrIiEEEEPS5_jNS1_19radix_merge_compareILb1ELb1EiNS0_19identity_decomposerEEEEE10hipError_tT0_T1_T2_jT3_P12ihipStream_tbPNSt15iterator_traitsISK_E10value_typeEPNSQ_ISL_E10value_typeEPSM_NS1_7vsmem_tEENKUlT_SK_SL_SM_E_clIPiSE_SF_SF_EESJ_SZ_SK_SL_SM_EUlSZ_E_NS1_11comp_targetILNS1_3genE10ELNS1_11target_archE1201ELNS1_3gpuE5ELNS1_3repE0EEENS1_48merge_mergepath_partition_config_static_selectorELNS0_4arch9wavefront6targetE1EEEvSL_.has_dyn_sized_stack, 0
	.set _ZN7rocprim17ROCPRIM_400000_NS6detail17trampoline_kernelINS0_14default_configENS1_38merge_sort_block_merge_config_selectorIiNS0_10empty_typeEEEZZNS1_27merge_sort_block_merge_implIS3_N6thrust23THRUST_200600_302600_NS6detail15normal_iteratorINS9_10device_ptrIiEEEEPS5_jNS1_19radix_merge_compareILb1ELb1EiNS0_19identity_decomposerEEEEE10hipError_tT0_T1_T2_jT3_P12ihipStream_tbPNSt15iterator_traitsISK_E10value_typeEPNSQ_ISL_E10value_typeEPSM_NS1_7vsmem_tEENKUlT_SK_SL_SM_E_clIPiSE_SF_SF_EESJ_SZ_SK_SL_SM_EUlSZ_E_NS1_11comp_targetILNS1_3genE10ELNS1_11target_archE1201ELNS1_3gpuE5ELNS1_3repE0EEENS1_48merge_mergepath_partition_config_static_selectorELNS0_4arch9wavefront6targetE1EEEvSL_.has_recursion, 0
	.set _ZN7rocprim17ROCPRIM_400000_NS6detail17trampoline_kernelINS0_14default_configENS1_38merge_sort_block_merge_config_selectorIiNS0_10empty_typeEEEZZNS1_27merge_sort_block_merge_implIS3_N6thrust23THRUST_200600_302600_NS6detail15normal_iteratorINS9_10device_ptrIiEEEEPS5_jNS1_19radix_merge_compareILb1ELb1EiNS0_19identity_decomposerEEEEE10hipError_tT0_T1_T2_jT3_P12ihipStream_tbPNSt15iterator_traitsISK_E10value_typeEPNSQ_ISL_E10value_typeEPSM_NS1_7vsmem_tEENKUlT_SK_SL_SM_E_clIPiSE_SF_SF_EESJ_SZ_SK_SL_SM_EUlSZ_E_NS1_11comp_targetILNS1_3genE10ELNS1_11target_archE1201ELNS1_3gpuE5ELNS1_3repE0EEENS1_48merge_mergepath_partition_config_static_selectorELNS0_4arch9wavefront6targetE1EEEvSL_.has_indirect_call, 0
	.section	.AMDGPU.csdata,"",@progbits
; Kernel info:
; codeLenInByte = 0
; TotalNumSgprs: 6
; NumVgprs: 0
; NumAgprs: 0
; TotalNumVgprs: 0
; ScratchSize: 0
; MemoryBound: 0
; FloatMode: 240
; IeeeMode: 1
; LDSByteSize: 0 bytes/workgroup (compile time only)
; SGPRBlocks: 0
; VGPRBlocks: 0
; NumSGPRsForWavesPerEU: 6
; NumVGPRsForWavesPerEU: 1
; AccumOffset: 4
; Occupancy: 8
; WaveLimiterHint : 0
; COMPUTE_PGM_RSRC2:SCRATCH_EN: 0
; COMPUTE_PGM_RSRC2:USER_SGPR: 2
; COMPUTE_PGM_RSRC2:TRAP_HANDLER: 0
; COMPUTE_PGM_RSRC2:TGID_X_EN: 1
; COMPUTE_PGM_RSRC2:TGID_Y_EN: 0
; COMPUTE_PGM_RSRC2:TGID_Z_EN: 0
; COMPUTE_PGM_RSRC2:TIDIG_COMP_CNT: 0
; COMPUTE_PGM_RSRC3_GFX90A:ACCUM_OFFSET: 0
; COMPUTE_PGM_RSRC3_GFX90A:TG_SPLIT: 0
	.section	.text._ZN7rocprim17ROCPRIM_400000_NS6detail17trampoline_kernelINS0_14default_configENS1_38merge_sort_block_merge_config_selectorIiNS0_10empty_typeEEEZZNS1_27merge_sort_block_merge_implIS3_N6thrust23THRUST_200600_302600_NS6detail15normal_iteratorINS9_10device_ptrIiEEEEPS5_jNS1_19radix_merge_compareILb1ELb1EiNS0_19identity_decomposerEEEEE10hipError_tT0_T1_T2_jT3_P12ihipStream_tbPNSt15iterator_traitsISK_E10value_typeEPNSQ_ISL_E10value_typeEPSM_NS1_7vsmem_tEENKUlT_SK_SL_SM_E_clIPiSE_SF_SF_EESJ_SZ_SK_SL_SM_EUlSZ_E_NS1_11comp_targetILNS1_3genE5ELNS1_11target_archE942ELNS1_3gpuE9ELNS1_3repE0EEENS1_48merge_mergepath_partition_config_static_selectorELNS0_4arch9wavefront6targetE1EEEvSL_,"axG",@progbits,_ZN7rocprim17ROCPRIM_400000_NS6detail17trampoline_kernelINS0_14default_configENS1_38merge_sort_block_merge_config_selectorIiNS0_10empty_typeEEEZZNS1_27merge_sort_block_merge_implIS3_N6thrust23THRUST_200600_302600_NS6detail15normal_iteratorINS9_10device_ptrIiEEEEPS5_jNS1_19radix_merge_compareILb1ELb1EiNS0_19identity_decomposerEEEEE10hipError_tT0_T1_T2_jT3_P12ihipStream_tbPNSt15iterator_traitsISK_E10value_typeEPNSQ_ISL_E10value_typeEPSM_NS1_7vsmem_tEENKUlT_SK_SL_SM_E_clIPiSE_SF_SF_EESJ_SZ_SK_SL_SM_EUlSZ_E_NS1_11comp_targetILNS1_3genE5ELNS1_11target_archE942ELNS1_3gpuE9ELNS1_3repE0EEENS1_48merge_mergepath_partition_config_static_selectorELNS0_4arch9wavefront6targetE1EEEvSL_,comdat
	.protected	_ZN7rocprim17ROCPRIM_400000_NS6detail17trampoline_kernelINS0_14default_configENS1_38merge_sort_block_merge_config_selectorIiNS0_10empty_typeEEEZZNS1_27merge_sort_block_merge_implIS3_N6thrust23THRUST_200600_302600_NS6detail15normal_iteratorINS9_10device_ptrIiEEEEPS5_jNS1_19radix_merge_compareILb1ELb1EiNS0_19identity_decomposerEEEEE10hipError_tT0_T1_T2_jT3_P12ihipStream_tbPNSt15iterator_traitsISK_E10value_typeEPNSQ_ISL_E10value_typeEPSM_NS1_7vsmem_tEENKUlT_SK_SL_SM_E_clIPiSE_SF_SF_EESJ_SZ_SK_SL_SM_EUlSZ_E_NS1_11comp_targetILNS1_3genE5ELNS1_11target_archE942ELNS1_3gpuE9ELNS1_3repE0EEENS1_48merge_mergepath_partition_config_static_selectorELNS0_4arch9wavefront6targetE1EEEvSL_ ; -- Begin function _ZN7rocprim17ROCPRIM_400000_NS6detail17trampoline_kernelINS0_14default_configENS1_38merge_sort_block_merge_config_selectorIiNS0_10empty_typeEEEZZNS1_27merge_sort_block_merge_implIS3_N6thrust23THRUST_200600_302600_NS6detail15normal_iteratorINS9_10device_ptrIiEEEEPS5_jNS1_19radix_merge_compareILb1ELb1EiNS0_19identity_decomposerEEEEE10hipError_tT0_T1_T2_jT3_P12ihipStream_tbPNSt15iterator_traitsISK_E10value_typeEPNSQ_ISL_E10value_typeEPSM_NS1_7vsmem_tEENKUlT_SK_SL_SM_E_clIPiSE_SF_SF_EESJ_SZ_SK_SL_SM_EUlSZ_E_NS1_11comp_targetILNS1_3genE5ELNS1_11target_archE942ELNS1_3gpuE9ELNS1_3repE0EEENS1_48merge_mergepath_partition_config_static_selectorELNS0_4arch9wavefront6targetE1EEEvSL_
	.globl	_ZN7rocprim17ROCPRIM_400000_NS6detail17trampoline_kernelINS0_14default_configENS1_38merge_sort_block_merge_config_selectorIiNS0_10empty_typeEEEZZNS1_27merge_sort_block_merge_implIS3_N6thrust23THRUST_200600_302600_NS6detail15normal_iteratorINS9_10device_ptrIiEEEEPS5_jNS1_19radix_merge_compareILb1ELb1EiNS0_19identity_decomposerEEEEE10hipError_tT0_T1_T2_jT3_P12ihipStream_tbPNSt15iterator_traitsISK_E10value_typeEPNSQ_ISL_E10value_typeEPSM_NS1_7vsmem_tEENKUlT_SK_SL_SM_E_clIPiSE_SF_SF_EESJ_SZ_SK_SL_SM_EUlSZ_E_NS1_11comp_targetILNS1_3genE5ELNS1_11target_archE942ELNS1_3gpuE9ELNS1_3repE0EEENS1_48merge_mergepath_partition_config_static_selectorELNS0_4arch9wavefront6targetE1EEEvSL_
	.p2align	8
	.type	_ZN7rocprim17ROCPRIM_400000_NS6detail17trampoline_kernelINS0_14default_configENS1_38merge_sort_block_merge_config_selectorIiNS0_10empty_typeEEEZZNS1_27merge_sort_block_merge_implIS3_N6thrust23THRUST_200600_302600_NS6detail15normal_iteratorINS9_10device_ptrIiEEEEPS5_jNS1_19radix_merge_compareILb1ELb1EiNS0_19identity_decomposerEEEEE10hipError_tT0_T1_T2_jT3_P12ihipStream_tbPNSt15iterator_traitsISK_E10value_typeEPNSQ_ISL_E10value_typeEPSM_NS1_7vsmem_tEENKUlT_SK_SL_SM_E_clIPiSE_SF_SF_EESJ_SZ_SK_SL_SM_EUlSZ_E_NS1_11comp_targetILNS1_3genE5ELNS1_11target_archE942ELNS1_3gpuE9ELNS1_3repE0EEENS1_48merge_mergepath_partition_config_static_selectorELNS0_4arch9wavefront6targetE1EEEvSL_,@function
_ZN7rocprim17ROCPRIM_400000_NS6detail17trampoline_kernelINS0_14default_configENS1_38merge_sort_block_merge_config_selectorIiNS0_10empty_typeEEEZZNS1_27merge_sort_block_merge_implIS3_N6thrust23THRUST_200600_302600_NS6detail15normal_iteratorINS9_10device_ptrIiEEEEPS5_jNS1_19radix_merge_compareILb1ELb1EiNS0_19identity_decomposerEEEEE10hipError_tT0_T1_T2_jT3_P12ihipStream_tbPNSt15iterator_traitsISK_E10value_typeEPNSQ_ISL_E10value_typeEPSM_NS1_7vsmem_tEENKUlT_SK_SL_SM_E_clIPiSE_SF_SF_EESJ_SZ_SK_SL_SM_EUlSZ_E_NS1_11comp_targetILNS1_3genE5ELNS1_11target_archE942ELNS1_3gpuE9ELNS1_3repE0EEENS1_48merge_mergepath_partition_config_static_selectorELNS0_4arch9wavefront6targetE1EEEvSL_: ; @_ZN7rocprim17ROCPRIM_400000_NS6detail17trampoline_kernelINS0_14default_configENS1_38merge_sort_block_merge_config_selectorIiNS0_10empty_typeEEEZZNS1_27merge_sort_block_merge_implIS3_N6thrust23THRUST_200600_302600_NS6detail15normal_iteratorINS9_10device_ptrIiEEEEPS5_jNS1_19radix_merge_compareILb1ELb1EiNS0_19identity_decomposerEEEEE10hipError_tT0_T1_T2_jT3_P12ihipStream_tbPNSt15iterator_traitsISK_E10value_typeEPNSQ_ISL_E10value_typeEPSM_NS1_7vsmem_tEENKUlT_SK_SL_SM_E_clIPiSE_SF_SF_EESJ_SZ_SK_SL_SM_EUlSZ_E_NS1_11comp_targetILNS1_3genE5ELNS1_11target_archE942ELNS1_3gpuE9ELNS1_3repE0EEENS1_48merge_mergepath_partition_config_static_selectorELNS0_4arch9wavefront6targetE1EEEvSL_
; %bb.0:
	.section	.rodata,"a",@progbits
	.p2align	6, 0x0
	.amdhsa_kernel _ZN7rocprim17ROCPRIM_400000_NS6detail17trampoline_kernelINS0_14default_configENS1_38merge_sort_block_merge_config_selectorIiNS0_10empty_typeEEEZZNS1_27merge_sort_block_merge_implIS3_N6thrust23THRUST_200600_302600_NS6detail15normal_iteratorINS9_10device_ptrIiEEEEPS5_jNS1_19radix_merge_compareILb1ELb1EiNS0_19identity_decomposerEEEEE10hipError_tT0_T1_T2_jT3_P12ihipStream_tbPNSt15iterator_traitsISK_E10value_typeEPNSQ_ISL_E10value_typeEPSM_NS1_7vsmem_tEENKUlT_SK_SL_SM_E_clIPiSE_SF_SF_EESJ_SZ_SK_SL_SM_EUlSZ_E_NS1_11comp_targetILNS1_3genE5ELNS1_11target_archE942ELNS1_3gpuE9ELNS1_3repE0EEENS1_48merge_mergepath_partition_config_static_selectorELNS0_4arch9wavefront6targetE1EEEvSL_
		.amdhsa_group_segment_fixed_size 0
		.amdhsa_private_segment_fixed_size 0
		.amdhsa_kernarg_size 40
		.amdhsa_user_sgpr_count 2
		.amdhsa_user_sgpr_dispatch_ptr 0
		.amdhsa_user_sgpr_queue_ptr 0
		.amdhsa_user_sgpr_kernarg_segment_ptr 1
		.amdhsa_user_sgpr_dispatch_id 0
		.amdhsa_user_sgpr_kernarg_preload_length 0
		.amdhsa_user_sgpr_kernarg_preload_offset 0
		.amdhsa_user_sgpr_private_segment_size 0
		.amdhsa_uses_dynamic_stack 0
		.amdhsa_enable_private_segment 0
		.amdhsa_system_sgpr_workgroup_id_x 1
		.amdhsa_system_sgpr_workgroup_id_y 0
		.amdhsa_system_sgpr_workgroup_id_z 0
		.amdhsa_system_sgpr_workgroup_info 0
		.amdhsa_system_vgpr_workitem_id 0
		.amdhsa_next_free_vgpr 1
		.amdhsa_next_free_sgpr 0
		.amdhsa_accum_offset 4
		.amdhsa_reserve_vcc 0
		.amdhsa_float_round_mode_32 0
		.amdhsa_float_round_mode_16_64 0
		.amdhsa_float_denorm_mode_32 3
		.amdhsa_float_denorm_mode_16_64 3
		.amdhsa_dx10_clamp 1
		.amdhsa_ieee_mode 1
		.amdhsa_fp16_overflow 0
		.amdhsa_tg_split 0
		.amdhsa_exception_fp_ieee_invalid_op 0
		.amdhsa_exception_fp_denorm_src 0
		.amdhsa_exception_fp_ieee_div_zero 0
		.amdhsa_exception_fp_ieee_overflow 0
		.amdhsa_exception_fp_ieee_underflow 0
		.amdhsa_exception_fp_ieee_inexact 0
		.amdhsa_exception_int_div_zero 0
	.end_amdhsa_kernel
	.section	.text._ZN7rocprim17ROCPRIM_400000_NS6detail17trampoline_kernelINS0_14default_configENS1_38merge_sort_block_merge_config_selectorIiNS0_10empty_typeEEEZZNS1_27merge_sort_block_merge_implIS3_N6thrust23THRUST_200600_302600_NS6detail15normal_iteratorINS9_10device_ptrIiEEEEPS5_jNS1_19radix_merge_compareILb1ELb1EiNS0_19identity_decomposerEEEEE10hipError_tT0_T1_T2_jT3_P12ihipStream_tbPNSt15iterator_traitsISK_E10value_typeEPNSQ_ISL_E10value_typeEPSM_NS1_7vsmem_tEENKUlT_SK_SL_SM_E_clIPiSE_SF_SF_EESJ_SZ_SK_SL_SM_EUlSZ_E_NS1_11comp_targetILNS1_3genE5ELNS1_11target_archE942ELNS1_3gpuE9ELNS1_3repE0EEENS1_48merge_mergepath_partition_config_static_selectorELNS0_4arch9wavefront6targetE1EEEvSL_,"axG",@progbits,_ZN7rocprim17ROCPRIM_400000_NS6detail17trampoline_kernelINS0_14default_configENS1_38merge_sort_block_merge_config_selectorIiNS0_10empty_typeEEEZZNS1_27merge_sort_block_merge_implIS3_N6thrust23THRUST_200600_302600_NS6detail15normal_iteratorINS9_10device_ptrIiEEEEPS5_jNS1_19radix_merge_compareILb1ELb1EiNS0_19identity_decomposerEEEEE10hipError_tT0_T1_T2_jT3_P12ihipStream_tbPNSt15iterator_traitsISK_E10value_typeEPNSQ_ISL_E10value_typeEPSM_NS1_7vsmem_tEENKUlT_SK_SL_SM_E_clIPiSE_SF_SF_EESJ_SZ_SK_SL_SM_EUlSZ_E_NS1_11comp_targetILNS1_3genE5ELNS1_11target_archE942ELNS1_3gpuE9ELNS1_3repE0EEENS1_48merge_mergepath_partition_config_static_selectorELNS0_4arch9wavefront6targetE1EEEvSL_,comdat
.Lfunc_end272:
	.size	_ZN7rocprim17ROCPRIM_400000_NS6detail17trampoline_kernelINS0_14default_configENS1_38merge_sort_block_merge_config_selectorIiNS0_10empty_typeEEEZZNS1_27merge_sort_block_merge_implIS3_N6thrust23THRUST_200600_302600_NS6detail15normal_iteratorINS9_10device_ptrIiEEEEPS5_jNS1_19radix_merge_compareILb1ELb1EiNS0_19identity_decomposerEEEEE10hipError_tT0_T1_T2_jT3_P12ihipStream_tbPNSt15iterator_traitsISK_E10value_typeEPNSQ_ISL_E10value_typeEPSM_NS1_7vsmem_tEENKUlT_SK_SL_SM_E_clIPiSE_SF_SF_EESJ_SZ_SK_SL_SM_EUlSZ_E_NS1_11comp_targetILNS1_3genE5ELNS1_11target_archE942ELNS1_3gpuE9ELNS1_3repE0EEENS1_48merge_mergepath_partition_config_static_selectorELNS0_4arch9wavefront6targetE1EEEvSL_, .Lfunc_end272-_ZN7rocprim17ROCPRIM_400000_NS6detail17trampoline_kernelINS0_14default_configENS1_38merge_sort_block_merge_config_selectorIiNS0_10empty_typeEEEZZNS1_27merge_sort_block_merge_implIS3_N6thrust23THRUST_200600_302600_NS6detail15normal_iteratorINS9_10device_ptrIiEEEEPS5_jNS1_19radix_merge_compareILb1ELb1EiNS0_19identity_decomposerEEEEE10hipError_tT0_T1_T2_jT3_P12ihipStream_tbPNSt15iterator_traitsISK_E10value_typeEPNSQ_ISL_E10value_typeEPSM_NS1_7vsmem_tEENKUlT_SK_SL_SM_E_clIPiSE_SF_SF_EESJ_SZ_SK_SL_SM_EUlSZ_E_NS1_11comp_targetILNS1_3genE5ELNS1_11target_archE942ELNS1_3gpuE9ELNS1_3repE0EEENS1_48merge_mergepath_partition_config_static_selectorELNS0_4arch9wavefront6targetE1EEEvSL_
                                        ; -- End function
	.set _ZN7rocprim17ROCPRIM_400000_NS6detail17trampoline_kernelINS0_14default_configENS1_38merge_sort_block_merge_config_selectorIiNS0_10empty_typeEEEZZNS1_27merge_sort_block_merge_implIS3_N6thrust23THRUST_200600_302600_NS6detail15normal_iteratorINS9_10device_ptrIiEEEEPS5_jNS1_19radix_merge_compareILb1ELb1EiNS0_19identity_decomposerEEEEE10hipError_tT0_T1_T2_jT3_P12ihipStream_tbPNSt15iterator_traitsISK_E10value_typeEPNSQ_ISL_E10value_typeEPSM_NS1_7vsmem_tEENKUlT_SK_SL_SM_E_clIPiSE_SF_SF_EESJ_SZ_SK_SL_SM_EUlSZ_E_NS1_11comp_targetILNS1_3genE5ELNS1_11target_archE942ELNS1_3gpuE9ELNS1_3repE0EEENS1_48merge_mergepath_partition_config_static_selectorELNS0_4arch9wavefront6targetE1EEEvSL_.num_vgpr, 0
	.set _ZN7rocprim17ROCPRIM_400000_NS6detail17trampoline_kernelINS0_14default_configENS1_38merge_sort_block_merge_config_selectorIiNS0_10empty_typeEEEZZNS1_27merge_sort_block_merge_implIS3_N6thrust23THRUST_200600_302600_NS6detail15normal_iteratorINS9_10device_ptrIiEEEEPS5_jNS1_19radix_merge_compareILb1ELb1EiNS0_19identity_decomposerEEEEE10hipError_tT0_T1_T2_jT3_P12ihipStream_tbPNSt15iterator_traitsISK_E10value_typeEPNSQ_ISL_E10value_typeEPSM_NS1_7vsmem_tEENKUlT_SK_SL_SM_E_clIPiSE_SF_SF_EESJ_SZ_SK_SL_SM_EUlSZ_E_NS1_11comp_targetILNS1_3genE5ELNS1_11target_archE942ELNS1_3gpuE9ELNS1_3repE0EEENS1_48merge_mergepath_partition_config_static_selectorELNS0_4arch9wavefront6targetE1EEEvSL_.num_agpr, 0
	.set _ZN7rocprim17ROCPRIM_400000_NS6detail17trampoline_kernelINS0_14default_configENS1_38merge_sort_block_merge_config_selectorIiNS0_10empty_typeEEEZZNS1_27merge_sort_block_merge_implIS3_N6thrust23THRUST_200600_302600_NS6detail15normal_iteratorINS9_10device_ptrIiEEEEPS5_jNS1_19radix_merge_compareILb1ELb1EiNS0_19identity_decomposerEEEEE10hipError_tT0_T1_T2_jT3_P12ihipStream_tbPNSt15iterator_traitsISK_E10value_typeEPNSQ_ISL_E10value_typeEPSM_NS1_7vsmem_tEENKUlT_SK_SL_SM_E_clIPiSE_SF_SF_EESJ_SZ_SK_SL_SM_EUlSZ_E_NS1_11comp_targetILNS1_3genE5ELNS1_11target_archE942ELNS1_3gpuE9ELNS1_3repE0EEENS1_48merge_mergepath_partition_config_static_selectorELNS0_4arch9wavefront6targetE1EEEvSL_.numbered_sgpr, 0
	.set _ZN7rocprim17ROCPRIM_400000_NS6detail17trampoline_kernelINS0_14default_configENS1_38merge_sort_block_merge_config_selectorIiNS0_10empty_typeEEEZZNS1_27merge_sort_block_merge_implIS3_N6thrust23THRUST_200600_302600_NS6detail15normal_iteratorINS9_10device_ptrIiEEEEPS5_jNS1_19radix_merge_compareILb1ELb1EiNS0_19identity_decomposerEEEEE10hipError_tT0_T1_T2_jT3_P12ihipStream_tbPNSt15iterator_traitsISK_E10value_typeEPNSQ_ISL_E10value_typeEPSM_NS1_7vsmem_tEENKUlT_SK_SL_SM_E_clIPiSE_SF_SF_EESJ_SZ_SK_SL_SM_EUlSZ_E_NS1_11comp_targetILNS1_3genE5ELNS1_11target_archE942ELNS1_3gpuE9ELNS1_3repE0EEENS1_48merge_mergepath_partition_config_static_selectorELNS0_4arch9wavefront6targetE1EEEvSL_.num_named_barrier, 0
	.set _ZN7rocprim17ROCPRIM_400000_NS6detail17trampoline_kernelINS0_14default_configENS1_38merge_sort_block_merge_config_selectorIiNS0_10empty_typeEEEZZNS1_27merge_sort_block_merge_implIS3_N6thrust23THRUST_200600_302600_NS6detail15normal_iteratorINS9_10device_ptrIiEEEEPS5_jNS1_19radix_merge_compareILb1ELb1EiNS0_19identity_decomposerEEEEE10hipError_tT0_T1_T2_jT3_P12ihipStream_tbPNSt15iterator_traitsISK_E10value_typeEPNSQ_ISL_E10value_typeEPSM_NS1_7vsmem_tEENKUlT_SK_SL_SM_E_clIPiSE_SF_SF_EESJ_SZ_SK_SL_SM_EUlSZ_E_NS1_11comp_targetILNS1_3genE5ELNS1_11target_archE942ELNS1_3gpuE9ELNS1_3repE0EEENS1_48merge_mergepath_partition_config_static_selectorELNS0_4arch9wavefront6targetE1EEEvSL_.private_seg_size, 0
	.set _ZN7rocprim17ROCPRIM_400000_NS6detail17trampoline_kernelINS0_14default_configENS1_38merge_sort_block_merge_config_selectorIiNS0_10empty_typeEEEZZNS1_27merge_sort_block_merge_implIS3_N6thrust23THRUST_200600_302600_NS6detail15normal_iteratorINS9_10device_ptrIiEEEEPS5_jNS1_19radix_merge_compareILb1ELb1EiNS0_19identity_decomposerEEEEE10hipError_tT0_T1_T2_jT3_P12ihipStream_tbPNSt15iterator_traitsISK_E10value_typeEPNSQ_ISL_E10value_typeEPSM_NS1_7vsmem_tEENKUlT_SK_SL_SM_E_clIPiSE_SF_SF_EESJ_SZ_SK_SL_SM_EUlSZ_E_NS1_11comp_targetILNS1_3genE5ELNS1_11target_archE942ELNS1_3gpuE9ELNS1_3repE0EEENS1_48merge_mergepath_partition_config_static_selectorELNS0_4arch9wavefront6targetE1EEEvSL_.uses_vcc, 0
	.set _ZN7rocprim17ROCPRIM_400000_NS6detail17trampoline_kernelINS0_14default_configENS1_38merge_sort_block_merge_config_selectorIiNS0_10empty_typeEEEZZNS1_27merge_sort_block_merge_implIS3_N6thrust23THRUST_200600_302600_NS6detail15normal_iteratorINS9_10device_ptrIiEEEEPS5_jNS1_19radix_merge_compareILb1ELb1EiNS0_19identity_decomposerEEEEE10hipError_tT0_T1_T2_jT3_P12ihipStream_tbPNSt15iterator_traitsISK_E10value_typeEPNSQ_ISL_E10value_typeEPSM_NS1_7vsmem_tEENKUlT_SK_SL_SM_E_clIPiSE_SF_SF_EESJ_SZ_SK_SL_SM_EUlSZ_E_NS1_11comp_targetILNS1_3genE5ELNS1_11target_archE942ELNS1_3gpuE9ELNS1_3repE0EEENS1_48merge_mergepath_partition_config_static_selectorELNS0_4arch9wavefront6targetE1EEEvSL_.uses_flat_scratch, 0
	.set _ZN7rocprim17ROCPRIM_400000_NS6detail17trampoline_kernelINS0_14default_configENS1_38merge_sort_block_merge_config_selectorIiNS0_10empty_typeEEEZZNS1_27merge_sort_block_merge_implIS3_N6thrust23THRUST_200600_302600_NS6detail15normal_iteratorINS9_10device_ptrIiEEEEPS5_jNS1_19radix_merge_compareILb1ELb1EiNS0_19identity_decomposerEEEEE10hipError_tT0_T1_T2_jT3_P12ihipStream_tbPNSt15iterator_traitsISK_E10value_typeEPNSQ_ISL_E10value_typeEPSM_NS1_7vsmem_tEENKUlT_SK_SL_SM_E_clIPiSE_SF_SF_EESJ_SZ_SK_SL_SM_EUlSZ_E_NS1_11comp_targetILNS1_3genE5ELNS1_11target_archE942ELNS1_3gpuE9ELNS1_3repE0EEENS1_48merge_mergepath_partition_config_static_selectorELNS0_4arch9wavefront6targetE1EEEvSL_.has_dyn_sized_stack, 0
	.set _ZN7rocprim17ROCPRIM_400000_NS6detail17trampoline_kernelINS0_14default_configENS1_38merge_sort_block_merge_config_selectorIiNS0_10empty_typeEEEZZNS1_27merge_sort_block_merge_implIS3_N6thrust23THRUST_200600_302600_NS6detail15normal_iteratorINS9_10device_ptrIiEEEEPS5_jNS1_19radix_merge_compareILb1ELb1EiNS0_19identity_decomposerEEEEE10hipError_tT0_T1_T2_jT3_P12ihipStream_tbPNSt15iterator_traitsISK_E10value_typeEPNSQ_ISL_E10value_typeEPSM_NS1_7vsmem_tEENKUlT_SK_SL_SM_E_clIPiSE_SF_SF_EESJ_SZ_SK_SL_SM_EUlSZ_E_NS1_11comp_targetILNS1_3genE5ELNS1_11target_archE942ELNS1_3gpuE9ELNS1_3repE0EEENS1_48merge_mergepath_partition_config_static_selectorELNS0_4arch9wavefront6targetE1EEEvSL_.has_recursion, 0
	.set _ZN7rocprim17ROCPRIM_400000_NS6detail17trampoline_kernelINS0_14default_configENS1_38merge_sort_block_merge_config_selectorIiNS0_10empty_typeEEEZZNS1_27merge_sort_block_merge_implIS3_N6thrust23THRUST_200600_302600_NS6detail15normal_iteratorINS9_10device_ptrIiEEEEPS5_jNS1_19radix_merge_compareILb1ELb1EiNS0_19identity_decomposerEEEEE10hipError_tT0_T1_T2_jT3_P12ihipStream_tbPNSt15iterator_traitsISK_E10value_typeEPNSQ_ISL_E10value_typeEPSM_NS1_7vsmem_tEENKUlT_SK_SL_SM_E_clIPiSE_SF_SF_EESJ_SZ_SK_SL_SM_EUlSZ_E_NS1_11comp_targetILNS1_3genE5ELNS1_11target_archE942ELNS1_3gpuE9ELNS1_3repE0EEENS1_48merge_mergepath_partition_config_static_selectorELNS0_4arch9wavefront6targetE1EEEvSL_.has_indirect_call, 0
	.section	.AMDGPU.csdata,"",@progbits
; Kernel info:
; codeLenInByte = 0
; TotalNumSgprs: 6
; NumVgprs: 0
; NumAgprs: 0
; TotalNumVgprs: 0
; ScratchSize: 0
; MemoryBound: 0
; FloatMode: 240
; IeeeMode: 1
; LDSByteSize: 0 bytes/workgroup (compile time only)
; SGPRBlocks: 0
; VGPRBlocks: 0
; NumSGPRsForWavesPerEU: 6
; NumVGPRsForWavesPerEU: 1
; AccumOffset: 4
; Occupancy: 8
; WaveLimiterHint : 0
; COMPUTE_PGM_RSRC2:SCRATCH_EN: 0
; COMPUTE_PGM_RSRC2:USER_SGPR: 2
; COMPUTE_PGM_RSRC2:TRAP_HANDLER: 0
; COMPUTE_PGM_RSRC2:TGID_X_EN: 1
; COMPUTE_PGM_RSRC2:TGID_Y_EN: 0
; COMPUTE_PGM_RSRC2:TGID_Z_EN: 0
; COMPUTE_PGM_RSRC2:TIDIG_COMP_CNT: 0
; COMPUTE_PGM_RSRC3_GFX90A:ACCUM_OFFSET: 0
; COMPUTE_PGM_RSRC3_GFX90A:TG_SPLIT: 0
	.section	.text._ZN7rocprim17ROCPRIM_400000_NS6detail17trampoline_kernelINS0_14default_configENS1_38merge_sort_block_merge_config_selectorIiNS0_10empty_typeEEEZZNS1_27merge_sort_block_merge_implIS3_N6thrust23THRUST_200600_302600_NS6detail15normal_iteratorINS9_10device_ptrIiEEEEPS5_jNS1_19radix_merge_compareILb1ELb1EiNS0_19identity_decomposerEEEEE10hipError_tT0_T1_T2_jT3_P12ihipStream_tbPNSt15iterator_traitsISK_E10value_typeEPNSQ_ISL_E10value_typeEPSM_NS1_7vsmem_tEENKUlT_SK_SL_SM_E_clIPiSE_SF_SF_EESJ_SZ_SK_SL_SM_EUlSZ_E_NS1_11comp_targetILNS1_3genE4ELNS1_11target_archE910ELNS1_3gpuE8ELNS1_3repE0EEENS1_48merge_mergepath_partition_config_static_selectorELNS0_4arch9wavefront6targetE1EEEvSL_,"axG",@progbits,_ZN7rocprim17ROCPRIM_400000_NS6detail17trampoline_kernelINS0_14default_configENS1_38merge_sort_block_merge_config_selectorIiNS0_10empty_typeEEEZZNS1_27merge_sort_block_merge_implIS3_N6thrust23THRUST_200600_302600_NS6detail15normal_iteratorINS9_10device_ptrIiEEEEPS5_jNS1_19radix_merge_compareILb1ELb1EiNS0_19identity_decomposerEEEEE10hipError_tT0_T1_T2_jT3_P12ihipStream_tbPNSt15iterator_traitsISK_E10value_typeEPNSQ_ISL_E10value_typeEPSM_NS1_7vsmem_tEENKUlT_SK_SL_SM_E_clIPiSE_SF_SF_EESJ_SZ_SK_SL_SM_EUlSZ_E_NS1_11comp_targetILNS1_3genE4ELNS1_11target_archE910ELNS1_3gpuE8ELNS1_3repE0EEENS1_48merge_mergepath_partition_config_static_selectorELNS0_4arch9wavefront6targetE1EEEvSL_,comdat
	.protected	_ZN7rocprim17ROCPRIM_400000_NS6detail17trampoline_kernelINS0_14default_configENS1_38merge_sort_block_merge_config_selectorIiNS0_10empty_typeEEEZZNS1_27merge_sort_block_merge_implIS3_N6thrust23THRUST_200600_302600_NS6detail15normal_iteratorINS9_10device_ptrIiEEEEPS5_jNS1_19radix_merge_compareILb1ELb1EiNS0_19identity_decomposerEEEEE10hipError_tT0_T1_T2_jT3_P12ihipStream_tbPNSt15iterator_traitsISK_E10value_typeEPNSQ_ISL_E10value_typeEPSM_NS1_7vsmem_tEENKUlT_SK_SL_SM_E_clIPiSE_SF_SF_EESJ_SZ_SK_SL_SM_EUlSZ_E_NS1_11comp_targetILNS1_3genE4ELNS1_11target_archE910ELNS1_3gpuE8ELNS1_3repE0EEENS1_48merge_mergepath_partition_config_static_selectorELNS0_4arch9wavefront6targetE1EEEvSL_ ; -- Begin function _ZN7rocprim17ROCPRIM_400000_NS6detail17trampoline_kernelINS0_14default_configENS1_38merge_sort_block_merge_config_selectorIiNS0_10empty_typeEEEZZNS1_27merge_sort_block_merge_implIS3_N6thrust23THRUST_200600_302600_NS6detail15normal_iteratorINS9_10device_ptrIiEEEEPS5_jNS1_19radix_merge_compareILb1ELb1EiNS0_19identity_decomposerEEEEE10hipError_tT0_T1_T2_jT3_P12ihipStream_tbPNSt15iterator_traitsISK_E10value_typeEPNSQ_ISL_E10value_typeEPSM_NS1_7vsmem_tEENKUlT_SK_SL_SM_E_clIPiSE_SF_SF_EESJ_SZ_SK_SL_SM_EUlSZ_E_NS1_11comp_targetILNS1_3genE4ELNS1_11target_archE910ELNS1_3gpuE8ELNS1_3repE0EEENS1_48merge_mergepath_partition_config_static_selectorELNS0_4arch9wavefront6targetE1EEEvSL_
	.globl	_ZN7rocprim17ROCPRIM_400000_NS6detail17trampoline_kernelINS0_14default_configENS1_38merge_sort_block_merge_config_selectorIiNS0_10empty_typeEEEZZNS1_27merge_sort_block_merge_implIS3_N6thrust23THRUST_200600_302600_NS6detail15normal_iteratorINS9_10device_ptrIiEEEEPS5_jNS1_19radix_merge_compareILb1ELb1EiNS0_19identity_decomposerEEEEE10hipError_tT0_T1_T2_jT3_P12ihipStream_tbPNSt15iterator_traitsISK_E10value_typeEPNSQ_ISL_E10value_typeEPSM_NS1_7vsmem_tEENKUlT_SK_SL_SM_E_clIPiSE_SF_SF_EESJ_SZ_SK_SL_SM_EUlSZ_E_NS1_11comp_targetILNS1_3genE4ELNS1_11target_archE910ELNS1_3gpuE8ELNS1_3repE0EEENS1_48merge_mergepath_partition_config_static_selectorELNS0_4arch9wavefront6targetE1EEEvSL_
	.p2align	8
	.type	_ZN7rocprim17ROCPRIM_400000_NS6detail17trampoline_kernelINS0_14default_configENS1_38merge_sort_block_merge_config_selectorIiNS0_10empty_typeEEEZZNS1_27merge_sort_block_merge_implIS3_N6thrust23THRUST_200600_302600_NS6detail15normal_iteratorINS9_10device_ptrIiEEEEPS5_jNS1_19radix_merge_compareILb1ELb1EiNS0_19identity_decomposerEEEEE10hipError_tT0_T1_T2_jT3_P12ihipStream_tbPNSt15iterator_traitsISK_E10value_typeEPNSQ_ISL_E10value_typeEPSM_NS1_7vsmem_tEENKUlT_SK_SL_SM_E_clIPiSE_SF_SF_EESJ_SZ_SK_SL_SM_EUlSZ_E_NS1_11comp_targetILNS1_3genE4ELNS1_11target_archE910ELNS1_3gpuE8ELNS1_3repE0EEENS1_48merge_mergepath_partition_config_static_selectorELNS0_4arch9wavefront6targetE1EEEvSL_,@function
_ZN7rocprim17ROCPRIM_400000_NS6detail17trampoline_kernelINS0_14default_configENS1_38merge_sort_block_merge_config_selectorIiNS0_10empty_typeEEEZZNS1_27merge_sort_block_merge_implIS3_N6thrust23THRUST_200600_302600_NS6detail15normal_iteratorINS9_10device_ptrIiEEEEPS5_jNS1_19radix_merge_compareILb1ELb1EiNS0_19identity_decomposerEEEEE10hipError_tT0_T1_T2_jT3_P12ihipStream_tbPNSt15iterator_traitsISK_E10value_typeEPNSQ_ISL_E10value_typeEPSM_NS1_7vsmem_tEENKUlT_SK_SL_SM_E_clIPiSE_SF_SF_EESJ_SZ_SK_SL_SM_EUlSZ_E_NS1_11comp_targetILNS1_3genE4ELNS1_11target_archE910ELNS1_3gpuE8ELNS1_3repE0EEENS1_48merge_mergepath_partition_config_static_selectorELNS0_4arch9wavefront6targetE1EEEvSL_: ; @_ZN7rocprim17ROCPRIM_400000_NS6detail17trampoline_kernelINS0_14default_configENS1_38merge_sort_block_merge_config_selectorIiNS0_10empty_typeEEEZZNS1_27merge_sort_block_merge_implIS3_N6thrust23THRUST_200600_302600_NS6detail15normal_iteratorINS9_10device_ptrIiEEEEPS5_jNS1_19radix_merge_compareILb1ELb1EiNS0_19identity_decomposerEEEEE10hipError_tT0_T1_T2_jT3_P12ihipStream_tbPNSt15iterator_traitsISK_E10value_typeEPNSQ_ISL_E10value_typeEPSM_NS1_7vsmem_tEENKUlT_SK_SL_SM_E_clIPiSE_SF_SF_EESJ_SZ_SK_SL_SM_EUlSZ_E_NS1_11comp_targetILNS1_3genE4ELNS1_11target_archE910ELNS1_3gpuE8ELNS1_3repE0EEENS1_48merge_mergepath_partition_config_static_selectorELNS0_4arch9wavefront6targetE1EEEvSL_
; %bb.0:
	.section	.rodata,"a",@progbits
	.p2align	6, 0x0
	.amdhsa_kernel _ZN7rocprim17ROCPRIM_400000_NS6detail17trampoline_kernelINS0_14default_configENS1_38merge_sort_block_merge_config_selectorIiNS0_10empty_typeEEEZZNS1_27merge_sort_block_merge_implIS3_N6thrust23THRUST_200600_302600_NS6detail15normal_iteratorINS9_10device_ptrIiEEEEPS5_jNS1_19radix_merge_compareILb1ELb1EiNS0_19identity_decomposerEEEEE10hipError_tT0_T1_T2_jT3_P12ihipStream_tbPNSt15iterator_traitsISK_E10value_typeEPNSQ_ISL_E10value_typeEPSM_NS1_7vsmem_tEENKUlT_SK_SL_SM_E_clIPiSE_SF_SF_EESJ_SZ_SK_SL_SM_EUlSZ_E_NS1_11comp_targetILNS1_3genE4ELNS1_11target_archE910ELNS1_3gpuE8ELNS1_3repE0EEENS1_48merge_mergepath_partition_config_static_selectorELNS0_4arch9wavefront6targetE1EEEvSL_
		.amdhsa_group_segment_fixed_size 0
		.amdhsa_private_segment_fixed_size 0
		.amdhsa_kernarg_size 40
		.amdhsa_user_sgpr_count 2
		.amdhsa_user_sgpr_dispatch_ptr 0
		.amdhsa_user_sgpr_queue_ptr 0
		.amdhsa_user_sgpr_kernarg_segment_ptr 1
		.amdhsa_user_sgpr_dispatch_id 0
		.amdhsa_user_sgpr_kernarg_preload_length 0
		.amdhsa_user_sgpr_kernarg_preload_offset 0
		.amdhsa_user_sgpr_private_segment_size 0
		.amdhsa_uses_dynamic_stack 0
		.amdhsa_enable_private_segment 0
		.amdhsa_system_sgpr_workgroup_id_x 1
		.amdhsa_system_sgpr_workgroup_id_y 0
		.amdhsa_system_sgpr_workgroup_id_z 0
		.amdhsa_system_sgpr_workgroup_info 0
		.amdhsa_system_vgpr_workitem_id 0
		.amdhsa_next_free_vgpr 1
		.amdhsa_next_free_sgpr 0
		.amdhsa_accum_offset 4
		.amdhsa_reserve_vcc 0
		.amdhsa_float_round_mode_32 0
		.amdhsa_float_round_mode_16_64 0
		.amdhsa_float_denorm_mode_32 3
		.amdhsa_float_denorm_mode_16_64 3
		.amdhsa_dx10_clamp 1
		.amdhsa_ieee_mode 1
		.amdhsa_fp16_overflow 0
		.amdhsa_tg_split 0
		.amdhsa_exception_fp_ieee_invalid_op 0
		.amdhsa_exception_fp_denorm_src 0
		.amdhsa_exception_fp_ieee_div_zero 0
		.amdhsa_exception_fp_ieee_overflow 0
		.amdhsa_exception_fp_ieee_underflow 0
		.amdhsa_exception_fp_ieee_inexact 0
		.amdhsa_exception_int_div_zero 0
	.end_amdhsa_kernel
	.section	.text._ZN7rocprim17ROCPRIM_400000_NS6detail17trampoline_kernelINS0_14default_configENS1_38merge_sort_block_merge_config_selectorIiNS0_10empty_typeEEEZZNS1_27merge_sort_block_merge_implIS3_N6thrust23THRUST_200600_302600_NS6detail15normal_iteratorINS9_10device_ptrIiEEEEPS5_jNS1_19radix_merge_compareILb1ELb1EiNS0_19identity_decomposerEEEEE10hipError_tT0_T1_T2_jT3_P12ihipStream_tbPNSt15iterator_traitsISK_E10value_typeEPNSQ_ISL_E10value_typeEPSM_NS1_7vsmem_tEENKUlT_SK_SL_SM_E_clIPiSE_SF_SF_EESJ_SZ_SK_SL_SM_EUlSZ_E_NS1_11comp_targetILNS1_3genE4ELNS1_11target_archE910ELNS1_3gpuE8ELNS1_3repE0EEENS1_48merge_mergepath_partition_config_static_selectorELNS0_4arch9wavefront6targetE1EEEvSL_,"axG",@progbits,_ZN7rocprim17ROCPRIM_400000_NS6detail17trampoline_kernelINS0_14default_configENS1_38merge_sort_block_merge_config_selectorIiNS0_10empty_typeEEEZZNS1_27merge_sort_block_merge_implIS3_N6thrust23THRUST_200600_302600_NS6detail15normal_iteratorINS9_10device_ptrIiEEEEPS5_jNS1_19radix_merge_compareILb1ELb1EiNS0_19identity_decomposerEEEEE10hipError_tT0_T1_T2_jT3_P12ihipStream_tbPNSt15iterator_traitsISK_E10value_typeEPNSQ_ISL_E10value_typeEPSM_NS1_7vsmem_tEENKUlT_SK_SL_SM_E_clIPiSE_SF_SF_EESJ_SZ_SK_SL_SM_EUlSZ_E_NS1_11comp_targetILNS1_3genE4ELNS1_11target_archE910ELNS1_3gpuE8ELNS1_3repE0EEENS1_48merge_mergepath_partition_config_static_selectorELNS0_4arch9wavefront6targetE1EEEvSL_,comdat
.Lfunc_end273:
	.size	_ZN7rocprim17ROCPRIM_400000_NS6detail17trampoline_kernelINS0_14default_configENS1_38merge_sort_block_merge_config_selectorIiNS0_10empty_typeEEEZZNS1_27merge_sort_block_merge_implIS3_N6thrust23THRUST_200600_302600_NS6detail15normal_iteratorINS9_10device_ptrIiEEEEPS5_jNS1_19radix_merge_compareILb1ELb1EiNS0_19identity_decomposerEEEEE10hipError_tT0_T1_T2_jT3_P12ihipStream_tbPNSt15iterator_traitsISK_E10value_typeEPNSQ_ISL_E10value_typeEPSM_NS1_7vsmem_tEENKUlT_SK_SL_SM_E_clIPiSE_SF_SF_EESJ_SZ_SK_SL_SM_EUlSZ_E_NS1_11comp_targetILNS1_3genE4ELNS1_11target_archE910ELNS1_3gpuE8ELNS1_3repE0EEENS1_48merge_mergepath_partition_config_static_selectorELNS0_4arch9wavefront6targetE1EEEvSL_, .Lfunc_end273-_ZN7rocprim17ROCPRIM_400000_NS6detail17trampoline_kernelINS0_14default_configENS1_38merge_sort_block_merge_config_selectorIiNS0_10empty_typeEEEZZNS1_27merge_sort_block_merge_implIS3_N6thrust23THRUST_200600_302600_NS6detail15normal_iteratorINS9_10device_ptrIiEEEEPS5_jNS1_19radix_merge_compareILb1ELb1EiNS0_19identity_decomposerEEEEE10hipError_tT0_T1_T2_jT3_P12ihipStream_tbPNSt15iterator_traitsISK_E10value_typeEPNSQ_ISL_E10value_typeEPSM_NS1_7vsmem_tEENKUlT_SK_SL_SM_E_clIPiSE_SF_SF_EESJ_SZ_SK_SL_SM_EUlSZ_E_NS1_11comp_targetILNS1_3genE4ELNS1_11target_archE910ELNS1_3gpuE8ELNS1_3repE0EEENS1_48merge_mergepath_partition_config_static_selectorELNS0_4arch9wavefront6targetE1EEEvSL_
                                        ; -- End function
	.set _ZN7rocprim17ROCPRIM_400000_NS6detail17trampoline_kernelINS0_14default_configENS1_38merge_sort_block_merge_config_selectorIiNS0_10empty_typeEEEZZNS1_27merge_sort_block_merge_implIS3_N6thrust23THRUST_200600_302600_NS6detail15normal_iteratorINS9_10device_ptrIiEEEEPS5_jNS1_19radix_merge_compareILb1ELb1EiNS0_19identity_decomposerEEEEE10hipError_tT0_T1_T2_jT3_P12ihipStream_tbPNSt15iterator_traitsISK_E10value_typeEPNSQ_ISL_E10value_typeEPSM_NS1_7vsmem_tEENKUlT_SK_SL_SM_E_clIPiSE_SF_SF_EESJ_SZ_SK_SL_SM_EUlSZ_E_NS1_11comp_targetILNS1_3genE4ELNS1_11target_archE910ELNS1_3gpuE8ELNS1_3repE0EEENS1_48merge_mergepath_partition_config_static_selectorELNS0_4arch9wavefront6targetE1EEEvSL_.num_vgpr, 0
	.set _ZN7rocprim17ROCPRIM_400000_NS6detail17trampoline_kernelINS0_14default_configENS1_38merge_sort_block_merge_config_selectorIiNS0_10empty_typeEEEZZNS1_27merge_sort_block_merge_implIS3_N6thrust23THRUST_200600_302600_NS6detail15normal_iteratorINS9_10device_ptrIiEEEEPS5_jNS1_19radix_merge_compareILb1ELb1EiNS0_19identity_decomposerEEEEE10hipError_tT0_T1_T2_jT3_P12ihipStream_tbPNSt15iterator_traitsISK_E10value_typeEPNSQ_ISL_E10value_typeEPSM_NS1_7vsmem_tEENKUlT_SK_SL_SM_E_clIPiSE_SF_SF_EESJ_SZ_SK_SL_SM_EUlSZ_E_NS1_11comp_targetILNS1_3genE4ELNS1_11target_archE910ELNS1_3gpuE8ELNS1_3repE0EEENS1_48merge_mergepath_partition_config_static_selectorELNS0_4arch9wavefront6targetE1EEEvSL_.num_agpr, 0
	.set _ZN7rocprim17ROCPRIM_400000_NS6detail17trampoline_kernelINS0_14default_configENS1_38merge_sort_block_merge_config_selectorIiNS0_10empty_typeEEEZZNS1_27merge_sort_block_merge_implIS3_N6thrust23THRUST_200600_302600_NS6detail15normal_iteratorINS9_10device_ptrIiEEEEPS5_jNS1_19radix_merge_compareILb1ELb1EiNS0_19identity_decomposerEEEEE10hipError_tT0_T1_T2_jT3_P12ihipStream_tbPNSt15iterator_traitsISK_E10value_typeEPNSQ_ISL_E10value_typeEPSM_NS1_7vsmem_tEENKUlT_SK_SL_SM_E_clIPiSE_SF_SF_EESJ_SZ_SK_SL_SM_EUlSZ_E_NS1_11comp_targetILNS1_3genE4ELNS1_11target_archE910ELNS1_3gpuE8ELNS1_3repE0EEENS1_48merge_mergepath_partition_config_static_selectorELNS0_4arch9wavefront6targetE1EEEvSL_.numbered_sgpr, 0
	.set _ZN7rocprim17ROCPRIM_400000_NS6detail17trampoline_kernelINS0_14default_configENS1_38merge_sort_block_merge_config_selectorIiNS0_10empty_typeEEEZZNS1_27merge_sort_block_merge_implIS3_N6thrust23THRUST_200600_302600_NS6detail15normal_iteratorINS9_10device_ptrIiEEEEPS5_jNS1_19radix_merge_compareILb1ELb1EiNS0_19identity_decomposerEEEEE10hipError_tT0_T1_T2_jT3_P12ihipStream_tbPNSt15iterator_traitsISK_E10value_typeEPNSQ_ISL_E10value_typeEPSM_NS1_7vsmem_tEENKUlT_SK_SL_SM_E_clIPiSE_SF_SF_EESJ_SZ_SK_SL_SM_EUlSZ_E_NS1_11comp_targetILNS1_3genE4ELNS1_11target_archE910ELNS1_3gpuE8ELNS1_3repE0EEENS1_48merge_mergepath_partition_config_static_selectorELNS0_4arch9wavefront6targetE1EEEvSL_.num_named_barrier, 0
	.set _ZN7rocprim17ROCPRIM_400000_NS6detail17trampoline_kernelINS0_14default_configENS1_38merge_sort_block_merge_config_selectorIiNS0_10empty_typeEEEZZNS1_27merge_sort_block_merge_implIS3_N6thrust23THRUST_200600_302600_NS6detail15normal_iteratorINS9_10device_ptrIiEEEEPS5_jNS1_19radix_merge_compareILb1ELb1EiNS0_19identity_decomposerEEEEE10hipError_tT0_T1_T2_jT3_P12ihipStream_tbPNSt15iterator_traitsISK_E10value_typeEPNSQ_ISL_E10value_typeEPSM_NS1_7vsmem_tEENKUlT_SK_SL_SM_E_clIPiSE_SF_SF_EESJ_SZ_SK_SL_SM_EUlSZ_E_NS1_11comp_targetILNS1_3genE4ELNS1_11target_archE910ELNS1_3gpuE8ELNS1_3repE0EEENS1_48merge_mergepath_partition_config_static_selectorELNS0_4arch9wavefront6targetE1EEEvSL_.private_seg_size, 0
	.set _ZN7rocprim17ROCPRIM_400000_NS6detail17trampoline_kernelINS0_14default_configENS1_38merge_sort_block_merge_config_selectorIiNS0_10empty_typeEEEZZNS1_27merge_sort_block_merge_implIS3_N6thrust23THRUST_200600_302600_NS6detail15normal_iteratorINS9_10device_ptrIiEEEEPS5_jNS1_19radix_merge_compareILb1ELb1EiNS0_19identity_decomposerEEEEE10hipError_tT0_T1_T2_jT3_P12ihipStream_tbPNSt15iterator_traitsISK_E10value_typeEPNSQ_ISL_E10value_typeEPSM_NS1_7vsmem_tEENKUlT_SK_SL_SM_E_clIPiSE_SF_SF_EESJ_SZ_SK_SL_SM_EUlSZ_E_NS1_11comp_targetILNS1_3genE4ELNS1_11target_archE910ELNS1_3gpuE8ELNS1_3repE0EEENS1_48merge_mergepath_partition_config_static_selectorELNS0_4arch9wavefront6targetE1EEEvSL_.uses_vcc, 0
	.set _ZN7rocprim17ROCPRIM_400000_NS6detail17trampoline_kernelINS0_14default_configENS1_38merge_sort_block_merge_config_selectorIiNS0_10empty_typeEEEZZNS1_27merge_sort_block_merge_implIS3_N6thrust23THRUST_200600_302600_NS6detail15normal_iteratorINS9_10device_ptrIiEEEEPS5_jNS1_19radix_merge_compareILb1ELb1EiNS0_19identity_decomposerEEEEE10hipError_tT0_T1_T2_jT3_P12ihipStream_tbPNSt15iterator_traitsISK_E10value_typeEPNSQ_ISL_E10value_typeEPSM_NS1_7vsmem_tEENKUlT_SK_SL_SM_E_clIPiSE_SF_SF_EESJ_SZ_SK_SL_SM_EUlSZ_E_NS1_11comp_targetILNS1_3genE4ELNS1_11target_archE910ELNS1_3gpuE8ELNS1_3repE0EEENS1_48merge_mergepath_partition_config_static_selectorELNS0_4arch9wavefront6targetE1EEEvSL_.uses_flat_scratch, 0
	.set _ZN7rocprim17ROCPRIM_400000_NS6detail17trampoline_kernelINS0_14default_configENS1_38merge_sort_block_merge_config_selectorIiNS0_10empty_typeEEEZZNS1_27merge_sort_block_merge_implIS3_N6thrust23THRUST_200600_302600_NS6detail15normal_iteratorINS9_10device_ptrIiEEEEPS5_jNS1_19radix_merge_compareILb1ELb1EiNS0_19identity_decomposerEEEEE10hipError_tT0_T1_T2_jT3_P12ihipStream_tbPNSt15iterator_traitsISK_E10value_typeEPNSQ_ISL_E10value_typeEPSM_NS1_7vsmem_tEENKUlT_SK_SL_SM_E_clIPiSE_SF_SF_EESJ_SZ_SK_SL_SM_EUlSZ_E_NS1_11comp_targetILNS1_3genE4ELNS1_11target_archE910ELNS1_3gpuE8ELNS1_3repE0EEENS1_48merge_mergepath_partition_config_static_selectorELNS0_4arch9wavefront6targetE1EEEvSL_.has_dyn_sized_stack, 0
	.set _ZN7rocprim17ROCPRIM_400000_NS6detail17trampoline_kernelINS0_14default_configENS1_38merge_sort_block_merge_config_selectorIiNS0_10empty_typeEEEZZNS1_27merge_sort_block_merge_implIS3_N6thrust23THRUST_200600_302600_NS6detail15normal_iteratorINS9_10device_ptrIiEEEEPS5_jNS1_19radix_merge_compareILb1ELb1EiNS0_19identity_decomposerEEEEE10hipError_tT0_T1_T2_jT3_P12ihipStream_tbPNSt15iterator_traitsISK_E10value_typeEPNSQ_ISL_E10value_typeEPSM_NS1_7vsmem_tEENKUlT_SK_SL_SM_E_clIPiSE_SF_SF_EESJ_SZ_SK_SL_SM_EUlSZ_E_NS1_11comp_targetILNS1_3genE4ELNS1_11target_archE910ELNS1_3gpuE8ELNS1_3repE0EEENS1_48merge_mergepath_partition_config_static_selectorELNS0_4arch9wavefront6targetE1EEEvSL_.has_recursion, 0
	.set _ZN7rocprim17ROCPRIM_400000_NS6detail17trampoline_kernelINS0_14default_configENS1_38merge_sort_block_merge_config_selectorIiNS0_10empty_typeEEEZZNS1_27merge_sort_block_merge_implIS3_N6thrust23THRUST_200600_302600_NS6detail15normal_iteratorINS9_10device_ptrIiEEEEPS5_jNS1_19radix_merge_compareILb1ELb1EiNS0_19identity_decomposerEEEEE10hipError_tT0_T1_T2_jT3_P12ihipStream_tbPNSt15iterator_traitsISK_E10value_typeEPNSQ_ISL_E10value_typeEPSM_NS1_7vsmem_tEENKUlT_SK_SL_SM_E_clIPiSE_SF_SF_EESJ_SZ_SK_SL_SM_EUlSZ_E_NS1_11comp_targetILNS1_3genE4ELNS1_11target_archE910ELNS1_3gpuE8ELNS1_3repE0EEENS1_48merge_mergepath_partition_config_static_selectorELNS0_4arch9wavefront6targetE1EEEvSL_.has_indirect_call, 0
	.section	.AMDGPU.csdata,"",@progbits
; Kernel info:
; codeLenInByte = 0
; TotalNumSgprs: 6
; NumVgprs: 0
; NumAgprs: 0
; TotalNumVgprs: 0
; ScratchSize: 0
; MemoryBound: 0
; FloatMode: 240
; IeeeMode: 1
; LDSByteSize: 0 bytes/workgroup (compile time only)
; SGPRBlocks: 0
; VGPRBlocks: 0
; NumSGPRsForWavesPerEU: 6
; NumVGPRsForWavesPerEU: 1
; AccumOffset: 4
; Occupancy: 8
; WaveLimiterHint : 0
; COMPUTE_PGM_RSRC2:SCRATCH_EN: 0
; COMPUTE_PGM_RSRC2:USER_SGPR: 2
; COMPUTE_PGM_RSRC2:TRAP_HANDLER: 0
; COMPUTE_PGM_RSRC2:TGID_X_EN: 1
; COMPUTE_PGM_RSRC2:TGID_Y_EN: 0
; COMPUTE_PGM_RSRC2:TGID_Z_EN: 0
; COMPUTE_PGM_RSRC2:TIDIG_COMP_CNT: 0
; COMPUTE_PGM_RSRC3_GFX90A:ACCUM_OFFSET: 0
; COMPUTE_PGM_RSRC3_GFX90A:TG_SPLIT: 0
	.section	.text._ZN7rocprim17ROCPRIM_400000_NS6detail17trampoline_kernelINS0_14default_configENS1_38merge_sort_block_merge_config_selectorIiNS0_10empty_typeEEEZZNS1_27merge_sort_block_merge_implIS3_N6thrust23THRUST_200600_302600_NS6detail15normal_iteratorINS9_10device_ptrIiEEEEPS5_jNS1_19radix_merge_compareILb1ELb1EiNS0_19identity_decomposerEEEEE10hipError_tT0_T1_T2_jT3_P12ihipStream_tbPNSt15iterator_traitsISK_E10value_typeEPNSQ_ISL_E10value_typeEPSM_NS1_7vsmem_tEENKUlT_SK_SL_SM_E_clIPiSE_SF_SF_EESJ_SZ_SK_SL_SM_EUlSZ_E_NS1_11comp_targetILNS1_3genE3ELNS1_11target_archE908ELNS1_3gpuE7ELNS1_3repE0EEENS1_48merge_mergepath_partition_config_static_selectorELNS0_4arch9wavefront6targetE1EEEvSL_,"axG",@progbits,_ZN7rocprim17ROCPRIM_400000_NS6detail17trampoline_kernelINS0_14default_configENS1_38merge_sort_block_merge_config_selectorIiNS0_10empty_typeEEEZZNS1_27merge_sort_block_merge_implIS3_N6thrust23THRUST_200600_302600_NS6detail15normal_iteratorINS9_10device_ptrIiEEEEPS5_jNS1_19radix_merge_compareILb1ELb1EiNS0_19identity_decomposerEEEEE10hipError_tT0_T1_T2_jT3_P12ihipStream_tbPNSt15iterator_traitsISK_E10value_typeEPNSQ_ISL_E10value_typeEPSM_NS1_7vsmem_tEENKUlT_SK_SL_SM_E_clIPiSE_SF_SF_EESJ_SZ_SK_SL_SM_EUlSZ_E_NS1_11comp_targetILNS1_3genE3ELNS1_11target_archE908ELNS1_3gpuE7ELNS1_3repE0EEENS1_48merge_mergepath_partition_config_static_selectorELNS0_4arch9wavefront6targetE1EEEvSL_,comdat
	.protected	_ZN7rocprim17ROCPRIM_400000_NS6detail17trampoline_kernelINS0_14default_configENS1_38merge_sort_block_merge_config_selectorIiNS0_10empty_typeEEEZZNS1_27merge_sort_block_merge_implIS3_N6thrust23THRUST_200600_302600_NS6detail15normal_iteratorINS9_10device_ptrIiEEEEPS5_jNS1_19radix_merge_compareILb1ELb1EiNS0_19identity_decomposerEEEEE10hipError_tT0_T1_T2_jT3_P12ihipStream_tbPNSt15iterator_traitsISK_E10value_typeEPNSQ_ISL_E10value_typeEPSM_NS1_7vsmem_tEENKUlT_SK_SL_SM_E_clIPiSE_SF_SF_EESJ_SZ_SK_SL_SM_EUlSZ_E_NS1_11comp_targetILNS1_3genE3ELNS1_11target_archE908ELNS1_3gpuE7ELNS1_3repE0EEENS1_48merge_mergepath_partition_config_static_selectorELNS0_4arch9wavefront6targetE1EEEvSL_ ; -- Begin function _ZN7rocprim17ROCPRIM_400000_NS6detail17trampoline_kernelINS0_14default_configENS1_38merge_sort_block_merge_config_selectorIiNS0_10empty_typeEEEZZNS1_27merge_sort_block_merge_implIS3_N6thrust23THRUST_200600_302600_NS6detail15normal_iteratorINS9_10device_ptrIiEEEEPS5_jNS1_19radix_merge_compareILb1ELb1EiNS0_19identity_decomposerEEEEE10hipError_tT0_T1_T2_jT3_P12ihipStream_tbPNSt15iterator_traitsISK_E10value_typeEPNSQ_ISL_E10value_typeEPSM_NS1_7vsmem_tEENKUlT_SK_SL_SM_E_clIPiSE_SF_SF_EESJ_SZ_SK_SL_SM_EUlSZ_E_NS1_11comp_targetILNS1_3genE3ELNS1_11target_archE908ELNS1_3gpuE7ELNS1_3repE0EEENS1_48merge_mergepath_partition_config_static_selectorELNS0_4arch9wavefront6targetE1EEEvSL_
	.globl	_ZN7rocprim17ROCPRIM_400000_NS6detail17trampoline_kernelINS0_14default_configENS1_38merge_sort_block_merge_config_selectorIiNS0_10empty_typeEEEZZNS1_27merge_sort_block_merge_implIS3_N6thrust23THRUST_200600_302600_NS6detail15normal_iteratorINS9_10device_ptrIiEEEEPS5_jNS1_19radix_merge_compareILb1ELb1EiNS0_19identity_decomposerEEEEE10hipError_tT0_T1_T2_jT3_P12ihipStream_tbPNSt15iterator_traitsISK_E10value_typeEPNSQ_ISL_E10value_typeEPSM_NS1_7vsmem_tEENKUlT_SK_SL_SM_E_clIPiSE_SF_SF_EESJ_SZ_SK_SL_SM_EUlSZ_E_NS1_11comp_targetILNS1_3genE3ELNS1_11target_archE908ELNS1_3gpuE7ELNS1_3repE0EEENS1_48merge_mergepath_partition_config_static_selectorELNS0_4arch9wavefront6targetE1EEEvSL_
	.p2align	8
	.type	_ZN7rocprim17ROCPRIM_400000_NS6detail17trampoline_kernelINS0_14default_configENS1_38merge_sort_block_merge_config_selectorIiNS0_10empty_typeEEEZZNS1_27merge_sort_block_merge_implIS3_N6thrust23THRUST_200600_302600_NS6detail15normal_iteratorINS9_10device_ptrIiEEEEPS5_jNS1_19radix_merge_compareILb1ELb1EiNS0_19identity_decomposerEEEEE10hipError_tT0_T1_T2_jT3_P12ihipStream_tbPNSt15iterator_traitsISK_E10value_typeEPNSQ_ISL_E10value_typeEPSM_NS1_7vsmem_tEENKUlT_SK_SL_SM_E_clIPiSE_SF_SF_EESJ_SZ_SK_SL_SM_EUlSZ_E_NS1_11comp_targetILNS1_3genE3ELNS1_11target_archE908ELNS1_3gpuE7ELNS1_3repE0EEENS1_48merge_mergepath_partition_config_static_selectorELNS0_4arch9wavefront6targetE1EEEvSL_,@function
_ZN7rocprim17ROCPRIM_400000_NS6detail17trampoline_kernelINS0_14default_configENS1_38merge_sort_block_merge_config_selectorIiNS0_10empty_typeEEEZZNS1_27merge_sort_block_merge_implIS3_N6thrust23THRUST_200600_302600_NS6detail15normal_iteratorINS9_10device_ptrIiEEEEPS5_jNS1_19radix_merge_compareILb1ELb1EiNS0_19identity_decomposerEEEEE10hipError_tT0_T1_T2_jT3_P12ihipStream_tbPNSt15iterator_traitsISK_E10value_typeEPNSQ_ISL_E10value_typeEPSM_NS1_7vsmem_tEENKUlT_SK_SL_SM_E_clIPiSE_SF_SF_EESJ_SZ_SK_SL_SM_EUlSZ_E_NS1_11comp_targetILNS1_3genE3ELNS1_11target_archE908ELNS1_3gpuE7ELNS1_3repE0EEENS1_48merge_mergepath_partition_config_static_selectorELNS0_4arch9wavefront6targetE1EEEvSL_: ; @_ZN7rocprim17ROCPRIM_400000_NS6detail17trampoline_kernelINS0_14default_configENS1_38merge_sort_block_merge_config_selectorIiNS0_10empty_typeEEEZZNS1_27merge_sort_block_merge_implIS3_N6thrust23THRUST_200600_302600_NS6detail15normal_iteratorINS9_10device_ptrIiEEEEPS5_jNS1_19radix_merge_compareILb1ELb1EiNS0_19identity_decomposerEEEEE10hipError_tT0_T1_T2_jT3_P12ihipStream_tbPNSt15iterator_traitsISK_E10value_typeEPNSQ_ISL_E10value_typeEPSM_NS1_7vsmem_tEENKUlT_SK_SL_SM_E_clIPiSE_SF_SF_EESJ_SZ_SK_SL_SM_EUlSZ_E_NS1_11comp_targetILNS1_3genE3ELNS1_11target_archE908ELNS1_3gpuE7ELNS1_3repE0EEENS1_48merge_mergepath_partition_config_static_selectorELNS0_4arch9wavefront6targetE1EEEvSL_
; %bb.0:
	.section	.rodata,"a",@progbits
	.p2align	6, 0x0
	.amdhsa_kernel _ZN7rocprim17ROCPRIM_400000_NS6detail17trampoline_kernelINS0_14default_configENS1_38merge_sort_block_merge_config_selectorIiNS0_10empty_typeEEEZZNS1_27merge_sort_block_merge_implIS3_N6thrust23THRUST_200600_302600_NS6detail15normal_iteratorINS9_10device_ptrIiEEEEPS5_jNS1_19radix_merge_compareILb1ELb1EiNS0_19identity_decomposerEEEEE10hipError_tT0_T1_T2_jT3_P12ihipStream_tbPNSt15iterator_traitsISK_E10value_typeEPNSQ_ISL_E10value_typeEPSM_NS1_7vsmem_tEENKUlT_SK_SL_SM_E_clIPiSE_SF_SF_EESJ_SZ_SK_SL_SM_EUlSZ_E_NS1_11comp_targetILNS1_3genE3ELNS1_11target_archE908ELNS1_3gpuE7ELNS1_3repE0EEENS1_48merge_mergepath_partition_config_static_selectorELNS0_4arch9wavefront6targetE1EEEvSL_
		.amdhsa_group_segment_fixed_size 0
		.amdhsa_private_segment_fixed_size 0
		.amdhsa_kernarg_size 40
		.amdhsa_user_sgpr_count 2
		.amdhsa_user_sgpr_dispatch_ptr 0
		.amdhsa_user_sgpr_queue_ptr 0
		.amdhsa_user_sgpr_kernarg_segment_ptr 1
		.amdhsa_user_sgpr_dispatch_id 0
		.amdhsa_user_sgpr_kernarg_preload_length 0
		.amdhsa_user_sgpr_kernarg_preload_offset 0
		.amdhsa_user_sgpr_private_segment_size 0
		.amdhsa_uses_dynamic_stack 0
		.amdhsa_enable_private_segment 0
		.amdhsa_system_sgpr_workgroup_id_x 1
		.amdhsa_system_sgpr_workgroup_id_y 0
		.amdhsa_system_sgpr_workgroup_id_z 0
		.amdhsa_system_sgpr_workgroup_info 0
		.amdhsa_system_vgpr_workitem_id 0
		.amdhsa_next_free_vgpr 1
		.amdhsa_next_free_sgpr 0
		.amdhsa_accum_offset 4
		.amdhsa_reserve_vcc 0
		.amdhsa_float_round_mode_32 0
		.amdhsa_float_round_mode_16_64 0
		.amdhsa_float_denorm_mode_32 3
		.amdhsa_float_denorm_mode_16_64 3
		.amdhsa_dx10_clamp 1
		.amdhsa_ieee_mode 1
		.amdhsa_fp16_overflow 0
		.amdhsa_tg_split 0
		.amdhsa_exception_fp_ieee_invalid_op 0
		.amdhsa_exception_fp_denorm_src 0
		.amdhsa_exception_fp_ieee_div_zero 0
		.amdhsa_exception_fp_ieee_overflow 0
		.amdhsa_exception_fp_ieee_underflow 0
		.amdhsa_exception_fp_ieee_inexact 0
		.amdhsa_exception_int_div_zero 0
	.end_amdhsa_kernel
	.section	.text._ZN7rocprim17ROCPRIM_400000_NS6detail17trampoline_kernelINS0_14default_configENS1_38merge_sort_block_merge_config_selectorIiNS0_10empty_typeEEEZZNS1_27merge_sort_block_merge_implIS3_N6thrust23THRUST_200600_302600_NS6detail15normal_iteratorINS9_10device_ptrIiEEEEPS5_jNS1_19radix_merge_compareILb1ELb1EiNS0_19identity_decomposerEEEEE10hipError_tT0_T1_T2_jT3_P12ihipStream_tbPNSt15iterator_traitsISK_E10value_typeEPNSQ_ISL_E10value_typeEPSM_NS1_7vsmem_tEENKUlT_SK_SL_SM_E_clIPiSE_SF_SF_EESJ_SZ_SK_SL_SM_EUlSZ_E_NS1_11comp_targetILNS1_3genE3ELNS1_11target_archE908ELNS1_3gpuE7ELNS1_3repE0EEENS1_48merge_mergepath_partition_config_static_selectorELNS0_4arch9wavefront6targetE1EEEvSL_,"axG",@progbits,_ZN7rocprim17ROCPRIM_400000_NS6detail17trampoline_kernelINS0_14default_configENS1_38merge_sort_block_merge_config_selectorIiNS0_10empty_typeEEEZZNS1_27merge_sort_block_merge_implIS3_N6thrust23THRUST_200600_302600_NS6detail15normal_iteratorINS9_10device_ptrIiEEEEPS5_jNS1_19radix_merge_compareILb1ELb1EiNS0_19identity_decomposerEEEEE10hipError_tT0_T1_T2_jT3_P12ihipStream_tbPNSt15iterator_traitsISK_E10value_typeEPNSQ_ISL_E10value_typeEPSM_NS1_7vsmem_tEENKUlT_SK_SL_SM_E_clIPiSE_SF_SF_EESJ_SZ_SK_SL_SM_EUlSZ_E_NS1_11comp_targetILNS1_3genE3ELNS1_11target_archE908ELNS1_3gpuE7ELNS1_3repE0EEENS1_48merge_mergepath_partition_config_static_selectorELNS0_4arch9wavefront6targetE1EEEvSL_,comdat
.Lfunc_end274:
	.size	_ZN7rocprim17ROCPRIM_400000_NS6detail17trampoline_kernelINS0_14default_configENS1_38merge_sort_block_merge_config_selectorIiNS0_10empty_typeEEEZZNS1_27merge_sort_block_merge_implIS3_N6thrust23THRUST_200600_302600_NS6detail15normal_iteratorINS9_10device_ptrIiEEEEPS5_jNS1_19radix_merge_compareILb1ELb1EiNS0_19identity_decomposerEEEEE10hipError_tT0_T1_T2_jT3_P12ihipStream_tbPNSt15iterator_traitsISK_E10value_typeEPNSQ_ISL_E10value_typeEPSM_NS1_7vsmem_tEENKUlT_SK_SL_SM_E_clIPiSE_SF_SF_EESJ_SZ_SK_SL_SM_EUlSZ_E_NS1_11comp_targetILNS1_3genE3ELNS1_11target_archE908ELNS1_3gpuE7ELNS1_3repE0EEENS1_48merge_mergepath_partition_config_static_selectorELNS0_4arch9wavefront6targetE1EEEvSL_, .Lfunc_end274-_ZN7rocprim17ROCPRIM_400000_NS6detail17trampoline_kernelINS0_14default_configENS1_38merge_sort_block_merge_config_selectorIiNS0_10empty_typeEEEZZNS1_27merge_sort_block_merge_implIS3_N6thrust23THRUST_200600_302600_NS6detail15normal_iteratorINS9_10device_ptrIiEEEEPS5_jNS1_19radix_merge_compareILb1ELb1EiNS0_19identity_decomposerEEEEE10hipError_tT0_T1_T2_jT3_P12ihipStream_tbPNSt15iterator_traitsISK_E10value_typeEPNSQ_ISL_E10value_typeEPSM_NS1_7vsmem_tEENKUlT_SK_SL_SM_E_clIPiSE_SF_SF_EESJ_SZ_SK_SL_SM_EUlSZ_E_NS1_11comp_targetILNS1_3genE3ELNS1_11target_archE908ELNS1_3gpuE7ELNS1_3repE0EEENS1_48merge_mergepath_partition_config_static_selectorELNS0_4arch9wavefront6targetE1EEEvSL_
                                        ; -- End function
	.set _ZN7rocprim17ROCPRIM_400000_NS6detail17trampoline_kernelINS0_14default_configENS1_38merge_sort_block_merge_config_selectorIiNS0_10empty_typeEEEZZNS1_27merge_sort_block_merge_implIS3_N6thrust23THRUST_200600_302600_NS6detail15normal_iteratorINS9_10device_ptrIiEEEEPS5_jNS1_19radix_merge_compareILb1ELb1EiNS0_19identity_decomposerEEEEE10hipError_tT0_T1_T2_jT3_P12ihipStream_tbPNSt15iterator_traitsISK_E10value_typeEPNSQ_ISL_E10value_typeEPSM_NS1_7vsmem_tEENKUlT_SK_SL_SM_E_clIPiSE_SF_SF_EESJ_SZ_SK_SL_SM_EUlSZ_E_NS1_11comp_targetILNS1_3genE3ELNS1_11target_archE908ELNS1_3gpuE7ELNS1_3repE0EEENS1_48merge_mergepath_partition_config_static_selectorELNS0_4arch9wavefront6targetE1EEEvSL_.num_vgpr, 0
	.set _ZN7rocprim17ROCPRIM_400000_NS6detail17trampoline_kernelINS0_14default_configENS1_38merge_sort_block_merge_config_selectorIiNS0_10empty_typeEEEZZNS1_27merge_sort_block_merge_implIS3_N6thrust23THRUST_200600_302600_NS6detail15normal_iteratorINS9_10device_ptrIiEEEEPS5_jNS1_19radix_merge_compareILb1ELb1EiNS0_19identity_decomposerEEEEE10hipError_tT0_T1_T2_jT3_P12ihipStream_tbPNSt15iterator_traitsISK_E10value_typeEPNSQ_ISL_E10value_typeEPSM_NS1_7vsmem_tEENKUlT_SK_SL_SM_E_clIPiSE_SF_SF_EESJ_SZ_SK_SL_SM_EUlSZ_E_NS1_11comp_targetILNS1_3genE3ELNS1_11target_archE908ELNS1_3gpuE7ELNS1_3repE0EEENS1_48merge_mergepath_partition_config_static_selectorELNS0_4arch9wavefront6targetE1EEEvSL_.num_agpr, 0
	.set _ZN7rocprim17ROCPRIM_400000_NS6detail17trampoline_kernelINS0_14default_configENS1_38merge_sort_block_merge_config_selectorIiNS0_10empty_typeEEEZZNS1_27merge_sort_block_merge_implIS3_N6thrust23THRUST_200600_302600_NS6detail15normal_iteratorINS9_10device_ptrIiEEEEPS5_jNS1_19radix_merge_compareILb1ELb1EiNS0_19identity_decomposerEEEEE10hipError_tT0_T1_T2_jT3_P12ihipStream_tbPNSt15iterator_traitsISK_E10value_typeEPNSQ_ISL_E10value_typeEPSM_NS1_7vsmem_tEENKUlT_SK_SL_SM_E_clIPiSE_SF_SF_EESJ_SZ_SK_SL_SM_EUlSZ_E_NS1_11comp_targetILNS1_3genE3ELNS1_11target_archE908ELNS1_3gpuE7ELNS1_3repE0EEENS1_48merge_mergepath_partition_config_static_selectorELNS0_4arch9wavefront6targetE1EEEvSL_.numbered_sgpr, 0
	.set _ZN7rocprim17ROCPRIM_400000_NS6detail17trampoline_kernelINS0_14default_configENS1_38merge_sort_block_merge_config_selectorIiNS0_10empty_typeEEEZZNS1_27merge_sort_block_merge_implIS3_N6thrust23THRUST_200600_302600_NS6detail15normal_iteratorINS9_10device_ptrIiEEEEPS5_jNS1_19radix_merge_compareILb1ELb1EiNS0_19identity_decomposerEEEEE10hipError_tT0_T1_T2_jT3_P12ihipStream_tbPNSt15iterator_traitsISK_E10value_typeEPNSQ_ISL_E10value_typeEPSM_NS1_7vsmem_tEENKUlT_SK_SL_SM_E_clIPiSE_SF_SF_EESJ_SZ_SK_SL_SM_EUlSZ_E_NS1_11comp_targetILNS1_3genE3ELNS1_11target_archE908ELNS1_3gpuE7ELNS1_3repE0EEENS1_48merge_mergepath_partition_config_static_selectorELNS0_4arch9wavefront6targetE1EEEvSL_.num_named_barrier, 0
	.set _ZN7rocprim17ROCPRIM_400000_NS6detail17trampoline_kernelINS0_14default_configENS1_38merge_sort_block_merge_config_selectorIiNS0_10empty_typeEEEZZNS1_27merge_sort_block_merge_implIS3_N6thrust23THRUST_200600_302600_NS6detail15normal_iteratorINS9_10device_ptrIiEEEEPS5_jNS1_19radix_merge_compareILb1ELb1EiNS0_19identity_decomposerEEEEE10hipError_tT0_T1_T2_jT3_P12ihipStream_tbPNSt15iterator_traitsISK_E10value_typeEPNSQ_ISL_E10value_typeEPSM_NS1_7vsmem_tEENKUlT_SK_SL_SM_E_clIPiSE_SF_SF_EESJ_SZ_SK_SL_SM_EUlSZ_E_NS1_11comp_targetILNS1_3genE3ELNS1_11target_archE908ELNS1_3gpuE7ELNS1_3repE0EEENS1_48merge_mergepath_partition_config_static_selectorELNS0_4arch9wavefront6targetE1EEEvSL_.private_seg_size, 0
	.set _ZN7rocprim17ROCPRIM_400000_NS6detail17trampoline_kernelINS0_14default_configENS1_38merge_sort_block_merge_config_selectorIiNS0_10empty_typeEEEZZNS1_27merge_sort_block_merge_implIS3_N6thrust23THRUST_200600_302600_NS6detail15normal_iteratorINS9_10device_ptrIiEEEEPS5_jNS1_19radix_merge_compareILb1ELb1EiNS0_19identity_decomposerEEEEE10hipError_tT0_T1_T2_jT3_P12ihipStream_tbPNSt15iterator_traitsISK_E10value_typeEPNSQ_ISL_E10value_typeEPSM_NS1_7vsmem_tEENKUlT_SK_SL_SM_E_clIPiSE_SF_SF_EESJ_SZ_SK_SL_SM_EUlSZ_E_NS1_11comp_targetILNS1_3genE3ELNS1_11target_archE908ELNS1_3gpuE7ELNS1_3repE0EEENS1_48merge_mergepath_partition_config_static_selectorELNS0_4arch9wavefront6targetE1EEEvSL_.uses_vcc, 0
	.set _ZN7rocprim17ROCPRIM_400000_NS6detail17trampoline_kernelINS0_14default_configENS1_38merge_sort_block_merge_config_selectorIiNS0_10empty_typeEEEZZNS1_27merge_sort_block_merge_implIS3_N6thrust23THRUST_200600_302600_NS6detail15normal_iteratorINS9_10device_ptrIiEEEEPS5_jNS1_19radix_merge_compareILb1ELb1EiNS0_19identity_decomposerEEEEE10hipError_tT0_T1_T2_jT3_P12ihipStream_tbPNSt15iterator_traitsISK_E10value_typeEPNSQ_ISL_E10value_typeEPSM_NS1_7vsmem_tEENKUlT_SK_SL_SM_E_clIPiSE_SF_SF_EESJ_SZ_SK_SL_SM_EUlSZ_E_NS1_11comp_targetILNS1_3genE3ELNS1_11target_archE908ELNS1_3gpuE7ELNS1_3repE0EEENS1_48merge_mergepath_partition_config_static_selectorELNS0_4arch9wavefront6targetE1EEEvSL_.uses_flat_scratch, 0
	.set _ZN7rocprim17ROCPRIM_400000_NS6detail17trampoline_kernelINS0_14default_configENS1_38merge_sort_block_merge_config_selectorIiNS0_10empty_typeEEEZZNS1_27merge_sort_block_merge_implIS3_N6thrust23THRUST_200600_302600_NS6detail15normal_iteratorINS9_10device_ptrIiEEEEPS5_jNS1_19radix_merge_compareILb1ELb1EiNS0_19identity_decomposerEEEEE10hipError_tT0_T1_T2_jT3_P12ihipStream_tbPNSt15iterator_traitsISK_E10value_typeEPNSQ_ISL_E10value_typeEPSM_NS1_7vsmem_tEENKUlT_SK_SL_SM_E_clIPiSE_SF_SF_EESJ_SZ_SK_SL_SM_EUlSZ_E_NS1_11comp_targetILNS1_3genE3ELNS1_11target_archE908ELNS1_3gpuE7ELNS1_3repE0EEENS1_48merge_mergepath_partition_config_static_selectorELNS0_4arch9wavefront6targetE1EEEvSL_.has_dyn_sized_stack, 0
	.set _ZN7rocprim17ROCPRIM_400000_NS6detail17trampoline_kernelINS0_14default_configENS1_38merge_sort_block_merge_config_selectorIiNS0_10empty_typeEEEZZNS1_27merge_sort_block_merge_implIS3_N6thrust23THRUST_200600_302600_NS6detail15normal_iteratorINS9_10device_ptrIiEEEEPS5_jNS1_19radix_merge_compareILb1ELb1EiNS0_19identity_decomposerEEEEE10hipError_tT0_T1_T2_jT3_P12ihipStream_tbPNSt15iterator_traitsISK_E10value_typeEPNSQ_ISL_E10value_typeEPSM_NS1_7vsmem_tEENKUlT_SK_SL_SM_E_clIPiSE_SF_SF_EESJ_SZ_SK_SL_SM_EUlSZ_E_NS1_11comp_targetILNS1_3genE3ELNS1_11target_archE908ELNS1_3gpuE7ELNS1_3repE0EEENS1_48merge_mergepath_partition_config_static_selectorELNS0_4arch9wavefront6targetE1EEEvSL_.has_recursion, 0
	.set _ZN7rocprim17ROCPRIM_400000_NS6detail17trampoline_kernelINS0_14default_configENS1_38merge_sort_block_merge_config_selectorIiNS0_10empty_typeEEEZZNS1_27merge_sort_block_merge_implIS3_N6thrust23THRUST_200600_302600_NS6detail15normal_iteratorINS9_10device_ptrIiEEEEPS5_jNS1_19radix_merge_compareILb1ELb1EiNS0_19identity_decomposerEEEEE10hipError_tT0_T1_T2_jT3_P12ihipStream_tbPNSt15iterator_traitsISK_E10value_typeEPNSQ_ISL_E10value_typeEPSM_NS1_7vsmem_tEENKUlT_SK_SL_SM_E_clIPiSE_SF_SF_EESJ_SZ_SK_SL_SM_EUlSZ_E_NS1_11comp_targetILNS1_3genE3ELNS1_11target_archE908ELNS1_3gpuE7ELNS1_3repE0EEENS1_48merge_mergepath_partition_config_static_selectorELNS0_4arch9wavefront6targetE1EEEvSL_.has_indirect_call, 0
	.section	.AMDGPU.csdata,"",@progbits
; Kernel info:
; codeLenInByte = 0
; TotalNumSgprs: 6
; NumVgprs: 0
; NumAgprs: 0
; TotalNumVgprs: 0
; ScratchSize: 0
; MemoryBound: 0
; FloatMode: 240
; IeeeMode: 1
; LDSByteSize: 0 bytes/workgroup (compile time only)
; SGPRBlocks: 0
; VGPRBlocks: 0
; NumSGPRsForWavesPerEU: 6
; NumVGPRsForWavesPerEU: 1
; AccumOffset: 4
; Occupancy: 8
; WaveLimiterHint : 0
; COMPUTE_PGM_RSRC2:SCRATCH_EN: 0
; COMPUTE_PGM_RSRC2:USER_SGPR: 2
; COMPUTE_PGM_RSRC2:TRAP_HANDLER: 0
; COMPUTE_PGM_RSRC2:TGID_X_EN: 1
; COMPUTE_PGM_RSRC2:TGID_Y_EN: 0
; COMPUTE_PGM_RSRC2:TGID_Z_EN: 0
; COMPUTE_PGM_RSRC2:TIDIG_COMP_CNT: 0
; COMPUTE_PGM_RSRC3_GFX90A:ACCUM_OFFSET: 0
; COMPUTE_PGM_RSRC3_GFX90A:TG_SPLIT: 0
	.section	.text._ZN7rocprim17ROCPRIM_400000_NS6detail17trampoline_kernelINS0_14default_configENS1_38merge_sort_block_merge_config_selectorIiNS0_10empty_typeEEEZZNS1_27merge_sort_block_merge_implIS3_N6thrust23THRUST_200600_302600_NS6detail15normal_iteratorINS9_10device_ptrIiEEEEPS5_jNS1_19radix_merge_compareILb1ELb1EiNS0_19identity_decomposerEEEEE10hipError_tT0_T1_T2_jT3_P12ihipStream_tbPNSt15iterator_traitsISK_E10value_typeEPNSQ_ISL_E10value_typeEPSM_NS1_7vsmem_tEENKUlT_SK_SL_SM_E_clIPiSE_SF_SF_EESJ_SZ_SK_SL_SM_EUlSZ_E_NS1_11comp_targetILNS1_3genE2ELNS1_11target_archE906ELNS1_3gpuE6ELNS1_3repE0EEENS1_48merge_mergepath_partition_config_static_selectorELNS0_4arch9wavefront6targetE1EEEvSL_,"axG",@progbits,_ZN7rocprim17ROCPRIM_400000_NS6detail17trampoline_kernelINS0_14default_configENS1_38merge_sort_block_merge_config_selectorIiNS0_10empty_typeEEEZZNS1_27merge_sort_block_merge_implIS3_N6thrust23THRUST_200600_302600_NS6detail15normal_iteratorINS9_10device_ptrIiEEEEPS5_jNS1_19radix_merge_compareILb1ELb1EiNS0_19identity_decomposerEEEEE10hipError_tT0_T1_T2_jT3_P12ihipStream_tbPNSt15iterator_traitsISK_E10value_typeEPNSQ_ISL_E10value_typeEPSM_NS1_7vsmem_tEENKUlT_SK_SL_SM_E_clIPiSE_SF_SF_EESJ_SZ_SK_SL_SM_EUlSZ_E_NS1_11comp_targetILNS1_3genE2ELNS1_11target_archE906ELNS1_3gpuE6ELNS1_3repE0EEENS1_48merge_mergepath_partition_config_static_selectorELNS0_4arch9wavefront6targetE1EEEvSL_,comdat
	.protected	_ZN7rocprim17ROCPRIM_400000_NS6detail17trampoline_kernelINS0_14default_configENS1_38merge_sort_block_merge_config_selectorIiNS0_10empty_typeEEEZZNS1_27merge_sort_block_merge_implIS3_N6thrust23THRUST_200600_302600_NS6detail15normal_iteratorINS9_10device_ptrIiEEEEPS5_jNS1_19radix_merge_compareILb1ELb1EiNS0_19identity_decomposerEEEEE10hipError_tT0_T1_T2_jT3_P12ihipStream_tbPNSt15iterator_traitsISK_E10value_typeEPNSQ_ISL_E10value_typeEPSM_NS1_7vsmem_tEENKUlT_SK_SL_SM_E_clIPiSE_SF_SF_EESJ_SZ_SK_SL_SM_EUlSZ_E_NS1_11comp_targetILNS1_3genE2ELNS1_11target_archE906ELNS1_3gpuE6ELNS1_3repE0EEENS1_48merge_mergepath_partition_config_static_selectorELNS0_4arch9wavefront6targetE1EEEvSL_ ; -- Begin function _ZN7rocprim17ROCPRIM_400000_NS6detail17trampoline_kernelINS0_14default_configENS1_38merge_sort_block_merge_config_selectorIiNS0_10empty_typeEEEZZNS1_27merge_sort_block_merge_implIS3_N6thrust23THRUST_200600_302600_NS6detail15normal_iteratorINS9_10device_ptrIiEEEEPS5_jNS1_19radix_merge_compareILb1ELb1EiNS0_19identity_decomposerEEEEE10hipError_tT0_T1_T2_jT3_P12ihipStream_tbPNSt15iterator_traitsISK_E10value_typeEPNSQ_ISL_E10value_typeEPSM_NS1_7vsmem_tEENKUlT_SK_SL_SM_E_clIPiSE_SF_SF_EESJ_SZ_SK_SL_SM_EUlSZ_E_NS1_11comp_targetILNS1_3genE2ELNS1_11target_archE906ELNS1_3gpuE6ELNS1_3repE0EEENS1_48merge_mergepath_partition_config_static_selectorELNS0_4arch9wavefront6targetE1EEEvSL_
	.globl	_ZN7rocprim17ROCPRIM_400000_NS6detail17trampoline_kernelINS0_14default_configENS1_38merge_sort_block_merge_config_selectorIiNS0_10empty_typeEEEZZNS1_27merge_sort_block_merge_implIS3_N6thrust23THRUST_200600_302600_NS6detail15normal_iteratorINS9_10device_ptrIiEEEEPS5_jNS1_19radix_merge_compareILb1ELb1EiNS0_19identity_decomposerEEEEE10hipError_tT0_T1_T2_jT3_P12ihipStream_tbPNSt15iterator_traitsISK_E10value_typeEPNSQ_ISL_E10value_typeEPSM_NS1_7vsmem_tEENKUlT_SK_SL_SM_E_clIPiSE_SF_SF_EESJ_SZ_SK_SL_SM_EUlSZ_E_NS1_11comp_targetILNS1_3genE2ELNS1_11target_archE906ELNS1_3gpuE6ELNS1_3repE0EEENS1_48merge_mergepath_partition_config_static_selectorELNS0_4arch9wavefront6targetE1EEEvSL_
	.p2align	8
	.type	_ZN7rocprim17ROCPRIM_400000_NS6detail17trampoline_kernelINS0_14default_configENS1_38merge_sort_block_merge_config_selectorIiNS0_10empty_typeEEEZZNS1_27merge_sort_block_merge_implIS3_N6thrust23THRUST_200600_302600_NS6detail15normal_iteratorINS9_10device_ptrIiEEEEPS5_jNS1_19radix_merge_compareILb1ELb1EiNS0_19identity_decomposerEEEEE10hipError_tT0_T1_T2_jT3_P12ihipStream_tbPNSt15iterator_traitsISK_E10value_typeEPNSQ_ISL_E10value_typeEPSM_NS1_7vsmem_tEENKUlT_SK_SL_SM_E_clIPiSE_SF_SF_EESJ_SZ_SK_SL_SM_EUlSZ_E_NS1_11comp_targetILNS1_3genE2ELNS1_11target_archE906ELNS1_3gpuE6ELNS1_3repE0EEENS1_48merge_mergepath_partition_config_static_selectorELNS0_4arch9wavefront6targetE1EEEvSL_,@function
_ZN7rocprim17ROCPRIM_400000_NS6detail17trampoline_kernelINS0_14default_configENS1_38merge_sort_block_merge_config_selectorIiNS0_10empty_typeEEEZZNS1_27merge_sort_block_merge_implIS3_N6thrust23THRUST_200600_302600_NS6detail15normal_iteratorINS9_10device_ptrIiEEEEPS5_jNS1_19radix_merge_compareILb1ELb1EiNS0_19identity_decomposerEEEEE10hipError_tT0_T1_T2_jT3_P12ihipStream_tbPNSt15iterator_traitsISK_E10value_typeEPNSQ_ISL_E10value_typeEPSM_NS1_7vsmem_tEENKUlT_SK_SL_SM_E_clIPiSE_SF_SF_EESJ_SZ_SK_SL_SM_EUlSZ_E_NS1_11comp_targetILNS1_3genE2ELNS1_11target_archE906ELNS1_3gpuE6ELNS1_3repE0EEENS1_48merge_mergepath_partition_config_static_selectorELNS0_4arch9wavefront6targetE1EEEvSL_: ; @_ZN7rocprim17ROCPRIM_400000_NS6detail17trampoline_kernelINS0_14default_configENS1_38merge_sort_block_merge_config_selectorIiNS0_10empty_typeEEEZZNS1_27merge_sort_block_merge_implIS3_N6thrust23THRUST_200600_302600_NS6detail15normal_iteratorINS9_10device_ptrIiEEEEPS5_jNS1_19radix_merge_compareILb1ELb1EiNS0_19identity_decomposerEEEEE10hipError_tT0_T1_T2_jT3_P12ihipStream_tbPNSt15iterator_traitsISK_E10value_typeEPNSQ_ISL_E10value_typeEPSM_NS1_7vsmem_tEENKUlT_SK_SL_SM_E_clIPiSE_SF_SF_EESJ_SZ_SK_SL_SM_EUlSZ_E_NS1_11comp_targetILNS1_3genE2ELNS1_11target_archE906ELNS1_3gpuE6ELNS1_3repE0EEENS1_48merge_mergepath_partition_config_static_selectorELNS0_4arch9wavefront6targetE1EEEvSL_
; %bb.0:
	.section	.rodata,"a",@progbits
	.p2align	6, 0x0
	.amdhsa_kernel _ZN7rocprim17ROCPRIM_400000_NS6detail17trampoline_kernelINS0_14default_configENS1_38merge_sort_block_merge_config_selectorIiNS0_10empty_typeEEEZZNS1_27merge_sort_block_merge_implIS3_N6thrust23THRUST_200600_302600_NS6detail15normal_iteratorINS9_10device_ptrIiEEEEPS5_jNS1_19radix_merge_compareILb1ELb1EiNS0_19identity_decomposerEEEEE10hipError_tT0_T1_T2_jT3_P12ihipStream_tbPNSt15iterator_traitsISK_E10value_typeEPNSQ_ISL_E10value_typeEPSM_NS1_7vsmem_tEENKUlT_SK_SL_SM_E_clIPiSE_SF_SF_EESJ_SZ_SK_SL_SM_EUlSZ_E_NS1_11comp_targetILNS1_3genE2ELNS1_11target_archE906ELNS1_3gpuE6ELNS1_3repE0EEENS1_48merge_mergepath_partition_config_static_selectorELNS0_4arch9wavefront6targetE1EEEvSL_
		.amdhsa_group_segment_fixed_size 0
		.amdhsa_private_segment_fixed_size 0
		.amdhsa_kernarg_size 40
		.amdhsa_user_sgpr_count 2
		.amdhsa_user_sgpr_dispatch_ptr 0
		.amdhsa_user_sgpr_queue_ptr 0
		.amdhsa_user_sgpr_kernarg_segment_ptr 1
		.amdhsa_user_sgpr_dispatch_id 0
		.amdhsa_user_sgpr_kernarg_preload_length 0
		.amdhsa_user_sgpr_kernarg_preload_offset 0
		.amdhsa_user_sgpr_private_segment_size 0
		.amdhsa_uses_dynamic_stack 0
		.amdhsa_enable_private_segment 0
		.amdhsa_system_sgpr_workgroup_id_x 1
		.amdhsa_system_sgpr_workgroup_id_y 0
		.amdhsa_system_sgpr_workgroup_id_z 0
		.amdhsa_system_sgpr_workgroup_info 0
		.amdhsa_system_vgpr_workitem_id 0
		.amdhsa_next_free_vgpr 1
		.amdhsa_next_free_sgpr 0
		.amdhsa_accum_offset 4
		.amdhsa_reserve_vcc 0
		.amdhsa_float_round_mode_32 0
		.amdhsa_float_round_mode_16_64 0
		.amdhsa_float_denorm_mode_32 3
		.amdhsa_float_denorm_mode_16_64 3
		.amdhsa_dx10_clamp 1
		.amdhsa_ieee_mode 1
		.amdhsa_fp16_overflow 0
		.amdhsa_tg_split 0
		.amdhsa_exception_fp_ieee_invalid_op 0
		.amdhsa_exception_fp_denorm_src 0
		.amdhsa_exception_fp_ieee_div_zero 0
		.amdhsa_exception_fp_ieee_overflow 0
		.amdhsa_exception_fp_ieee_underflow 0
		.amdhsa_exception_fp_ieee_inexact 0
		.amdhsa_exception_int_div_zero 0
	.end_amdhsa_kernel
	.section	.text._ZN7rocprim17ROCPRIM_400000_NS6detail17trampoline_kernelINS0_14default_configENS1_38merge_sort_block_merge_config_selectorIiNS0_10empty_typeEEEZZNS1_27merge_sort_block_merge_implIS3_N6thrust23THRUST_200600_302600_NS6detail15normal_iteratorINS9_10device_ptrIiEEEEPS5_jNS1_19radix_merge_compareILb1ELb1EiNS0_19identity_decomposerEEEEE10hipError_tT0_T1_T2_jT3_P12ihipStream_tbPNSt15iterator_traitsISK_E10value_typeEPNSQ_ISL_E10value_typeEPSM_NS1_7vsmem_tEENKUlT_SK_SL_SM_E_clIPiSE_SF_SF_EESJ_SZ_SK_SL_SM_EUlSZ_E_NS1_11comp_targetILNS1_3genE2ELNS1_11target_archE906ELNS1_3gpuE6ELNS1_3repE0EEENS1_48merge_mergepath_partition_config_static_selectorELNS0_4arch9wavefront6targetE1EEEvSL_,"axG",@progbits,_ZN7rocprim17ROCPRIM_400000_NS6detail17trampoline_kernelINS0_14default_configENS1_38merge_sort_block_merge_config_selectorIiNS0_10empty_typeEEEZZNS1_27merge_sort_block_merge_implIS3_N6thrust23THRUST_200600_302600_NS6detail15normal_iteratorINS9_10device_ptrIiEEEEPS5_jNS1_19radix_merge_compareILb1ELb1EiNS0_19identity_decomposerEEEEE10hipError_tT0_T1_T2_jT3_P12ihipStream_tbPNSt15iterator_traitsISK_E10value_typeEPNSQ_ISL_E10value_typeEPSM_NS1_7vsmem_tEENKUlT_SK_SL_SM_E_clIPiSE_SF_SF_EESJ_SZ_SK_SL_SM_EUlSZ_E_NS1_11comp_targetILNS1_3genE2ELNS1_11target_archE906ELNS1_3gpuE6ELNS1_3repE0EEENS1_48merge_mergepath_partition_config_static_selectorELNS0_4arch9wavefront6targetE1EEEvSL_,comdat
.Lfunc_end275:
	.size	_ZN7rocprim17ROCPRIM_400000_NS6detail17trampoline_kernelINS0_14default_configENS1_38merge_sort_block_merge_config_selectorIiNS0_10empty_typeEEEZZNS1_27merge_sort_block_merge_implIS3_N6thrust23THRUST_200600_302600_NS6detail15normal_iteratorINS9_10device_ptrIiEEEEPS5_jNS1_19radix_merge_compareILb1ELb1EiNS0_19identity_decomposerEEEEE10hipError_tT0_T1_T2_jT3_P12ihipStream_tbPNSt15iterator_traitsISK_E10value_typeEPNSQ_ISL_E10value_typeEPSM_NS1_7vsmem_tEENKUlT_SK_SL_SM_E_clIPiSE_SF_SF_EESJ_SZ_SK_SL_SM_EUlSZ_E_NS1_11comp_targetILNS1_3genE2ELNS1_11target_archE906ELNS1_3gpuE6ELNS1_3repE0EEENS1_48merge_mergepath_partition_config_static_selectorELNS0_4arch9wavefront6targetE1EEEvSL_, .Lfunc_end275-_ZN7rocprim17ROCPRIM_400000_NS6detail17trampoline_kernelINS0_14default_configENS1_38merge_sort_block_merge_config_selectorIiNS0_10empty_typeEEEZZNS1_27merge_sort_block_merge_implIS3_N6thrust23THRUST_200600_302600_NS6detail15normal_iteratorINS9_10device_ptrIiEEEEPS5_jNS1_19radix_merge_compareILb1ELb1EiNS0_19identity_decomposerEEEEE10hipError_tT0_T1_T2_jT3_P12ihipStream_tbPNSt15iterator_traitsISK_E10value_typeEPNSQ_ISL_E10value_typeEPSM_NS1_7vsmem_tEENKUlT_SK_SL_SM_E_clIPiSE_SF_SF_EESJ_SZ_SK_SL_SM_EUlSZ_E_NS1_11comp_targetILNS1_3genE2ELNS1_11target_archE906ELNS1_3gpuE6ELNS1_3repE0EEENS1_48merge_mergepath_partition_config_static_selectorELNS0_4arch9wavefront6targetE1EEEvSL_
                                        ; -- End function
	.set _ZN7rocprim17ROCPRIM_400000_NS6detail17trampoline_kernelINS0_14default_configENS1_38merge_sort_block_merge_config_selectorIiNS0_10empty_typeEEEZZNS1_27merge_sort_block_merge_implIS3_N6thrust23THRUST_200600_302600_NS6detail15normal_iteratorINS9_10device_ptrIiEEEEPS5_jNS1_19radix_merge_compareILb1ELb1EiNS0_19identity_decomposerEEEEE10hipError_tT0_T1_T2_jT3_P12ihipStream_tbPNSt15iterator_traitsISK_E10value_typeEPNSQ_ISL_E10value_typeEPSM_NS1_7vsmem_tEENKUlT_SK_SL_SM_E_clIPiSE_SF_SF_EESJ_SZ_SK_SL_SM_EUlSZ_E_NS1_11comp_targetILNS1_3genE2ELNS1_11target_archE906ELNS1_3gpuE6ELNS1_3repE0EEENS1_48merge_mergepath_partition_config_static_selectorELNS0_4arch9wavefront6targetE1EEEvSL_.num_vgpr, 0
	.set _ZN7rocprim17ROCPRIM_400000_NS6detail17trampoline_kernelINS0_14default_configENS1_38merge_sort_block_merge_config_selectorIiNS0_10empty_typeEEEZZNS1_27merge_sort_block_merge_implIS3_N6thrust23THRUST_200600_302600_NS6detail15normal_iteratorINS9_10device_ptrIiEEEEPS5_jNS1_19radix_merge_compareILb1ELb1EiNS0_19identity_decomposerEEEEE10hipError_tT0_T1_T2_jT3_P12ihipStream_tbPNSt15iterator_traitsISK_E10value_typeEPNSQ_ISL_E10value_typeEPSM_NS1_7vsmem_tEENKUlT_SK_SL_SM_E_clIPiSE_SF_SF_EESJ_SZ_SK_SL_SM_EUlSZ_E_NS1_11comp_targetILNS1_3genE2ELNS1_11target_archE906ELNS1_3gpuE6ELNS1_3repE0EEENS1_48merge_mergepath_partition_config_static_selectorELNS0_4arch9wavefront6targetE1EEEvSL_.num_agpr, 0
	.set _ZN7rocprim17ROCPRIM_400000_NS6detail17trampoline_kernelINS0_14default_configENS1_38merge_sort_block_merge_config_selectorIiNS0_10empty_typeEEEZZNS1_27merge_sort_block_merge_implIS3_N6thrust23THRUST_200600_302600_NS6detail15normal_iteratorINS9_10device_ptrIiEEEEPS5_jNS1_19radix_merge_compareILb1ELb1EiNS0_19identity_decomposerEEEEE10hipError_tT0_T1_T2_jT3_P12ihipStream_tbPNSt15iterator_traitsISK_E10value_typeEPNSQ_ISL_E10value_typeEPSM_NS1_7vsmem_tEENKUlT_SK_SL_SM_E_clIPiSE_SF_SF_EESJ_SZ_SK_SL_SM_EUlSZ_E_NS1_11comp_targetILNS1_3genE2ELNS1_11target_archE906ELNS1_3gpuE6ELNS1_3repE0EEENS1_48merge_mergepath_partition_config_static_selectorELNS0_4arch9wavefront6targetE1EEEvSL_.numbered_sgpr, 0
	.set _ZN7rocprim17ROCPRIM_400000_NS6detail17trampoline_kernelINS0_14default_configENS1_38merge_sort_block_merge_config_selectorIiNS0_10empty_typeEEEZZNS1_27merge_sort_block_merge_implIS3_N6thrust23THRUST_200600_302600_NS6detail15normal_iteratorINS9_10device_ptrIiEEEEPS5_jNS1_19radix_merge_compareILb1ELb1EiNS0_19identity_decomposerEEEEE10hipError_tT0_T1_T2_jT3_P12ihipStream_tbPNSt15iterator_traitsISK_E10value_typeEPNSQ_ISL_E10value_typeEPSM_NS1_7vsmem_tEENKUlT_SK_SL_SM_E_clIPiSE_SF_SF_EESJ_SZ_SK_SL_SM_EUlSZ_E_NS1_11comp_targetILNS1_3genE2ELNS1_11target_archE906ELNS1_3gpuE6ELNS1_3repE0EEENS1_48merge_mergepath_partition_config_static_selectorELNS0_4arch9wavefront6targetE1EEEvSL_.num_named_barrier, 0
	.set _ZN7rocprim17ROCPRIM_400000_NS6detail17trampoline_kernelINS0_14default_configENS1_38merge_sort_block_merge_config_selectorIiNS0_10empty_typeEEEZZNS1_27merge_sort_block_merge_implIS3_N6thrust23THRUST_200600_302600_NS6detail15normal_iteratorINS9_10device_ptrIiEEEEPS5_jNS1_19radix_merge_compareILb1ELb1EiNS0_19identity_decomposerEEEEE10hipError_tT0_T1_T2_jT3_P12ihipStream_tbPNSt15iterator_traitsISK_E10value_typeEPNSQ_ISL_E10value_typeEPSM_NS1_7vsmem_tEENKUlT_SK_SL_SM_E_clIPiSE_SF_SF_EESJ_SZ_SK_SL_SM_EUlSZ_E_NS1_11comp_targetILNS1_3genE2ELNS1_11target_archE906ELNS1_3gpuE6ELNS1_3repE0EEENS1_48merge_mergepath_partition_config_static_selectorELNS0_4arch9wavefront6targetE1EEEvSL_.private_seg_size, 0
	.set _ZN7rocprim17ROCPRIM_400000_NS6detail17trampoline_kernelINS0_14default_configENS1_38merge_sort_block_merge_config_selectorIiNS0_10empty_typeEEEZZNS1_27merge_sort_block_merge_implIS3_N6thrust23THRUST_200600_302600_NS6detail15normal_iteratorINS9_10device_ptrIiEEEEPS5_jNS1_19radix_merge_compareILb1ELb1EiNS0_19identity_decomposerEEEEE10hipError_tT0_T1_T2_jT3_P12ihipStream_tbPNSt15iterator_traitsISK_E10value_typeEPNSQ_ISL_E10value_typeEPSM_NS1_7vsmem_tEENKUlT_SK_SL_SM_E_clIPiSE_SF_SF_EESJ_SZ_SK_SL_SM_EUlSZ_E_NS1_11comp_targetILNS1_3genE2ELNS1_11target_archE906ELNS1_3gpuE6ELNS1_3repE0EEENS1_48merge_mergepath_partition_config_static_selectorELNS0_4arch9wavefront6targetE1EEEvSL_.uses_vcc, 0
	.set _ZN7rocprim17ROCPRIM_400000_NS6detail17trampoline_kernelINS0_14default_configENS1_38merge_sort_block_merge_config_selectorIiNS0_10empty_typeEEEZZNS1_27merge_sort_block_merge_implIS3_N6thrust23THRUST_200600_302600_NS6detail15normal_iteratorINS9_10device_ptrIiEEEEPS5_jNS1_19radix_merge_compareILb1ELb1EiNS0_19identity_decomposerEEEEE10hipError_tT0_T1_T2_jT3_P12ihipStream_tbPNSt15iterator_traitsISK_E10value_typeEPNSQ_ISL_E10value_typeEPSM_NS1_7vsmem_tEENKUlT_SK_SL_SM_E_clIPiSE_SF_SF_EESJ_SZ_SK_SL_SM_EUlSZ_E_NS1_11comp_targetILNS1_3genE2ELNS1_11target_archE906ELNS1_3gpuE6ELNS1_3repE0EEENS1_48merge_mergepath_partition_config_static_selectorELNS0_4arch9wavefront6targetE1EEEvSL_.uses_flat_scratch, 0
	.set _ZN7rocprim17ROCPRIM_400000_NS6detail17trampoline_kernelINS0_14default_configENS1_38merge_sort_block_merge_config_selectorIiNS0_10empty_typeEEEZZNS1_27merge_sort_block_merge_implIS3_N6thrust23THRUST_200600_302600_NS6detail15normal_iteratorINS9_10device_ptrIiEEEEPS5_jNS1_19radix_merge_compareILb1ELb1EiNS0_19identity_decomposerEEEEE10hipError_tT0_T1_T2_jT3_P12ihipStream_tbPNSt15iterator_traitsISK_E10value_typeEPNSQ_ISL_E10value_typeEPSM_NS1_7vsmem_tEENKUlT_SK_SL_SM_E_clIPiSE_SF_SF_EESJ_SZ_SK_SL_SM_EUlSZ_E_NS1_11comp_targetILNS1_3genE2ELNS1_11target_archE906ELNS1_3gpuE6ELNS1_3repE0EEENS1_48merge_mergepath_partition_config_static_selectorELNS0_4arch9wavefront6targetE1EEEvSL_.has_dyn_sized_stack, 0
	.set _ZN7rocprim17ROCPRIM_400000_NS6detail17trampoline_kernelINS0_14default_configENS1_38merge_sort_block_merge_config_selectorIiNS0_10empty_typeEEEZZNS1_27merge_sort_block_merge_implIS3_N6thrust23THRUST_200600_302600_NS6detail15normal_iteratorINS9_10device_ptrIiEEEEPS5_jNS1_19radix_merge_compareILb1ELb1EiNS0_19identity_decomposerEEEEE10hipError_tT0_T1_T2_jT3_P12ihipStream_tbPNSt15iterator_traitsISK_E10value_typeEPNSQ_ISL_E10value_typeEPSM_NS1_7vsmem_tEENKUlT_SK_SL_SM_E_clIPiSE_SF_SF_EESJ_SZ_SK_SL_SM_EUlSZ_E_NS1_11comp_targetILNS1_3genE2ELNS1_11target_archE906ELNS1_3gpuE6ELNS1_3repE0EEENS1_48merge_mergepath_partition_config_static_selectorELNS0_4arch9wavefront6targetE1EEEvSL_.has_recursion, 0
	.set _ZN7rocprim17ROCPRIM_400000_NS6detail17trampoline_kernelINS0_14default_configENS1_38merge_sort_block_merge_config_selectorIiNS0_10empty_typeEEEZZNS1_27merge_sort_block_merge_implIS3_N6thrust23THRUST_200600_302600_NS6detail15normal_iteratorINS9_10device_ptrIiEEEEPS5_jNS1_19radix_merge_compareILb1ELb1EiNS0_19identity_decomposerEEEEE10hipError_tT0_T1_T2_jT3_P12ihipStream_tbPNSt15iterator_traitsISK_E10value_typeEPNSQ_ISL_E10value_typeEPSM_NS1_7vsmem_tEENKUlT_SK_SL_SM_E_clIPiSE_SF_SF_EESJ_SZ_SK_SL_SM_EUlSZ_E_NS1_11comp_targetILNS1_3genE2ELNS1_11target_archE906ELNS1_3gpuE6ELNS1_3repE0EEENS1_48merge_mergepath_partition_config_static_selectorELNS0_4arch9wavefront6targetE1EEEvSL_.has_indirect_call, 0
	.section	.AMDGPU.csdata,"",@progbits
; Kernel info:
; codeLenInByte = 0
; TotalNumSgprs: 6
; NumVgprs: 0
; NumAgprs: 0
; TotalNumVgprs: 0
; ScratchSize: 0
; MemoryBound: 0
; FloatMode: 240
; IeeeMode: 1
; LDSByteSize: 0 bytes/workgroup (compile time only)
; SGPRBlocks: 0
; VGPRBlocks: 0
; NumSGPRsForWavesPerEU: 6
; NumVGPRsForWavesPerEU: 1
; AccumOffset: 4
; Occupancy: 8
; WaveLimiterHint : 0
; COMPUTE_PGM_RSRC2:SCRATCH_EN: 0
; COMPUTE_PGM_RSRC2:USER_SGPR: 2
; COMPUTE_PGM_RSRC2:TRAP_HANDLER: 0
; COMPUTE_PGM_RSRC2:TGID_X_EN: 1
; COMPUTE_PGM_RSRC2:TGID_Y_EN: 0
; COMPUTE_PGM_RSRC2:TGID_Z_EN: 0
; COMPUTE_PGM_RSRC2:TIDIG_COMP_CNT: 0
; COMPUTE_PGM_RSRC3_GFX90A:ACCUM_OFFSET: 0
; COMPUTE_PGM_RSRC3_GFX90A:TG_SPLIT: 0
	.section	.text._ZN7rocprim17ROCPRIM_400000_NS6detail17trampoline_kernelINS0_14default_configENS1_38merge_sort_block_merge_config_selectorIiNS0_10empty_typeEEEZZNS1_27merge_sort_block_merge_implIS3_N6thrust23THRUST_200600_302600_NS6detail15normal_iteratorINS9_10device_ptrIiEEEEPS5_jNS1_19radix_merge_compareILb1ELb1EiNS0_19identity_decomposerEEEEE10hipError_tT0_T1_T2_jT3_P12ihipStream_tbPNSt15iterator_traitsISK_E10value_typeEPNSQ_ISL_E10value_typeEPSM_NS1_7vsmem_tEENKUlT_SK_SL_SM_E_clIPiSE_SF_SF_EESJ_SZ_SK_SL_SM_EUlSZ_E_NS1_11comp_targetILNS1_3genE9ELNS1_11target_archE1100ELNS1_3gpuE3ELNS1_3repE0EEENS1_48merge_mergepath_partition_config_static_selectorELNS0_4arch9wavefront6targetE1EEEvSL_,"axG",@progbits,_ZN7rocprim17ROCPRIM_400000_NS6detail17trampoline_kernelINS0_14default_configENS1_38merge_sort_block_merge_config_selectorIiNS0_10empty_typeEEEZZNS1_27merge_sort_block_merge_implIS3_N6thrust23THRUST_200600_302600_NS6detail15normal_iteratorINS9_10device_ptrIiEEEEPS5_jNS1_19radix_merge_compareILb1ELb1EiNS0_19identity_decomposerEEEEE10hipError_tT0_T1_T2_jT3_P12ihipStream_tbPNSt15iterator_traitsISK_E10value_typeEPNSQ_ISL_E10value_typeEPSM_NS1_7vsmem_tEENKUlT_SK_SL_SM_E_clIPiSE_SF_SF_EESJ_SZ_SK_SL_SM_EUlSZ_E_NS1_11comp_targetILNS1_3genE9ELNS1_11target_archE1100ELNS1_3gpuE3ELNS1_3repE0EEENS1_48merge_mergepath_partition_config_static_selectorELNS0_4arch9wavefront6targetE1EEEvSL_,comdat
	.protected	_ZN7rocprim17ROCPRIM_400000_NS6detail17trampoline_kernelINS0_14default_configENS1_38merge_sort_block_merge_config_selectorIiNS0_10empty_typeEEEZZNS1_27merge_sort_block_merge_implIS3_N6thrust23THRUST_200600_302600_NS6detail15normal_iteratorINS9_10device_ptrIiEEEEPS5_jNS1_19radix_merge_compareILb1ELb1EiNS0_19identity_decomposerEEEEE10hipError_tT0_T1_T2_jT3_P12ihipStream_tbPNSt15iterator_traitsISK_E10value_typeEPNSQ_ISL_E10value_typeEPSM_NS1_7vsmem_tEENKUlT_SK_SL_SM_E_clIPiSE_SF_SF_EESJ_SZ_SK_SL_SM_EUlSZ_E_NS1_11comp_targetILNS1_3genE9ELNS1_11target_archE1100ELNS1_3gpuE3ELNS1_3repE0EEENS1_48merge_mergepath_partition_config_static_selectorELNS0_4arch9wavefront6targetE1EEEvSL_ ; -- Begin function _ZN7rocprim17ROCPRIM_400000_NS6detail17trampoline_kernelINS0_14default_configENS1_38merge_sort_block_merge_config_selectorIiNS0_10empty_typeEEEZZNS1_27merge_sort_block_merge_implIS3_N6thrust23THRUST_200600_302600_NS6detail15normal_iteratorINS9_10device_ptrIiEEEEPS5_jNS1_19radix_merge_compareILb1ELb1EiNS0_19identity_decomposerEEEEE10hipError_tT0_T1_T2_jT3_P12ihipStream_tbPNSt15iterator_traitsISK_E10value_typeEPNSQ_ISL_E10value_typeEPSM_NS1_7vsmem_tEENKUlT_SK_SL_SM_E_clIPiSE_SF_SF_EESJ_SZ_SK_SL_SM_EUlSZ_E_NS1_11comp_targetILNS1_3genE9ELNS1_11target_archE1100ELNS1_3gpuE3ELNS1_3repE0EEENS1_48merge_mergepath_partition_config_static_selectorELNS0_4arch9wavefront6targetE1EEEvSL_
	.globl	_ZN7rocprim17ROCPRIM_400000_NS6detail17trampoline_kernelINS0_14default_configENS1_38merge_sort_block_merge_config_selectorIiNS0_10empty_typeEEEZZNS1_27merge_sort_block_merge_implIS3_N6thrust23THRUST_200600_302600_NS6detail15normal_iteratorINS9_10device_ptrIiEEEEPS5_jNS1_19radix_merge_compareILb1ELb1EiNS0_19identity_decomposerEEEEE10hipError_tT0_T1_T2_jT3_P12ihipStream_tbPNSt15iterator_traitsISK_E10value_typeEPNSQ_ISL_E10value_typeEPSM_NS1_7vsmem_tEENKUlT_SK_SL_SM_E_clIPiSE_SF_SF_EESJ_SZ_SK_SL_SM_EUlSZ_E_NS1_11comp_targetILNS1_3genE9ELNS1_11target_archE1100ELNS1_3gpuE3ELNS1_3repE0EEENS1_48merge_mergepath_partition_config_static_selectorELNS0_4arch9wavefront6targetE1EEEvSL_
	.p2align	8
	.type	_ZN7rocprim17ROCPRIM_400000_NS6detail17trampoline_kernelINS0_14default_configENS1_38merge_sort_block_merge_config_selectorIiNS0_10empty_typeEEEZZNS1_27merge_sort_block_merge_implIS3_N6thrust23THRUST_200600_302600_NS6detail15normal_iteratorINS9_10device_ptrIiEEEEPS5_jNS1_19radix_merge_compareILb1ELb1EiNS0_19identity_decomposerEEEEE10hipError_tT0_T1_T2_jT3_P12ihipStream_tbPNSt15iterator_traitsISK_E10value_typeEPNSQ_ISL_E10value_typeEPSM_NS1_7vsmem_tEENKUlT_SK_SL_SM_E_clIPiSE_SF_SF_EESJ_SZ_SK_SL_SM_EUlSZ_E_NS1_11comp_targetILNS1_3genE9ELNS1_11target_archE1100ELNS1_3gpuE3ELNS1_3repE0EEENS1_48merge_mergepath_partition_config_static_selectorELNS0_4arch9wavefront6targetE1EEEvSL_,@function
_ZN7rocprim17ROCPRIM_400000_NS6detail17trampoline_kernelINS0_14default_configENS1_38merge_sort_block_merge_config_selectorIiNS0_10empty_typeEEEZZNS1_27merge_sort_block_merge_implIS3_N6thrust23THRUST_200600_302600_NS6detail15normal_iteratorINS9_10device_ptrIiEEEEPS5_jNS1_19radix_merge_compareILb1ELb1EiNS0_19identity_decomposerEEEEE10hipError_tT0_T1_T2_jT3_P12ihipStream_tbPNSt15iterator_traitsISK_E10value_typeEPNSQ_ISL_E10value_typeEPSM_NS1_7vsmem_tEENKUlT_SK_SL_SM_E_clIPiSE_SF_SF_EESJ_SZ_SK_SL_SM_EUlSZ_E_NS1_11comp_targetILNS1_3genE9ELNS1_11target_archE1100ELNS1_3gpuE3ELNS1_3repE0EEENS1_48merge_mergepath_partition_config_static_selectorELNS0_4arch9wavefront6targetE1EEEvSL_: ; @_ZN7rocprim17ROCPRIM_400000_NS6detail17trampoline_kernelINS0_14default_configENS1_38merge_sort_block_merge_config_selectorIiNS0_10empty_typeEEEZZNS1_27merge_sort_block_merge_implIS3_N6thrust23THRUST_200600_302600_NS6detail15normal_iteratorINS9_10device_ptrIiEEEEPS5_jNS1_19radix_merge_compareILb1ELb1EiNS0_19identity_decomposerEEEEE10hipError_tT0_T1_T2_jT3_P12ihipStream_tbPNSt15iterator_traitsISK_E10value_typeEPNSQ_ISL_E10value_typeEPSM_NS1_7vsmem_tEENKUlT_SK_SL_SM_E_clIPiSE_SF_SF_EESJ_SZ_SK_SL_SM_EUlSZ_E_NS1_11comp_targetILNS1_3genE9ELNS1_11target_archE1100ELNS1_3gpuE3ELNS1_3repE0EEENS1_48merge_mergepath_partition_config_static_selectorELNS0_4arch9wavefront6targetE1EEEvSL_
; %bb.0:
	.section	.rodata,"a",@progbits
	.p2align	6, 0x0
	.amdhsa_kernel _ZN7rocprim17ROCPRIM_400000_NS6detail17trampoline_kernelINS0_14default_configENS1_38merge_sort_block_merge_config_selectorIiNS0_10empty_typeEEEZZNS1_27merge_sort_block_merge_implIS3_N6thrust23THRUST_200600_302600_NS6detail15normal_iteratorINS9_10device_ptrIiEEEEPS5_jNS1_19radix_merge_compareILb1ELb1EiNS0_19identity_decomposerEEEEE10hipError_tT0_T1_T2_jT3_P12ihipStream_tbPNSt15iterator_traitsISK_E10value_typeEPNSQ_ISL_E10value_typeEPSM_NS1_7vsmem_tEENKUlT_SK_SL_SM_E_clIPiSE_SF_SF_EESJ_SZ_SK_SL_SM_EUlSZ_E_NS1_11comp_targetILNS1_3genE9ELNS1_11target_archE1100ELNS1_3gpuE3ELNS1_3repE0EEENS1_48merge_mergepath_partition_config_static_selectorELNS0_4arch9wavefront6targetE1EEEvSL_
		.amdhsa_group_segment_fixed_size 0
		.amdhsa_private_segment_fixed_size 0
		.amdhsa_kernarg_size 40
		.amdhsa_user_sgpr_count 2
		.amdhsa_user_sgpr_dispatch_ptr 0
		.amdhsa_user_sgpr_queue_ptr 0
		.amdhsa_user_sgpr_kernarg_segment_ptr 1
		.amdhsa_user_sgpr_dispatch_id 0
		.amdhsa_user_sgpr_kernarg_preload_length 0
		.amdhsa_user_sgpr_kernarg_preload_offset 0
		.amdhsa_user_sgpr_private_segment_size 0
		.amdhsa_uses_dynamic_stack 0
		.amdhsa_enable_private_segment 0
		.amdhsa_system_sgpr_workgroup_id_x 1
		.amdhsa_system_sgpr_workgroup_id_y 0
		.amdhsa_system_sgpr_workgroup_id_z 0
		.amdhsa_system_sgpr_workgroup_info 0
		.amdhsa_system_vgpr_workitem_id 0
		.amdhsa_next_free_vgpr 1
		.amdhsa_next_free_sgpr 0
		.amdhsa_accum_offset 4
		.amdhsa_reserve_vcc 0
		.amdhsa_float_round_mode_32 0
		.amdhsa_float_round_mode_16_64 0
		.amdhsa_float_denorm_mode_32 3
		.amdhsa_float_denorm_mode_16_64 3
		.amdhsa_dx10_clamp 1
		.amdhsa_ieee_mode 1
		.amdhsa_fp16_overflow 0
		.amdhsa_tg_split 0
		.amdhsa_exception_fp_ieee_invalid_op 0
		.amdhsa_exception_fp_denorm_src 0
		.amdhsa_exception_fp_ieee_div_zero 0
		.amdhsa_exception_fp_ieee_overflow 0
		.amdhsa_exception_fp_ieee_underflow 0
		.amdhsa_exception_fp_ieee_inexact 0
		.amdhsa_exception_int_div_zero 0
	.end_amdhsa_kernel
	.section	.text._ZN7rocprim17ROCPRIM_400000_NS6detail17trampoline_kernelINS0_14default_configENS1_38merge_sort_block_merge_config_selectorIiNS0_10empty_typeEEEZZNS1_27merge_sort_block_merge_implIS3_N6thrust23THRUST_200600_302600_NS6detail15normal_iteratorINS9_10device_ptrIiEEEEPS5_jNS1_19radix_merge_compareILb1ELb1EiNS0_19identity_decomposerEEEEE10hipError_tT0_T1_T2_jT3_P12ihipStream_tbPNSt15iterator_traitsISK_E10value_typeEPNSQ_ISL_E10value_typeEPSM_NS1_7vsmem_tEENKUlT_SK_SL_SM_E_clIPiSE_SF_SF_EESJ_SZ_SK_SL_SM_EUlSZ_E_NS1_11comp_targetILNS1_3genE9ELNS1_11target_archE1100ELNS1_3gpuE3ELNS1_3repE0EEENS1_48merge_mergepath_partition_config_static_selectorELNS0_4arch9wavefront6targetE1EEEvSL_,"axG",@progbits,_ZN7rocprim17ROCPRIM_400000_NS6detail17trampoline_kernelINS0_14default_configENS1_38merge_sort_block_merge_config_selectorIiNS0_10empty_typeEEEZZNS1_27merge_sort_block_merge_implIS3_N6thrust23THRUST_200600_302600_NS6detail15normal_iteratorINS9_10device_ptrIiEEEEPS5_jNS1_19radix_merge_compareILb1ELb1EiNS0_19identity_decomposerEEEEE10hipError_tT0_T1_T2_jT3_P12ihipStream_tbPNSt15iterator_traitsISK_E10value_typeEPNSQ_ISL_E10value_typeEPSM_NS1_7vsmem_tEENKUlT_SK_SL_SM_E_clIPiSE_SF_SF_EESJ_SZ_SK_SL_SM_EUlSZ_E_NS1_11comp_targetILNS1_3genE9ELNS1_11target_archE1100ELNS1_3gpuE3ELNS1_3repE0EEENS1_48merge_mergepath_partition_config_static_selectorELNS0_4arch9wavefront6targetE1EEEvSL_,comdat
.Lfunc_end276:
	.size	_ZN7rocprim17ROCPRIM_400000_NS6detail17trampoline_kernelINS0_14default_configENS1_38merge_sort_block_merge_config_selectorIiNS0_10empty_typeEEEZZNS1_27merge_sort_block_merge_implIS3_N6thrust23THRUST_200600_302600_NS6detail15normal_iteratorINS9_10device_ptrIiEEEEPS5_jNS1_19radix_merge_compareILb1ELb1EiNS0_19identity_decomposerEEEEE10hipError_tT0_T1_T2_jT3_P12ihipStream_tbPNSt15iterator_traitsISK_E10value_typeEPNSQ_ISL_E10value_typeEPSM_NS1_7vsmem_tEENKUlT_SK_SL_SM_E_clIPiSE_SF_SF_EESJ_SZ_SK_SL_SM_EUlSZ_E_NS1_11comp_targetILNS1_3genE9ELNS1_11target_archE1100ELNS1_3gpuE3ELNS1_3repE0EEENS1_48merge_mergepath_partition_config_static_selectorELNS0_4arch9wavefront6targetE1EEEvSL_, .Lfunc_end276-_ZN7rocprim17ROCPRIM_400000_NS6detail17trampoline_kernelINS0_14default_configENS1_38merge_sort_block_merge_config_selectorIiNS0_10empty_typeEEEZZNS1_27merge_sort_block_merge_implIS3_N6thrust23THRUST_200600_302600_NS6detail15normal_iteratorINS9_10device_ptrIiEEEEPS5_jNS1_19radix_merge_compareILb1ELb1EiNS0_19identity_decomposerEEEEE10hipError_tT0_T1_T2_jT3_P12ihipStream_tbPNSt15iterator_traitsISK_E10value_typeEPNSQ_ISL_E10value_typeEPSM_NS1_7vsmem_tEENKUlT_SK_SL_SM_E_clIPiSE_SF_SF_EESJ_SZ_SK_SL_SM_EUlSZ_E_NS1_11comp_targetILNS1_3genE9ELNS1_11target_archE1100ELNS1_3gpuE3ELNS1_3repE0EEENS1_48merge_mergepath_partition_config_static_selectorELNS0_4arch9wavefront6targetE1EEEvSL_
                                        ; -- End function
	.set _ZN7rocprim17ROCPRIM_400000_NS6detail17trampoline_kernelINS0_14default_configENS1_38merge_sort_block_merge_config_selectorIiNS0_10empty_typeEEEZZNS1_27merge_sort_block_merge_implIS3_N6thrust23THRUST_200600_302600_NS6detail15normal_iteratorINS9_10device_ptrIiEEEEPS5_jNS1_19radix_merge_compareILb1ELb1EiNS0_19identity_decomposerEEEEE10hipError_tT0_T1_T2_jT3_P12ihipStream_tbPNSt15iterator_traitsISK_E10value_typeEPNSQ_ISL_E10value_typeEPSM_NS1_7vsmem_tEENKUlT_SK_SL_SM_E_clIPiSE_SF_SF_EESJ_SZ_SK_SL_SM_EUlSZ_E_NS1_11comp_targetILNS1_3genE9ELNS1_11target_archE1100ELNS1_3gpuE3ELNS1_3repE0EEENS1_48merge_mergepath_partition_config_static_selectorELNS0_4arch9wavefront6targetE1EEEvSL_.num_vgpr, 0
	.set _ZN7rocprim17ROCPRIM_400000_NS6detail17trampoline_kernelINS0_14default_configENS1_38merge_sort_block_merge_config_selectorIiNS0_10empty_typeEEEZZNS1_27merge_sort_block_merge_implIS3_N6thrust23THRUST_200600_302600_NS6detail15normal_iteratorINS9_10device_ptrIiEEEEPS5_jNS1_19radix_merge_compareILb1ELb1EiNS0_19identity_decomposerEEEEE10hipError_tT0_T1_T2_jT3_P12ihipStream_tbPNSt15iterator_traitsISK_E10value_typeEPNSQ_ISL_E10value_typeEPSM_NS1_7vsmem_tEENKUlT_SK_SL_SM_E_clIPiSE_SF_SF_EESJ_SZ_SK_SL_SM_EUlSZ_E_NS1_11comp_targetILNS1_3genE9ELNS1_11target_archE1100ELNS1_3gpuE3ELNS1_3repE0EEENS1_48merge_mergepath_partition_config_static_selectorELNS0_4arch9wavefront6targetE1EEEvSL_.num_agpr, 0
	.set _ZN7rocprim17ROCPRIM_400000_NS6detail17trampoline_kernelINS0_14default_configENS1_38merge_sort_block_merge_config_selectorIiNS0_10empty_typeEEEZZNS1_27merge_sort_block_merge_implIS3_N6thrust23THRUST_200600_302600_NS6detail15normal_iteratorINS9_10device_ptrIiEEEEPS5_jNS1_19radix_merge_compareILb1ELb1EiNS0_19identity_decomposerEEEEE10hipError_tT0_T1_T2_jT3_P12ihipStream_tbPNSt15iterator_traitsISK_E10value_typeEPNSQ_ISL_E10value_typeEPSM_NS1_7vsmem_tEENKUlT_SK_SL_SM_E_clIPiSE_SF_SF_EESJ_SZ_SK_SL_SM_EUlSZ_E_NS1_11comp_targetILNS1_3genE9ELNS1_11target_archE1100ELNS1_3gpuE3ELNS1_3repE0EEENS1_48merge_mergepath_partition_config_static_selectorELNS0_4arch9wavefront6targetE1EEEvSL_.numbered_sgpr, 0
	.set _ZN7rocprim17ROCPRIM_400000_NS6detail17trampoline_kernelINS0_14default_configENS1_38merge_sort_block_merge_config_selectorIiNS0_10empty_typeEEEZZNS1_27merge_sort_block_merge_implIS3_N6thrust23THRUST_200600_302600_NS6detail15normal_iteratorINS9_10device_ptrIiEEEEPS5_jNS1_19radix_merge_compareILb1ELb1EiNS0_19identity_decomposerEEEEE10hipError_tT0_T1_T2_jT3_P12ihipStream_tbPNSt15iterator_traitsISK_E10value_typeEPNSQ_ISL_E10value_typeEPSM_NS1_7vsmem_tEENKUlT_SK_SL_SM_E_clIPiSE_SF_SF_EESJ_SZ_SK_SL_SM_EUlSZ_E_NS1_11comp_targetILNS1_3genE9ELNS1_11target_archE1100ELNS1_3gpuE3ELNS1_3repE0EEENS1_48merge_mergepath_partition_config_static_selectorELNS0_4arch9wavefront6targetE1EEEvSL_.num_named_barrier, 0
	.set _ZN7rocprim17ROCPRIM_400000_NS6detail17trampoline_kernelINS0_14default_configENS1_38merge_sort_block_merge_config_selectorIiNS0_10empty_typeEEEZZNS1_27merge_sort_block_merge_implIS3_N6thrust23THRUST_200600_302600_NS6detail15normal_iteratorINS9_10device_ptrIiEEEEPS5_jNS1_19radix_merge_compareILb1ELb1EiNS0_19identity_decomposerEEEEE10hipError_tT0_T1_T2_jT3_P12ihipStream_tbPNSt15iterator_traitsISK_E10value_typeEPNSQ_ISL_E10value_typeEPSM_NS1_7vsmem_tEENKUlT_SK_SL_SM_E_clIPiSE_SF_SF_EESJ_SZ_SK_SL_SM_EUlSZ_E_NS1_11comp_targetILNS1_3genE9ELNS1_11target_archE1100ELNS1_3gpuE3ELNS1_3repE0EEENS1_48merge_mergepath_partition_config_static_selectorELNS0_4arch9wavefront6targetE1EEEvSL_.private_seg_size, 0
	.set _ZN7rocprim17ROCPRIM_400000_NS6detail17trampoline_kernelINS0_14default_configENS1_38merge_sort_block_merge_config_selectorIiNS0_10empty_typeEEEZZNS1_27merge_sort_block_merge_implIS3_N6thrust23THRUST_200600_302600_NS6detail15normal_iteratorINS9_10device_ptrIiEEEEPS5_jNS1_19radix_merge_compareILb1ELb1EiNS0_19identity_decomposerEEEEE10hipError_tT0_T1_T2_jT3_P12ihipStream_tbPNSt15iterator_traitsISK_E10value_typeEPNSQ_ISL_E10value_typeEPSM_NS1_7vsmem_tEENKUlT_SK_SL_SM_E_clIPiSE_SF_SF_EESJ_SZ_SK_SL_SM_EUlSZ_E_NS1_11comp_targetILNS1_3genE9ELNS1_11target_archE1100ELNS1_3gpuE3ELNS1_3repE0EEENS1_48merge_mergepath_partition_config_static_selectorELNS0_4arch9wavefront6targetE1EEEvSL_.uses_vcc, 0
	.set _ZN7rocprim17ROCPRIM_400000_NS6detail17trampoline_kernelINS0_14default_configENS1_38merge_sort_block_merge_config_selectorIiNS0_10empty_typeEEEZZNS1_27merge_sort_block_merge_implIS3_N6thrust23THRUST_200600_302600_NS6detail15normal_iteratorINS9_10device_ptrIiEEEEPS5_jNS1_19radix_merge_compareILb1ELb1EiNS0_19identity_decomposerEEEEE10hipError_tT0_T1_T2_jT3_P12ihipStream_tbPNSt15iterator_traitsISK_E10value_typeEPNSQ_ISL_E10value_typeEPSM_NS1_7vsmem_tEENKUlT_SK_SL_SM_E_clIPiSE_SF_SF_EESJ_SZ_SK_SL_SM_EUlSZ_E_NS1_11comp_targetILNS1_3genE9ELNS1_11target_archE1100ELNS1_3gpuE3ELNS1_3repE0EEENS1_48merge_mergepath_partition_config_static_selectorELNS0_4arch9wavefront6targetE1EEEvSL_.uses_flat_scratch, 0
	.set _ZN7rocprim17ROCPRIM_400000_NS6detail17trampoline_kernelINS0_14default_configENS1_38merge_sort_block_merge_config_selectorIiNS0_10empty_typeEEEZZNS1_27merge_sort_block_merge_implIS3_N6thrust23THRUST_200600_302600_NS6detail15normal_iteratorINS9_10device_ptrIiEEEEPS5_jNS1_19radix_merge_compareILb1ELb1EiNS0_19identity_decomposerEEEEE10hipError_tT0_T1_T2_jT3_P12ihipStream_tbPNSt15iterator_traitsISK_E10value_typeEPNSQ_ISL_E10value_typeEPSM_NS1_7vsmem_tEENKUlT_SK_SL_SM_E_clIPiSE_SF_SF_EESJ_SZ_SK_SL_SM_EUlSZ_E_NS1_11comp_targetILNS1_3genE9ELNS1_11target_archE1100ELNS1_3gpuE3ELNS1_3repE0EEENS1_48merge_mergepath_partition_config_static_selectorELNS0_4arch9wavefront6targetE1EEEvSL_.has_dyn_sized_stack, 0
	.set _ZN7rocprim17ROCPRIM_400000_NS6detail17trampoline_kernelINS0_14default_configENS1_38merge_sort_block_merge_config_selectorIiNS0_10empty_typeEEEZZNS1_27merge_sort_block_merge_implIS3_N6thrust23THRUST_200600_302600_NS6detail15normal_iteratorINS9_10device_ptrIiEEEEPS5_jNS1_19radix_merge_compareILb1ELb1EiNS0_19identity_decomposerEEEEE10hipError_tT0_T1_T2_jT3_P12ihipStream_tbPNSt15iterator_traitsISK_E10value_typeEPNSQ_ISL_E10value_typeEPSM_NS1_7vsmem_tEENKUlT_SK_SL_SM_E_clIPiSE_SF_SF_EESJ_SZ_SK_SL_SM_EUlSZ_E_NS1_11comp_targetILNS1_3genE9ELNS1_11target_archE1100ELNS1_3gpuE3ELNS1_3repE0EEENS1_48merge_mergepath_partition_config_static_selectorELNS0_4arch9wavefront6targetE1EEEvSL_.has_recursion, 0
	.set _ZN7rocprim17ROCPRIM_400000_NS6detail17trampoline_kernelINS0_14default_configENS1_38merge_sort_block_merge_config_selectorIiNS0_10empty_typeEEEZZNS1_27merge_sort_block_merge_implIS3_N6thrust23THRUST_200600_302600_NS6detail15normal_iteratorINS9_10device_ptrIiEEEEPS5_jNS1_19radix_merge_compareILb1ELb1EiNS0_19identity_decomposerEEEEE10hipError_tT0_T1_T2_jT3_P12ihipStream_tbPNSt15iterator_traitsISK_E10value_typeEPNSQ_ISL_E10value_typeEPSM_NS1_7vsmem_tEENKUlT_SK_SL_SM_E_clIPiSE_SF_SF_EESJ_SZ_SK_SL_SM_EUlSZ_E_NS1_11comp_targetILNS1_3genE9ELNS1_11target_archE1100ELNS1_3gpuE3ELNS1_3repE0EEENS1_48merge_mergepath_partition_config_static_selectorELNS0_4arch9wavefront6targetE1EEEvSL_.has_indirect_call, 0
	.section	.AMDGPU.csdata,"",@progbits
; Kernel info:
; codeLenInByte = 0
; TotalNumSgprs: 6
; NumVgprs: 0
; NumAgprs: 0
; TotalNumVgprs: 0
; ScratchSize: 0
; MemoryBound: 0
; FloatMode: 240
; IeeeMode: 1
; LDSByteSize: 0 bytes/workgroup (compile time only)
; SGPRBlocks: 0
; VGPRBlocks: 0
; NumSGPRsForWavesPerEU: 6
; NumVGPRsForWavesPerEU: 1
; AccumOffset: 4
; Occupancy: 8
; WaveLimiterHint : 0
; COMPUTE_PGM_RSRC2:SCRATCH_EN: 0
; COMPUTE_PGM_RSRC2:USER_SGPR: 2
; COMPUTE_PGM_RSRC2:TRAP_HANDLER: 0
; COMPUTE_PGM_RSRC2:TGID_X_EN: 1
; COMPUTE_PGM_RSRC2:TGID_Y_EN: 0
; COMPUTE_PGM_RSRC2:TGID_Z_EN: 0
; COMPUTE_PGM_RSRC2:TIDIG_COMP_CNT: 0
; COMPUTE_PGM_RSRC3_GFX90A:ACCUM_OFFSET: 0
; COMPUTE_PGM_RSRC3_GFX90A:TG_SPLIT: 0
	.section	.text._ZN7rocprim17ROCPRIM_400000_NS6detail17trampoline_kernelINS0_14default_configENS1_38merge_sort_block_merge_config_selectorIiNS0_10empty_typeEEEZZNS1_27merge_sort_block_merge_implIS3_N6thrust23THRUST_200600_302600_NS6detail15normal_iteratorINS9_10device_ptrIiEEEEPS5_jNS1_19radix_merge_compareILb1ELb1EiNS0_19identity_decomposerEEEEE10hipError_tT0_T1_T2_jT3_P12ihipStream_tbPNSt15iterator_traitsISK_E10value_typeEPNSQ_ISL_E10value_typeEPSM_NS1_7vsmem_tEENKUlT_SK_SL_SM_E_clIPiSE_SF_SF_EESJ_SZ_SK_SL_SM_EUlSZ_E_NS1_11comp_targetILNS1_3genE8ELNS1_11target_archE1030ELNS1_3gpuE2ELNS1_3repE0EEENS1_48merge_mergepath_partition_config_static_selectorELNS0_4arch9wavefront6targetE1EEEvSL_,"axG",@progbits,_ZN7rocprim17ROCPRIM_400000_NS6detail17trampoline_kernelINS0_14default_configENS1_38merge_sort_block_merge_config_selectorIiNS0_10empty_typeEEEZZNS1_27merge_sort_block_merge_implIS3_N6thrust23THRUST_200600_302600_NS6detail15normal_iteratorINS9_10device_ptrIiEEEEPS5_jNS1_19radix_merge_compareILb1ELb1EiNS0_19identity_decomposerEEEEE10hipError_tT0_T1_T2_jT3_P12ihipStream_tbPNSt15iterator_traitsISK_E10value_typeEPNSQ_ISL_E10value_typeEPSM_NS1_7vsmem_tEENKUlT_SK_SL_SM_E_clIPiSE_SF_SF_EESJ_SZ_SK_SL_SM_EUlSZ_E_NS1_11comp_targetILNS1_3genE8ELNS1_11target_archE1030ELNS1_3gpuE2ELNS1_3repE0EEENS1_48merge_mergepath_partition_config_static_selectorELNS0_4arch9wavefront6targetE1EEEvSL_,comdat
	.protected	_ZN7rocprim17ROCPRIM_400000_NS6detail17trampoline_kernelINS0_14default_configENS1_38merge_sort_block_merge_config_selectorIiNS0_10empty_typeEEEZZNS1_27merge_sort_block_merge_implIS3_N6thrust23THRUST_200600_302600_NS6detail15normal_iteratorINS9_10device_ptrIiEEEEPS5_jNS1_19radix_merge_compareILb1ELb1EiNS0_19identity_decomposerEEEEE10hipError_tT0_T1_T2_jT3_P12ihipStream_tbPNSt15iterator_traitsISK_E10value_typeEPNSQ_ISL_E10value_typeEPSM_NS1_7vsmem_tEENKUlT_SK_SL_SM_E_clIPiSE_SF_SF_EESJ_SZ_SK_SL_SM_EUlSZ_E_NS1_11comp_targetILNS1_3genE8ELNS1_11target_archE1030ELNS1_3gpuE2ELNS1_3repE0EEENS1_48merge_mergepath_partition_config_static_selectorELNS0_4arch9wavefront6targetE1EEEvSL_ ; -- Begin function _ZN7rocprim17ROCPRIM_400000_NS6detail17trampoline_kernelINS0_14default_configENS1_38merge_sort_block_merge_config_selectorIiNS0_10empty_typeEEEZZNS1_27merge_sort_block_merge_implIS3_N6thrust23THRUST_200600_302600_NS6detail15normal_iteratorINS9_10device_ptrIiEEEEPS5_jNS1_19radix_merge_compareILb1ELb1EiNS0_19identity_decomposerEEEEE10hipError_tT0_T1_T2_jT3_P12ihipStream_tbPNSt15iterator_traitsISK_E10value_typeEPNSQ_ISL_E10value_typeEPSM_NS1_7vsmem_tEENKUlT_SK_SL_SM_E_clIPiSE_SF_SF_EESJ_SZ_SK_SL_SM_EUlSZ_E_NS1_11comp_targetILNS1_3genE8ELNS1_11target_archE1030ELNS1_3gpuE2ELNS1_3repE0EEENS1_48merge_mergepath_partition_config_static_selectorELNS0_4arch9wavefront6targetE1EEEvSL_
	.globl	_ZN7rocprim17ROCPRIM_400000_NS6detail17trampoline_kernelINS0_14default_configENS1_38merge_sort_block_merge_config_selectorIiNS0_10empty_typeEEEZZNS1_27merge_sort_block_merge_implIS3_N6thrust23THRUST_200600_302600_NS6detail15normal_iteratorINS9_10device_ptrIiEEEEPS5_jNS1_19radix_merge_compareILb1ELb1EiNS0_19identity_decomposerEEEEE10hipError_tT0_T1_T2_jT3_P12ihipStream_tbPNSt15iterator_traitsISK_E10value_typeEPNSQ_ISL_E10value_typeEPSM_NS1_7vsmem_tEENKUlT_SK_SL_SM_E_clIPiSE_SF_SF_EESJ_SZ_SK_SL_SM_EUlSZ_E_NS1_11comp_targetILNS1_3genE8ELNS1_11target_archE1030ELNS1_3gpuE2ELNS1_3repE0EEENS1_48merge_mergepath_partition_config_static_selectorELNS0_4arch9wavefront6targetE1EEEvSL_
	.p2align	8
	.type	_ZN7rocprim17ROCPRIM_400000_NS6detail17trampoline_kernelINS0_14default_configENS1_38merge_sort_block_merge_config_selectorIiNS0_10empty_typeEEEZZNS1_27merge_sort_block_merge_implIS3_N6thrust23THRUST_200600_302600_NS6detail15normal_iteratorINS9_10device_ptrIiEEEEPS5_jNS1_19radix_merge_compareILb1ELb1EiNS0_19identity_decomposerEEEEE10hipError_tT0_T1_T2_jT3_P12ihipStream_tbPNSt15iterator_traitsISK_E10value_typeEPNSQ_ISL_E10value_typeEPSM_NS1_7vsmem_tEENKUlT_SK_SL_SM_E_clIPiSE_SF_SF_EESJ_SZ_SK_SL_SM_EUlSZ_E_NS1_11comp_targetILNS1_3genE8ELNS1_11target_archE1030ELNS1_3gpuE2ELNS1_3repE0EEENS1_48merge_mergepath_partition_config_static_selectorELNS0_4arch9wavefront6targetE1EEEvSL_,@function
_ZN7rocprim17ROCPRIM_400000_NS6detail17trampoline_kernelINS0_14default_configENS1_38merge_sort_block_merge_config_selectorIiNS0_10empty_typeEEEZZNS1_27merge_sort_block_merge_implIS3_N6thrust23THRUST_200600_302600_NS6detail15normal_iteratorINS9_10device_ptrIiEEEEPS5_jNS1_19radix_merge_compareILb1ELb1EiNS0_19identity_decomposerEEEEE10hipError_tT0_T1_T2_jT3_P12ihipStream_tbPNSt15iterator_traitsISK_E10value_typeEPNSQ_ISL_E10value_typeEPSM_NS1_7vsmem_tEENKUlT_SK_SL_SM_E_clIPiSE_SF_SF_EESJ_SZ_SK_SL_SM_EUlSZ_E_NS1_11comp_targetILNS1_3genE8ELNS1_11target_archE1030ELNS1_3gpuE2ELNS1_3repE0EEENS1_48merge_mergepath_partition_config_static_selectorELNS0_4arch9wavefront6targetE1EEEvSL_: ; @_ZN7rocprim17ROCPRIM_400000_NS6detail17trampoline_kernelINS0_14default_configENS1_38merge_sort_block_merge_config_selectorIiNS0_10empty_typeEEEZZNS1_27merge_sort_block_merge_implIS3_N6thrust23THRUST_200600_302600_NS6detail15normal_iteratorINS9_10device_ptrIiEEEEPS5_jNS1_19radix_merge_compareILb1ELb1EiNS0_19identity_decomposerEEEEE10hipError_tT0_T1_T2_jT3_P12ihipStream_tbPNSt15iterator_traitsISK_E10value_typeEPNSQ_ISL_E10value_typeEPSM_NS1_7vsmem_tEENKUlT_SK_SL_SM_E_clIPiSE_SF_SF_EESJ_SZ_SK_SL_SM_EUlSZ_E_NS1_11comp_targetILNS1_3genE8ELNS1_11target_archE1030ELNS1_3gpuE2ELNS1_3repE0EEENS1_48merge_mergepath_partition_config_static_selectorELNS0_4arch9wavefront6targetE1EEEvSL_
; %bb.0:
	.section	.rodata,"a",@progbits
	.p2align	6, 0x0
	.amdhsa_kernel _ZN7rocprim17ROCPRIM_400000_NS6detail17trampoline_kernelINS0_14default_configENS1_38merge_sort_block_merge_config_selectorIiNS0_10empty_typeEEEZZNS1_27merge_sort_block_merge_implIS3_N6thrust23THRUST_200600_302600_NS6detail15normal_iteratorINS9_10device_ptrIiEEEEPS5_jNS1_19radix_merge_compareILb1ELb1EiNS0_19identity_decomposerEEEEE10hipError_tT0_T1_T2_jT3_P12ihipStream_tbPNSt15iterator_traitsISK_E10value_typeEPNSQ_ISL_E10value_typeEPSM_NS1_7vsmem_tEENKUlT_SK_SL_SM_E_clIPiSE_SF_SF_EESJ_SZ_SK_SL_SM_EUlSZ_E_NS1_11comp_targetILNS1_3genE8ELNS1_11target_archE1030ELNS1_3gpuE2ELNS1_3repE0EEENS1_48merge_mergepath_partition_config_static_selectorELNS0_4arch9wavefront6targetE1EEEvSL_
		.amdhsa_group_segment_fixed_size 0
		.amdhsa_private_segment_fixed_size 0
		.amdhsa_kernarg_size 40
		.amdhsa_user_sgpr_count 2
		.amdhsa_user_sgpr_dispatch_ptr 0
		.amdhsa_user_sgpr_queue_ptr 0
		.amdhsa_user_sgpr_kernarg_segment_ptr 1
		.amdhsa_user_sgpr_dispatch_id 0
		.amdhsa_user_sgpr_kernarg_preload_length 0
		.amdhsa_user_sgpr_kernarg_preload_offset 0
		.amdhsa_user_sgpr_private_segment_size 0
		.amdhsa_uses_dynamic_stack 0
		.amdhsa_enable_private_segment 0
		.amdhsa_system_sgpr_workgroup_id_x 1
		.amdhsa_system_sgpr_workgroup_id_y 0
		.amdhsa_system_sgpr_workgroup_id_z 0
		.amdhsa_system_sgpr_workgroup_info 0
		.amdhsa_system_vgpr_workitem_id 0
		.amdhsa_next_free_vgpr 1
		.amdhsa_next_free_sgpr 0
		.amdhsa_accum_offset 4
		.amdhsa_reserve_vcc 0
		.amdhsa_float_round_mode_32 0
		.amdhsa_float_round_mode_16_64 0
		.amdhsa_float_denorm_mode_32 3
		.amdhsa_float_denorm_mode_16_64 3
		.amdhsa_dx10_clamp 1
		.amdhsa_ieee_mode 1
		.amdhsa_fp16_overflow 0
		.amdhsa_tg_split 0
		.amdhsa_exception_fp_ieee_invalid_op 0
		.amdhsa_exception_fp_denorm_src 0
		.amdhsa_exception_fp_ieee_div_zero 0
		.amdhsa_exception_fp_ieee_overflow 0
		.amdhsa_exception_fp_ieee_underflow 0
		.amdhsa_exception_fp_ieee_inexact 0
		.amdhsa_exception_int_div_zero 0
	.end_amdhsa_kernel
	.section	.text._ZN7rocprim17ROCPRIM_400000_NS6detail17trampoline_kernelINS0_14default_configENS1_38merge_sort_block_merge_config_selectorIiNS0_10empty_typeEEEZZNS1_27merge_sort_block_merge_implIS3_N6thrust23THRUST_200600_302600_NS6detail15normal_iteratorINS9_10device_ptrIiEEEEPS5_jNS1_19radix_merge_compareILb1ELb1EiNS0_19identity_decomposerEEEEE10hipError_tT0_T1_T2_jT3_P12ihipStream_tbPNSt15iterator_traitsISK_E10value_typeEPNSQ_ISL_E10value_typeEPSM_NS1_7vsmem_tEENKUlT_SK_SL_SM_E_clIPiSE_SF_SF_EESJ_SZ_SK_SL_SM_EUlSZ_E_NS1_11comp_targetILNS1_3genE8ELNS1_11target_archE1030ELNS1_3gpuE2ELNS1_3repE0EEENS1_48merge_mergepath_partition_config_static_selectorELNS0_4arch9wavefront6targetE1EEEvSL_,"axG",@progbits,_ZN7rocprim17ROCPRIM_400000_NS6detail17trampoline_kernelINS0_14default_configENS1_38merge_sort_block_merge_config_selectorIiNS0_10empty_typeEEEZZNS1_27merge_sort_block_merge_implIS3_N6thrust23THRUST_200600_302600_NS6detail15normal_iteratorINS9_10device_ptrIiEEEEPS5_jNS1_19radix_merge_compareILb1ELb1EiNS0_19identity_decomposerEEEEE10hipError_tT0_T1_T2_jT3_P12ihipStream_tbPNSt15iterator_traitsISK_E10value_typeEPNSQ_ISL_E10value_typeEPSM_NS1_7vsmem_tEENKUlT_SK_SL_SM_E_clIPiSE_SF_SF_EESJ_SZ_SK_SL_SM_EUlSZ_E_NS1_11comp_targetILNS1_3genE8ELNS1_11target_archE1030ELNS1_3gpuE2ELNS1_3repE0EEENS1_48merge_mergepath_partition_config_static_selectorELNS0_4arch9wavefront6targetE1EEEvSL_,comdat
.Lfunc_end277:
	.size	_ZN7rocprim17ROCPRIM_400000_NS6detail17trampoline_kernelINS0_14default_configENS1_38merge_sort_block_merge_config_selectorIiNS0_10empty_typeEEEZZNS1_27merge_sort_block_merge_implIS3_N6thrust23THRUST_200600_302600_NS6detail15normal_iteratorINS9_10device_ptrIiEEEEPS5_jNS1_19radix_merge_compareILb1ELb1EiNS0_19identity_decomposerEEEEE10hipError_tT0_T1_T2_jT3_P12ihipStream_tbPNSt15iterator_traitsISK_E10value_typeEPNSQ_ISL_E10value_typeEPSM_NS1_7vsmem_tEENKUlT_SK_SL_SM_E_clIPiSE_SF_SF_EESJ_SZ_SK_SL_SM_EUlSZ_E_NS1_11comp_targetILNS1_3genE8ELNS1_11target_archE1030ELNS1_3gpuE2ELNS1_3repE0EEENS1_48merge_mergepath_partition_config_static_selectorELNS0_4arch9wavefront6targetE1EEEvSL_, .Lfunc_end277-_ZN7rocprim17ROCPRIM_400000_NS6detail17trampoline_kernelINS0_14default_configENS1_38merge_sort_block_merge_config_selectorIiNS0_10empty_typeEEEZZNS1_27merge_sort_block_merge_implIS3_N6thrust23THRUST_200600_302600_NS6detail15normal_iteratorINS9_10device_ptrIiEEEEPS5_jNS1_19radix_merge_compareILb1ELb1EiNS0_19identity_decomposerEEEEE10hipError_tT0_T1_T2_jT3_P12ihipStream_tbPNSt15iterator_traitsISK_E10value_typeEPNSQ_ISL_E10value_typeEPSM_NS1_7vsmem_tEENKUlT_SK_SL_SM_E_clIPiSE_SF_SF_EESJ_SZ_SK_SL_SM_EUlSZ_E_NS1_11comp_targetILNS1_3genE8ELNS1_11target_archE1030ELNS1_3gpuE2ELNS1_3repE0EEENS1_48merge_mergepath_partition_config_static_selectorELNS0_4arch9wavefront6targetE1EEEvSL_
                                        ; -- End function
	.set _ZN7rocprim17ROCPRIM_400000_NS6detail17trampoline_kernelINS0_14default_configENS1_38merge_sort_block_merge_config_selectorIiNS0_10empty_typeEEEZZNS1_27merge_sort_block_merge_implIS3_N6thrust23THRUST_200600_302600_NS6detail15normal_iteratorINS9_10device_ptrIiEEEEPS5_jNS1_19radix_merge_compareILb1ELb1EiNS0_19identity_decomposerEEEEE10hipError_tT0_T1_T2_jT3_P12ihipStream_tbPNSt15iterator_traitsISK_E10value_typeEPNSQ_ISL_E10value_typeEPSM_NS1_7vsmem_tEENKUlT_SK_SL_SM_E_clIPiSE_SF_SF_EESJ_SZ_SK_SL_SM_EUlSZ_E_NS1_11comp_targetILNS1_3genE8ELNS1_11target_archE1030ELNS1_3gpuE2ELNS1_3repE0EEENS1_48merge_mergepath_partition_config_static_selectorELNS0_4arch9wavefront6targetE1EEEvSL_.num_vgpr, 0
	.set _ZN7rocprim17ROCPRIM_400000_NS6detail17trampoline_kernelINS0_14default_configENS1_38merge_sort_block_merge_config_selectorIiNS0_10empty_typeEEEZZNS1_27merge_sort_block_merge_implIS3_N6thrust23THRUST_200600_302600_NS6detail15normal_iteratorINS9_10device_ptrIiEEEEPS5_jNS1_19radix_merge_compareILb1ELb1EiNS0_19identity_decomposerEEEEE10hipError_tT0_T1_T2_jT3_P12ihipStream_tbPNSt15iterator_traitsISK_E10value_typeEPNSQ_ISL_E10value_typeEPSM_NS1_7vsmem_tEENKUlT_SK_SL_SM_E_clIPiSE_SF_SF_EESJ_SZ_SK_SL_SM_EUlSZ_E_NS1_11comp_targetILNS1_3genE8ELNS1_11target_archE1030ELNS1_3gpuE2ELNS1_3repE0EEENS1_48merge_mergepath_partition_config_static_selectorELNS0_4arch9wavefront6targetE1EEEvSL_.num_agpr, 0
	.set _ZN7rocprim17ROCPRIM_400000_NS6detail17trampoline_kernelINS0_14default_configENS1_38merge_sort_block_merge_config_selectorIiNS0_10empty_typeEEEZZNS1_27merge_sort_block_merge_implIS3_N6thrust23THRUST_200600_302600_NS6detail15normal_iteratorINS9_10device_ptrIiEEEEPS5_jNS1_19radix_merge_compareILb1ELb1EiNS0_19identity_decomposerEEEEE10hipError_tT0_T1_T2_jT3_P12ihipStream_tbPNSt15iterator_traitsISK_E10value_typeEPNSQ_ISL_E10value_typeEPSM_NS1_7vsmem_tEENKUlT_SK_SL_SM_E_clIPiSE_SF_SF_EESJ_SZ_SK_SL_SM_EUlSZ_E_NS1_11comp_targetILNS1_3genE8ELNS1_11target_archE1030ELNS1_3gpuE2ELNS1_3repE0EEENS1_48merge_mergepath_partition_config_static_selectorELNS0_4arch9wavefront6targetE1EEEvSL_.numbered_sgpr, 0
	.set _ZN7rocprim17ROCPRIM_400000_NS6detail17trampoline_kernelINS0_14default_configENS1_38merge_sort_block_merge_config_selectorIiNS0_10empty_typeEEEZZNS1_27merge_sort_block_merge_implIS3_N6thrust23THRUST_200600_302600_NS6detail15normal_iteratorINS9_10device_ptrIiEEEEPS5_jNS1_19radix_merge_compareILb1ELb1EiNS0_19identity_decomposerEEEEE10hipError_tT0_T1_T2_jT3_P12ihipStream_tbPNSt15iterator_traitsISK_E10value_typeEPNSQ_ISL_E10value_typeEPSM_NS1_7vsmem_tEENKUlT_SK_SL_SM_E_clIPiSE_SF_SF_EESJ_SZ_SK_SL_SM_EUlSZ_E_NS1_11comp_targetILNS1_3genE8ELNS1_11target_archE1030ELNS1_3gpuE2ELNS1_3repE0EEENS1_48merge_mergepath_partition_config_static_selectorELNS0_4arch9wavefront6targetE1EEEvSL_.num_named_barrier, 0
	.set _ZN7rocprim17ROCPRIM_400000_NS6detail17trampoline_kernelINS0_14default_configENS1_38merge_sort_block_merge_config_selectorIiNS0_10empty_typeEEEZZNS1_27merge_sort_block_merge_implIS3_N6thrust23THRUST_200600_302600_NS6detail15normal_iteratorINS9_10device_ptrIiEEEEPS5_jNS1_19radix_merge_compareILb1ELb1EiNS0_19identity_decomposerEEEEE10hipError_tT0_T1_T2_jT3_P12ihipStream_tbPNSt15iterator_traitsISK_E10value_typeEPNSQ_ISL_E10value_typeEPSM_NS1_7vsmem_tEENKUlT_SK_SL_SM_E_clIPiSE_SF_SF_EESJ_SZ_SK_SL_SM_EUlSZ_E_NS1_11comp_targetILNS1_3genE8ELNS1_11target_archE1030ELNS1_3gpuE2ELNS1_3repE0EEENS1_48merge_mergepath_partition_config_static_selectorELNS0_4arch9wavefront6targetE1EEEvSL_.private_seg_size, 0
	.set _ZN7rocprim17ROCPRIM_400000_NS6detail17trampoline_kernelINS0_14default_configENS1_38merge_sort_block_merge_config_selectorIiNS0_10empty_typeEEEZZNS1_27merge_sort_block_merge_implIS3_N6thrust23THRUST_200600_302600_NS6detail15normal_iteratorINS9_10device_ptrIiEEEEPS5_jNS1_19radix_merge_compareILb1ELb1EiNS0_19identity_decomposerEEEEE10hipError_tT0_T1_T2_jT3_P12ihipStream_tbPNSt15iterator_traitsISK_E10value_typeEPNSQ_ISL_E10value_typeEPSM_NS1_7vsmem_tEENKUlT_SK_SL_SM_E_clIPiSE_SF_SF_EESJ_SZ_SK_SL_SM_EUlSZ_E_NS1_11comp_targetILNS1_3genE8ELNS1_11target_archE1030ELNS1_3gpuE2ELNS1_3repE0EEENS1_48merge_mergepath_partition_config_static_selectorELNS0_4arch9wavefront6targetE1EEEvSL_.uses_vcc, 0
	.set _ZN7rocprim17ROCPRIM_400000_NS6detail17trampoline_kernelINS0_14default_configENS1_38merge_sort_block_merge_config_selectorIiNS0_10empty_typeEEEZZNS1_27merge_sort_block_merge_implIS3_N6thrust23THRUST_200600_302600_NS6detail15normal_iteratorINS9_10device_ptrIiEEEEPS5_jNS1_19radix_merge_compareILb1ELb1EiNS0_19identity_decomposerEEEEE10hipError_tT0_T1_T2_jT3_P12ihipStream_tbPNSt15iterator_traitsISK_E10value_typeEPNSQ_ISL_E10value_typeEPSM_NS1_7vsmem_tEENKUlT_SK_SL_SM_E_clIPiSE_SF_SF_EESJ_SZ_SK_SL_SM_EUlSZ_E_NS1_11comp_targetILNS1_3genE8ELNS1_11target_archE1030ELNS1_3gpuE2ELNS1_3repE0EEENS1_48merge_mergepath_partition_config_static_selectorELNS0_4arch9wavefront6targetE1EEEvSL_.uses_flat_scratch, 0
	.set _ZN7rocprim17ROCPRIM_400000_NS6detail17trampoline_kernelINS0_14default_configENS1_38merge_sort_block_merge_config_selectorIiNS0_10empty_typeEEEZZNS1_27merge_sort_block_merge_implIS3_N6thrust23THRUST_200600_302600_NS6detail15normal_iteratorINS9_10device_ptrIiEEEEPS5_jNS1_19radix_merge_compareILb1ELb1EiNS0_19identity_decomposerEEEEE10hipError_tT0_T1_T2_jT3_P12ihipStream_tbPNSt15iterator_traitsISK_E10value_typeEPNSQ_ISL_E10value_typeEPSM_NS1_7vsmem_tEENKUlT_SK_SL_SM_E_clIPiSE_SF_SF_EESJ_SZ_SK_SL_SM_EUlSZ_E_NS1_11comp_targetILNS1_3genE8ELNS1_11target_archE1030ELNS1_3gpuE2ELNS1_3repE0EEENS1_48merge_mergepath_partition_config_static_selectorELNS0_4arch9wavefront6targetE1EEEvSL_.has_dyn_sized_stack, 0
	.set _ZN7rocprim17ROCPRIM_400000_NS6detail17trampoline_kernelINS0_14default_configENS1_38merge_sort_block_merge_config_selectorIiNS0_10empty_typeEEEZZNS1_27merge_sort_block_merge_implIS3_N6thrust23THRUST_200600_302600_NS6detail15normal_iteratorINS9_10device_ptrIiEEEEPS5_jNS1_19radix_merge_compareILb1ELb1EiNS0_19identity_decomposerEEEEE10hipError_tT0_T1_T2_jT3_P12ihipStream_tbPNSt15iterator_traitsISK_E10value_typeEPNSQ_ISL_E10value_typeEPSM_NS1_7vsmem_tEENKUlT_SK_SL_SM_E_clIPiSE_SF_SF_EESJ_SZ_SK_SL_SM_EUlSZ_E_NS1_11comp_targetILNS1_3genE8ELNS1_11target_archE1030ELNS1_3gpuE2ELNS1_3repE0EEENS1_48merge_mergepath_partition_config_static_selectorELNS0_4arch9wavefront6targetE1EEEvSL_.has_recursion, 0
	.set _ZN7rocprim17ROCPRIM_400000_NS6detail17trampoline_kernelINS0_14default_configENS1_38merge_sort_block_merge_config_selectorIiNS0_10empty_typeEEEZZNS1_27merge_sort_block_merge_implIS3_N6thrust23THRUST_200600_302600_NS6detail15normal_iteratorINS9_10device_ptrIiEEEEPS5_jNS1_19radix_merge_compareILb1ELb1EiNS0_19identity_decomposerEEEEE10hipError_tT0_T1_T2_jT3_P12ihipStream_tbPNSt15iterator_traitsISK_E10value_typeEPNSQ_ISL_E10value_typeEPSM_NS1_7vsmem_tEENKUlT_SK_SL_SM_E_clIPiSE_SF_SF_EESJ_SZ_SK_SL_SM_EUlSZ_E_NS1_11comp_targetILNS1_3genE8ELNS1_11target_archE1030ELNS1_3gpuE2ELNS1_3repE0EEENS1_48merge_mergepath_partition_config_static_selectorELNS0_4arch9wavefront6targetE1EEEvSL_.has_indirect_call, 0
	.section	.AMDGPU.csdata,"",@progbits
; Kernel info:
; codeLenInByte = 0
; TotalNumSgprs: 6
; NumVgprs: 0
; NumAgprs: 0
; TotalNumVgprs: 0
; ScratchSize: 0
; MemoryBound: 0
; FloatMode: 240
; IeeeMode: 1
; LDSByteSize: 0 bytes/workgroup (compile time only)
; SGPRBlocks: 0
; VGPRBlocks: 0
; NumSGPRsForWavesPerEU: 6
; NumVGPRsForWavesPerEU: 1
; AccumOffset: 4
; Occupancy: 8
; WaveLimiterHint : 0
; COMPUTE_PGM_RSRC2:SCRATCH_EN: 0
; COMPUTE_PGM_RSRC2:USER_SGPR: 2
; COMPUTE_PGM_RSRC2:TRAP_HANDLER: 0
; COMPUTE_PGM_RSRC2:TGID_X_EN: 1
; COMPUTE_PGM_RSRC2:TGID_Y_EN: 0
; COMPUTE_PGM_RSRC2:TGID_Z_EN: 0
; COMPUTE_PGM_RSRC2:TIDIG_COMP_CNT: 0
; COMPUTE_PGM_RSRC3_GFX90A:ACCUM_OFFSET: 0
; COMPUTE_PGM_RSRC3_GFX90A:TG_SPLIT: 0
	.section	.text._ZN7rocprim17ROCPRIM_400000_NS6detail17trampoline_kernelINS0_14default_configENS1_38merge_sort_block_merge_config_selectorIiNS0_10empty_typeEEEZZNS1_27merge_sort_block_merge_implIS3_N6thrust23THRUST_200600_302600_NS6detail15normal_iteratorINS9_10device_ptrIiEEEEPS5_jNS1_19radix_merge_compareILb1ELb1EiNS0_19identity_decomposerEEEEE10hipError_tT0_T1_T2_jT3_P12ihipStream_tbPNSt15iterator_traitsISK_E10value_typeEPNSQ_ISL_E10value_typeEPSM_NS1_7vsmem_tEENKUlT_SK_SL_SM_E_clIPiSE_SF_SF_EESJ_SZ_SK_SL_SM_EUlSZ_E0_NS1_11comp_targetILNS1_3genE0ELNS1_11target_archE4294967295ELNS1_3gpuE0ELNS1_3repE0EEENS1_38merge_mergepath_config_static_selectorELNS0_4arch9wavefront6targetE1EEEvSL_,"axG",@progbits,_ZN7rocprim17ROCPRIM_400000_NS6detail17trampoline_kernelINS0_14default_configENS1_38merge_sort_block_merge_config_selectorIiNS0_10empty_typeEEEZZNS1_27merge_sort_block_merge_implIS3_N6thrust23THRUST_200600_302600_NS6detail15normal_iteratorINS9_10device_ptrIiEEEEPS5_jNS1_19radix_merge_compareILb1ELb1EiNS0_19identity_decomposerEEEEE10hipError_tT0_T1_T2_jT3_P12ihipStream_tbPNSt15iterator_traitsISK_E10value_typeEPNSQ_ISL_E10value_typeEPSM_NS1_7vsmem_tEENKUlT_SK_SL_SM_E_clIPiSE_SF_SF_EESJ_SZ_SK_SL_SM_EUlSZ_E0_NS1_11comp_targetILNS1_3genE0ELNS1_11target_archE4294967295ELNS1_3gpuE0ELNS1_3repE0EEENS1_38merge_mergepath_config_static_selectorELNS0_4arch9wavefront6targetE1EEEvSL_,comdat
	.protected	_ZN7rocprim17ROCPRIM_400000_NS6detail17trampoline_kernelINS0_14default_configENS1_38merge_sort_block_merge_config_selectorIiNS0_10empty_typeEEEZZNS1_27merge_sort_block_merge_implIS3_N6thrust23THRUST_200600_302600_NS6detail15normal_iteratorINS9_10device_ptrIiEEEEPS5_jNS1_19radix_merge_compareILb1ELb1EiNS0_19identity_decomposerEEEEE10hipError_tT0_T1_T2_jT3_P12ihipStream_tbPNSt15iterator_traitsISK_E10value_typeEPNSQ_ISL_E10value_typeEPSM_NS1_7vsmem_tEENKUlT_SK_SL_SM_E_clIPiSE_SF_SF_EESJ_SZ_SK_SL_SM_EUlSZ_E0_NS1_11comp_targetILNS1_3genE0ELNS1_11target_archE4294967295ELNS1_3gpuE0ELNS1_3repE0EEENS1_38merge_mergepath_config_static_selectorELNS0_4arch9wavefront6targetE1EEEvSL_ ; -- Begin function _ZN7rocprim17ROCPRIM_400000_NS6detail17trampoline_kernelINS0_14default_configENS1_38merge_sort_block_merge_config_selectorIiNS0_10empty_typeEEEZZNS1_27merge_sort_block_merge_implIS3_N6thrust23THRUST_200600_302600_NS6detail15normal_iteratorINS9_10device_ptrIiEEEEPS5_jNS1_19radix_merge_compareILb1ELb1EiNS0_19identity_decomposerEEEEE10hipError_tT0_T1_T2_jT3_P12ihipStream_tbPNSt15iterator_traitsISK_E10value_typeEPNSQ_ISL_E10value_typeEPSM_NS1_7vsmem_tEENKUlT_SK_SL_SM_E_clIPiSE_SF_SF_EESJ_SZ_SK_SL_SM_EUlSZ_E0_NS1_11comp_targetILNS1_3genE0ELNS1_11target_archE4294967295ELNS1_3gpuE0ELNS1_3repE0EEENS1_38merge_mergepath_config_static_selectorELNS0_4arch9wavefront6targetE1EEEvSL_
	.globl	_ZN7rocprim17ROCPRIM_400000_NS6detail17trampoline_kernelINS0_14default_configENS1_38merge_sort_block_merge_config_selectorIiNS0_10empty_typeEEEZZNS1_27merge_sort_block_merge_implIS3_N6thrust23THRUST_200600_302600_NS6detail15normal_iteratorINS9_10device_ptrIiEEEEPS5_jNS1_19radix_merge_compareILb1ELb1EiNS0_19identity_decomposerEEEEE10hipError_tT0_T1_T2_jT3_P12ihipStream_tbPNSt15iterator_traitsISK_E10value_typeEPNSQ_ISL_E10value_typeEPSM_NS1_7vsmem_tEENKUlT_SK_SL_SM_E_clIPiSE_SF_SF_EESJ_SZ_SK_SL_SM_EUlSZ_E0_NS1_11comp_targetILNS1_3genE0ELNS1_11target_archE4294967295ELNS1_3gpuE0ELNS1_3repE0EEENS1_38merge_mergepath_config_static_selectorELNS0_4arch9wavefront6targetE1EEEvSL_
	.p2align	8
	.type	_ZN7rocprim17ROCPRIM_400000_NS6detail17trampoline_kernelINS0_14default_configENS1_38merge_sort_block_merge_config_selectorIiNS0_10empty_typeEEEZZNS1_27merge_sort_block_merge_implIS3_N6thrust23THRUST_200600_302600_NS6detail15normal_iteratorINS9_10device_ptrIiEEEEPS5_jNS1_19radix_merge_compareILb1ELb1EiNS0_19identity_decomposerEEEEE10hipError_tT0_T1_T2_jT3_P12ihipStream_tbPNSt15iterator_traitsISK_E10value_typeEPNSQ_ISL_E10value_typeEPSM_NS1_7vsmem_tEENKUlT_SK_SL_SM_E_clIPiSE_SF_SF_EESJ_SZ_SK_SL_SM_EUlSZ_E0_NS1_11comp_targetILNS1_3genE0ELNS1_11target_archE4294967295ELNS1_3gpuE0ELNS1_3repE0EEENS1_38merge_mergepath_config_static_selectorELNS0_4arch9wavefront6targetE1EEEvSL_,@function
_ZN7rocprim17ROCPRIM_400000_NS6detail17trampoline_kernelINS0_14default_configENS1_38merge_sort_block_merge_config_selectorIiNS0_10empty_typeEEEZZNS1_27merge_sort_block_merge_implIS3_N6thrust23THRUST_200600_302600_NS6detail15normal_iteratorINS9_10device_ptrIiEEEEPS5_jNS1_19radix_merge_compareILb1ELb1EiNS0_19identity_decomposerEEEEE10hipError_tT0_T1_T2_jT3_P12ihipStream_tbPNSt15iterator_traitsISK_E10value_typeEPNSQ_ISL_E10value_typeEPSM_NS1_7vsmem_tEENKUlT_SK_SL_SM_E_clIPiSE_SF_SF_EESJ_SZ_SK_SL_SM_EUlSZ_E0_NS1_11comp_targetILNS1_3genE0ELNS1_11target_archE4294967295ELNS1_3gpuE0ELNS1_3repE0EEENS1_38merge_mergepath_config_static_selectorELNS0_4arch9wavefront6targetE1EEEvSL_: ; @_ZN7rocprim17ROCPRIM_400000_NS6detail17trampoline_kernelINS0_14default_configENS1_38merge_sort_block_merge_config_selectorIiNS0_10empty_typeEEEZZNS1_27merge_sort_block_merge_implIS3_N6thrust23THRUST_200600_302600_NS6detail15normal_iteratorINS9_10device_ptrIiEEEEPS5_jNS1_19radix_merge_compareILb1ELb1EiNS0_19identity_decomposerEEEEE10hipError_tT0_T1_T2_jT3_P12ihipStream_tbPNSt15iterator_traitsISK_E10value_typeEPNSQ_ISL_E10value_typeEPSM_NS1_7vsmem_tEENKUlT_SK_SL_SM_E_clIPiSE_SF_SF_EESJ_SZ_SK_SL_SM_EUlSZ_E0_NS1_11comp_targetILNS1_3genE0ELNS1_11target_archE4294967295ELNS1_3gpuE0ELNS1_3repE0EEENS1_38merge_mergepath_config_static_selectorELNS0_4arch9wavefront6targetE1EEEvSL_
; %bb.0:
	s_load_dwordx2 s[12:13], s[0:1], 0x40
	s_load_dwordx2 s[16:17], s[0:1], 0x30
	s_add_u32 s8, s0, 64
	s_addc_u32 s9, s1, 0
	s_waitcnt lgkmcnt(0)
	s_mul_i32 s4, s13, s4
	s_add_i32 s3, s4, s3
	s_mul_i32 s3, s3, s12
	s_add_i32 s10, s3, s2
	s_cmp_ge_u32 s10, s16
	s_cbranch_scc1 .LBB278_43
; %bb.1:
	s_load_dwordx2 s[14:15], s[0:1], 0x28
	s_load_dwordx2 s[4:5], s[0:1], 0x38
	;; [unrolled: 1-line block ×3, first 2 shown]
	s_mov_b32 s11, 0
	s_mov_b32 s23, s11
	s_waitcnt lgkmcnt(0)
	s_lshr_b32 s24, s14, 10
	s_cmp_lg_u32 s10, s24
	s_cselect_b64 s[18:19], -1, 0
	s_lshl_b64 s[20:21], s[10:11], 2
	s_add_u32 s4, s4, s20
	s_addc_u32 s5, s5, s21
	s_lshr_b32 s3, s15, 9
	s_and_b32 s3, s3, 0x7ffffe
	s_load_dwordx2 s[20:21], s[4:5], 0x0
	s_sub_i32 s3, 0, s3
	s_and_b32 s4, s10, s3
	s_lshl_b32 s5, s4, 10
	s_lshl_b32 s16, s10, 10
	;; [unrolled: 1-line block ×3, first 2 shown]
	s_sub_i32 s13, s16, s5
	s_add_i32 s4, s4, s15
	s_add_i32 s13, s4, s13
	s_waitcnt lgkmcnt(0)
	s_sub_i32 s22, s13, s20
	s_sub_i32 s13, s13, s21
	;; [unrolled: 1-line block ×3, first 2 shown]
	s_min_u32 s22, s14, s22
	s_addk_i32 s13, 0x400
	s_or_b32 s3, s10, s3
	s_min_u32 s5, s14, s4
	s_add_i32 s4, s4, s15
	s_cmp_eq_u32 s3, -1
	s_cselect_b32 s3, s4, s13
	s_cselect_b32 s4, s5, s21
	s_min_u32 s3, s3, s14
	s_mov_b32 s21, s11
	s_sub_i32 s15, s4, s20
	s_sub_i32 s13, s3, s22
	s_lshl_b64 s[4:5], s[20:21], 2
	s_add_u32 s4, s6, s4
	s_addc_u32 s5, s7, s5
	s_lshl_b64 s[20:21], s[22:23], 2
	s_add_u32 s6, s6, s20
	s_addc_u32 s7, s7, s21
	s_cmp_lt_u32 s2, s12
	v_mov_b32_e32 v11, 0
	s_cselect_b32 s2, 12, 18
	global_load_dword v1, v11, s[8:9] offset:14
	s_add_u32 s2, s8, s2
	s_addc_u32 s3, s9, 0
	global_load_ushort v2, v11, s[2:3]
	s_cmp_eq_u32 s10, s24
	v_lshlrev_b32_e32 v10, 2, v0
	s_waitcnt vmcnt(1)
	v_lshrrev_b32_e32 v3, 16, v1
	v_and_b32_e32 v1, 0xffff, v1
	v_mul_lo_u32 v1, v1, v3
	s_waitcnt vmcnt(0)
	v_mul_lo_u32 v1, v1, v2
	v_add_u32_e32 v14, v1, v0
	v_add_u32_e32 v12, v14, v1
	s_cbranch_scc1 .LBB278_3
; %bb.2:
	v_subrev_co_u32_e32 v4, vcc, s15, v0
	v_mov_b32_e32 v5, v11
	v_lshl_add_u64 v[2:3], s[4:5], 0, v[10:11]
	v_lshl_add_u64 v[4:5], v[4:5], 2, s[6:7]
	v_cndmask_b32_e32 v3, v5, v3, vcc
	v_cndmask_b32_e32 v2, v4, v2, vcc
	v_mov_b32_e32 v15, v11
	v_subrev_co_u32_e32 v6, vcc, s15, v14
	v_mov_b32_e32 v7, v11
	v_lshl_add_u64 v[4:5], v[14:15], 2, s[4:5]
	v_lshl_add_u64 v[6:7], v[6:7], 2, s[6:7]
	v_cndmask_b32_e32 v5, v7, v5, vcc
	v_cndmask_b32_e32 v4, v6, v4, vcc
	v_mov_b32_e32 v13, v11
	v_subrev_co_u32_e32 v6, vcc, s15, v12
	v_mov_b32_e32 v7, v11
	global_load_dword v2, v[2:3], off
	v_lshl_add_u64 v[6:7], v[6:7], 2, s[6:7]
	global_load_dword v3, v[4:5], off
	v_lshl_add_u64 v[4:5], v[12:13], 2, s[4:5]
	v_cndmask_b32_e32 v4, v6, v4, vcc
	v_add_u32_e32 v6, v12, v1
	v_cndmask_b32_e32 v5, v7, v5, vcc
	v_mov_b32_e32 v7, v11
	v_subrev_co_u32_e32 v16, vcc, s15, v6
	v_mov_b32_e32 v17, v11
	v_lshl_add_u64 v[8:9], v[6:7], 2, s[4:5]
	v_lshl_add_u64 v[16:17], v[16:17], 2, s[6:7]
	v_cndmask_b32_e32 v9, v17, v9, vcc
	v_cndmask_b32_e32 v8, v16, v8, vcc
	global_load_dword v4, v[4:5], off
	v_mov_b32_e32 v17, v11
	global_load_dword v5, v[8:9], off
	v_add_u32_e32 v8, v6, v1
	v_mov_b32_e32 v9, v11
	v_subrev_co_u32_e32 v16, vcc, s15, v8
	v_lshl_add_u64 v[6:7], v[8:9], 2, s[4:5]
	v_lshl_add_u64 v[16:17], v[16:17], 2, s[6:7]
	v_add_u32_e32 v8, v8, v1
	v_cndmask_b32_e32 v7, v17, v7, vcc
	v_cndmask_b32_e32 v6, v16, v6, vcc
	v_subrev_co_u32_e32 v18, vcc, s15, v8
	v_mov_b32_e32 v19, v11
	v_lshl_add_u64 v[16:17], v[8:9], 2, s[4:5]
	v_lshl_add_u64 v[18:19], v[18:19], 2, s[6:7]
	v_cndmask_b32_e32 v17, v19, v17, vcc
	v_cndmask_b32_e32 v16, v18, v16, vcc
	global_load_dword v6, v[6:7], off
	v_mov_b32_e32 v19, v11
	global_load_dword v7, v[16:17], off
	v_add_u32_e32 v16, v8, v1
	v_mov_b32_e32 v17, v11
	v_subrev_co_u32_e32 v18, vcc, s15, v16
	v_lshl_add_u64 v[8:9], v[16:17], 2, s[4:5]
	v_lshl_add_u64 v[18:19], v[18:19], 2, s[6:7]
	v_add_u32_e32 v16, v16, v1
	v_cndmask_b32_e32 v9, v19, v9, vcc
	v_cndmask_b32_e32 v8, v18, v8, vcc
	v_lshl_add_u64 v[18:19], v[16:17], 2, s[4:5]
	v_subrev_co_u32_e32 v16, vcc, s15, v16
	v_lshl_add_u64 v[16:17], v[16:17], 2, s[6:7]
	s_nop 0
	v_cndmask_b32_e32 v17, v17, v19, vcc
	v_cndmask_b32_e32 v16, v16, v18, vcc
	global_load_dword v8, v[8:9], off
	s_add_i32 s24, s13, s15
	global_load_dword v9, v[16:17], off
	s_load_dwordx2 s[20:21], s[0:1], 0x10
	s_cbranch_execz .LBB278_4
	s_branch .LBB278_19
.LBB278_3:
                                        ; implicit-def: $vgpr2_vgpr3_vgpr4_vgpr5_vgpr6_vgpr7_vgpr8_vgpr9
                                        ; implicit-def: $sgpr24
	s_load_dwordx2 s[20:21], s[0:1], 0x10
.LBB278_4:
	s_add_i32 s24, s13, s15
	s_waitcnt vmcnt(7)
	v_mov_b32_e32 v2, 0
	v_cmp_gt_u32_e32 vcc, s24, v0
	s_waitcnt vmcnt(6)
	v_mov_b32_e32 v3, v2
	s_waitcnt vmcnt(5)
	v_mov_b32_e32 v4, v2
	;; [unrolled: 2-line block ×7, first 2 shown]
	s_and_saveexec_b64 s[0:1], vcc
	s_cbranch_execnz .LBB278_44
; %bb.5:
	s_or_b64 exec, exec, s[0:1]
	v_cmp_gt_u32_e32 vcc, s24, v14
	s_and_saveexec_b64 s[0:1], vcc
	s_cbranch_execnz .LBB278_45
.LBB278_6:
	s_or_b64 exec, exec, s[0:1]
	v_cmp_gt_u32_e32 vcc, s24, v12
	s_and_saveexec_b64 s[0:1], vcc
	s_cbranch_execz .LBB278_8
.LBB278_7:
	v_mov_b32_e32 v13, 0
	v_subrev_co_u32_e32 v16, vcc, s15, v12
	v_mov_b32_e32 v17, v13
	v_lshl_add_u64 v[14:15], v[12:13], 2, s[4:5]
	v_lshl_add_u64 v[16:17], v[16:17], 2, s[6:7]
	v_cndmask_b32_e32 v15, v17, v15, vcc
	v_cndmask_b32_e32 v14, v16, v14, vcc
	global_load_dword v4, v[14:15], off
.LBB278_8:
	s_or_b64 exec, exec, s[0:1]
	v_add_u32_e32 v12, v12, v1
	v_cmp_gt_u32_e32 vcc, s24, v12
	s_and_saveexec_b64 s[0:1], vcc
	s_cbranch_execz .LBB278_10
; %bb.9:
	v_mov_b32_e32 v13, 0
	v_subrev_co_u32_e32 v16, vcc, s15, v12
	v_mov_b32_e32 v17, v13
	v_lshl_add_u64 v[14:15], v[12:13], 2, s[4:5]
	v_lshl_add_u64 v[16:17], v[16:17], 2, s[6:7]
	v_cndmask_b32_e32 v15, v17, v15, vcc
	v_cndmask_b32_e32 v14, v16, v14, vcc
	global_load_dword v5, v[14:15], off
.LBB278_10:
	s_or_b64 exec, exec, s[0:1]
	v_add_u32_e32 v12, v12, v1
	v_cmp_gt_u32_e32 vcc, s24, v12
	s_and_saveexec_b64 s[0:1], vcc
	s_cbranch_execz .LBB278_12
; %bb.11:
	v_mov_b32_e32 v13, 0
	v_subrev_co_u32_e32 v16, vcc, s15, v12
	v_mov_b32_e32 v17, v13
	v_lshl_add_u64 v[14:15], v[12:13], 2, s[4:5]
	v_lshl_add_u64 v[16:17], v[16:17], 2, s[6:7]
	v_cndmask_b32_e32 v15, v17, v15, vcc
	v_cndmask_b32_e32 v14, v16, v14, vcc
	global_load_dword v6, v[14:15], off
.LBB278_12:
	;; [unrolled: 15-line block ×4, first 2 shown]
	s_or_b64 exec, exec, s[0:1]
	v_add_u32_e32 v12, v12, v1
	v_cmp_gt_u32_e32 vcc, s24, v12
	s_and_saveexec_b64 s[0:1], vcc
	s_cbranch_execz .LBB278_18
; %bb.17:
	v_mov_b32_e32 v13, 0
	v_lshl_add_u64 v[14:15], v[12:13], 2, s[4:5]
	v_subrev_co_u32_e32 v12, vcc, s15, v12
	v_lshl_add_u64 v[12:13], v[12:13], 2, s[6:7]
	s_nop 0
	v_cndmask_b32_e32 v13, v13, v15, vcc
	v_cndmask_b32_e32 v12, v12, v14, vcc
	global_load_dword v9, v[12:13], off
.LBB278_18:
	s_or_b64 exec, exec, s[0:1]
.LBB278_19:
	v_lshlrev_b32_e32 v1, 3, v0
	v_min_u32_e32 v12, s24, v1
	v_sub_u32_e64 v11, v12, s13 clamp
	v_min_u32_e32 v13, s15, v12
	v_cmp_lt_u32_e32 vcc, v11, v13
	s_waitcnt vmcnt(0)
	ds_write2st64_b32 v10, v2, v3 offset1:2
	ds_write2st64_b32 v10, v4, v5 offset0:4 offset1:6
	ds_write2st64_b32 v10, v6, v7 offset0:8 offset1:10
	;; [unrolled: 1-line block ×3, first 2 shown]
	s_waitcnt lgkmcnt(0)
	s_barrier
	s_and_saveexec_b64 s[0:1], vcc
	s_cbranch_execz .LBB278_23
; %bb.20:
	v_lshlrev_b32_e32 v14, 2, v12
	v_lshl_add_u32 v14, s15, 2, v14
	s_mov_b64 s[2:3], 0
.LBB278_21:                             ; =>This Inner Loop Header: Depth=1
	v_add_u32_e32 v15, v13, v11
	v_lshrrev_b32_e32 v15, 1, v15
	v_not_b32_e32 v16, v15
	v_lshlrev_b32_e32 v17, 2, v15
	v_lshl_add_u32 v16, v16, 2, v14
	ds_read_b32 v17, v17
	ds_read_b32 v16, v16
	v_add_u32_e32 v18, 1, v15
	s_waitcnt lgkmcnt(1)
	v_and_b32_e32 v17, s17, v17
	s_waitcnt lgkmcnt(0)
	v_and_b32_e32 v16, s17, v16
	v_cmp_gt_i32_e32 vcc, v16, v17
	s_nop 1
	v_cndmask_b32_e32 v13, v13, v15, vcc
	v_cndmask_b32_e32 v11, v18, v11, vcc
	v_cmp_ge_u32_e32 vcc, v11, v13
	s_or_b64 s[2:3], vcc, s[2:3]
	s_andn2_b64 exec, exec, s[2:3]
	s_cbranch_execnz .LBB278_21
; %bb.22:
	s_or_b64 exec, exec, s[2:3]
.LBB278_23:
	s_or_b64 exec, exec, s[0:1]
	v_sub_u32_e32 v12, v12, v11
	v_add_u32_e32 v12, s15, v12
	v_cmp_ge_u32_e32 vcc, s15, v11
	v_cmp_ge_u32_e64 s[0:1], s24, v12
	s_or_b64 s[0:1], vcc, s[0:1]
	s_and_saveexec_b64 s[22:23], s[0:1]
	s_cbranch_execz .LBB278_29
; %bb.24:
	v_cmp_gt_u32_e32 vcc, s15, v11
                                        ; implicit-def: $vgpr2
	s_and_saveexec_b64 s[0:1], vcc
; %bb.25:
	v_lshlrev_b32_e32 v2, 2, v11
	ds_read_b32 v2, v2
; %bb.26:
	s_or_b64 exec, exec, s[0:1]
	v_cmp_le_u32_e64 s[0:1], s24, v12
	v_cmp_gt_u32_e64 s[2:3], s24, v12
                                        ; implicit-def: $vgpr3
	s_and_saveexec_b64 s[4:5], s[2:3]
; %bb.27:
	v_lshlrev_b32_e32 v3, 2, v12
	ds_read_b32 v3, v3
; %bb.28:
	s_or_b64 exec, exec, s[4:5]
	s_waitcnt lgkmcnt(0)
	v_and_b32_e32 v4, s17, v3
	v_and_b32_e32 v5, s17, v2
	v_cmp_le_i32_e64 s[2:3], v4, v5
	s_and_b64 s[2:3], vcc, s[2:3]
	s_or_b64 vcc, s[0:1], s[2:3]
	v_mov_b32_e32 v5, s24
	v_mov_b32_e32 v6, s15
	v_cndmask_b32_e32 v4, v12, v11, vcc
	v_cndmask_b32_e32 v7, v5, v6, vcc
	v_add_u32_e32 v4, 1, v4
	v_add_u32_e32 v7, -1, v7
	v_min_u32_e32 v7, v4, v7
	v_lshlrev_b32_e32 v7, 2, v7
	ds_read_b32 v7, v7
	v_cndmask_b32_e32 v9, v4, v12, vcc
	v_cndmask_b32_e32 v4, v11, v4, vcc
	v_cmp_gt_u32_e64 s[2:3], s15, v4
	v_cmp_le_u32_e64 s[0:1], s24, v9
	s_waitcnt lgkmcnt(0)
	v_cndmask_b32_e32 v8, v7, v3, vcc
	v_cndmask_b32_e32 v7, v2, v7, vcc
	v_and_b32_e32 v11, s17, v8
	v_and_b32_e32 v12, s17, v7
	v_cmp_le_i32_e64 s[4:5], v11, v12
	s_and_b64 s[2:3], s[2:3], s[4:5]
	s_or_b64 s[0:1], s[0:1], s[2:3]
	v_cndmask_b32_e64 v11, v9, v4, s[0:1]
	v_cndmask_b32_e64 v12, v5, v6, s[0:1]
	v_add_u32_e32 v11, 1, v11
	v_add_u32_e32 v12, -1, v12
	v_min_u32_e32 v12, v11, v12
	v_lshlrev_b32_e32 v12, 2, v12
	ds_read_b32 v12, v12
	v_cndmask_b32_e64 v9, v11, v9, s[0:1]
	v_cndmask_b32_e64 v4, v4, v11, s[0:1]
	v_cmp_gt_u32_e64 s[4:5], s15, v4
	v_cmp_le_u32_e64 s[2:3], s24, v9
	s_waitcnt lgkmcnt(0)
	v_cndmask_b32_e64 v13, v12, v8, s[0:1]
	v_cndmask_b32_e64 v12, v7, v12, s[0:1]
	v_and_b32_e32 v11, s17, v13
	v_and_b32_e32 v14, s17, v12
	v_cmp_le_i32_e64 s[6:7], v11, v14
	s_and_b64 s[4:5], s[4:5], s[6:7]
	s_or_b64 s[2:3], s[2:3], s[4:5]
	v_cndmask_b32_e64 v11, v9, v4, s[2:3]
	v_cndmask_b32_e64 v14, v5, v6, s[2:3]
	v_add_u32_e32 v11, 1, v11
	v_add_u32_e32 v14, -1, v14
	v_min_u32_e32 v14, v11, v14
	v_lshlrev_b32_e32 v14, 2, v14
	ds_read_b32 v14, v14
	v_cndmask_b32_e64 v9, v11, v9, s[2:3]
	v_cndmask_b32_e64 v4, v4, v11, s[2:3]
	v_cmp_gt_u32_e64 s[6:7], s15, v4
	v_cmp_le_u32_e64 s[4:5], s24, v9
	s_waitcnt lgkmcnt(0)
	v_cndmask_b32_e64 v15, v14, v13, s[2:3]
	v_cndmask_b32_e64 v14, v12, v14, s[2:3]
	;; [unrolled: 19-line block ×4, first 2 shown]
	v_and_b32_e32 v4, s17, v19
	v_and_b32_e32 v20, s17, v18
	v_cmp_le_i32_e64 s[12:13], v4, v20
	s_and_b64 s[10:11], s[10:11], s[12:13]
	s_or_b64 s[8:9], s[8:9], s[10:11]
	v_cndmask_b32_e64 v4, v9, v11, s[8:9]
	v_cndmask_b32_e64 v20, v5, v6, s[8:9]
	v_add_u32_e32 v21, 1, v4
	v_add_u32_e32 v4, -1, v20
	v_min_u32_e32 v4, v21, v4
	v_lshlrev_b32_e32 v4, 2, v4
	ds_read_b32 v20, v4
	v_cndmask_b32_e64 v4, v13, v12, s[2:3]
	v_cndmask_b32_e32 v2, v3, v2, vcc
	v_cndmask_b32_e64 v3, v8, v7, s[0:1]
	v_cndmask_b32_e64 v11, v11, v21, s[8:9]
	s_waitcnt lgkmcnt(0)
	v_cndmask_b32_e64 v12, v20, v19, s[8:9]
	v_cndmask_b32_e64 v13, v18, v20, s[8:9]
	v_and_b32_e32 v7, s17, v12
	v_and_b32_e32 v8, s17, v13
	v_cndmask_b32_e64 v9, v21, v9, s[8:9]
	v_cmp_gt_u32_e64 s[0:1], s15, v11
	v_cmp_le_i32_e64 s[2:3], v7, v8
	v_cmp_le_u32_e32 vcc, s24, v9
	s_and_b64 s[0:1], s[0:1], s[2:3]
	s_or_b64 vcc, vcc, s[0:1]
	v_cndmask_b32_e32 v7, v9, v11, vcc
	v_cndmask_b32_e32 v5, v5, v6, vcc
	v_add_u32_e32 v20, 1, v7
	v_add_u32_e32 v5, -1, v5
	v_min_u32_e32 v5, v20, v5
	v_lshlrev_b32_e32 v5, 2, v5
	ds_read_b32 v21, v5
	v_cndmask_b32_e32 v8, v12, v13, vcc
	v_cndmask_b32_e32 v9, v20, v9, vcc
	;; [unrolled: 1-line block ×3, first 2 shown]
	v_cmp_gt_u32_e64 s[0:1], s15, v11
	s_waitcnt lgkmcnt(0)
	v_cndmask_b32_e32 v12, v21, v12, vcc
	v_cndmask_b32_e32 v13, v13, v21, vcc
	v_cmp_le_u32_e32 vcc, s24, v9
	v_and_b32_e32 v9, s17, v12
	v_and_b32_e32 v11, s17, v13
	v_cmp_le_i32_e64 s[2:3], v9, v11
	s_and_b64 s[0:1], s[0:1], s[2:3]
	s_or_b64 vcc, vcc, s[0:1]
	v_cndmask_b32_e64 v5, v15, v14, s[4:5]
	v_cndmask_b32_e64 v6, v17, v16, s[6:7]
	;; [unrolled: 1-line block ×3, first 2 shown]
	v_cndmask_b32_e32 v9, v12, v13, vcc
.LBB278_29:
	s_or_b64 exec, exec, s[22:23]
	v_and_b32_e32 v11, 0x7c, v0
	v_lshl_add_u32 v1, v1, 2, v11
	s_barrier
	s_barrier
	ds_write2_b32 v1, v2, v3 offset1:1
	ds_write2_b32 v1, v4, v5 offset0:2 offset1:3
	ds_write2_b32 v1, v6, v7 offset0:4 offset1:5
	;; [unrolled: 1-line block ×3, first 2 shown]
	v_lshrrev_b32_e32 v1, 3, v0
	v_and_b32_e32 v1, 12, v1
	v_or_b32_e32 v9, 0x80, v0
	v_add_u32_e32 v12, v1, v10
	v_lshrrev_b32_e32 v1, 3, v9
	v_and_b32_e32 v1, 28, v1
	v_or_b32_e32 v8, 0x100, v0
	v_add_u32_e32 v13, v1, v10
	;; [unrolled: 4-line block ×6, first 2 shown]
	v_lshrrev_b32_e32 v1, 3, v4
	s_mov_b32 s17, 0
	v_and_b32_e32 v1, 0x6c, v1
	s_lshl_b64 s[0:1], s[16:17], 2
	v_add_u32_e32 v18, v1, v10
	v_or_b32_e32 v1, 0x380, v0
	s_add_u32 s0, s20, s0
	v_lshrrev_b32_e32 v2, 3, v1
	s_addc_u32 s1, s21, s1
	v_and_b32_e32 v2, 0x7c, v2
	v_mov_b32_e32 v11, 0
	v_add_u32_e32 v19, v2, v10
	v_lshl_add_u64 v[2:3], s[0:1], 0, v[10:11]
	s_and_b64 vcc, exec, s[18:19]
	s_waitcnt lgkmcnt(0)
	s_cbranch_vccz .LBB278_31
; %bb.30:
	s_barrier
	ds_read_b32 v10, v12
	ds_read_b32 v11, v13 offset:512
	ds_read_b32 v20, v14 offset:1024
	;; [unrolled: 1-line block ×7, first 2 shown]
	s_waitcnt lgkmcnt(7)
	global_store_dword v[2:3], v10, off
	s_waitcnt lgkmcnt(6)
	global_store_dword v[2:3], v11, off offset:512
	s_waitcnt lgkmcnt(5)
	global_store_dword v[2:3], v20, off offset:1024
	;; [unrolled: 2-line block ×6, first 2 shown]
	s_mov_b64 s[0:1], -1
	s_cbranch_execz .LBB278_32
	s_branch .LBB278_41
.LBB278_31:
	s_mov_b64 s[0:1], 0
                                        ; implicit-def: $vgpr22
.LBB278_32:
	s_barrier
	s_waitcnt lgkmcnt(0)
	ds_read_b32 v21, v13 offset:512
	ds_read_b32 v20, v14 offset:1024
	;; [unrolled: 1-line block ×7, first 2 shown]
	s_sub_i32 s2, s14, s16
	v_cmp_gt_u32_e32 vcc, s2, v0
	s_and_saveexec_b64 s[0:1], vcc
	s_cbranch_execnz .LBB278_46
; %bb.33:
	s_or_b64 exec, exec, s[0:1]
	v_cmp_gt_u32_e32 vcc, s2, v9
	s_and_saveexec_b64 s[0:1], vcc
	s_cbranch_execnz .LBB278_47
.LBB278_34:
	s_or_b64 exec, exec, s[0:1]
	v_cmp_gt_u32_e32 vcc, s2, v8
	s_and_saveexec_b64 s[0:1], vcc
	s_cbranch_execnz .LBB278_48
.LBB278_35:
	s_or_b64 exec, exec, s[0:1]
	v_cmp_gt_u32_e32 vcc, s2, v7
	s_and_saveexec_b64 s[0:1], vcc
	s_cbranch_execnz .LBB278_49
.LBB278_36:
	s_or_b64 exec, exec, s[0:1]
	v_cmp_gt_u32_e32 vcc, s2, v6
	s_and_saveexec_b64 s[0:1], vcc
	s_cbranch_execnz .LBB278_50
.LBB278_37:
	s_or_b64 exec, exec, s[0:1]
	v_cmp_gt_u32_e32 vcc, s2, v5
	s_and_saveexec_b64 s[0:1], vcc
	s_cbranch_execnz .LBB278_51
.LBB278_38:
	s_or_b64 exec, exec, s[0:1]
	v_cmp_gt_u32_e32 vcc, s2, v4
	s_and_saveexec_b64 s[0:1], vcc
	s_cbranch_execz .LBB278_40
.LBB278_39:
	s_waitcnt lgkmcnt(1)
	global_store_dword v[2:3], v10, off offset:3072
.LBB278_40:
	s_or_b64 exec, exec, s[0:1]
	v_cmp_gt_u32_e64 s[0:1], s2, v1
.LBB278_41:
	s_and_saveexec_b64 s[2:3], s[0:1]
	s_cbranch_execz .LBB278_43
; %bb.42:
	s_waitcnt lgkmcnt(0)
	global_store_dword v[2:3], v22, off offset:3584
.LBB278_43:
	s_endpgm
.LBB278_44:
	v_mov_b32_e32 v11, v2
	v_subrev_co_u32_e32 v6, vcc, s15, v0
	v_mov_b32_e32 v7, v2
	v_lshl_add_u64 v[4:5], s[4:5], 0, v[10:11]
	v_lshl_add_u64 v[6:7], v[6:7], 2, s[6:7]
	v_cndmask_b32_e32 v5, v7, v5, vcc
	v_cndmask_b32_e32 v4, v6, v4, vcc
	global_load_dword v16, v[4:5], off
	v_mov_b32_e32 v17, v2
	v_mov_b32_e32 v18, v2
	;; [unrolled: 1-line block ×7, first 2 shown]
	s_waitcnt vmcnt(0)
	v_mov_b64_e32 v[2:3], v[16:17]
	v_mov_b64_e32 v[4:5], v[18:19]
	;; [unrolled: 1-line block ×4, first 2 shown]
	s_or_b64 exec, exec, s[0:1]
	v_cmp_gt_u32_e32 vcc, s24, v14
	s_and_saveexec_b64 s[0:1], vcc
	s_cbranch_execz .LBB278_6
.LBB278_45:
	v_mov_b32_e32 v15, 0
	v_lshl_add_u64 v[16:17], v[14:15], 2, s[4:5]
	v_subrev_co_u32_e32 v14, vcc, s15, v14
	v_lshl_add_u64 v[14:15], v[14:15], 2, s[6:7]
	s_nop 0
	v_cndmask_b32_e32 v15, v15, v17, vcc
	v_cndmask_b32_e32 v14, v14, v16, vcc
	global_load_dword v3, v[14:15], off
	s_or_b64 exec, exec, s[0:1]
	v_cmp_gt_u32_e32 vcc, s24, v12
	s_and_saveexec_b64 s[0:1], vcc
	s_cbranch_execnz .LBB278_7
	s_branch .LBB278_8
.LBB278_46:
	ds_read_b32 v0, v12
	s_waitcnt lgkmcnt(0)
	global_store_dword v[2:3], v0, off
	s_or_b64 exec, exec, s[0:1]
	v_cmp_gt_u32_e32 vcc, s2, v9
	s_and_saveexec_b64 s[0:1], vcc
	s_cbranch_execz .LBB278_34
.LBB278_47:
	s_waitcnt lgkmcnt(6)
	global_store_dword v[2:3], v21, off offset:512
	s_or_b64 exec, exec, s[0:1]
	v_cmp_gt_u32_e32 vcc, s2, v8
	s_and_saveexec_b64 s[0:1], vcc
	s_cbranch_execz .LBB278_35
.LBB278_48:
	s_waitcnt lgkmcnt(5)
	global_store_dword v[2:3], v20, off offset:1024
	s_or_b64 exec, exec, s[0:1]
	v_cmp_gt_u32_e32 vcc, s2, v7
	s_and_saveexec_b64 s[0:1], vcc
	s_cbranch_execz .LBB278_36
.LBB278_49:
	s_waitcnt lgkmcnt(4)
	global_store_dword v[2:3], v14, off offset:1536
	s_or_b64 exec, exec, s[0:1]
	v_cmp_gt_u32_e32 vcc, s2, v6
	s_and_saveexec_b64 s[0:1], vcc
	s_cbranch_execz .LBB278_37
.LBB278_50:
	s_waitcnt lgkmcnt(3)
	global_store_dword v[2:3], v13, off offset:2048
	s_or_b64 exec, exec, s[0:1]
	v_cmp_gt_u32_e32 vcc, s2, v5
	s_and_saveexec_b64 s[0:1], vcc
	s_cbranch_execz .LBB278_38
.LBB278_51:
	s_waitcnt lgkmcnt(2)
	global_store_dword v[2:3], v11, off offset:2560
	s_or_b64 exec, exec, s[0:1]
	v_cmp_gt_u32_e32 vcc, s2, v4
	s_and_saveexec_b64 s[0:1], vcc
	s_cbranch_execnz .LBB278_39
	s_branch .LBB278_40
	.section	.rodata,"a",@progbits
	.p2align	6, 0x0
	.amdhsa_kernel _ZN7rocprim17ROCPRIM_400000_NS6detail17trampoline_kernelINS0_14default_configENS1_38merge_sort_block_merge_config_selectorIiNS0_10empty_typeEEEZZNS1_27merge_sort_block_merge_implIS3_N6thrust23THRUST_200600_302600_NS6detail15normal_iteratorINS9_10device_ptrIiEEEEPS5_jNS1_19radix_merge_compareILb1ELb1EiNS0_19identity_decomposerEEEEE10hipError_tT0_T1_T2_jT3_P12ihipStream_tbPNSt15iterator_traitsISK_E10value_typeEPNSQ_ISL_E10value_typeEPSM_NS1_7vsmem_tEENKUlT_SK_SL_SM_E_clIPiSE_SF_SF_EESJ_SZ_SK_SL_SM_EUlSZ_E0_NS1_11comp_targetILNS1_3genE0ELNS1_11target_archE4294967295ELNS1_3gpuE0ELNS1_3repE0EEENS1_38merge_mergepath_config_static_selectorELNS0_4arch9wavefront6targetE1EEEvSL_
		.amdhsa_group_segment_fixed_size 4224
		.amdhsa_private_segment_fixed_size 0
		.amdhsa_kernarg_size 320
		.amdhsa_user_sgpr_count 2
		.amdhsa_user_sgpr_dispatch_ptr 0
		.amdhsa_user_sgpr_queue_ptr 0
		.amdhsa_user_sgpr_kernarg_segment_ptr 1
		.amdhsa_user_sgpr_dispatch_id 0
		.amdhsa_user_sgpr_kernarg_preload_length 0
		.amdhsa_user_sgpr_kernarg_preload_offset 0
		.amdhsa_user_sgpr_private_segment_size 0
		.amdhsa_uses_dynamic_stack 0
		.amdhsa_enable_private_segment 0
		.amdhsa_system_sgpr_workgroup_id_x 1
		.amdhsa_system_sgpr_workgroup_id_y 1
		.amdhsa_system_sgpr_workgroup_id_z 1
		.amdhsa_system_sgpr_workgroup_info 0
		.amdhsa_system_vgpr_workitem_id 0
		.amdhsa_next_free_vgpr 26
		.amdhsa_next_free_sgpr 25
		.amdhsa_accum_offset 28
		.amdhsa_reserve_vcc 1
		.amdhsa_float_round_mode_32 0
		.amdhsa_float_round_mode_16_64 0
		.amdhsa_float_denorm_mode_32 3
		.amdhsa_float_denorm_mode_16_64 3
		.amdhsa_dx10_clamp 1
		.amdhsa_ieee_mode 1
		.amdhsa_fp16_overflow 0
		.amdhsa_tg_split 0
		.amdhsa_exception_fp_ieee_invalid_op 0
		.amdhsa_exception_fp_denorm_src 0
		.amdhsa_exception_fp_ieee_div_zero 0
		.amdhsa_exception_fp_ieee_overflow 0
		.amdhsa_exception_fp_ieee_underflow 0
		.amdhsa_exception_fp_ieee_inexact 0
		.amdhsa_exception_int_div_zero 0
	.end_amdhsa_kernel
	.section	.text._ZN7rocprim17ROCPRIM_400000_NS6detail17trampoline_kernelINS0_14default_configENS1_38merge_sort_block_merge_config_selectorIiNS0_10empty_typeEEEZZNS1_27merge_sort_block_merge_implIS3_N6thrust23THRUST_200600_302600_NS6detail15normal_iteratorINS9_10device_ptrIiEEEEPS5_jNS1_19radix_merge_compareILb1ELb1EiNS0_19identity_decomposerEEEEE10hipError_tT0_T1_T2_jT3_P12ihipStream_tbPNSt15iterator_traitsISK_E10value_typeEPNSQ_ISL_E10value_typeEPSM_NS1_7vsmem_tEENKUlT_SK_SL_SM_E_clIPiSE_SF_SF_EESJ_SZ_SK_SL_SM_EUlSZ_E0_NS1_11comp_targetILNS1_3genE0ELNS1_11target_archE4294967295ELNS1_3gpuE0ELNS1_3repE0EEENS1_38merge_mergepath_config_static_selectorELNS0_4arch9wavefront6targetE1EEEvSL_,"axG",@progbits,_ZN7rocprim17ROCPRIM_400000_NS6detail17trampoline_kernelINS0_14default_configENS1_38merge_sort_block_merge_config_selectorIiNS0_10empty_typeEEEZZNS1_27merge_sort_block_merge_implIS3_N6thrust23THRUST_200600_302600_NS6detail15normal_iteratorINS9_10device_ptrIiEEEEPS5_jNS1_19radix_merge_compareILb1ELb1EiNS0_19identity_decomposerEEEEE10hipError_tT0_T1_T2_jT3_P12ihipStream_tbPNSt15iterator_traitsISK_E10value_typeEPNSQ_ISL_E10value_typeEPSM_NS1_7vsmem_tEENKUlT_SK_SL_SM_E_clIPiSE_SF_SF_EESJ_SZ_SK_SL_SM_EUlSZ_E0_NS1_11comp_targetILNS1_3genE0ELNS1_11target_archE4294967295ELNS1_3gpuE0ELNS1_3repE0EEENS1_38merge_mergepath_config_static_selectorELNS0_4arch9wavefront6targetE1EEEvSL_,comdat
.Lfunc_end278:
	.size	_ZN7rocprim17ROCPRIM_400000_NS6detail17trampoline_kernelINS0_14default_configENS1_38merge_sort_block_merge_config_selectorIiNS0_10empty_typeEEEZZNS1_27merge_sort_block_merge_implIS3_N6thrust23THRUST_200600_302600_NS6detail15normal_iteratorINS9_10device_ptrIiEEEEPS5_jNS1_19radix_merge_compareILb1ELb1EiNS0_19identity_decomposerEEEEE10hipError_tT0_T1_T2_jT3_P12ihipStream_tbPNSt15iterator_traitsISK_E10value_typeEPNSQ_ISL_E10value_typeEPSM_NS1_7vsmem_tEENKUlT_SK_SL_SM_E_clIPiSE_SF_SF_EESJ_SZ_SK_SL_SM_EUlSZ_E0_NS1_11comp_targetILNS1_3genE0ELNS1_11target_archE4294967295ELNS1_3gpuE0ELNS1_3repE0EEENS1_38merge_mergepath_config_static_selectorELNS0_4arch9wavefront6targetE1EEEvSL_, .Lfunc_end278-_ZN7rocprim17ROCPRIM_400000_NS6detail17trampoline_kernelINS0_14default_configENS1_38merge_sort_block_merge_config_selectorIiNS0_10empty_typeEEEZZNS1_27merge_sort_block_merge_implIS3_N6thrust23THRUST_200600_302600_NS6detail15normal_iteratorINS9_10device_ptrIiEEEEPS5_jNS1_19radix_merge_compareILb1ELb1EiNS0_19identity_decomposerEEEEE10hipError_tT0_T1_T2_jT3_P12ihipStream_tbPNSt15iterator_traitsISK_E10value_typeEPNSQ_ISL_E10value_typeEPSM_NS1_7vsmem_tEENKUlT_SK_SL_SM_E_clIPiSE_SF_SF_EESJ_SZ_SK_SL_SM_EUlSZ_E0_NS1_11comp_targetILNS1_3genE0ELNS1_11target_archE4294967295ELNS1_3gpuE0ELNS1_3repE0EEENS1_38merge_mergepath_config_static_selectorELNS0_4arch9wavefront6targetE1EEEvSL_
                                        ; -- End function
	.set _ZN7rocprim17ROCPRIM_400000_NS6detail17trampoline_kernelINS0_14default_configENS1_38merge_sort_block_merge_config_selectorIiNS0_10empty_typeEEEZZNS1_27merge_sort_block_merge_implIS3_N6thrust23THRUST_200600_302600_NS6detail15normal_iteratorINS9_10device_ptrIiEEEEPS5_jNS1_19radix_merge_compareILb1ELb1EiNS0_19identity_decomposerEEEEE10hipError_tT0_T1_T2_jT3_P12ihipStream_tbPNSt15iterator_traitsISK_E10value_typeEPNSQ_ISL_E10value_typeEPSM_NS1_7vsmem_tEENKUlT_SK_SL_SM_E_clIPiSE_SF_SF_EESJ_SZ_SK_SL_SM_EUlSZ_E0_NS1_11comp_targetILNS1_3genE0ELNS1_11target_archE4294967295ELNS1_3gpuE0ELNS1_3repE0EEENS1_38merge_mergepath_config_static_selectorELNS0_4arch9wavefront6targetE1EEEvSL_.num_vgpr, 26
	.set _ZN7rocprim17ROCPRIM_400000_NS6detail17trampoline_kernelINS0_14default_configENS1_38merge_sort_block_merge_config_selectorIiNS0_10empty_typeEEEZZNS1_27merge_sort_block_merge_implIS3_N6thrust23THRUST_200600_302600_NS6detail15normal_iteratorINS9_10device_ptrIiEEEEPS5_jNS1_19radix_merge_compareILb1ELb1EiNS0_19identity_decomposerEEEEE10hipError_tT0_T1_T2_jT3_P12ihipStream_tbPNSt15iterator_traitsISK_E10value_typeEPNSQ_ISL_E10value_typeEPSM_NS1_7vsmem_tEENKUlT_SK_SL_SM_E_clIPiSE_SF_SF_EESJ_SZ_SK_SL_SM_EUlSZ_E0_NS1_11comp_targetILNS1_3genE0ELNS1_11target_archE4294967295ELNS1_3gpuE0ELNS1_3repE0EEENS1_38merge_mergepath_config_static_selectorELNS0_4arch9wavefront6targetE1EEEvSL_.num_agpr, 0
	.set _ZN7rocprim17ROCPRIM_400000_NS6detail17trampoline_kernelINS0_14default_configENS1_38merge_sort_block_merge_config_selectorIiNS0_10empty_typeEEEZZNS1_27merge_sort_block_merge_implIS3_N6thrust23THRUST_200600_302600_NS6detail15normal_iteratorINS9_10device_ptrIiEEEEPS5_jNS1_19radix_merge_compareILb1ELb1EiNS0_19identity_decomposerEEEEE10hipError_tT0_T1_T2_jT3_P12ihipStream_tbPNSt15iterator_traitsISK_E10value_typeEPNSQ_ISL_E10value_typeEPSM_NS1_7vsmem_tEENKUlT_SK_SL_SM_E_clIPiSE_SF_SF_EESJ_SZ_SK_SL_SM_EUlSZ_E0_NS1_11comp_targetILNS1_3genE0ELNS1_11target_archE4294967295ELNS1_3gpuE0ELNS1_3repE0EEENS1_38merge_mergepath_config_static_selectorELNS0_4arch9wavefront6targetE1EEEvSL_.numbered_sgpr, 25
	.set _ZN7rocprim17ROCPRIM_400000_NS6detail17trampoline_kernelINS0_14default_configENS1_38merge_sort_block_merge_config_selectorIiNS0_10empty_typeEEEZZNS1_27merge_sort_block_merge_implIS3_N6thrust23THRUST_200600_302600_NS6detail15normal_iteratorINS9_10device_ptrIiEEEEPS5_jNS1_19radix_merge_compareILb1ELb1EiNS0_19identity_decomposerEEEEE10hipError_tT0_T1_T2_jT3_P12ihipStream_tbPNSt15iterator_traitsISK_E10value_typeEPNSQ_ISL_E10value_typeEPSM_NS1_7vsmem_tEENKUlT_SK_SL_SM_E_clIPiSE_SF_SF_EESJ_SZ_SK_SL_SM_EUlSZ_E0_NS1_11comp_targetILNS1_3genE0ELNS1_11target_archE4294967295ELNS1_3gpuE0ELNS1_3repE0EEENS1_38merge_mergepath_config_static_selectorELNS0_4arch9wavefront6targetE1EEEvSL_.num_named_barrier, 0
	.set _ZN7rocprim17ROCPRIM_400000_NS6detail17trampoline_kernelINS0_14default_configENS1_38merge_sort_block_merge_config_selectorIiNS0_10empty_typeEEEZZNS1_27merge_sort_block_merge_implIS3_N6thrust23THRUST_200600_302600_NS6detail15normal_iteratorINS9_10device_ptrIiEEEEPS5_jNS1_19radix_merge_compareILb1ELb1EiNS0_19identity_decomposerEEEEE10hipError_tT0_T1_T2_jT3_P12ihipStream_tbPNSt15iterator_traitsISK_E10value_typeEPNSQ_ISL_E10value_typeEPSM_NS1_7vsmem_tEENKUlT_SK_SL_SM_E_clIPiSE_SF_SF_EESJ_SZ_SK_SL_SM_EUlSZ_E0_NS1_11comp_targetILNS1_3genE0ELNS1_11target_archE4294967295ELNS1_3gpuE0ELNS1_3repE0EEENS1_38merge_mergepath_config_static_selectorELNS0_4arch9wavefront6targetE1EEEvSL_.private_seg_size, 0
	.set _ZN7rocprim17ROCPRIM_400000_NS6detail17trampoline_kernelINS0_14default_configENS1_38merge_sort_block_merge_config_selectorIiNS0_10empty_typeEEEZZNS1_27merge_sort_block_merge_implIS3_N6thrust23THRUST_200600_302600_NS6detail15normal_iteratorINS9_10device_ptrIiEEEEPS5_jNS1_19radix_merge_compareILb1ELb1EiNS0_19identity_decomposerEEEEE10hipError_tT0_T1_T2_jT3_P12ihipStream_tbPNSt15iterator_traitsISK_E10value_typeEPNSQ_ISL_E10value_typeEPSM_NS1_7vsmem_tEENKUlT_SK_SL_SM_E_clIPiSE_SF_SF_EESJ_SZ_SK_SL_SM_EUlSZ_E0_NS1_11comp_targetILNS1_3genE0ELNS1_11target_archE4294967295ELNS1_3gpuE0ELNS1_3repE0EEENS1_38merge_mergepath_config_static_selectorELNS0_4arch9wavefront6targetE1EEEvSL_.uses_vcc, 1
	.set _ZN7rocprim17ROCPRIM_400000_NS6detail17trampoline_kernelINS0_14default_configENS1_38merge_sort_block_merge_config_selectorIiNS0_10empty_typeEEEZZNS1_27merge_sort_block_merge_implIS3_N6thrust23THRUST_200600_302600_NS6detail15normal_iteratorINS9_10device_ptrIiEEEEPS5_jNS1_19radix_merge_compareILb1ELb1EiNS0_19identity_decomposerEEEEE10hipError_tT0_T1_T2_jT3_P12ihipStream_tbPNSt15iterator_traitsISK_E10value_typeEPNSQ_ISL_E10value_typeEPSM_NS1_7vsmem_tEENKUlT_SK_SL_SM_E_clIPiSE_SF_SF_EESJ_SZ_SK_SL_SM_EUlSZ_E0_NS1_11comp_targetILNS1_3genE0ELNS1_11target_archE4294967295ELNS1_3gpuE0ELNS1_3repE0EEENS1_38merge_mergepath_config_static_selectorELNS0_4arch9wavefront6targetE1EEEvSL_.uses_flat_scratch, 0
	.set _ZN7rocprim17ROCPRIM_400000_NS6detail17trampoline_kernelINS0_14default_configENS1_38merge_sort_block_merge_config_selectorIiNS0_10empty_typeEEEZZNS1_27merge_sort_block_merge_implIS3_N6thrust23THRUST_200600_302600_NS6detail15normal_iteratorINS9_10device_ptrIiEEEEPS5_jNS1_19radix_merge_compareILb1ELb1EiNS0_19identity_decomposerEEEEE10hipError_tT0_T1_T2_jT3_P12ihipStream_tbPNSt15iterator_traitsISK_E10value_typeEPNSQ_ISL_E10value_typeEPSM_NS1_7vsmem_tEENKUlT_SK_SL_SM_E_clIPiSE_SF_SF_EESJ_SZ_SK_SL_SM_EUlSZ_E0_NS1_11comp_targetILNS1_3genE0ELNS1_11target_archE4294967295ELNS1_3gpuE0ELNS1_3repE0EEENS1_38merge_mergepath_config_static_selectorELNS0_4arch9wavefront6targetE1EEEvSL_.has_dyn_sized_stack, 0
	.set _ZN7rocprim17ROCPRIM_400000_NS6detail17trampoline_kernelINS0_14default_configENS1_38merge_sort_block_merge_config_selectorIiNS0_10empty_typeEEEZZNS1_27merge_sort_block_merge_implIS3_N6thrust23THRUST_200600_302600_NS6detail15normal_iteratorINS9_10device_ptrIiEEEEPS5_jNS1_19radix_merge_compareILb1ELb1EiNS0_19identity_decomposerEEEEE10hipError_tT0_T1_T2_jT3_P12ihipStream_tbPNSt15iterator_traitsISK_E10value_typeEPNSQ_ISL_E10value_typeEPSM_NS1_7vsmem_tEENKUlT_SK_SL_SM_E_clIPiSE_SF_SF_EESJ_SZ_SK_SL_SM_EUlSZ_E0_NS1_11comp_targetILNS1_3genE0ELNS1_11target_archE4294967295ELNS1_3gpuE0ELNS1_3repE0EEENS1_38merge_mergepath_config_static_selectorELNS0_4arch9wavefront6targetE1EEEvSL_.has_recursion, 0
	.set _ZN7rocprim17ROCPRIM_400000_NS6detail17trampoline_kernelINS0_14default_configENS1_38merge_sort_block_merge_config_selectorIiNS0_10empty_typeEEEZZNS1_27merge_sort_block_merge_implIS3_N6thrust23THRUST_200600_302600_NS6detail15normal_iteratorINS9_10device_ptrIiEEEEPS5_jNS1_19radix_merge_compareILb1ELb1EiNS0_19identity_decomposerEEEEE10hipError_tT0_T1_T2_jT3_P12ihipStream_tbPNSt15iterator_traitsISK_E10value_typeEPNSQ_ISL_E10value_typeEPSM_NS1_7vsmem_tEENKUlT_SK_SL_SM_E_clIPiSE_SF_SF_EESJ_SZ_SK_SL_SM_EUlSZ_E0_NS1_11comp_targetILNS1_3genE0ELNS1_11target_archE4294967295ELNS1_3gpuE0ELNS1_3repE0EEENS1_38merge_mergepath_config_static_selectorELNS0_4arch9wavefront6targetE1EEEvSL_.has_indirect_call, 0
	.section	.AMDGPU.csdata,"",@progbits
; Kernel info:
; codeLenInByte = 3352
; TotalNumSgprs: 31
; NumVgprs: 26
; NumAgprs: 0
; TotalNumVgprs: 26
; ScratchSize: 0
; MemoryBound: 0
; FloatMode: 240
; IeeeMode: 1
; LDSByteSize: 4224 bytes/workgroup (compile time only)
; SGPRBlocks: 3
; VGPRBlocks: 3
; NumSGPRsForWavesPerEU: 31
; NumVGPRsForWavesPerEU: 26
; AccumOffset: 28
; Occupancy: 8
; WaveLimiterHint : 1
; COMPUTE_PGM_RSRC2:SCRATCH_EN: 0
; COMPUTE_PGM_RSRC2:USER_SGPR: 2
; COMPUTE_PGM_RSRC2:TRAP_HANDLER: 0
; COMPUTE_PGM_RSRC2:TGID_X_EN: 1
; COMPUTE_PGM_RSRC2:TGID_Y_EN: 1
; COMPUTE_PGM_RSRC2:TGID_Z_EN: 1
; COMPUTE_PGM_RSRC2:TIDIG_COMP_CNT: 0
; COMPUTE_PGM_RSRC3_GFX90A:ACCUM_OFFSET: 6
; COMPUTE_PGM_RSRC3_GFX90A:TG_SPLIT: 0
	.section	.text._ZN7rocprim17ROCPRIM_400000_NS6detail17trampoline_kernelINS0_14default_configENS1_38merge_sort_block_merge_config_selectorIiNS0_10empty_typeEEEZZNS1_27merge_sort_block_merge_implIS3_N6thrust23THRUST_200600_302600_NS6detail15normal_iteratorINS9_10device_ptrIiEEEEPS5_jNS1_19radix_merge_compareILb1ELb1EiNS0_19identity_decomposerEEEEE10hipError_tT0_T1_T2_jT3_P12ihipStream_tbPNSt15iterator_traitsISK_E10value_typeEPNSQ_ISL_E10value_typeEPSM_NS1_7vsmem_tEENKUlT_SK_SL_SM_E_clIPiSE_SF_SF_EESJ_SZ_SK_SL_SM_EUlSZ_E0_NS1_11comp_targetILNS1_3genE10ELNS1_11target_archE1201ELNS1_3gpuE5ELNS1_3repE0EEENS1_38merge_mergepath_config_static_selectorELNS0_4arch9wavefront6targetE1EEEvSL_,"axG",@progbits,_ZN7rocprim17ROCPRIM_400000_NS6detail17trampoline_kernelINS0_14default_configENS1_38merge_sort_block_merge_config_selectorIiNS0_10empty_typeEEEZZNS1_27merge_sort_block_merge_implIS3_N6thrust23THRUST_200600_302600_NS6detail15normal_iteratorINS9_10device_ptrIiEEEEPS5_jNS1_19radix_merge_compareILb1ELb1EiNS0_19identity_decomposerEEEEE10hipError_tT0_T1_T2_jT3_P12ihipStream_tbPNSt15iterator_traitsISK_E10value_typeEPNSQ_ISL_E10value_typeEPSM_NS1_7vsmem_tEENKUlT_SK_SL_SM_E_clIPiSE_SF_SF_EESJ_SZ_SK_SL_SM_EUlSZ_E0_NS1_11comp_targetILNS1_3genE10ELNS1_11target_archE1201ELNS1_3gpuE5ELNS1_3repE0EEENS1_38merge_mergepath_config_static_selectorELNS0_4arch9wavefront6targetE1EEEvSL_,comdat
	.protected	_ZN7rocprim17ROCPRIM_400000_NS6detail17trampoline_kernelINS0_14default_configENS1_38merge_sort_block_merge_config_selectorIiNS0_10empty_typeEEEZZNS1_27merge_sort_block_merge_implIS3_N6thrust23THRUST_200600_302600_NS6detail15normal_iteratorINS9_10device_ptrIiEEEEPS5_jNS1_19radix_merge_compareILb1ELb1EiNS0_19identity_decomposerEEEEE10hipError_tT0_T1_T2_jT3_P12ihipStream_tbPNSt15iterator_traitsISK_E10value_typeEPNSQ_ISL_E10value_typeEPSM_NS1_7vsmem_tEENKUlT_SK_SL_SM_E_clIPiSE_SF_SF_EESJ_SZ_SK_SL_SM_EUlSZ_E0_NS1_11comp_targetILNS1_3genE10ELNS1_11target_archE1201ELNS1_3gpuE5ELNS1_3repE0EEENS1_38merge_mergepath_config_static_selectorELNS0_4arch9wavefront6targetE1EEEvSL_ ; -- Begin function _ZN7rocprim17ROCPRIM_400000_NS6detail17trampoline_kernelINS0_14default_configENS1_38merge_sort_block_merge_config_selectorIiNS0_10empty_typeEEEZZNS1_27merge_sort_block_merge_implIS3_N6thrust23THRUST_200600_302600_NS6detail15normal_iteratorINS9_10device_ptrIiEEEEPS5_jNS1_19radix_merge_compareILb1ELb1EiNS0_19identity_decomposerEEEEE10hipError_tT0_T1_T2_jT3_P12ihipStream_tbPNSt15iterator_traitsISK_E10value_typeEPNSQ_ISL_E10value_typeEPSM_NS1_7vsmem_tEENKUlT_SK_SL_SM_E_clIPiSE_SF_SF_EESJ_SZ_SK_SL_SM_EUlSZ_E0_NS1_11comp_targetILNS1_3genE10ELNS1_11target_archE1201ELNS1_3gpuE5ELNS1_3repE0EEENS1_38merge_mergepath_config_static_selectorELNS0_4arch9wavefront6targetE1EEEvSL_
	.globl	_ZN7rocprim17ROCPRIM_400000_NS6detail17trampoline_kernelINS0_14default_configENS1_38merge_sort_block_merge_config_selectorIiNS0_10empty_typeEEEZZNS1_27merge_sort_block_merge_implIS3_N6thrust23THRUST_200600_302600_NS6detail15normal_iteratorINS9_10device_ptrIiEEEEPS5_jNS1_19radix_merge_compareILb1ELb1EiNS0_19identity_decomposerEEEEE10hipError_tT0_T1_T2_jT3_P12ihipStream_tbPNSt15iterator_traitsISK_E10value_typeEPNSQ_ISL_E10value_typeEPSM_NS1_7vsmem_tEENKUlT_SK_SL_SM_E_clIPiSE_SF_SF_EESJ_SZ_SK_SL_SM_EUlSZ_E0_NS1_11comp_targetILNS1_3genE10ELNS1_11target_archE1201ELNS1_3gpuE5ELNS1_3repE0EEENS1_38merge_mergepath_config_static_selectorELNS0_4arch9wavefront6targetE1EEEvSL_
	.p2align	8
	.type	_ZN7rocprim17ROCPRIM_400000_NS6detail17trampoline_kernelINS0_14default_configENS1_38merge_sort_block_merge_config_selectorIiNS0_10empty_typeEEEZZNS1_27merge_sort_block_merge_implIS3_N6thrust23THRUST_200600_302600_NS6detail15normal_iteratorINS9_10device_ptrIiEEEEPS5_jNS1_19radix_merge_compareILb1ELb1EiNS0_19identity_decomposerEEEEE10hipError_tT0_T1_T2_jT3_P12ihipStream_tbPNSt15iterator_traitsISK_E10value_typeEPNSQ_ISL_E10value_typeEPSM_NS1_7vsmem_tEENKUlT_SK_SL_SM_E_clIPiSE_SF_SF_EESJ_SZ_SK_SL_SM_EUlSZ_E0_NS1_11comp_targetILNS1_3genE10ELNS1_11target_archE1201ELNS1_3gpuE5ELNS1_3repE0EEENS1_38merge_mergepath_config_static_selectorELNS0_4arch9wavefront6targetE1EEEvSL_,@function
_ZN7rocprim17ROCPRIM_400000_NS6detail17trampoline_kernelINS0_14default_configENS1_38merge_sort_block_merge_config_selectorIiNS0_10empty_typeEEEZZNS1_27merge_sort_block_merge_implIS3_N6thrust23THRUST_200600_302600_NS6detail15normal_iteratorINS9_10device_ptrIiEEEEPS5_jNS1_19radix_merge_compareILb1ELb1EiNS0_19identity_decomposerEEEEE10hipError_tT0_T1_T2_jT3_P12ihipStream_tbPNSt15iterator_traitsISK_E10value_typeEPNSQ_ISL_E10value_typeEPSM_NS1_7vsmem_tEENKUlT_SK_SL_SM_E_clIPiSE_SF_SF_EESJ_SZ_SK_SL_SM_EUlSZ_E0_NS1_11comp_targetILNS1_3genE10ELNS1_11target_archE1201ELNS1_3gpuE5ELNS1_3repE0EEENS1_38merge_mergepath_config_static_selectorELNS0_4arch9wavefront6targetE1EEEvSL_: ; @_ZN7rocprim17ROCPRIM_400000_NS6detail17trampoline_kernelINS0_14default_configENS1_38merge_sort_block_merge_config_selectorIiNS0_10empty_typeEEEZZNS1_27merge_sort_block_merge_implIS3_N6thrust23THRUST_200600_302600_NS6detail15normal_iteratorINS9_10device_ptrIiEEEEPS5_jNS1_19radix_merge_compareILb1ELb1EiNS0_19identity_decomposerEEEEE10hipError_tT0_T1_T2_jT3_P12ihipStream_tbPNSt15iterator_traitsISK_E10value_typeEPNSQ_ISL_E10value_typeEPSM_NS1_7vsmem_tEENKUlT_SK_SL_SM_E_clIPiSE_SF_SF_EESJ_SZ_SK_SL_SM_EUlSZ_E0_NS1_11comp_targetILNS1_3genE10ELNS1_11target_archE1201ELNS1_3gpuE5ELNS1_3repE0EEENS1_38merge_mergepath_config_static_selectorELNS0_4arch9wavefront6targetE1EEEvSL_
; %bb.0:
	.section	.rodata,"a",@progbits
	.p2align	6, 0x0
	.amdhsa_kernel _ZN7rocprim17ROCPRIM_400000_NS6detail17trampoline_kernelINS0_14default_configENS1_38merge_sort_block_merge_config_selectorIiNS0_10empty_typeEEEZZNS1_27merge_sort_block_merge_implIS3_N6thrust23THRUST_200600_302600_NS6detail15normal_iteratorINS9_10device_ptrIiEEEEPS5_jNS1_19radix_merge_compareILb1ELb1EiNS0_19identity_decomposerEEEEE10hipError_tT0_T1_T2_jT3_P12ihipStream_tbPNSt15iterator_traitsISK_E10value_typeEPNSQ_ISL_E10value_typeEPSM_NS1_7vsmem_tEENKUlT_SK_SL_SM_E_clIPiSE_SF_SF_EESJ_SZ_SK_SL_SM_EUlSZ_E0_NS1_11comp_targetILNS1_3genE10ELNS1_11target_archE1201ELNS1_3gpuE5ELNS1_3repE0EEENS1_38merge_mergepath_config_static_selectorELNS0_4arch9wavefront6targetE1EEEvSL_
		.amdhsa_group_segment_fixed_size 0
		.amdhsa_private_segment_fixed_size 0
		.amdhsa_kernarg_size 64
		.amdhsa_user_sgpr_count 2
		.amdhsa_user_sgpr_dispatch_ptr 0
		.amdhsa_user_sgpr_queue_ptr 0
		.amdhsa_user_sgpr_kernarg_segment_ptr 1
		.amdhsa_user_sgpr_dispatch_id 0
		.amdhsa_user_sgpr_kernarg_preload_length 0
		.amdhsa_user_sgpr_kernarg_preload_offset 0
		.amdhsa_user_sgpr_private_segment_size 0
		.amdhsa_uses_dynamic_stack 0
		.amdhsa_enable_private_segment 0
		.amdhsa_system_sgpr_workgroup_id_x 1
		.amdhsa_system_sgpr_workgroup_id_y 0
		.amdhsa_system_sgpr_workgroup_id_z 0
		.amdhsa_system_sgpr_workgroup_info 0
		.amdhsa_system_vgpr_workitem_id 0
		.amdhsa_next_free_vgpr 1
		.amdhsa_next_free_sgpr 0
		.amdhsa_accum_offset 4
		.amdhsa_reserve_vcc 0
		.amdhsa_float_round_mode_32 0
		.amdhsa_float_round_mode_16_64 0
		.amdhsa_float_denorm_mode_32 3
		.amdhsa_float_denorm_mode_16_64 3
		.amdhsa_dx10_clamp 1
		.amdhsa_ieee_mode 1
		.amdhsa_fp16_overflow 0
		.amdhsa_tg_split 0
		.amdhsa_exception_fp_ieee_invalid_op 0
		.amdhsa_exception_fp_denorm_src 0
		.amdhsa_exception_fp_ieee_div_zero 0
		.amdhsa_exception_fp_ieee_overflow 0
		.amdhsa_exception_fp_ieee_underflow 0
		.amdhsa_exception_fp_ieee_inexact 0
		.amdhsa_exception_int_div_zero 0
	.end_amdhsa_kernel
	.section	.text._ZN7rocprim17ROCPRIM_400000_NS6detail17trampoline_kernelINS0_14default_configENS1_38merge_sort_block_merge_config_selectorIiNS0_10empty_typeEEEZZNS1_27merge_sort_block_merge_implIS3_N6thrust23THRUST_200600_302600_NS6detail15normal_iteratorINS9_10device_ptrIiEEEEPS5_jNS1_19radix_merge_compareILb1ELb1EiNS0_19identity_decomposerEEEEE10hipError_tT0_T1_T2_jT3_P12ihipStream_tbPNSt15iterator_traitsISK_E10value_typeEPNSQ_ISL_E10value_typeEPSM_NS1_7vsmem_tEENKUlT_SK_SL_SM_E_clIPiSE_SF_SF_EESJ_SZ_SK_SL_SM_EUlSZ_E0_NS1_11comp_targetILNS1_3genE10ELNS1_11target_archE1201ELNS1_3gpuE5ELNS1_3repE0EEENS1_38merge_mergepath_config_static_selectorELNS0_4arch9wavefront6targetE1EEEvSL_,"axG",@progbits,_ZN7rocprim17ROCPRIM_400000_NS6detail17trampoline_kernelINS0_14default_configENS1_38merge_sort_block_merge_config_selectorIiNS0_10empty_typeEEEZZNS1_27merge_sort_block_merge_implIS3_N6thrust23THRUST_200600_302600_NS6detail15normal_iteratorINS9_10device_ptrIiEEEEPS5_jNS1_19radix_merge_compareILb1ELb1EiNS0_19identity_decomposerEEEEE10hipError_tT0_T1_T2_jT3_P12ihipStream_tbPNSt15iterator_traitsISK_E10value_typeEPNSQ_ISL_E10value_typeEPSM_NS1_7vsmem_tEENKUlT_SK_SL_SM_E_clIPiSE_SF_SF_EESJ_SZ_SK_SL_SM_EUlSZ_E0_NS1_11comp_targetILNS1_3genE10ELNS1_11target_archE1201ELNS1_3gpuE5ELNS1_3repE0EEENS1_38merge_mergepath_config_static_selectorELNS0_4arch9wavefront6targetE1EEEvSL_,comdat
.Lfunc_end279:
	.size	_ZN7rocprim17ROCPRIM_400000_NS6detail17trampoline_kernelINS0_14default_configENS1_38merge_sort_block_merge_config_selectorIiNS0_10empty_typeEEEZZNS1_27merge_sort_block_merge_implIS3_N6thrust23THRUST_200600_302600_NS6detail15normal_iteratorINS9_10device_ptrIiEEEEPS5_jNS1_19radix_merge_compareILb1ELb1EiNS0_19identity_decomposerEEEEE10hipError_tT0_T1_T2_jT3_P12ihipStream_tbPNSt15iterator_traitsISK_E10value_typeEPNSQ_ISL_E10value_typeEPSM_NS1_7vsmem_tEENKUlT_SK_SL_SM_E_clIPiSE_SF_SF_EESJ_SZ_SK_SL_SM_EUlSZ_E0_NS1_11comp_targetILNS1_3genE10ELNS1_11target_archE1201ELNS1_3gpuE5ELNS1_3repE0EEENS1_38merge_mergepath_config_static_selectorELNS0_4arch9wavefront6targetE1EEEvSL_, .Lfunc_end279-_ZN7rocprim17ROCPRIM_400000_NS6detail17trampoline_kernelINS0_14default_configENS1_38merge_sort_block_merge_config_selectorIiNS0_10empty_typeEEEZZNS1_27merge_sort_block_merge_implIS3_N6thrust23THRUST_200600_302600_NS6detail15normal_iteratorINS9_10device_ptrIiEEEEPS5_jNS1_19radix_merge_compareILb1ELb1EiNS0_19identity_decomposerEEEEE10hipError_tT0_T1_T2_jT3_P12ihipStream_tbPNSt15iterator_traitsISK_E10value_typeEPNSQ_ISL_E10value_typeEPSM_NS1_7vsmem_tEENKUlT_SK_SL_SM_E_clIPiSE_SF_SF_EESJ_SZ_SK_SL_SM_EUlSZ_E0_NS1_11comp_targetILNS1_3genE10ELNS1_11target_archE1201ELNS1_3gpuE5ELNS1_3repE0EEENS1_38merge_mergepath_config_static_selectorELNS0_4arch9wavefront6targetE1EEEvSL_
                                        ; -- End function
	.set _ZN7rocprim17ROCPRIM_400000_NS6detail17trampoline_kernelINS0_14default_configENS1_38merge_sort_block_merge_config_selectorIiNS0_10empty_typeEEEZZNS1_27merge_sort_block_merge_implIS3_N6thrust23THRUST_200600_302600_NS6detail15normal_iteratorINS9_10device_ptrIiEEEEPS5_jNS1_19radix_merge_compareILb1ELb1EiNS0_19identity_decomposerEEEEE10hipError_tT0_T1_T2_jT3_P12ihipStream_tbPNSt15iterator_traitsISK_E10value_typeEPNSQ_ISL_E10value_typeEPSM_NS1_7vsmem_tEENKUlT_SK_SL_SM_E_clIPiSE_SF_SF_EESJ_SZ_SK_SL_SM_EUlSZ_E0_NS1_11comp_targetILNS1_3genE10ELNS1_11target_archE1201ELNS1_3gpuE5ELNS1_3repE0EEENS1_38merge_mergepath_config_static_selectorELNS0_4arch9wavefront6targetE1EEEvSL_.num_vgpr, 0
	.set _ZN7rocprim17ROCPRIM_400000_NS6detail17trampoline_kernelINS0_14default_configENS1_38merge_sort_block_merge_config_selectorIiNS0_10empty_typeEEEZZNS1_27merge_sort_block_merge_implIS3_N6thrust23THRUST_200600_302600_NS6detail15normal_iteratorINS9_10device_ptrIiEEEEPS5_jNS1_19radix_merge_compareILb1ELb1EiNS0_19identity_decomposerEEEEE10hipError_tT0_T1_T2_jT3_P12ihipStream_tbPNSt15iterator_traitsISK_E10value_typeEPNSQ_ISL_E10value_typeEPSM_NS1_7vsmem_tEENKUlT_SK_SL_SM_E_clIPiSE_SF_SF_EESJ_SZ_SK_SL_SM_EUlSZ_E0_NS1_11comp_targetILNS1_3genE10ELNS1_11target_archE1201ELNS1_3gpuE5ELNS1_3repE0EEENS1_38merge_mergepath_config_static_selectorELNS0_4arch9wavefront6targetE1EEEvSL_.num_agpr, 0
	.set _ZN7rocprim17ROCPRIM_400000_NS6detail17trampoline_kernelINS0_14default_configENS1_38merge_sort_block_merge_config_selectorIiNS0_10empty_typeEEEZZNS1_27merge_sort_block_merge_implIS3_N6thrust23THRUST_200600_302600_NS6detail15normal_iteratorINS9_10device_ptrIiEEEEPS5_jNS1_19radix_merge_compareILb1ELb1EiNS0_19identity_decomposerEEEEE10hipError_tT0_T1_T2_jT3_P12ihipStream_tbPNSt15iterator_traitsISK_E10value_typeEPNSQ_ISL_E10value_typeEPSM_NS1_7vsmem_tEENKUlT_SK_SL_SM_E_clIPiSE_SF_SF_EESJ_SZ_SK_SL_SM_EUlSZ_E0_NS1_11comp_targetILNS1_3genE10ELNS1_11target_archE1201ELNS1_3gpuE5ELNS1_3repE0EEENS1_38merge_mergepath_config_static_selectorELNS0_4arch9wavefront6targetE1EEEvSL_.numbered_sgpr, 0
	.set _ZN7rocprim17ROCPRIM_400000_NS6detail17trampoline_kernelINS0_14default_configENS1_38merge_sort_block_merge_config_selectorIiNS0_10empty_typeEEEZZNS1_27merge_sort_block_merge_implIS3_N6thrust23THRUST_200600_302600_NS6detail15normal_iteratorINS9_10device_ptrIiEEEEPS5_jNS1_19radix_merge_compareILb1ELb1EiNS0_19identity_decomposerEEEEE10hipError_tT0_T1_T2_jT3_P12ihipStream_tbPNSt15iterator_traitsISK_E10value_typeEPNSQ_ISL_E10value_typeEPSM_NS1_7vsmem_tEENKUlT_SK_SL_SM_E_clIPiSE_SF_SF_EESJ_SZ_SK_SL_SM_EUlSZ_E0_NS1_11comp_targetILNS1_3genE10ELNS1_11target_archE1201ELNS1_3gpuE5ELNS1_3repE0EEENS1_38merge_mergepath_config_static_selectorELNS0_4arch9wavefront6targetE1EEEvSL_.num_named_barrier, 0
	.set _ZN7rocprim17ROCPRIM_400000_NS6detail17trampoline_kernelINS0_14default_configENS1_38merge_sort_block_merge_config_selectorIiNS0_10empty_typeEEEZZNS1_27merge_sort_block_merge_implIS3_N6thrust23THRUST_200600_302600_NS6detail15normal_iteratorINS9_10device_ptrIiEEEEPS5_jNS1_19radix_merge_compareILb1ELb1EiNS0_19identity_decomposerEEEEE10hipError_tT0_T1_T2_jT3_P12ihipStream_tbPNSt15iterator_traitsISK_E10value_typeEPNSQ_ISL_E10value_typeEPSM_NS1_7vsmem_tEENKUlT_SK_SL_SM_E_clIPiSE_SF_SF_EESJ_SZ_SK_SL_SM_EUlSZ_E0_NS1_11comp_targetILNS1_3genE10ELNS1_11target_archE1201ELNS1_3gpuE5ELNS1_3repE0EEENS1_38merge_mergepath_config_static_selectorELNS0_4arch9wavefront6targetE1EEEvSL_.private_seg_size, 0
	.set _ZN7rocprim17ROCPRIM_400000_NS6detail17trampoline_kernelINS0_14default_configENS1_38merge_sort_block_merge_config_selectorIiNS0_10empty_typeEEEZZNS1_27merge_sort_block_merge_implIS3_N6thrust23THRUST_200600_302600_NS6detail15normal_iteratorINS9_10device_ptrIiEEEEPS5_jNS1_19radix_merge_compareILb1ELb1EiNS0_19identity_decomposerEEEEE10hipError_tT0_T1_T2_jT3_P12ihipStream_tbPNSt15iterator_traitsISK_E10value_typeEPNSQ_ISL_E10value_typeEPSM_NS1_7vsmem_tEENKUlT_SK_SL_SM_E_clIPiSE_SF_SF_EESJ_SZ_SK_SL_SM_EUlSZ_E0_NS1_11comp_targetILNS1_3genE10ELNS1_11target_archE1201ELNS1_3gpuE5ELNS1_3repE0EEENS1_38merge_mergepath_config_static_selectorELNS0_4arch9wavefront6targetE1EEEvSL_.uses_vcc, 0
	.set _ZN7rocprim17ROCPRIM_400000_NS6detail17trampoline_kernelINS0_14default_configENS1_38merge_sort_block_merge_config_selectorIiNS0_10empty_typeEEEZZNS1_27merge_sort_block_merge_implIS3_N6thrust23THRUST_200600_302600_NS6detail15normal_iteratorINS9_10device_ptrIiEEEEPS5_jNS1_19radix_merge_compareILb1ELb1EiNS0_19identity_decomposerEEEEE10hipError_tT0_T1_T2_jT3_P12ihipStream_tbPNSt15iterator_traitsISK_E10value_typeEPNSQ_ISL_E10value_typeEPSM_NS1_7vsmem_tEENKUlT_SK_SL_SM_E_clIPiSE_SF_SF_EESJ_SZ_SK_SL_SM_EUlSZ_E0_NS1_11comp_targetILNS1_3genE10ELNS1_11target_archE1201ELNS1_3gpuE5ELNS1_3repE0EEENS1_38merge_mergepath_config_static_selectorELNS0_4arch9wavefront6targetE1EEEvSL_.uses_flat_scratch, 0
	.set _ZN7rocprim17ROCPRIM_400000_NS6detail17trampoline_kernelINS0_14default_configENS1_38merge_sort_block_merge_config_selectorIiNS0_10empty_typeEEEZZNS1_27merge_sort_block_merge_implIS3_N6thrust23THRUST_200600_302600_NS6detail15normal_iteratorINS9_10device_ptrIiEEEEPS5_jNS1_19radix_merge_compareILb1ELb1EiNS0_19identity_decomposerEEEEE10hipError_tT0_T1_T2_jT3_P12ihipStream_tbPNSt15iterator_traitsISK_E10value_typeEPNSQ_ISL_E10value_typeEPSM_NS1_7vsmem_tEENKUlT_SK_SL_SM_E_clIPiSE_SF_SF_EESJ_SZ_SK_SL_SM_EUlSZ_E0_NS1_11comp_targetILNS1_3genE10ELNS1_11target_archE1201ELNS1_3gpuE5ELNS1_3repE0EEENS1_38merge_mergepath_config_static_selectorELNS0_4arch9wavefront6targetE1EEEvSL_.has_dyn_sized_stack, 0
	.set _ZN7rocprim17ROCPRIM_400000_NS6detail17trampoline_kernelINS0_14default_configENS1_38merge_sort_block_merge_config_selectorIiNS0_10empty_typeEEEZZNS1_27merge_sort_block_merge_implIS3_N6thrust23THRUST_200600_302600_NS6detail15normal_iteratorINS9_10device_ptrIiEEEEPS5_jNS1_19radix_merge_compareILb1ELb1EiNS0_19identity_decomposerEEEEE10hipError_tT0_T1_T2_jT3_P12ihipStream_tbPNSt15iterator_traitsISK_E10value_typeEPNSQ_ISL_E10value_typeEPSM_NS1_7vsmem_tEENKUlT_SK_SL_SM_E_clIPiSE_SF_SF_EESJ_SZ_SK_SL_SM_EUlSZ_E0_NS1_11comp_targetILNS1_3genE10ELNS1_11target_archE1201ELNS1_3gpuE5ELNS1_3repE0EEENS1_38merge_mergepath_config_static_selectorELNS0_4arch9wavefront6targetE1EEEvSL_.has_recursion, 0
	.set _ZN7rocprim17ROCPRIM_400000_NS6detail17trampoline_kernelINS0_14default_configENS1_38merge_sort_block_merge_config_selectorIiNS0_10empty_typeEEEZZNS1_27merge_sort_block_merge_implIS3_N6thrust23THRUST_200600_302600_NS6detail15normal_iteratorINS9_10device_ptrIiEEEEPS5_jNS1_19radix_merge_compareILb1ELb1EiNS0_19identity_decomposerEEEEE10hipError_tT0_T1_T2_jT3_P12ihipStream_tbPNSt15iterator_traitsISK_E10value_typeEPNSQ_ISL_E10value_typeEPSM_NS1_7vsmem_tEENKUlT_SK_SL_SM_E_clIPiSE_SF_SF_EESJ_SZ_SK_SL_SM_EUlSZ_E0_NS1_11comp_targetILNS1_3genE10ELNS1_11target_archE1201ELNS1_3gpuE5ELNS1_3repE0EEENS1_38merge_mergepath_config_static_selectorELNS0_4arch9wavefront6targetE1EEEvSL_.has_indirect_call, 0
	.section	.AMDGPU.csdata,"",@progbits
; Kernel info:
; codeLenInByte = 0
; TotalNumSgprs: 6
; NumVgprs: 0
; NumAgprs: 0
; TotalNumVgprs: 0
; ScratchSize: 0
; MemoryBound: 0
; FloatMode: 240
; IeeeMode: 1
; LDSByteSize: 0 bytes/workgroup (compile time only)
; SGPRBlocks: 0
; VGPRBlocks: 0
; NumSGPRsForWavesPerEU: 6
; NumVGPRsForWavesPerEU: 1
; AccumOffset: 4
; Occupancy: 8
; WaveLimiterHint : 0
; COMPUTE_PGM_RSRC2:SCRATCH_EN: 0
; COMPUTE_PGM_RSRC2:USER_SGPR: 2
; COMPUTE_PGM_RSRC2:TRAP_HANDLER: 0
; COMPUTE_PGM_RSRC2:TGID_X_EN: 1
; COMPUTE_PGM_RSRC2:TGID_Y_EN: 0
; COMPUTE_PGM_RSRC2:TGID_Z_EN: 0
; COMPUTE_PGM_RSRC2:TIDIG_COMP_CNT: 0
; COMPUTE_PGM_RSRC3_GFX90A:ACCUM_OFFSET: 0
; COMPUTE_PGM_RSRC3_GFX90A:TG_SPLIT: 0
	.section	.text._ZN7rocprim17ROCPRIM_400000_NS6detail17trampoline_kernelINS0_14default_configENS1_38merge_sort_block_merge_config_selectorIiNS0_10empty_typeEEEZZNS1_27merge_sort_block_merge_implIS3_N6thrust23THRUST_200600_302600_NS6detail15normal_iteratorINS9_10device_ptrIiEEEEPS5_jNS1_19radix_merge_compareILb1ELb1EiNS0_19identity_decomposerEEEEE10hipError_tT0_T1_T2_jT3_P12ihipStream_tbPNSt15iterator_traitsISK_E10value_typeEPNSQ_ISL_E10value_typeEPSM_NS1_7vsmem_tEENKUlT_SK_SL_SM_E_clIPiSE_SF_SF_EESJ_SZ_SK_SL_SM_EUlSZ_E0_NS1_11comp_targetILNS1_3genE5ELNS1_11target_archE942ELNS1_3gpuE9ELNS1_3repE0EEENS1_38merge_mergepath_config_static_selectorELNS0_4arch9wavefront6targetE1EEEvSL_,"axG",@progbits,_ZN7rocprim17ROCPRIM_400000_NS6detail17trampoline_kernelINS0_14default_configENS1_38merge_sort_block_merge_config_selectorIiNS0_10empty_typeEEEZZNS1_27merge_sort_block_merge_implIS3_N6thrust23THRUST_200600_302600_NS6detail15normal_iteratorINS9_10device_ptrIiEEEEPS5_jNS1_19radix_merge_compareILb1ELb1EiNS0_19identity_decomposerEEEEE10hipError_tT0_T1_T2_jT3_P12ihipStream_tbPNSt15iterator_traitsISK_E10value_typeEPNSQ_ISL_E10value_typeEPSM_NS1_7vsmem_tEENKUlT_SK_SL_SM_E_clIPiSE_SF_SF_EESJ_SZ_SK_SL_SM_EUlSZ_E0_NS1_11comp_targetILNS1_3genE5ELNS1_11target_archE942ELNS1_3gpuE9ELNS1_3repE0EEENS1_38merge_mergepath_config_static_selectorELNS0_4arch9wavefront6targetE1EEEvSL_,comdat
	.protected	_ZN7rocprim17ROCPRIM_400000_NS6detail17trampoline_kernelINS0_14default_configENS1_38merge_sort_block_merge_config_selectorIiNS0_10empty_typeEEEZZNS1_27merge_sort_block_merge_implIS3_N6thrust23THRUST_200600_302600_NS6detail15normal_iteratorINS9_10device_ptrIiEEEEPS5_jNS1_19radix_merge_compareILb1ELb1EiNS0_19identity_decomposerEEEEE10hipError_tT0_T1_T2_jT3_P12ihipStream_tbPNSt15iterator_traitsISK_E10value_typeEPNSQ_ISL_E10value_typeEPSM_NS1_7vsmem_tEENKUlT_SK_SL_SM_E_clIPiSE_SF_SF_EESJ_SZ_SK_SL_SM_EUlSZ_E0_NS1_11comp_targetILNS1_3genE5ELNS1_11target_archE942ELNS1_3gpuE9ELNS1_3repE0EEENS1_38merge_mergepath_config_static_selectorELNS0_4arch9wavefront6targetE1EEEvSL_ ; -- Begin function _ZN7rocprim17ROCPRIM_400000_NS6detail17trampoline_kernelINS0_14default_configENS1_38merge_sort_block_merge_config_selectorIiNS0_10empty_typeEEEZZNS1_27merge_sort_block_merge_implIS3_N6thrust23THRUST_200600_302600_NS6detail15normal_iteratorINS9_10device_ptrIiEEEEPS5_jNS1_19radix_merge_compareILb1ELb1EiNS0_19identity_decomposerEEEEE10hipError_tT0_T1_T2_jT3_P12ihipStream_tbPNSt15iterator_traitsISK_E10value_typeEPNSQ_ISL_E10value_typeEPSM_NS1_7vsmem_tEENKUlT_SK_SL_SM_E_clIPiSE_SF_SF_EESJ_SZ_SK_SL_SM_EUlSZ_E0_NS1_11comp_targetILNS1_3genE5ELNS1_11target_archE942ELNS1_3gpuE9ELNS1_3repE0EEENS1_38merge_mergepath_config_static_selectorELNS0_4arch9wavefront6targetE1EEEvSL_
	.globl	_ZN7rocprim17ROCPRIM_400000_NS6detail17trampoline_kernelINS0_14default_configENS1_38merge_sort_block_merge_config_selectorIiNS0_10empty_typeEEEZZNS1_27merge_sort_block_merge_implIS3_N6thrust23THRUST_200600_302600_NS6detail15normal_iteratorINS9_10device_ptrIiEEEEPS5_jNS1_19radix_merge_compareILb1ELb1EiNS0_19identity_decomposerEEEEE10hipError_tT0_T1_T2_jT3_P12ihipStream_tbPNSt15iterator_traitsISK_E10value_typeEPNSQ_ISL_E10value_typeEPSM_NS1_7vsmem_tEENKUlT_SK_SL_SM_E_clIPiSE_SF_SF_EESJ_SZ_SK_SL_SM_EUlSZ_E0_NS1_11comp_targetILNS1_3genE5ELNS1_11target_archE942ELNS1_3gpuE9ELNS1_3repE0EEENS1_38merge_mergepath_config_static_selectorELNS0_4arch9wavefront6targetE1EEEvSL_
	.p2align	8
	.type	_ZN7rocprim17ROCPRIM_400000_NS6detail17trampoline_kernelINS0_14default_configENS1_38merge_sort_block_merge_config_selectorIiNS0_10empty_typeEEEZZNS1_27merge_sort_block_merge_implIS3_N6thrust23THRUST_200600_302600_NS6detail15normal_iteratorINS9_10device_ptrIiEEEEPS5_jNS1_19radix_merge_compareILb1ELb1EiNS0_19identity_decomposerEEEEE10hipError_tT0_T1_T2_jT3_P12ihipStream_tbPNSt15iterator_traitsISK_E10value_typeEPNSQ_ISL_E10value_typeEPSM_NS1_7vsmem_tEENKUlT_SK_SL_SM_E_clIPiSE_SF_SF_EESJ_SZ_SK_SL_SM_EUlSZ_E0_NS1_11comp_targetILNS1_3genE5ELNS1_11target_archE942ELNS1_3gpuE9ELNS1_3repE0EEENS1_38merge_mergepath_config_static_selectorELNS0_4arch9wavefront6targetE1EEEvSL_,@function
_ZN7rocprim17ROCPRIM_400000_NS6detail17trampoline_kernelINS0_14default_configENS1_38merge_sort_block_merge_config_selectorIiNS0_10empty_typeEEEZZNS1_27merge_sort_block_merge_implIS3_N6thrust23THRUST_200600_302600_NS6detail15normal_iteratorINS9_10device_ptrIiEEEEPS5_jNS1_19radix_merge_compareILb1ELb1EiNS0_19identity_decomposerEEEEE10hipError_tT0_T1_T2_jT3_P12ihipStream_tbPNSt15iterator_traitsISK_E10value_typeEPNSQ_ISL_E10value_typeEPSM_NS1_7vsmem_tEENKUlT_SK_SL_SM_E_clIPiSE_SF_SF_EESJ_SZ_SK_SL_SM_EUlSZ_E0_NS1_11comp_targetILNS1_3genE5ELNS1_11target_archE942ELNS1_3gpuE9ELNS1_3repE0EEENS1_38merge_mergepath_config_static_selectorELNS0_4arch9wavefront6targetE1EEEvSL_: ; @_ZN7rocprim17ROCPRIM_400000_NS6detail17trampoline_kernelINS0_14default_configENS1_38merge_sort_block_merge_config_selectorIiNS0_10empty_typeEEEZZNS1_27merge_sort_block_merge_implIS3_N6thrust23THRUST_200600_302600_NS6detail15normal_iteratorINS9_10device_ptrIiEEEEPS5_jNS1_19radix_merge_compareILb1ELb1EiNS0_19identity_decomposerEEEEE10hipError_tT0_T1_T2_jT3_P12ihipStream_tbPNSt15iterator_traitsISK_E10value_typeEPNSQ_ISL_E10value_typeEPSM_NS1_7vsmem_tEENKUlT_SK_SL_SM_E_clIPiSE_SF_SF_EESJ_SZ_SK_SL_SM_EUlSZ_E0_NS1_11comp_targetILNS1_3genE5ELNS1_11target_archE942ELNS1_3gpuE9ELNS1_3repE0EEENS1_38merge_mergepath_config_static_selectorELNS0_4arch9wavefront6targetE1EEEvSL_
; %bb.0:
	.section	.rodata,"a",@progbits
	.p2align	6, 0x0
	.amdhsa_kernel _ZN7rocprim17ROCPRIM_400000_NS6detail17trampoline_kernelINS0_14default_configENS1_38merge_sort_block_merge_config_selectorIiNS0_10empty_typeEEEZZNS1_27merge_sort_block_merge_implIS3_N6thrust23THRUST_200600_302600_NS6detail15normal_iteratorINS9_10device_ptrIiEEEEPS5_jNS1_19radix_merge_compareILb1ELb1EiNS0_19identity_decomposerEEEEE10hipError_tT0_T1_T2_jT3_P12ihipStream_tbPNSt15iterator_traitsISK_E10value_typeEPNSQ_ISL_E10value_typeEPSM_NS1_7vsmem_tEENKUlT_SK_SL_SM_E_clIPiSE_SF_SF_EESJ_SZ_SK_SL_SM_EUlSZ_E0_NS1_11comp_targetILNS1_3genE5ELNS1_11target_archE942ELNS1_3gpuE9ELNS1_3repE0EEENS1_38merge_mergepath_config_static_selectorELNS0_4arch9wavefront6targetE1EEEvSL_
		.amdhsa_group_segment_fixed_size 0
		.amdhsa_private_segment_fixed_size 0
		.amdhsa_kernarg_size 64
		.amdhsa_user_sgpr_count 2
		.amdhsa_user_sgpr_dispatch_ptr 0
		.amdhsa_user_sgpr_queue_ptr 0
		.amdhsa_user_sgpr_kernarg_segment_ptr 1
		.amdhsa_user_sgpr_dispatch_id 0
		.amdhsa_user_sgpr_kernarg_preload_length 0
		.amdhsa_user_sgpr_kernarg_preload_offset 0
		.amdhsa_user_sgpr_private_segment_size 0
		.amdhsa_uses_dynamic_stack 0
		.amdhsa_enable_private_segment 0
		.amdhsa_system_sgpr_workgroup_id_x 1
		.amdhsa_system_sgpr_workgroup_id_y 0
		.amdhsa_system_sgpr_workgroup_id_z 0
		.amdhsa_system_sgpr_workgroup_info 0
		.amdhsa_system_vgpr_workitem_id 0
		.amdhsa_next_free_vgpr 1
		.amdhsa_next_free_sgpr 0
		.amdhsa_accum_offset 4
		.amdhsa_reserve_vcc 0
		.amdhsa_float_round_mode_32 0
		.amdhsa_float_round_mode_16_64 0
		.amdhsa_float_denorm_mode_32 3
		.amdhsa_float_denorm_mode_16_64 3
		.amdhsa_dx10_clamp 1
		.amdhsa_ieee_mode 1
		.amdhsa_fp16_overflow 0
		.amdhsa_tg_split 0
		.amdhsa_exception_fp_ieee_invalid_op 0
		.amdhsa_exception_fp_denorm_src 0
		.amdhsa_exception_fp_ieee_div_zero 0
		.amdhsa_exception_fp_ieee_overflow 0
		.amdhsa_exception_fp_ieee_underflow 0
		.amdhsa_exception_fp_ieee_inexact 0
		.amdhsa_exception_int_div_zero 0
	.end_amdhsa_kernel
	.section	.text._ZN7rocprim17ROCPRIM_400000_NS6detail17trampoline_kernelINS0_14default_configENS1_38merge_sort_block_merge_config_selectorIiNS0_10empty_typeEEEZZNS1_27merge_sort_block_merge_implIS3_N6thrust23THRUST_200600_302600_NS6detail15normal_iteratorINS9_10device_ptrIiEEEEPS5_jNS1_19radix_merge_compareILb1ELb1EiNS0_19identity_decomposerEEEEE10hipError_tT0_T1_T2_jT3_P12ihipStream_tbPNSt15iterator_traitsISK_E10value_typeEPNSQ_ISL_E10value_typeEPSM_NS1_7vsmem_tEENKUlT_SK_SL_SM_E_clIPiSE_SF_SF_EESJ_SZ_SK_SL_SM_EUlSZ_E0_NS1_11comp_targetILNS1_3genE5ELNS1_11target_archE942ELNS1_3gpuE9ELNS1_3repE0EEENS1_38merge_mergepath_config_static_selectorELNS0_4arch9wavefront6targetE1EEEvSL_,"axG",@progbits,_ZN7rocprim17ROCPRIM_400000_NS6detail17trampoline_kernelINS0_14default_configENS1_38merge_sort_block_merge_config_selectorIiNS0_10empty_typeEEEZZNS1_27merge_sort_block_merge_implIS3_N6thrust23THRUST_200600_302600_NS6detail15normal_iteratorINS9_10device_ptrIiEEEEPS5_jNS1_19radix_merge_compareILb1ELb1EiNS0_19identity_decomposerEEEEE10hipError_tT0_T1_T2_jT3_P12ihipStream_tbPNSt15iterator_traitsISK_E10value_typeEPNSQ_ISL_E10value_typeEPSM_NS1_7vsmem_tEENKUlT_SK_SL_SM_E_clIPiSE_SF_SF_EESJ_SZ_SK_SL_SM_EUlSZ_E0_NS1_11comp_targetILNS1_3genE5ELNS1_11target_archE942ELNS1_3gpuE9ELNS1_3repE0EEENS1_38merge_mergepath_config_static_selectorELNS0_4arch9wavefront6targetE1EEEvSL_,comdat
.Lfunc_end280:
	.size	_ZN7rocprim17ROCPRIM_400000_NS6detail17trampoline_kernelINS0_14default_configENS1_38merge_sort_block_merge_config_selectorIiNS0_10empty_typeEEEZZNS1_27merge_sort_block_merge_implIS3_N6thrust23THRUST_200600_302600_NS6detail15normal_iteratorINS9_10device_ptrIiEEEEPS5_jNS1_19radix_merge_compareILb1ELb1EiNS0_19identity_decomposerEEEEE10hipError_tT0_T1_T2_jT3_P12ihipStream_tbPNSt15iterator_traitsISK_E10value_typeEPNSQ_ISL_E10value_typeEPSM_NS1_7vsmem_tEENKUlT_SK_SL_SM_E_clIPiSE_SF_SF_EESJ_SZ_SK_SL_SM_EUlSZ_E0_NS1_11comp_targetILNS1_3genE5ELNS1_11target_archE942ELNS1_3gpuE9ELNS1_3repE0EEENS1_38merge_mergepath_config_static_selectorELNS0_4arch9wavefront6targetE1EEEvSL_, .Lfunc_end280-_ZN7rocprim17ROCPRIM_400000_NS6detail17trampoline_kernelINS0_14default_configENS1_38merge_sort_block_merge_config_selectorIiNS0_10empty_typeEEEZZNS1_27merge_sort_block_merge_implIS3_N6thrust23THRUST_200600_302600_NS6detail15normal_iteratorINS9_10device_ptrIiEEEEPS5_jNS1_19radix_merge_compareILb1ELb1EiNS0_19identity_decomposerEEEEE10hipError_tT0_T1_T2_jT3_P12ihipStream_tbPNSt15iterator_traitsISK_E10value_typeEPNSQ_ISL_E10value_typeEPSM_NS1_7vsmem_tEENKUlT_SK_SL_SM_E_clIPiSE_SF_SF_EESJ_SZ_SK_SL_SM_EUlSZ_E0_NS1_11comp_targetILNS1_3genE5ELNS1_11target_archE942ELNS1_3gpuE9ELNS1_3repE0EEENS1_38merge_mergepath_config_static_selectorELNS0_4arch9wavefront6targetE1EEEvSL_
                                        ; -- End function
	.set _ZN7rocprim17ROCPRIM_400000_NS6detail17trampoline_kernelINS0_14default_configENS1_38merge_sort_block_merge_config_selectorIiNS0_10empty_typeEEEZZNS1_27merge_sort_block_merge_implIS3_N6thrust23THRUST_200600_302600_NS6detail15normal_iteratorINS9_10device_ptrIiEEEEPS5_jNS1_19radix_merge_compareILb1ELb1EiNS0_19identity_decomposerEEEEE10hipError_tT0_T1_T2_jT3_P12ihipStream_tbPNSt15iterator_traitsISK_E10value_typeEPNSQ_ISL_E10value_typeEPSM_NS1_7vsmem_tEENKUlT_SK_SL_SM_E_clIPiSE_SF_SF_EESJ_SZ_SK_SL_SM_EUlSZ_E0_NS1_11comp_targetILNS1_3genE5ELNS1_11target_archE942ELNS1_3gpuE9ELNS1_3repE0EEENS1_38merge_mergepath_config_static_selectorELNS0_4arch9wavefront6targetE1EEEvSL_.num_vgpr, 0
	.set _ZN7rocprim17ROCPRIM_400000_NS6detail17trampoline_kernelINS0_14default_configENS1_38merge_sort_block_merge_config_selectorIiNS0_10empty_typeEEEZZNS1_27merge_sort_block_merge_implIS3_N6thrust23THRUST_200600_302600_NS6detail15normal_iteratorINS9_10device_ptrIiEEEEPS5_jNS1_19radix_merge_compareILb1ELb1EiNS0_19identity_decomposerEEEEE10hipError_tT0_T1_T2_jT3_P12ihipStream_tbPNSt15iterator_traitsISK_E10value_typeEPNSQ_ISL_E10value_typeEPSM_NS1_7vsmem_tEENKUlT_SK_SL_SM_E_clIPiSE_SF_SF_EESJ_SZ_SK_SL_SM_EUlSZ_E0_NS1_11comp_targetILNS1_3genE5ELNS1_11target_archE942ELNS1_3gpuE9ELNS1_3repE0EEENS1_38merge_mergepath_config_static_selectorELNS0_4arch9wavefront6targetE1EEEvSL_.num_agpr, 0
	.set _ZN7rocprim17ROCPRIM_400000_NS6detail17trampoline_kernelINS0_14default_configENS1_38merge_sort_block_merge_config_selectorIiNS0_10empty_typeEEEZZNS1_27merge_sort_block_merge_implIS3_N6thrust23THRUST_200600_302600_NS6detail15normal_iteratorINS9_10device_ptrIiEEEEPS5_jNS1_19radix_merge_compareILb1ELb1EiNS0_19identity_decomposerEEEEE10hipError_tT0_T1_T2_jT3_P12ihipStream_tbPNSt15iterator_traitsISK_E10value_typeEPNSQ_ISL_E10value_typeEPSM_NS1_7vsmem_tEENKUlT_SK_SL_SM_E_clIPiSE_SF_SF_EESJ_SZ_SK_SL_SM_EUlSZ_E0_NS1_11comp_targetILNS1_3genE5ELNS1_11target_archE942ELNS1_3gpuE9ELNS1_3repE0EEENS1_38merge_mergepath_config_static_selectorELNS0_4arch9wavefront6targetE1EEEvSL_.numbered_sgpr, 0
	.set _ZN7rocprim17ROCPRIM_400000_NS6detail17trampoline_kernelINS0_14default_configENS1_38merge_sort_block_merge_config_selectorIiNS0_10empty_typeEEEZZNS1_27merge_sort_block_merge_implIS3_N6thrust23THRUST_200600_302600_NS6detail15normal_iteratorINS9_10device_ptrIiEEEEPS5_jNS1_19radix_merge_compareILb1ELb1EiNS0_19identity_decomposerEEEEE10hipError_tT0_T1_T2_jT3_P12ihipStream_tbPNSt15iterator_traitsISK_E10value_typeEPNSQ_ISL_E10value_typeEPSM_NS1_7vsmem_tEENKUlT_SK_SL_SM_E_clIPiSE_SF_SF_EESJ_SZ_SK_SL_SM_EUlSZ_E0_NS1_11comp_targetILNS1_3genE5ELNS1_11target_archE942ELNS1_3gpuE9ELNS1_3repE0EEENS1_38merge_mergepath_config_static_selectorELNS0_4arch9wavefront6targetE1EEEvSL_.num_named_barrier, 0
	.set _ZN7rocprim17ROCPRIM_400000_NS6detail17trampoline_kernelINS0_14default_configENS1_38merge_sort_block_merge_config_selectorIiNS0_10empty_typeEEEZZNS1_27merge_sort_block_merge_implIS3_N6thrust23THRUST_200600_302600_NS6detail15normal_iteratorINS9_10device_ptrIiEEEEPS5_jNS1_19radix_merge_compareILb1ELb1EiNS0_19identity_decomposerEEEEE10hipError_tT0_T1_T2_jT3_P12ihipStream_tbPNSt15iterator_traitsISK_E10value_typeEPNSQ_ISL_E10value_typeEPSM_NS1_7vsmem_tEENKUlT_SK_SL_SM_E_clIPiSE_SF_SF_EESJ_SZ_SK_SL_SM_EUlSZ_E0_NS1_11comp_targetILNS1_3genE5ELNS1_11target_archE942ELNS1_3gpuE9ELNS1_3repE0EEENS1_38merge_mergepath_config_static_selectorELNS0_4arch9wavefront6targetE1EEEvSL_.private_seg_size, 0
	.set _ZN7rocprim17ROCPRIM_400000_NS6detail17trampoline_kernelINS0_14default_configENS1_38merge_sort_block_merge_config_selectorIiNS0_10empty_typeEEEZZNS1_27merge_sort_block_merge_implIS3_N6thrust23THRUST_200600_302600_NS6detail15normal_iteratorINS9_10device_ptrIiEEEEPS5_jNS1_19radix_merge_compareILb1ELb1EiNS0_19identity_decomposerEEEEE10hipError_tT0_T1_T2_jT3_P12ihipStream_tbPNSt15iterator_traitsISK_E10value_typeEPNSQ_ISL_E10value_typeEPSM_NS1_7vsmem_tEENKUlT_SK_SL_SM_E_clIPiSE_SF_SF_EESJ_SZ_SK_SL_SM_EUlSZ_E0_NS1_11comp_targetILNS1_3genE5ELNS1_11target_archE942ELNS1_3gpuE9ELNS1_3repE0EEENS1_38merge_mergepath_config_static_selectorELNS0_4arch9wavefront6targetE1EEEvSL_.uses_vcc, 0
	.set _ZN7rocprim17ROCPRIM_400000_NS6detail17trampoline_kernelINS0_14default_configENS1_38merge_sort_block_merge_config_selectorIiNS0_10empty_typeEEEZZNS1_27merge_sort_block_merge_implIS3_N6thrust23THRUST_200600_302600_NS6detail15normal_iteratorINS9_10device_ptrIiEEEEPS5_jNS1_19radix_merge_compareILb1ELb1EiNS0_19identity_decomposerEEEEE10hipError_tT0_T1_T2_jT3_P12ihipStream_tbPNSt15iterator_traitsISK_E10value_typeEPNSQ_ISL_E10value_typeEPSM_NS1_7vsmem_tEENKUlT_SK_SL_SM_E_clIPiSE_SF_SF_EESJ_SZ_SK_SL_SM_EUlSZ_E0_NS1_11comp_targetILNS1_3genE5ELNS1_11target_archE942ELNS1_3gpuE9ELNS1_3repE0EEENS1_38merge_mergepath_config_static_selectorELNS0_4arch9wavefront6targetE1EEEvSL_.uses_flat_scratch, 0
	.set _ZN7rocprim17ROCPRIM_400000_NS6detail17trampoline_kernelINS0_14default_configENS1_38merge_sort_block_merge_config_selectorIiNS0_10empty_typeEEEZZNS1_27merge_sort_block_merge_implIS3_N6thrust23THRUST_200600_302600_NS6detail15normal_iteratorINS9_10device_ptrIiEEEEPS5_jNS1_19radix_merge_compareILb1ELb1EiNS0_19identity_decomposerEEEEE10hipError_tT0_T1_T2_jT3_P12ihipStream_tbPNSt15iterator_traitsISK_E10value_typeEPNSQ_ISL_E10value_typeEPSM_NS1_7vsmem_tEENKUlT_SK_SL_SM_E_clIPiSE_SF_SF_EESJ_SZ_SK_SL_SM_EUlSZ_E0_NS1_11comp_targetILNS1_3genE5ELNS1_11target_archE942ELNS1_3gpuE9ELNS1_3repE0EEENS1_38merge_mergepath_config_static_selectorELNS0_4arch9wavefront6targetE1EEEvSL_.has_dyn_sized_stack, 0
	.set _ZN7rocprim17ROCPRIM_400000_NS6detail17trampoline_kernelINS0_14default_configENS1_38merge_sort_block_merge_config_selectorIiNS0_10empty_typeEEEZZNS1_27merge_sort_block_merge_implIS3_N6thrust23THRUST_200600_302600_NS6detail15normal_iteratorINS9_10device_ptrIiEEEEPS5_jNS1_19radix_merge_compareILb1ELb1EiNS0_19identity_decomposerEEEEE10hipError_tT0_T1_T2_jT3_P12ihipStream_tbPNSt15iterator_traitsISK_E10value_typeEPNSQ_ISL_E10value_typeEPSM_NS1_7vsmem_tEENKUlT_SK_SL_SM_E_clIPiSE_SF_SF_EESJ_SZ_SK_SL_SM_EUlSZ_E0_NS1_11comp_targetILNS1_3genE5ELNS1_11target_archE942ELNS1_3gpuE9ELNS1_3repE0EEENS1_38merge_mergepath_config_static_selectorELNS0_4arch9wavefront6targetE1EEEvSL_.has_recursion, 0
	.set _ZN7rocprim17ROCPRIM_400000_NS6detail17trampoline_kernelINS0_14default_configENS1_38merge_sort_block_merge_config_selectorIiNS0_10empty_typeEEEZZNS1_27merge_sort_block_merge_implIS3_N6thrust23THRUST_200600_302600_NS6detail15normal_iteratorINS9_10device_ptrIiEEEEPS5_jNS1_19radix_merge_compareILb1ELb1EiNS0_19identity_decomposerEEEEE10hipError_tT0_T1_T2_jT3_P12ihipStream_tbPNSt15iterator_traitsISK_E10value_typeEPNSQ_ISL_E10value_typeEPSM_NS1_7vsmem_tEENKUlT_SK_SL_SM_E_clIPiSE_SF_SF_EESJ_SZ_SK_SL_SM_EUlSZ_E0_NS1_11comp_targetILNS1_3genE5ELNS1_11target_archE942ELNS1_3gpuE9ELNS1_3repE0EEENS1_38merge_mergepath_config_static_selectorELNS0_4arch9wavefront6targetE1EEEvSL_.has_indirect_call, 0
	.section	.AMDGPU.csdata,"",@progbits
; Kernel info:
; codeLenInByte = 0
; TotalNumSgprs: 6
; NumVgprs: 0
; NumAgprs: 0
; TotalNumVgprs: 0
; ScratchSize: 0
; MemoryBound: 0
; FloatMode: 240
; IeeeMode: 1
; LDSByteSize: 0 bytes/workgroup (compile time only)
; SGPRBlocks: 0
; VGPRBlocks: 0
; NumSGPRsForWavesPerEU: 6
; NumVGPRsForWavesPerEU: 1
; AccumOffset: 4
; Occupancy: 8
; WaveLimiterHint : 0
; COMPUTE_PGM_RSRC2:SCRATCH_EN: 0
; COMPUTE_PGM_RSRC2:USER_SGPR: 2
; COMPUTE_PGM_RSRC2:TRAP_HANDLER: 0
; COMPUTE_PGM_RSRC2:TGID_X_EN: 1
; COMPUTE_PGM_RSRC2:TGID_Y_EN: 0
; COMPUTE_PGM_RSRC2:TGID_Z_EN: 0
; COMPUTE_PGM_RSRC2:TIDIG_COMP_CNT: 0
; COMPUTE_PGM_RSRC3_GFX90A:ACCUM_OFFSET: 0
; COMPUTE_PGM_RSRC3_GFX90A:TG_SPLIT: 0
	.section	.text._ZN7rocprim17ROCPRIM_400000_NS6detail17trampoline_kernelINS0_14default_configENS1_38merge_sort_block_merge_config_selectorIiNS0_10empty_typeEEEZZNS1_27merge_sort_block_merge_implIS3_N6thrust23THRUST_200600_302600_NS6detail15normal_iteratorINS9_10device_ptrIiEEEEPS5_jNS1_19radix_merge_compareILb1ELb1EiNS0_19identity_decomposerEEEEE10hipError_tT0_T1_T2_jT3_P12ihipStream_tbPNSt15iterator_traitsISK_E10value_typeEPNSQ_ISL_E10value_typeEPSM_NS1_7vsmem_tEENKUlT_SK_SL_SM_E_clIPiSE_SF_SF_EESJ_SZ_SK_SL_SM_EUlSZ_E0_NS1_11comp_targetILNS1_3genE4ELNS1_11target_archE910ELNS1_3gpuE8ELNS1_3repE0EEENS1_38merge_mergepath_config_static_selectorELNS0_4arch9wavefront6targetE1EEEvSL_,"axG",@progbits,_ZN7rocprim17ROCPRIM_400000_NS6detail17trampoline_kernelINS0_14default_configENS1_38merge_sort_block_merge_config_selectorIiNS0_10empty_typeEEEZZNS1_27merge_sort_block_merge_implIS3_N6thrust23THRUST_200600_302600_NS6detail15normal_iteratorINS9_10device_ptrIiEEEEPS5_jNS1_19radix_merge_compareILb1ELb1EiNS0_19identity_decomposerEEEEE10hipError_tT0_T1_T2_jT3_P12ihipStream_tbPNSt15iterator_traitsISK_E10value_typeEPNSQ_ISL_E10value_typeEPSM_NS1_7vsmem_tEENKUlT_SK_SL_SM_E_clIPiSE_SF_SF_EESJ_SZ_SK_SL_SM_EUlSZ_E0_NS1_11comp_targetILNS1_3genE4ELNS1_11target_archE910ELNS1_3gpuE8ELNS1_3repE0EEENS1_38merge_mergepath_config_static_selectorELNS0_4arch9wavefront6targetE1EEEvSL_,comdat
	.protected	_ZN7rocprim17ROCPRIM_400000_NS6detail17trampoline_kernelINS0_14default_configENS1_38merge_sort_block_merge_config_selectorIiNS0_10empty_typeEEEZZNS1_27merge_sort_block_merge_implIS3_N6thrust23THRUST_200600_302600_NS6detail15normal_iteratorINS9_10device_ptrIiEEEEPS5_jNS1_19radix_merge_compareILb1ELb1EiNS0_19identity_decomposerEEEEE10hipError_tT0_T1_T2_jT3_P12ihipStream_tbPNSt15iterator_traitsISK_E10value_typeEPNSQ_ISL_E10value_typeEPSM_NS1_7vsmem_tEENKUlT_SK_SL_SM_E_clIPiSE_SF_SF_EESJ_SZ_SK_SL_SM_EUlSZ_E0_NS1_11comp_targetILNS1_3genE4ELNS1_11target_archE910ELNS1_3gpuE8ELNS1_3repE0EEENS1_38merge_mergepath_config_static_selectorELNS0_4arch9wavefront6targetE1EEEvSL_ ; -- Begin function _ZN7rocprim17ROCPRIM_400000_NS6detail17trampoline_kernelINS0_14default_configENS1_38merge_sort_block_merge_config_selectorIiNS0_10empty_typeEEEZZNS1_27merge_sort_block_merge_implIS3_N6thrust23THRUST_200600_302600_NS6detail15normal_iteratorINS9_10device_ptrIiEEEEPS5_jNS1_19radix_merge_compareILb1ELb1EiNS0_19identity_decomposerEEEEE10hipError_tT0_T1_T2_jT3_P12ihipStream_tbPNSt15iterator_traitsISK_E10value_typeEPNSQ_ISL_E10value_typeEPSM_NS1_7vsmem_tEENKUlT_SK_SL_SM_E_clIPiSE_SF_SF_EESJ_SZ_SK_SL_SM_EUlSZ_E0_NS1_11comp_targetILNS1_3genE4ELNS1_11target_archE910ELNS1_3gpuE8ELNS1_3repE0EEENS1_38merge_mergepath_config_static_selectorELNS0_4arch9wavefront6targetE1EEEvSL_
	.globl	_ZN7rocprim17ROCPRIM_400000_NS6detail17trampoline_kernelINS0_14default_configENS1_38merge_sort_block_merge_config_selectorIiNS0_10empty_typeEEEZZNS1_27merge_sort_block_merge_implIS3_N6thrust23THRUST_200600_302600_NS6detail15normal_iteratorINS9_10device_ptrIiEEEEPS5_jNS1_19radix_merge_compareILb1ELb1EiNS0_19identity_decomposerEEEEE10hipError_tT0_T1_T2_jT3_P12ihipStream_tbPNSt15iterator_traitsISK_E10value_typeEPNSQ_ISL_E10value_typeEPSM_NS1_7vsmem_tEENKUlT_SK_SL_SM_E_clIPiSE_SF_SF_EESJ_SZ_SK_SL_SM_EUlSZ_E0_NS1_11comp_targetILNS1_3genE4ELNS1_11target_archE910ELNS1_3gpuE8ELNS1_3repE0EEENS1_38merge_mergepath_config_static_selectorELNS0_4arch9wavefront6targetE1EEEvSL_
	.p2align	8
	.type	_ZN7rocprim17ROCPRIM_400000_NS6detail17trampoline_kernelINS0_14default_configENS1_38merge_sort_block_merge_config_selectorIiNS0_10empty_typeEEEZZNS1_27merge_sort_block_merge_implIS3_N6thrust23THRUST_200600_302600_NS6detail15normal_iteratorINS9_10device_ptrIiEEEEPS5_jNS1_19radix_merge_compareILb1ELb1EiNS0_19identity_decomposerEEEEE10hipError_tT0_T1_T2_jT3_P12ihipStream_tbPNSt15iterator_traitsISK_E10value_typeEPNSQ_ISL_E10value_typeEPSM_NS1_7vsmem_tEENKUlT_SK_SL_SM_E_clIPiSE_SF_SF_EESJ_SZ_SK_SL_SM_EUlSZ_E0_NS1_11comp_targetILNS1_3genE4ELNS1_11target_archE910ELNS1_3gpuE8ELNS1_3repE0EEENS1_38merge_mergepath_config_static_selectorELNS0_4arch9wavefront6targetE1EEEvSL_,@function
_ZN7rocprim17ROCPRIM_400000_NS6detail17trampoline_kernelINS0_14default_configENS1_38merge_sort_block_merge_config_selectorIiNS0_10empty_typeEEEZZNS1_27merge_sort_block_merge_implIS3_N6thrust23THRUST_200600_302600_NS6detail15normal_iteratorINS9_10device_ptrIiEEEEPS5_jNS1_19radix_merge_compareILb1ELb1EiNS0_19identity_decomposerEEEEE10hipError_tT0_T1_T2_jT3_P12ihipStream_tbPNSt15iterator_traitsISK_E10value_typeEPNSQ_ISL_E10value_typeEPSM_NS1_7vsmem_tEENKUlT_SK_SL_SM_E_clIPiSE_SF_SF_EESJ_SZ_SK_SL_SM_EUlSZ_E0_NS1_11comp_targetILNS1_3genE4ELNS1_11target_archE910ELNS1_3gpuE8ELNS1_3repE0EEENS1_38merge_mergepath_config_static_selectorELNS0_4arch9wavefront6targetE1EEEvSL_: ; @_ZN7rocprim17ROCPRIM_400000_NS6detail17trampoline_kernelINS0_14default_configENS1_38merge_sort_block_merge_config_selectorIiNS0_10empty_typeEEEZZNS1_27merge_sort_block_merge_implIS3_N6thrust23THRUST_200600_302600_NS6detail15normal_iteratorINS9_10device_ptrIiEEEEPS5_jNS1_19radix_merge_compareILb1ELb1EiNS0_19identity_decomposerEEEEE10hipError_tT0_T1_T2_jT3_P12ihipStream_tbPNSt15iterator_traitsISK_E10value_typeEPNSQ_ISL_E10value_typeEPSM_NS1_7vsmem_tEENKUlT_SK_SL_SM_E_clIPiSE_SF_SF_EESJ_SZ_SK_SL_SM_EUlSZ_E0_NS1_11comp_targetILNS1_3genE4ELNS1_11target_archE910ELNS1_3gpuE8ELNS1_3repE0EEENS1_38merge_mergepath_config_static_selectorELNS0_4arch9wavefront6targetE1EEEvSL_
; %bb.0:
	.section	.rodata,"a",@progbits
	.p2align	6, 0x0
	.amdhsa_kernel _ZN7rocprim17ROCPRIM_400000_NS6detail17trampoline_kernelINS0_14default_configENS1_38merge_sort_block_merge_config_selectorIiNS0_10empty_typeEEEZZNS1_27merge_sort_block_merge_implIS3_N6thrust23THRUST_200600_302600_NS6detail15normal_iteratorINS9_10device_ptrIiEEEEPS5_jNS1_19radix_merge_compareILb1ELb1EiNS0_19identity_decomposerEEEEE10hipError_tT0_T1_T2_jT3_P12ihipStream_tbPNSt15iterator_traitsISK_E10value_typeEPNSQ_ISL_E10value_typeEPSM_NS1_7vsmem_tEENKUlT_SK_SL_SM_E_clIPiSE_SF_SF_EESJ_SZ_SK_SL_SM_EUlSZ_E0_NS1_11comp_targetILNS1_3genE4ELNS1_11target_archE910ELNS1_3gpuE8ELNS1_3repE0EEENS1_38merge_mergepath_config_static_selectorELNS0_4arch9wavefront6targetE1EEEvSL_
		.amdhsa_group_segment_fixed_size 0
		.amdhsa_private_segment_fixed_size 0
		.amdhsa_kernarg_size 64
		.amdhsa_user_sgpr_count 2
		.amdhsa_user_sgpr_dispatch_ptr 0
		.amdhsa_user_sgpr_queue_ptr 0
		.amdhsa_user_sgpr_kernarg_segment_ptr 1
		.amdhsa_user_sgpr_dispatch_id 0
		.amdhsa_user_sgpr_kernarg_preload_length 0
		.amdhsa_user_sgpr_kernarg_preload_offset 0
		.amdhsa_user_sgpr_private_segment_size 0
		.amdhsa_uses_dynamic_stack 0
		.amdhsa_enable_private_segment 0
		.amdhsa_system_sgpr_workgroup_id_x 1
		.amdhsa_system_sgpr_workgroup_id_y 0
		.amdhsa_system_sgpr_workgroup_id_z 0
		.amdhsa_system_sgpr_workgroup_info 0
		.amdhsa_system_vgpr_workitem_id 0
		.amdhsa_next_free_vgpr 1
		.amdhsa_next_free_sgpr 0
		.amdhsa_accum_offset 4
		.amdhsa_reserve_vcc 0
		.amdhsa_float_round_mode_32 0
		.amdhsa_float_round_mode_16_64 0
		.amdhsa_float_denorm_mode_32 3
		.amdhsa_float_denorm_mode_16_64 3
		.amdhsa_dx10_clamp 1
		.amdhsa_ieee_mode 1
		.amdhsa_fp16_overflow 0
		.amdhsa_tg_split 0
		.amdhsa_exception_fp_ieee_invalid_op 0
		.amdhsa_exception_fp_denorm_src 0
		.amdhsa_exception_fp_ieee_div_zero 0
		.amdhsa_exception_fp_ieee_overflow 0
		.amdhsa_exception_fp_ieee_underflow 0
		.amdhsa_exception_fp_ieee_inexact 0
		.amdhsa_exception_int_div_zero 0
	.end_amdhsa_kernel
	.section	.text._ZN7rocprim17ROCPRIM_400000_NS6detail17trampoline_kernelINS0_14default_configENS1_38merge_sort_block_merge_config_selectorIiNS0_10empty_typeEEEZZNS1_27merge_sort_block_merge_implIS3_N6thrust23THRUST_200600_302600_NS6detail15normal_iteratorINS9_10device_ptrIiEEEEPS5_jNS1_19radix_merge_compareILb1ELb1EiNS0_19identity_decomposerEEEEE10hipError_tT0_T1_T2_jT3_P12ihipStream_tbPNSt15iterator_traitsISK_E10value_typeEPNSQ_ISL_E10value_typeEPSM_NS1_7vsmem_tEENKUlT_SK_SL_SM_E_clIPiSE_SF_SF_EESJ_SZ_SK_SL_SM_EUlSZ_E0_NS1_11comp_targetILNS1_3genE4ELNS1_11target_archE910ELNS1_3gpuE8ELNS1_3repE0EEENS1_38merge_mergepath_config_static_selectorELNS0_4arch9wavefront6targetE1EEEvSL_,"axG",@progbits,_ZN7rocprim17ROCPRIM_400000_NS6detail17trampoline_kernelINS0_14default_configENS1_38merge_sort_block_merge_config_selectorIiNS0_10empty_typeEEEZZNS1_27merge_sort_block_merge_implIS3_N6thrust23THRUST_200600_302600_NS6detail15normal_iteratorINS9_10device_ptrIiEEEEPS5_jNS1_19radix_merge_compareILb1ELb1EiNS0_19identity_decomposerEEEEE10hipError_tT0_T1_T2_jT3_P12ihipStream_tbPNSt15iterator_traitsISK_E10value_typeEPNSQ_ISL_E10value_typeEPSM_NS1_7vsmem_tEENKUlT_SK_SL_SM_E_clIPiSE_SF_SF_EESJ_SZ_SK_SL_SM_EUlSZ_E0_NS1_11comp_targetILNS1_3genE4ELNS1_11target_archE910ELNS1_3gpuE8ELNS1_3repE0EEENS1_38merge_mergepath_config_static_selectorELNS0_4arch9wavefront6targetE1EEEvSL_,comdat
.Lfunc_end281:
	.size	_ZN7rocprim17ROCPRIM_400000_NS6detail17trampoline_kernelINS0_14default_configENS1_38merge_sort_block_merge_config_selectorIiNS0_10empty_typeEEEZZNS1_27merge_sort_block_merge_implIS3_N6thrust23THRUST_200600_302600_NS6detail15normal_iteratorINS9_10device_ptrIiEEEEPS5_jNS1_19radix_merge_compareILb1ELb1EiNS0_19identity_decomposerEEEEE10hipError_tT0_T1_T2_jT3_P12ihipStream_tbPNSt15iterator_traitsISK_E10value_typeEPNSQ_ISL_E10value_typeEPSM_NS1_7vsmem_tEENKUlT_SK_SL_SM_E_clIPiSE_SF_SF_EESJ_SZ_SK_SL_SM_EUlSZ_E0_NS1_11comp_targetILNS1_3genE4ELNS1_11target_archE910ELNS1_3gpuE8ELNS1_3repE0EEENS1_38merge_mergepath_config_static_selectorELNS0_4arch9wavefront6targetE1EEEvSL_, .Lfunc_end281-_ZN7rocprim17ROCPRIM_400000_NS6detail17trampoline_kernelINS0_14default_configENS1_38merge_sort_block_merge_config_selectorIiNS0_10empty_typeEEEZZNS1_27merge_sort_block_merge_implIS3_N6thrust23THRUST_200600_302600_NS6detail15normal_iteratorINS9_10device_ptrIiEEEEPS5_jNS1_19radix_merge_compareILb1ELb1EiNS0_19identity_decomposerEEEEE10hipError_tT0_T1_T2_jT3_P12ihipStream_tbPNSt15iterator_traitsISK_E10value_typeEPNSQ_ISL_E10value_typeEPSM_NS1_7vsmem_tEENKUlT_SK_SL_SM_E_clIPiSE_SF_SF_EESJ_SZ_SK_SL_SM_EUlSZ_E0_NS1_11comp_targetILNS1_3genE4ELNS1_11target_archE910ELNS1_3gpuE8ELNS1_3repE0EEENS1_38merge_mergepath_config_static_selectorELNS0_4arch9wavefront6targetE1EEEvSL_
                                        ; -- End function
	.set _ZN7rocprim17ROCPRIM_400000_NS6detail17trampoline_kernelINS0_14default_configENS1_38merge_sort_block_merge_config_selectorIiNS0_10empty_typeEEEZZNS1_27merge_sort_block_merge_implIS3_N6thrust23THRUST_200600_302600_NS6detail15normal_iteratorINS9_10device_ptrIiEEEEPS5_jNS1_19radix_merge_compareILb1ELb1EiNS0_19identity_decomposerEEEEE10hipError_tT0_T1_T2_jT3_P12ihipStream_tbPNSt15iterator_traitsISK_E10value_typeEPNSQ_ISL_E10value_typeEPSM_NS1_7vsmem_tEENKUlT_SK_SL_SM_E_clIPiSE_SF_SF_EESJ_SZ_SK_SL_SM_EUlSZ_E0_NS1_11comp_targetILNS1_3genE4ELNS1_11target_archE910ELNS1_3gpuE8ELNS1_3repE0EEENS1_38merge_mergepath_config_static_selectorELNS0_4arch9wavefront6targetE1EEEvSL_.num_vgpr, 0
	.set _ZN7rocprim17ROCPRIM_400000_NS6detail17trampoline_kernelINS0_14default_configENS1_38merge_sort_block_merge_config_selectorIiNS0_10empty_typeEEEZZNS1_27merge_sort_block_merge_implIS3_N6thrust23THRUST_200600_302600_NS6detail15normal_iteratorINS9_10device_ptrIiEEEEPS5_jNS1_19radix_merge_compareILb1ELb1EiNS0_19identity_decomposerEEEEE10hipError_tT0_T1_T2_jT3_P12ihipStream_tbPNSt15iterator_traitsISK_E10value_typeEPNSQ_ISL_E10value_typeEPSM_NS1_7vsmem_tEENKUlT_SK_SL_SM_E_clIPiSE_SF_SF_EESJ_SZ_SK_SL_SM_EUlSZ_E0_NS1_11comp_targetILNS1_3genE4ELNS1_11target_archE910ELNS1_3gpuE8ELNS1_3repE0EEENS1_38merge_mergepath_config_static_selectorELNS0_4arch9wavefront6targetE1EEEvSL_.num_agpr, 0
	.set _ZN7rocprim17ROCPRIM_400000_NS6detail17trampoline_kernelINS0_14default_configENS1_38merge_sort_block_merge_config_selectorIiNS0_10empty_typeEEEZZNS1_27merge_sort_block_merge_implIS3_N6thrust23THRUST_200600_302600_NS6detail15normal_iteratorINS9_10device_ptrIiEEEEPS5_jNS1_19radix_merge_compareILb1ELb1EiNS0_19identity_decomposerEEEEE10hipError_tT0_T1_T2_jT3_P12ihipStream_tbPNSt15iterator_traitsISK_E10value_typeEPNSQ_ISL_E10value_typeEPSM_NS1_7vsmem_tEENKUlT_SK_SL_SM_E_clIPiSE_SF_SF_EESJ_SZ_SK_SL_SM_EUlSZ_E0_NS1_11comp_targetILNS1_3genE4ELNS1_11target_archE910ELNS1_3gpuE8ELNS1_3repE0EEENS1_38merge_mergepath_config_static_selectorELNS0_4arch9wavefront6targetE1EEEvSL_.numbered_sgpr, 0
	.set _ZN7rocprim17ROCPRIM_400000_NS6detail17trampoline_kernelINS0_14default_configENS1_38merge_sort_block_merge_config_selectorIiNS0_10empty_typeEEEZZNS1_27merge_sort_block_merge_implIS3_N6thrust23THRUST_200600_302600_NS6detail15normal_iteratorINS9_10device_ptrIiEEEEPS5_jNS1_19radix_merge_compareILb1ELb1EiNS0_19identity_decomposerEEEEE10hipError_tT0_T1_T2_jT3_P12ihipStream_tbPNSt15iterator_traitsISK_E10value_typeEPNSQ_ISL_E10value_typeEPSM_NS1_7vsmem_tEENKUlT_SK_SL_SM_E_clIPiSE_SF_SF_EESJ_SZ_SK_SL_SM_EUlSZ_E0_NS1_11comp_targetILNS1_3genE4ELNS1_11target_archE910ELNS1_3gpuE8ELNS1_3repE0EEENS1_38merge_mergepath_config_static_selectorELNS0_4arch9wavefront6targetE1EEEvSL_.num_named_barrier, 0
	.set _ZN7rocprim17ROCPRIM_400000_NS6detail17trampoline_kernelINS0_14default_configENS1_38merge_sort_block_merge_config_selectorIiNS0_10empty_typeEEEZZNS1_27merge_sort_block_merge_implIS3_N6thrust23THRUST_200600_302600_NS6detail15normal_iteratorINS9_10device_ptrIiEEEEPS5_jNS1_19radix_merge_compareILb1ELb1EiNS0_19identity_decomposerEEEEE10hipError_tT0_T1_T2_jT3_P12ihipStream_tbPNSt15iterator_traitsISK_E10value_typeEPNSQ_ISL_E10value_typeEPSM_NS1_7vsmem_tEENKUlT_SK_SL_SM_E_clIPiSE_SF_SF_EESJ_SZ_SK_SL_SM_EUlSZ_E0_NS1_11comp_targetILNS1_3genE4ELNS1_11target_archE910ELNS1_3gpuE8ELNS1_3repE0EEENS1_38merge_mergepath_config_static_selectorELNS0_4arch9wavefront6targetE1EEEvSL_.private_seg_size, 0
	.set _ZN7rocprim17ROCPRIM_400000_NS6detail17trampoline_kernelINS0_14default_configENS1_38merge_sort_block_merge_config_selectorIiNS0_10empty_typeEEEZZNS1_27merge_sort_block_merge_implIS3_N6thrust23THRUST_200600_302600_NS6detail15normal_iteratorINS9_10device_ptrIiEEEEPS5_jNS1_19radix_merge_compareILb1ELb1EiNS0_19identity_decomposerEEEEE10hipError_tT0_T1_T2_jT3_P12ihipStream_tbPNSt15iterator_traitsISK_E10value_typeEPNSQ_ISL_E10value_typeEPSM_NS1_7vsmem_tEENKUlT_SK_SL_SM_E_clIPiSE_SF_SF_EESJ_SZ_SK_SL_SM_EUlSZ_E0_NS1_11comp_targetILNS1_3genE4ELNS1_11target_archE910ELNS1_3gpuE8ELNS1_3repE0EEENS1_38merge_mergepath_config_static_selectorELNS0_4arch9wavefront6targetE1EEEvSL_.uses_vcc, 0
	.set _ZN7rocprim17ROCPRIM_400000_NS6detail17trampoline_kernelINS0_14default_configENS1_38merge_sort_block_merge_config_selectorIiNS0_10empty_typeEEEZZNS1_27merge_sort_block_merge_implIS3_N6thrust23THRUST_200600_302600_NS6detail15normal_iteratorINS9_10device_ptrIiEEEEPS5_jNS1_19radix_merge_compareILb1ELb1EiNS0_19identity_decomposerEEEEE10hipError_tT0_T1_T2_jT3_P12ihipStream_tbPNSt15iterator_traitsISK_E10value_typeEPNSQ_ISL_E10value_typeEPSM_NS1_7vsmem_tEENKUlT_SK_SL_SM_E_clIPiSE_SF_SF_EESJ_SZ_SK_SL_SM_EUlSZ_E0_NS1_11comp_targetILNS1_3genE4ELNS1_11target_archE910ELNS1_3gpuE8ELNS1_3repE0EEENS1_38merge_mergepath_config_static_selectorELNS0_4arch9wavefront6targetE1EEEvSL_.uses_flat_scratch, 0
	.set _ZN7rocprim17ROCPRIM_400000_NS6detail17trampoline_kernelINS0_14default_configENS1_38merge_sort_block_merge_config_selectorIiNS0_10empty_typeEEEZZNS1_27merge_sort_block_merge_implIS3_N6thrust23THRUST_200600_302600_NS6detail15normal_iteratorINS9_10device_ptrIiEEEEPS5_jNS1_19radix_merge_compareILb1ELb1EiNS0_19identity_decomposerEEEEE10hipError_tT0_T1_T2_jT3_P12ihipStream_tbPNSt15iterator_traitsISK_E10value_typeEPNSQ_ISL_E10value_typeEPSM_NS1_7vsmem_tEENKUlT_SK_SL_SM_E_clIPiSE_SF_SF_EESJ_SZ_SK_SL_SM_EUlSZ_E0_NS1_11comp_targetILNS1_3genE4ELNS1_11target_archE910ELNS1_3gpuE8ELNS1_3repE0EEENS1_38merge_mergepath_config_static_selectorELNS0_4arch9wavefront6targetE1EEEvSL_.has_dyn_sized_stack, 0
	.set _ZN7rocprim17ROCPRIM_400000_NS6detail17trampoline_kernelINS0_14default_configENS1_38merge_sort_block_merge_config_selectorIiNS0_10empty_typeEEEZZNS1_27merge_sort_block_merge_implIS3_N6thrust23THRUST_200600_302600_NS6detail15normal_iteratorINS9_10device_ptrIiEEEEPS5_jNS1_19radix_merge_compareILb1ELb1EiNS0_19identity_decomposerEEEEE10hipError_tT0_T1_T2_jT3_P12ihipStream_tbPNSt15iterator_traitsISK_E10value_typeEPNSQ_ISL_E10value_typeEPSM_NS1_7vsmem_tEENKUlT_SK_SL_SM_E_clIPiSE_SF_SF_EESJ_SZ_SK_SL_SM_EUlSZ_E0_NS1_11comp_targetILNS1_3genE4ELNS1_11target_archE910ELNS1_3gpuE8ELNS1_3repE0EEENS1_38merge_mergepath_config_static_selectorELNS0_4arch9wavefront6targetE1EEEvSL_.has_recursion, 0
	.set _ZN7rocprim17ROCPRIM_400000_NS6detail17trampoline_kernelINS0_14default_configENS1_38merge_sort_block_merge_config_selectorIiNS0_10empty_typeEEEZZNS1_27merge_sort_block_merge_implIS3_N6thrust23THRUST_200600_302600_NS6detail15normal_iteratorINS9_10device_ptrIiEEEEPS5_jNS1_19radix_merge_compareILb1ELb1EiNS0_19identity_decomposerEEEEE10hipError_tT0_T1_T2_jT3_P12ihipStream_tbPNSt15iterator_traitsISK_E10value_typeEPNSQ_ISL_E10value_typeEPSM_NS1_7vsmem_tEENKUlT_SK_SL_SM_E_clIPiSE_SF_SF_EESJ_SZ_SK_SL_SM_EUlSZ_E0_NS1_11comp_targetILNS1_3genE4ELNS1_11target_archE910ELNS1_3gpuE8ELNS1_3repE0EEENS1_38merge_mergepath_config_static_selectorELNS0_4arch9wavefront6targetE1EEEvSL_.has_indirect_call, 0
	.section	.AMDGPU.csdata,"",@progbits
; Kernel info:
; codeLenInByte = 0
; TotalNumSgprs: 6
; NumVgprs: 0
; NumAgprs: 0
; TotalNumVgprs: 0
; ScratchSize: 0
; MemoryBound: 0
; FloatMode: 240
; IeeeMode: 1
; LDSByteSize: 0 bytes/workgroup (compile time only)
; SGPRBlocks: 0
; VGPRBlocks: 0
; NumSGPRsForWavesPerEU: 6
; NumVGPRsForWavesPerEU: 1
; AccumOffset: 4
; Occupancy: 8
; WaveLimiterHint : 0
; COMPUTE_PGM_RSRC2:SCRATCH_EN: 0
; COMPUTE_PGM_RSRC2:USER_SGPR: 2
; COMPUTE_PGM_RSRC2:TRAP_HANDLER: 0
; COMPUTE_PGM_RSRC2:TGID_X_EN: 1
; COMPUTE_PGM_RSRC2:TGID_Y_EN: 0
; COMPUTE_PGM_RSRC2:TGID_Z_EN: 0
; COMPUTE_PGM_RSRC2:TIDIG_COMP_CNT: 0
; COMPUTE_PGM_RSRC3_GFX90A:ACCUM_OFFSET: 0
; COMPUTE_PGM_RSRC3_GFX90A:TG_SPLIT: 0
	.section	.text._ZN7rocprim17ROCPRIM_400000_NS6detail17trampoline_kernelINS0_14default_configENS1_38merge_sort_block_merge_config_selectorIiNS0_10empty_typeEEEZZNS1_27merge_sort_block_merge_implIS3_N6thrust23THRUST_200600_302600_NS6detail15normal_iteratorINS9_10device_ptrIiEEEEPS5_jNS1_19radix_merge_compareILb1ELb1EiNS0_19identity_decomposerEEEEE10hipError_tT0_T1_T2_jT3_P12ihipStream_tbPNSt15iterator_traitsISK_E10value_typeEPNSQ_ISL_E10value_typeEPSM_NS1_7vsmem_tEENKUlT_SK_SL_SM_E_clIPiSE_SF_SF_EESJ_SZ_SK_SL_SM_EUlSZ_E0_NS1_11comp_targetILNS1_3genE3ELNS1_11target_archE908ELNS1_3gpuE7ELNS1_3repE0EEENS1_38merge_mergepath_config_static_selectorELNS0_4arch9wavefront6targetE1EEEvSL_,"axG",@progbits,_ZN7rocprim17ROCPRIM_400000_NS6detail17trampoline_kernelINS0_14default_configENS1_38merge_sort_block_merge_config_selectorIiNS0_10empty_typeEEEZZNS1_27merge_sort_block_merge_implIS3_N6thrust23THRUST_200600_302600_NS6detail15normal_iteratorINS9_10device_ptrIiEEEEPS5_jNS1_19radix_merge_compareILb1ELb1EiNS0_19identity_decomposerEEEEE10hipError_tT0_T1_T2_jT3_P12ihipStream_tbPNSt15iterator_traitsISK_E10value_typeEPNSQ_ISL_E10value_typeEPSM_NS1_7vsmem_tEENKUlT_SK_SL_SM_E_clIPiSE_SF_SF_EESJ_SZ_SK_SL_SM_EUlSZ_E0_NS1_11comp_targetILNS1_3genE3ELNS1_11target_archE908ELNS1_3gpuE7ELNS1_3repE0EEENS1_38merge_mergepath_config_static_selectorELNS0_4arch9wavefront6targetE1EEEvSL_,comdat
	.protected	_ZN7rocprim17ROCPRIM_400000_NS6detail17trampoline_kernelINS0_14default_configENS1_38merge_sort_block_merge_config_selectorIiNS0_10empty_typeEEEZZNS1_27merge_sort_block_merge_implIS3_N6thrust23THRUST_200600_302600_NS6detail15normal_iteratorINS9_10device_ptrIiEEEEPS5_jNS1_19radix_merge_compareILb1ELb1EiNS0_19identity_decomposerEEEEE10hipError_tT0_T1_T2_jT3_P12ihipStream_tbPNSt15iterator_traitsISK_E10value_typeEPNSQ_ISL_E10value_typeEPSM_NS1_7vsmem_tEENKUlT_SK_SL_SM_E_clIPiSE_SF_SF_EESJ_SZ_SK_SL_SM_EUlSZ_E0_NS1_11comp_targetILNS1_3genE3ELNS1_11target_archE908ELNS1_3gpuE7ELNS1_3repE0EEENS1_38merge_mergepath_config_static_selectorELNS0_4arch9wavefront6targetE1EEEvSL_ ; -- Begin function _ZN7rocprim17ROCPRIM_400000_NS6detail17trampoline_kernelINS0_14default_configENS1_38merge_sort_block_merge_config_selectorIiNS0_10empty_typeEEEZZNS1_27merge_sort_block_merge_implIS3_N6thrust23THRUST_200600_302600_NS6detail15normal_iteratorINS9_10device_ptrIiEEEEPS5_jNS1_19radix_merge_compareILb1ELb1EiNS0_19identity_decomposerEEEEE10hipError_tT0_T1_T2_jT3_P12ihipStream_tbPNSt15iterator_traitsISK_E10value_typeEPNSQ_ISL_E10value_typeEPSM_NS1_7vsmem_tEENKUlT_SK_SL_SM_E_clIPiSE_SF_SF_EESJ_SZ_SK_SL_SM_EUlSZ_E0_NS1_11comp_targetILNS1_3genE3ELNS1_11target_archE908ELNS1_3gpuE7ELNS1_3repE0EEENS1_38merge_mergepath_config_static_selectorELNS0_4arch9wavefront6targetE1EEEvSL_
	.globl	_ZN7rocprim17ROCPRIM_400000_NS6detail17trampoline_kernelINS0_14default_configENS1_38merge_sort_block_merge_config_selectorIiNS0_10empty_typeEEEZZNS1_27merge_sort_block_merge_implIS3_N6thrust23THRUST_200600_302600_NS6detail15normal_iteratorINS9_10device_ptrIiEEEEPS5_jNS1_19radix_merge_compareILb1ELb1EiNS0_19identity_decomposerEEEEE10hipError_tT0_T1_T2_jT3_P12ihipStream_tbPNSt15iterator_traitsISK_E10value_typeEPNSQ_ISL_E10value_typeEPSM_NS1_7vsmem_tEENKUlT_SK_SL_SM_E_clIPiSE_SF_SF_EESJ_SZ_SK_SL_SM_EUlSZ_E0_NS1_11comp_targetILNS1_3genE3ELNS1_11target_archE908ELNS1_3gpuE7ELNS1_3repE0EEENS1_38merge_mergepath_config_static_selectorELNS0_4arch9wavefront6targetE1EEEvSL_
	.p2align	8
	.type	_ZN7rocprim17ROCPRIM_400000_NS6detail17trampoline_kernelINS0_14default_configENS1_38merge_sort_block_merge_config_selectorIiNS0_10empty_typeEEEZZNS1_27merge_sort_block_merge_implIS3_N6thrust23THRUST_200600_302600_NS6detail15normal_iteratorINS9_10device_ptrIiEEEEPS5_jNS1_19radix_merge_compareILb1ELb1EiNS0_19identity_decomposerEEEEE10hipError_tT0_T1_T2_jT3_P12ihipStream_tbPNSt15iterator_traitsISK_E10value_typeEPNSQ_ISL_E10value_typeEPSM_NS1_7vsmem_tEENKUlT_SK_SL_SM_E_clIPiSE_SF_SF_EESJ_SZ_SK_SL_SM_EUlSZ_E0_NS1_11comp_targetILNS1_3genE3ELNS1_11target_archE908ELNS1_3gpuE7ELNS1_3repE0EEENS1_38merge_mergepath_config_static_selectorELNS0_4arch9wavefront6targetE1EEEvSL_,@function
_ZN7rocprim17ROCPRIM_400000_NS6detail17trampoline_kernelINS0_14default_configENS1_38merge_sort_block_merge_config_selectorIiNS0_10empty_typeEEEZZNS1_27merge_sort_block_merge_implIS3_N6thrust23THRUST_200600_302600_NS6detail15normal_iteratorINS9_10device_ptrIiEEEEPS5_jNS1_19radix_merge_compareILb1ELb1EiNS0_19identity_decomposerEEEEE10hipError_tT0_T1_T2_jT3_P12ihipStream_tbPNSt15iterator_traitsISK_E10value_typeEPNSQ_ISL_E10value_typeEPSM_NS1_7vsmem_tEENKUlT_SK_SL_SM_E_clIPiSE_SF_SF_EESJ_SZ_SK_SL_SM_EUlSZ_E0_NS1_11comp_targetILNS1_3genE3ELNS1_11target_archE908ELNS1_3gpuE7ELNS1_3repE0EEENS1_38merge_mergepath_config_static_selectorELNS0_4arch9wavefront6targetE1EEEvSL_: ; @_ZN7rocprim17ROCPRIM_400000_NS6detail17trampoline_kernelINS0_14default_configENS1_38merge_sort_block_merge_config_selectorIiNS0_10empty_typeEEEZZNS1_27merge_sort_block_merge_implIS3_N6thrust23THRUST_200600_302600_NS6detail15normal_iteratorINS9_10device_ptrIiEEEEPS5_jNS1_19radix_merge_compareILb1ELb1EiNS0_19identity_decomposerEEEEE10hipError_tT0_T1_T2_jT3_P12ihipStream_tbPNSt15iterator_traitsISK_E10value_typeEPNSQ_ISL_E10value_typeEPSM_NS1_7vsmem_tEENKUlT_SK_SL_SM_E_clIPiSE_SF_SF_EESJ_SZ_SK_SL_SM_EUlSZ_E0_NS1_11comp_targetILNS1_3genE3ELNS1_11target_archE908ELNS1_3gpuE7ELNS1_3repE0EEENS1_38merge_mergepath_config_static_selectorELNS0_4arch9wavefront6targetE1EEEvSL_
; %bb.0:
	.section	.rodata,"a",@progbits
	.p2align	6, 0x0
	.amdhsa_kernel _ZN7rocprim17ROCPRIM_400000_NS6detail17trampoline_kernelINS0_14default_configENS1_38merge_sort_block_merge_config_selectorIiNS0_10empty_typeEEEZZNS1_27merge_sort_block_merge_implIS3_N6thrust23THRUST_200600_302600_NS6detail15normal_iteratorINS9_10device_ptrIiEEEEPS5_jNS1_19radix_merge_compareILb1ELb1EiNS0_19identity_decomposerEEEEE10hipError_tT0_T1_T2_jT3_P12ihipStream_tbPNSt15iterator_traitsISK_E10value_typeEPNSQ_ISL_E10value_typeEPSM_NS1_7vsmem_tEENKUlT_SK_SL_SM_E_clIPiSE_SF_SF_EESJ_SZ_SK_SL_SM_EUlSZ_E0_NS1_11comp_targetILNS1_3genE3ELNS1_11target_archE908ELNS1_3gpuE7ELNS1_3repE0EEENS1_38merge_mergepath_config_static_selectorELNS0_4arch9wavefront6targetE1EEEvSL_
		.amdhsa_group_segment_fixed_size 0
		.amdhsa_private_segment_fixed_size 0
		.amdhsa_kernarg_size 64
		.amdhsa_user_sgpr_count 2
		.amdhsa_user_sgpr_dispatch_ptr 0
		.amdhsa_user_sgpr_queue_ptr 0
		.amdhsa_user_sgpr_kernarg_segment_ptr 1
		.amdhsa_user_sgpr_dispatch_id 0
		.amdhsa_user_sgpr_kernarg_preload_length 0
		.amdhsa_user_sgpr_kernarg_preload_offset 0
		.amdhsa_user_sgpr_private_segment_size 0
		.amdhsa_uses_dynamic_stack 0
		.amdhsa_enable_private_segment 0
		.amdhsa_system_sgpr_workgroup_id_x 1
		.amdhsa_system_sgpr_workgroup_id_y 0
		.amdhsa_system_sgpr_workgroup_id_z 0
		.amdhsa_system_sgpr_workgroup_info 0
		.amdhsa_system_vgpr_workitem_id 0
		.amdhsa_next_free_vgpr 1
		.amdhsa_next_free_sgpr 0
		.amdhsa_accum_offset 4
		.amdhsa_reserve_vcc 0
		.amdhsa_float_round_mode_32 0
		.amdhsa_float_round_mode_16_64 0
		.amdhsa_float_denorm_mode_32 3
		.amdhsa_float_denorm_mode_16_64 3
		.amdhsa_dx10_clamp 1
		.amdhsa_ieee_mode 1
		.amdhsa_fp16_overflow 0
		.amdhsa_tg_split 0
		.amdhsa_exception_fp_ieee_invalid_op 0
		.amdhsa_exception_fp_denorm_src 0
		.amdhsa_exception_fp_ieee_div_zero 0
		.amdhsa_exception_fp_ieee_overflow 0
		.amdhsa_exception_fp_ieee_underflow 0
		.amdhsa_exception_fp_ieee_inexact 0
		.amdhsa_exception_int_div_zero 0
	.end_amdhsa_kernel
	.section	.text._ZN7rocprim17ROCPRIM_400000_NS6detail17trampoline_kernelINS0_14default_configENS1_38merge_sort_block_merge_config_selectorIiNS0_10empty_typeEEEZZNS1_27merge_sort_block_merge_implIS3_N6thrust23THRUST_200600_302600_NS6detail15normal_iteratorINS9_10device_ptrIiEEEEPS5_jNS1_19radix_merge_compareILb1ELb1EiNS0_19identity_decomposerEEEEE10hipError_tT0_T1_T2_jT3_P12ihipStream_tbPNSt15iterator_traitsISK_E10value_typeEPNSQ_ISL_E10value_typeEPSM_NS1_7vsmem_tEENKUlT_SK_SL_SM_E_clIPiSE_SF_SF_EESJ_SZ_SK_SL_SM_EUlSZ_E0_NS1_11comp_targetILNS1_3genE3ELNS1_11target_archE908ELNS1_3gpuE7ELNS1_3repE0EEENS1_38merge_mergepath_config_static_selectorELNS0_4arch9wavefront6targetE1EEEvSL_,"axG",@progbits,_ZN7rocprim17ROCPRIM_400000_NS6detail17trampoline_kernelINS0_14default_configENS1_38merge_sort_block_merge_config_selectorIiNS0_10empty_typeEEEZZNS1_27merge_sort_block_merge_implIS3_N6thrust23THRUST_200600_302600_NS6detail15normal_iteratorINS9_10device_ptrIiEEEEPS5_jNS1_19radix_merge_compareILb1ELb1EiNS0_19identity_decomposerEEEEE10hipError_tT0_T1_T2_jT3_P12ihipStream_tbPNSt15iterator_traitsISK_E10value_typeEPNSQ_ISL_E10value_typeEPSM_NS1_7vsmem_tEENKUlT_SK_SL_SM_E_clIPiSE_SF_SF_EESJ_SZ_SK_SL_SM_EUlSZ_E0_NS1_11comp_targetILNS1_3genE3ELNS1_11target_archE908ELNS1_3gpuE7ELNS1_3repE0EEENS1_38merge_mergepath_config_static_selectorELNS0_4arch9wavefront6targetE1EEEvSL_,comdat
.Lfunc_end282:
	.size	_ZN7rocprim17ROCPRIM_400000_NS6detail17trampoline_kernelINS0_14default_configENS1_38merge_sort_block_merge_config_selectorIiNS0_10empty_typeEEEZZNS1_27merge_sort_block_merge_implIS3_N6thrust23THRUST_200600_302600_NS6detail15normal_iteratorINS9_10device_ptrIiEEEEPS5_jNS1_19radix_merge_compareILb1ELb1EiNS0_19identity_decomposerEEEEE10hipError_tT0_T1_T2_jT3_P12ihipStream_tbPNSt15iterator_traitsISK_E10value_typeEPNSQ_ISL_E10value_typeEPSM_NS1_7vsmem_tEENKUlT_SK_SL_SM_E_clIPiSE_SF_SF_EESJ_SZ_SK_SL_SM_EUlSZ_E0_NS1_11comp_targetILNS1_3genE3ELNS1_11target_archE908ELNS1_3gpuE7ELNS1_3repE0EEENS1_38merge_mergepath_config_static_selectorELNS0_4arch9wavefront6targetE1EEEvSL_, .Lfunc_end282-_ZN7rocprim17ROCPRIM_400000_NS6detail17trampoline_kernelINS0_14default_configENS1_38merge_sort_block_merge_config_selectorIiNS0_10empty_typeEEEZZNS1_27merge_sort_block_merge_implIS3_N6thrust23THRUST_200600_302600_NS6detail15normal_iteratorINS9_10device_ptrIiEEEEPS5_jNS1_19radix_merge_compareILb1ELb1EiNS0_19identity_decomposerEEEEE10hipError_tT0_T1_T2_jT3_P12ihipStream_tbPNSt15iterator_traitsISK_E10value_typeEPNSQ_ISL_E10value_typeEPSM_NS1_7vsmem_tEENKUlT_SK_SL_SM_E_clIPiSE_SF_SF_EESJ_SZ_SK_SL_SM_EUlSZ_E0_NS1_11comp_targetILNS1_3genE3ELNS1_11target_archE908ELNS1_3gpuE7ELNS1_3repE0EEENS1_38merge_mergepath_config_static_selectorELNS0_4arch9wavefront6targetE1EEEvSL_
                                        ; -- End function
	.set _ZN7rocprim17ROCPRIM_400000_NS6detail17trampoline_kernelINS0_14default_configENS1_38merge_sort_block_merge_config_selectorIiNS0_10empty_typeEEEZZNS1_27merge_sort_block_merge_implIS3_N6thrust23THRUST_200600_302600_NS6detail15normal_iteratorINS9_10device_ptrIiEEEEPS5_jNS1_19radix_merge_compareILb1ELb1EiNS0_19identity_decomposerEEEEE10hipError_tT0_T1_T2_jT3_P12ihipStream_tbPNSt15iterator_traitsISK_E10value_typeEPNSQ_ISL_E10value_typeEPSM_NS1_7vsmem_tEENKUlT_SK_SL_SM_E_clIPiSE_SF_SF_EESJ_SZ_SK_SL_SM_EUlSZ_E0_NS1_11comp_targetILNS1_3genE3ELNS1_11target_archE908ELNS1_3gpuE7ELNS1_3repE0EEENS1_38merge_mergepath_config_static_selectorELNS0_4arch9wavefront6targetE1EEEvSL_.num_vgpr, 0
	.set _ZN7rocprim17ROCPRIM_400000_NS6detail17trampoline_kernelINS0_14default_configENS1_38merge_sort_block_merge_config_selectorIiNS0_10empty_typeEEEZZNS1_27merge_sort_block_merge_implIS3_N6thrust23THRUST_200600_302600_NS6detail15normal_iteratorINS9_10device_ptrIiEEEEPS5_jNS1_19radix_merge_compareILb1ELb1EiNS0_19identity_decomposerEEEEE10hipError_tT0_T1_T2_jT3_P12ihipStream_tbPNSt15iterator_traitsISK_E10value_typeEPNSQ_ISL_E10value_typeEPSM_NS1_7vsmem_tEENKUlT_SK_SL_SM_E_clIPiSE_SF_SF_EESJ_SZ_SK_SL_SM_EUlSZ_E0_NS1_11comp_targetILNS1_3genE3ELNS1_11target_archE908ELNS1_3gpuE7ELNS1_3repE0EEENS1_38merge_mergepath_config_static_selectorELNS0_4arch9wavefront6targetE1EEEvSL_.num_agpr, 0
	.set _ZN7rocprim17ROCPRIM_400000_NS6detail17trampoline_kernelINS0_14default_configENS1_38merge_sort_block_merge_config_selectorIiNS0_10empty_typeEEEZZNS1_27merge_sort_block_merge_implIS3_N6thrust23THRUST_200600_302600_NS6detail15normal_iteratorINS9_10device_ptrIiEEEEPS5_jNS1_19radix_merge_compareILb1ELb1EiNS0_19identity_decomposerEEEEE10hipError_tT0_T1_T2_jT3_P12ihipStream_tbPNSt15iterator_traitsISK_E10value_typeEPNSQ_ISL_E10value_typeEPSM_NS1_7vsmem_tEENKUlT_SK_SL_SM_E_clIPiSE_SF_SF_EESJ_SZ_SK_SL_SM_EUlSZ_E0_NS1_11comp_targetILNS1_3genE3ELNS1_11target_archE908ELNS1_3gpuE7ELNS1_3repE0EEENS1_38merge_mergepath_config_static_selectorELNS0_4arch9wavefront6targetE1EEEvSL_.numbered_sgpr, 0
	.set _ZN7rocprim17ROCPRIM_400000_NS6detail17trampoline_kernelINS0_14default_configENS1_38merge_sort_block_merge_config_selectorIiNS0_10empty_typeEEEZZNS1_27merge_sort_block_merge_implIS3_N6thrust23THRUST_200600_302600_NS6detail15normal_iteratorINS9_10device_ptrIiEEEEPS5_jNS1_19radix_merge_compareILb1ELb1EiNS0_19identity_decomposerEEEEE10hipError_tT0_T1_T2_jT3_P12ihipStream_tbPNSt15iterator_traitsISK_E10value_typeEPNSQ_ISL_E10value_typeEPSM_NS1_7vsmem_tEENKUlT_SK_SL_SM_E_clIPiSE_SF_SF_EESJ_SZ_SK_SL_SM_EUlSZ_E0_NS1_11comp_targetILNS1_3genE3ELNS1_11target_archE908ELNS1_3gpuE7ELNS1_3repE0EEENS1_38merge_mergepath_config_static_selectorELNS0_4arch9wavefront6targetE1EEEvSL_.num_named_barrier, 0
	.set _ZN7rocprim17ROCPRIM_400000_NS6detail17trampoline_kernelINS0_14default_configENS1_38merge_sort_block_merge_config_selectorIiNS0_10empty_typeEEEZZNS1_27merge_sort_block_merge_implIS3_N6thrust23THRUST_200600_302600_NS6detail15normal_iteratorINS9_10device_ptrIiEEEEPS5_jNS1_19radix_merge_compareILb1ELb1EiNS0_19identity_decomposerEEEEE10hipError_tT0_T1_T2_jT3_P12ihipStream_tbPNSt15iterator_traitsISK_E10value_typeEPNSQ_ISL_E10value_typeEPSM_NS1_7vsmem_tEENKUlT_SK_SL_SM_E_clIPiSE_SF_SF_EESJ_SZ_SK_SL_SM_EUlSZ_E0_NS1_11comp_targetILNS1_3genE3ELNS1_11target_archE908ELNS1_3gpuE7ELNS1_3repE0EEENS1_38merge_mergepath_config_static_selectorELNS0_4arch9wavefront6targetE1EEEvSL_.private_seg_size, 0
	.set _ZN7rocprim17ROCPRIM_400000_NS6detail17trampoline_kernelINS0_14default_configENS1_38merge_sort_block_merge_config_selectorIiNS0_10empty_typeEEEZZNS1_27merge_sort_block_merge_implIS3_N6thrust23THRUST_200600_302600_NS6detail15normal_iteratorINS9_10device_ptrIiEEEEPS5_jNS1_19radix_merge_compareILb1ELb1EiNS0_19identity_decomposerEEEEE10hipError_tT0_T1_T2_jT3_P12ihipStream_tbPNSt15iterator_traitsISK_E10value_typeEPNSQ_ISL_E10value_typeEPSM_NS1_7vsmem_tEENKUlT_SK_SL_SM_E_clIPiSE_SF_SF_EESJ_SZ_SK_SL_SM_EUlSZ_E0_NS1_11comp_targetILNS1_3genE3ELNS1_11target_archE908ELNS1_3gpuE7ELNS1_3repE0EEENS1_38merge_mergepath_config_static_selectorELNS0_4arch9wavefront6targetE1EEEvSL_.uses_vcc, 0
	.set _ZN7rocprim17ROCPRIM_400000_NS6detail17trampoline_kernelINS0_14default_configENS1_38merge_sort_block_merge_config_selectorIiNS0_10empty_typeEEEZZNS1_27merge_sort_block_merge_implIS3_N6thrust23THRUST_200600_302600_NS6detail15normal_iteratorINS9_10device_ptrIiEEEEPS5_jNS1_19radix_merge_compareILb1ELb1EiNS0_19identity_decomposerEEEEE10hipError_tT0_T1_T2_jT3_P12ihipStream_tbPNSt15iterator_traitsISK_E10value_typeEPNSQ_ISL_E10value_typeEPSM_NS1_7vsmem_tEENKUlT_SK_SL_SM_E_clIPiSE_SF_SF_EESJ_SZ_SK_SL_SM_EUlSZ_E0_NS1_11comp_targetILNS1_3genE3ELNS1_11target_archE908ELNS1_3gpuE7ELNS1_3repE0EEENS1_38merge_mergepath_config_static_selectorELNS0_4arch9wavefront6targetE1EEEvSL_.uses_flat_scratch, 0
	.set _ZN7rocprim17ROCPRIM_400000_NS6detail17trampoline_kernelINS0_14default_configENS1_38merge_sort_block_merge_config_selectorIiNS0_10empty_typeEEEZZNS1_27merge_sort_block_merge_implIS3_N6thrust23THRUST_200600_302600_NS6detail15normal_iteratorINS9_10device_ptrIiEEEEPS5_jNS1_19radix_merge_compareILb1ELb1EiNS0_19identity_decomposerEEEEE10hipError_tT0_T1_T2_jT3_P12ihipStream_tbPNSt15iterator_traitsISK_E10value_typeEPNSQ_ISL_E10value_typeEPSM_NS1_7vsmem_tEENKUlT_SK_SL_SM_E_clIPiSE_SF_SF_EESJ_SZ_SK_SL_SM_EUlSZ_E0_NS1_11comp_targetILNS1_3genE3ELNS1_11target_archE908ELNS1_3gpuE7ELNS1_3repE0EEENS1_38merge_mergepath_config_static_selectorELNS0_4arch9wavefront6targetE1EEEvSL_.has_dyn_sized_stack, 0
	.set _ZN7rocprim17ROCPRIM_400000_NS6detail17trampoline_kernelINS0_14default_configENS1_38merge_sort_block_merge_config_selectorIiNS0_10empty_typeEEEZZNS1_27merge_sort_block_merge_implIS3_N6thrust23THRUST_200600_302600_NS6detail15normal_iteratorINS9_10device_ptrIiEEEEPS5_jNS1_19radix_merge_compareILb1ELb1EiNS0_19identity_decomposerEEEEE10hipError_tT0_T1_T2_jT3_P12ihipStream_tbPNSt15iterator_traitsISK_E10value_typeEPNSQ_ISL_E10value_typeEPSM_NS1_7vsmem_tEENKUlT_SK_SL_SM_E_clIPiSE_SF_SF_EESJ_SZ_SK_SL_SM_EUlSZ_E0_NS1_11comp_targetILNS1_3genE3ELNS1_11target_archE908ELNS1_3gpuE7ELNS1_3repE0EEENS1_38merge_mergepath_config_static_selectorELNS0_4arch9wavefront6targetE1EEEvSL_.has_recursion, 0
	.set _ZN7rocprim17ROCPRIM_400000_NS6detail17trampoline_kernelINS0_14default_configENS1_38merge_sort_block_merge_config_selectorIiNS0_10empty_typeEEEZZNS1_27merge_sort_block_merge_implIS3_N6thrust23THRUST_200600_302600_NS6detail15normal_iteratorINS9_10device_ptrIiEEEEPS5_jNS1_19radix_merge_compareILb1ELb1EiNS0_19identity_decomposerEEEEE10hipError_tT0_T1_T2_jT3_P12ihipStream_tbPNSt15iterator_traitsISK_E10value_typeEPNSQ_ISL_E10value_typeEPSM_NS1_7vsmem_tEENKUlT_SK_SL_SM_E_clIPiSE_SF_SF_EESJ_SZ_SK_SL_SM_EUlSZ_E0_NS1_11comp_targetILNS1_3genE3ELNS1_11target_archE908ELNS1_3gpuE7ELNS1_3repE0EEENS1_38merge_mergepath_config_static_selectorELNS0_4arch9wavefront6targetE1EEEvSL_.has_indirect_call, 0
	.section	.AMDGPU.csdata,"",@progbits
; Kernel info:
; codeLenInByte = 0
; TotalNumSgprs: 6
; NumVgprs: 0
; NumAgprs: 0
; TotalNumVgprs: 0
; ScratchSize: 0
; MemoryBound: 0
; FloatMode: 240
; IeeeMode: 1
; LDSByteSize: 0 bytes/workgroup (compile time only)
; SGPRBlocks: 0
; VGPRBlocks: 0
; NumSGPRsForWavesPerEU: 6
; NumVGPRsForWavesPerEU: 1
; AccumOffset: 4
; Occupancy: 8
; WaveLimiterHint : 0
; COMPUTE_PGM_RSRC2:SCRATCH_EN: 0
; COMPUTE_PGM_RSRC2:USER_SGPR: 2
; COMPUTE_PGM_RSRC2:TRAP_HANDLER: 0
; COMPUTE_PGM_RSRC2:TGID_X_EN: 1
; COMPUTE_PGM_RSRC2:TGID_Y_EN: 0
; COMPUTE_PGM_RSRC2:TGID_Z_EN: 0
; COMPUTE_PGM_RSRC2:TIDIG_COMP_CNT: 0
; COMPUTE_PGM_RSRC3_GFX90A:ACCUM_OFFSET: 0
; COMPUTE_PGM_RSRC3_GFX90A:TG_SPLIT: 0
	.section	.text._ZN7rocprim17ROCPRIM_400000_NS6detail17trampoline_kernelINS0_14default_configENS1_38merge_sort_block_merge_config_selectorIiNS0_10empty_typeEEEZZNS1_27merge_sort_block_merge_implIS3_N6thrust23THRUST_200600_302600_NS6detail15normal_iteratorINS9_10device_ptrIiEEEEPS5_jNS1_19radix_merge_compareILb1ELb1EiNS0_19identity_decomposerEEEEE10hipError_tT0_T1_T2_jT3_P12ihipStream_tbPNSt15iterator_traitsISK_E10value_typeEPNSQ_ISL_E10value_typeEPSM_NS1_7vsmem_tEENKUlT_SK_SL_SM_E_clIPiSE_SF_SF_EESJ_SZ_SK_SL_SM_EUlSZ_E0_NS1_11comp_targetILNS1_3genE2ELNS1_11target_archE906ELNS1_3gpuE6ELNS1_3repE0EEENS1_38merge_mergepath_config_static_selectorELNS0_4arch9wavefront6targetE1EEEvSL_,"axG",@progbits,_ZN7rocprim17ROCPRIM_400000_NS6detail17trampoline_kernelINS0_14default_configENS1_38merge_sort_block_merge_config_selectorIiNS0_10empty_typeEEEZZNS1_27merge_sort_block_merge_implIS3_N6thrust23THRUST_200600_302600_NS6detail15normal_iteratorINS9_10device_ptrIiEEEEPS5_jNS1_19radix_merge_compareILb1ELb1EiNS0_19identity_decomposerEEEEE10hipError_tT0_T1_T2_jT3_P12ihipStream_tbPNSt15iterator_traitsISK_E10value_typeEPNSQ_ISL_E10value_typeEPSM_NS1_7vsmem_tEENKUlT_SK_SL_SM_E_clIPiSE_SF_SF_EESJ_SZ_SK_SL_SM_EUlSZ_E0_NS1_11comp_targetILNS1_3genE2ELNS1_11target_archE906ELNS1_3gpuE6ELNS1_3repE0EEENS1_38merge_mergepath_config_static_selectorELNS0_4arch9wavefront6targetE1EEEvSL_,comdat
	.protected	_ZN7rocprim17ROCPRIM_400000_NS6detail17trampoline_kernelINS0_14default_configENS1_38merge_sort_block_merge_config_selectorIiNS0_10empty_typeEEEZZNS1_27merge_sort_block_merge_implIS3_N6thrust23THRUST_200600_302600_NS6detail15normal_iteratorINS9_10device_ptrIiEEEEPS5_jNS1_19radix_merge_compareILb1ELb1EiNS0_19identity_decomposerEEEEE10hipError_tT0_T1_T2_jT3_P12ihipStream_tbPNSt15iterator_traitsISK_E10value_typeEPNSQ_ISL_E10value_typeEPSM_NS1_7vsmem_tEENKUlT_SK_SL_SM_E_clIPiSE_SF_SF_EESJ_SZ_SK_SL_SM_EUlSZ_E0_NS1_11comp_targetILNS1_3genE2ELNS1_11target_archE906ELNS1_3gpuE6ELNS1_3repE0EEENS1_38merge_mergepath_config_static_selectorELNS0_4arch9wavefront6targetE1EEEvSL_ ; -- Begin function _ZN7rocprim17ROCPRIM_400000_NS6detail17trampoline_kernelINS0_14default_configENS1_38merge_sort_block_merge_config_selectorIiNS0_10empty_typeEEEZZNS1_27merge_sort_block_merge_implIS3_N6thrust23THRUST_200600_302600_NS6detail15normal_iteratorINS9_10device_ptrIiEEEEPS5_jNS1_19radix_merge_compareILb1ELb1EiNS0_19identity_decomposerEEEEE10hipError_tT0_T1_T2_jT3_P12ihipStream_tbPNSt15iterator_traitsISK_E10value_typeEPNSQ_ISL_E10value_typeEPSM_NS1_7vsmem_tEENKUlT_SK_SL_SM_E_clIPiSE_SF_SF_EESJ_SZ_SK_SL_SM_EUlSZ_E0_NS1_11comp_targetILNS1_3genE2ELNS1_11target_archE906ELNS1_3gpuE6ELNS1_3repE0EEENS1_38merge_mergepath_config_static_selectorELNS0_4arch9wavefront6targetE1EEEvSL_
	.globl	_ZN7rocprim17ROCPRIM_400000_NS6detail17trampoline_kernelINS0_14default_configENS1_38merge_sort_block_merge_config_selectorIiNS0_10empty_typeEEEZZNS1_27merge_sort_block_merge_implIS3_N6thrust23THRUST_200600_302600_NS6detail15normal_iteratorINS9_10device_ptrIiEEEEPS5_jNS1_19radix_merge_compareILb1ELb1EiNS0_19identity_decomposerEEEEE10hipError_tT0_T1_T2_jT3_P12ihipStream_tbPNSt15iterator_traitsISK_E10value_typeEPNSQ_ISL_E10value_typeEPSM_NS1_7vsmem_tEENKUlT_SK_SL_SM_E_clIPiSE_SF_SF_EESJ_SZ_SK_SL_SM_EUlSZ_E0_NS1_11comp_targetILNS1_3genE2ELNS1_11target_archE906ELNS1_3gpuE6ELNS1_3repE0EEENS1_38merge_mergepath_config_static_selectorELNS0_4arch9wavefront6targetE1EEEvSL_
	.p2align	8
	.type	_ZN7rocprim17ROCPRIM_400000_NS6detail17trampoline_kernelINS0_14default_configENS1_38merge_sort_block_merge_config_selectorIiNS0_10empty_typeEEEZZNS1_27merge_sort_block_merge_implIS3_N6thrust23THRUST_200600_302600_NS6detail15normal_iteratorINS9_10device_ptrIiEEEEPS5_jNS1_19radix_merge_compareILb1ELb1EiNS0_19identity_decomposerEEEEE10hipError_tT0_T1_T2_jT3_P12ihipStream_tbPNSt15iterator_traitsISK_E10value_typeEPNSQ_ISL_E10value_typeEPSM_NS1_7vsmem_tEENKUlT_SK_SL_SM_E_clIPiSE_SF_SF_EESJ_SZ_SK_SL_SM_EUlSZ_E0_NS1_11comp_targetILNS1_3genE2ELNS1_11target_archE906ELNS1_3gpuE6ELNS1_3repE0EEENS1_38merge_mergepath_config_static_selectorELNS0_4arch9wavefront6targetE1EEEvSL_,@function
_ZN7rocprim17ROCPRIM_400000_NS6detail17trampoline_kernelINS0_14default_configENS1_38merge_sort_block_merge_config_selectorIiNS0_10empty_typeEEEZZNS1_27merge_sort_block_merge_implIS3_N6thrust23THRUST_200600_302600_NS6detail15normal_iteratorINS9_10device_ptrIiEEEEPS5_jNS1_19radix_merge_compareILb1ELb1EiNS0_19identity_decomposerEEEEE10hipError_tT0_T1_T2_jT3_P12ihipStream_tbPNSt15iterator_traitsISK_E10value_typeEPNSQ_ISL_E10value_typeEPSM_NS1_7vsmem_tEENKUlT_SK_SL_SM_E_clIPiSE_SF_SF_EESJ_SZ_SK_SL_SM_EUlSZ_E0_NS1_11comp_targetILNS1_3genE2ELNS1_11target_archE906ELNS1_3gpuE6ELNS1_3repE0EEENS1_38merge_mergepath_config_static_selectorELNS0_4arch9wavefront6targetE1EEEvSL_: ; @_ZN7rocprim17ROCPRIM_400000_NS6detail17trampoline_kernelINS0_14default_configENS1_38merge_sort_block_merge_config_selectorIiNS0_10empty_typeEEEZZNS1_27merge_sort_block_merge_implIS3_N6thrust23THRUST_200600_302600_NS6detail15normal_iteratorINS9_10device_ptrIiEEEEPS5_jNS1_19radix_merge_compareILb1ELb1EiNS0_19identity_decomposerEEEEE10hipError_tT0_T1_T2_jT3_P12ihipStream_tbPNSt15iterator_traitsISK_E10value_typeEPNSQ_ISL_E10value_typeEPSM_NS1_7vsmem_tEENKUlT_SK_SL_SM_E_clIPiSE_SF_SF_EESJ_SZ_SK_SL_SM_EUlSZ_E0_NS1_11comp_targetILNS1_3genE2ELNS1_11target_archE906ELNS1_3gpuE6ELNS1_3repE0EEENS1_38merge_mergepath_config_static_selectorELNS0_4arch9wavefront6targetE1EEEvSL_
; %bb.0:
	.section	.rodata,"a",@progbits
	.p2align	6, 0x0
	.amdhsa_kernel _ZN7rocprim17ROCPRIM_400000_NS6detail17trampoline_kernelINS0_14default_configENS1_38merge_sort_block_merge_config_selectorIiNS0_10empty_typeEEEZZNS1_27merge_sort_block_merge_implIS3_N6thrust23THRUST_200600_302600_NS6detail15normal_iteratorINS9_10device_ptrIiEEEEPS5_jNS1_19radix_merge_compareILb1ELb1EiNS0_19identity_decomposerEEEEE10hipError_tT0_T1_T2_jT3_P12ihipStream_tbPNSt15iterator_traitsISK_E10value_typeEPNSQ_ISL_E10value_typeEPSM_NS1_7vsmem_tEENKUlT_SK_SL_SM_E_clIPiSE_SF_SF_EESJ_SZ_SK_SL_SM_EUlSZ_E0_NS1_11comp_targetILNS1_3genE2ELNS1_11target_archE906ELNS1_3gpuE6ELNS1_3repE0EEENS1_38merge_mergepath_config_static_selectorELNS0_4arch9wavefront6targetE1EEEvSL_
		.amdhsa_group_segment_fixed_size 0
		.amdhsa_private_segment_fixed_size 0
		.amdhsa_kernarg_size 64
		.amdhsa_user_sgpr_count 2
		.amdhsa_user_sgpr_dispatch_ptr 0
		.amdhsa_user_sgpr_queue_ptr 0
		.amdhsa_user_sgpr_kernarg_segment_ptr 1
		.amdhsa_user_sgpr_dispatch_id 0
		.amdhsa_user_sgpr_kernarg_preload_length 0
		.amdhsa_user_sgpr_kernarg_preload_offset 0
		.amdhsa_user_sgpr_private_segment_size 0
		.amdhsa_uses_dynamic_stack 0
		.amdhsa_enable_private_segment 0
		.amdhsa_system_sgpr_workgroup_id_x 1
		.amdhsa_system_sgpr_workgroup_id_y 0
		.amdhsa_system_sgpr_workgroup_id_z 0
		.amdhsa_system_sgpr_workgroup_info 0
		.amdhsa_system_vgpr_workitem_id 0
		.amdhsa_next_free_vgpr 1
		.amdhsa_next_free_sgpr 0
		.amdhsa_accum_offset 4
		.amdhsa_reserve_vcc 0
		.amdhsa_float_round_mode_32 0
		.amdhsa_float_round_mode_16_64 0
		.amdhsa_float_denorm_mode_32 3
		.amdhsa_float_denorm_mode_16_64 3
		.amdhsa_dx10_clamp 1
		.amdhsa_ieee_mode 1
		.amdhsa_fp16_overflow 0
		.amdhsa_tg_split 0
		.amdhsa_exception_fp_ieee_invalid_op 0
		.amdhsa_exception_fp_denorm_src 0
		.amdhsa_exception_fp_ieee_div_zero 0
		.amdhsa_exception_fp_ieee_overflow 0
		.amdhsa_exception_fp_ieee_underflow 0
		.amdhsa_exception_fp_ieee_inexact 0
		.amdhsa_exception_int_div_zero 0
	.end_amdhsa_kernel
	.section	.text._ZN7rocprim17ROCPRIM_400000_NS6detail17trampoline_kernelINS0_14default_configENS1_38merge_sort_block_merge_config_selectorIiNS0_10empty_typeEEEZZNS1_27merge_sort_block_merge_implIS3_N6thrust23THRUST_200600_302600_NS6detail15normal_iteratorINS9_10device_ptrIiEEEEPS5_jNS1_19radix_merge_compareILb1ELb1EiNS0_19identity_decomposerEEEEE10hipError_tT0_T1_T2_jT3_P12ihipStream_tbPNSt15iterator_traitsISK_E10value_typeEPNSQ_ISL_E10value_typeEPSM_NS1_7vsmem_tEENKUlT_SK_SL_SM_E_clIPiSE_SF_SF_EESJ_SZ_SK_SL_SM_EUlSZ_E0_NS1_11comp_targetILNS1_3genE2ELNS1_11target_archE906ELNS1_3gpuE6ELNS1_3repE0EEENS1_38merge_mergepath_config_static_selectorELNS0_4arch9wavefront6targetE1EEEvSL_,"axG",@progbits,_ZN7rocprim17ROCPRIM_400000_NS6detail17trampoline_kernelINS0_14default_configENS1_38merge_sort_block_merge_config_selectorIiNS0_10empty_typeEEEZZNS1_27merge_sort_block_merge_implIS3_N6thrust23THRUST_200600_302600_NS6detail15normal_iteratorINS9_10device_ptrIiEEEEPS5_jNS1_19radix_merge_compareILb1ELb1EiNS0_19identity_decomposerEEEEE10hipError_tT0_T1_T2_jT3_P12ihipStream_tbPNSt15iterator_traitsISK_E10value_typeEPNSQ_ISL_E10value_typeEPSM_NS1_7vsmem_tEENKUlT_SK_SL_SM_E_clIPiSE_SF_SF_EESJ_SZ_SK_SL_SM_EUlSZ_E0_NS1_11comp_targetILNS1_3genE2ELNS1_11target_archE906ELNS1_3gpuE6ELNS1_3repE0EEENS1_38merge_mergepath_config_static_selectorELNS0_4arch9wavefront6targetE1EEEvSL_,comdat
.Lfunc_end283:
	.size	_ZN7rocprim17ROCPRIM_400000_NS6detail17trampoline_kernelINS0_14default_configENS1_38merge_sort_block_merge_config_selectorIiNS0_10empty_typeEEEZZNS1_27merge_sort_block_merge_implIS3_N6thrust23THRUST_200600_302600_NS6detail15normal_iteratorINS9_10device_ptrIiEEEEPS5_jNS1_19radix_merge_compareILb1ELb1EiNS0_19identity_decomposerEEEEE10hipError_tT0_T1_T2_jT3_P12ihipStream_tbPNSt15iterator_traitsISK_E10value_typeEPNSQ_ISL_E10value_typeEPSM_NS1_7vsmem_tEENKUlT_SK_SL_SM_E_clIPiSE_SF_SF_EESJ_SZ_SK_SL_SM_EUlSZ_E0_NS1_11comp_targetILNS1_3genE2ELNS1_11target_archE906ELNS1_3gpuE6ELNS1_3repE0EEENS1_38merge_mergepath_config_static_selectorELNS0_4arch9wavefront6targetE1EEEvSL_, .Lfunc_end283-_ZN7rocprim17ROCPRIM_400000_NS6detail17trampoline_kernelINS0_14default_configENS1_38merge_sort_block_merge_config_selectorIiNS0_10empty_typeEEEZZNS1_27merge_sort_block_merge_implIS3_N6thrust23THRUST_200600_302600_NS6detail15normal_iteratorINS9_10device_ptrIiEEEEPS5_jNS1_19radix_merge_compareILb1ELb1EiNS0_19identity_decomposerEEEEE10hipError_tT0_T1_T2_jT3_P12ihipStream_tbPNSt15iterator_traitsISK_E10value_typeEPNSQ_ISL_E10value_typeEPSM_NS1_7vsmem_tEENKUlT_SK_SL_SM_E_clIPiSE_SF_SF_EESJ_SZ_SK_SL_SM_EUlSZ_E0_NS1_11comp_targetILNS1_3genE2ELNS1_11target_archE906ELNS1_3gpuE6ELNS1_3repE0EEENS1_38merge_mergepath_config_static_selectorELNS0_4arch9wavefront6targetE1EEEvSL_
                                        ; -- End function
	.set _ZN7rocprim17ROCPRIM_400000_NS6detail17trampoline_kernelINS0_14default_configENS1_38merge_sort_block_merge_config_selectorIiNS0_10empty_typeEEEZZNS1_27merge_sort_block_merge_implIS3_N6thrust23THRUST_200600_302600_NS6detail15normal_iteratorINS9_10device_ptrIiEEEEPS5_jNS1_19radix_merge_compareILb1ELb1EiNS0_19identity_decomposerEEEEE10hipError_tT0_T1_T2_jT3_P12ihipStream_tbPNSt15iterator_traitsISK_E10value_typeEPNSQ_ISL_E10value_typeEPSM_NS1_7vsmem_tEENKUlT_SK_SL_SM_E_clIPiSE_SF_SF_EESJ_SZ_SK_SL_SM_EUlSZ_E0_NS1_11comp_targetILNS1_3genE2ELNS1_11target_archE906ELNS1_3gpuE6ELNS1_3repE0EEENS1_38merge_mergepath_config_static_selectorELNS0_4arch9wavefront6targetE1EEEvSL_.num_vgpr, 0
	.set _ZN7rocprim17ROCPRIM_400000_NS6detail17trampoline_kernelINS0_14default_configENS1_38merge_sort_block_merge_config_selectorIiNS0_10empty_typeEEEZZNS1_27merge_sort_block_merge_implIS3_N6thrust23THRUST_200600_302600_NS6detail15normal_iteratorINS9_10device_ptrIiEEEEPS5_jNS1_19radix_merge_compareILb1ELb1EiNS0_19identity_decomposerEEEEE10hipError_tT0_T1_T2_jT3_P12ihipStream_tbPNSt15iterator_traitsISK_E10value_typeEPNSQ_ISL_E10value_typeEPSM_NS1_7vsmem_tEENKUlT_SK_SL_SM_E_clIPiSE_SF_SF_EESJ_SZ_SK_SL_SM_EUlSZ_E0_NS1_11comp_targetILNS1_3genE2ELNS1_11target_archE906ELNS1_3gpuE6ELNS1_3repE0EEENS1_38merge_mergepath_config_static_selectorELNS0_4arch9wavefront6targetE1EEEvSL_.num_agpr, 0
	.set _ZN7rocprim17ROCPRIM_400000_NS6detail17trampoline_kernelINS0_14default_configENS1_38merge_sort_block_merge_config_selectorIiNS0_10empty_typeEEEZZNS1_27merge_sort_block_merge_implIS3_N6thrust23THRUST_200600_302600_NS6detail15normal_iteratorINS9_10device_ptrIiEEEEPS5_jNS1_19radix_merge_compareILb1ELb1EiNS0_19identity_decomposerEEEEE10hipError_tT0_T1_T2_jT3_P12ihipStream_tbPNSt15iterator_traitsISK_E10value_typeEPNSQ_ISL_E10value_typeEPSM_NS1_7vsmem_tEENKUlT_SK_SL_SM_E_clIPiSE_SF_SF_EESJ_SZ_SK_SL_SM_EUlSZ_E0_NS1_11comp_targetILNS1_3genE2ELNS1_11target_archE906ELNS1_3gpuE6ELNS1_3repE0EEENS1_38merge_mergepath_config_static_selectorELNS0_4arch9wavefront6targetE1EEEvSL_.numbered_sgpr, 0
	.set _ZN7rocprim17ROCPRIM_400000_NS6detail17trampoline_kernelINS0_14default_configENS1_38merge_sort_block_merge_config_selectorIiNS0_10empty_typeEEEZZNS1_27merge_sort_block_merge_implIS3_N6thrust23THRUST_200600_302600_NS6detail15normal_iteratorINS9_10device_ptrIiEEEEPS5_jNS1_19radix_merge_compareILb1ELb1EiNS0_19identity_decomposerEEEEE10hipError_tT0_T1_T2_jT3_P12ihipStream_tbPNSt15iterator_traitsISK_E10value_typeEPNSQ_ISL_E10value_typeEPSM_NS1_7vsmem_tEENKUlT_SK_SL_SM_E_clIPiSE_SF_SF_EESJ_SZ_SK_SL_SM_EUlSZ_E0_NS1_11comp_targetILNS1_3genE2ELNS1_11target_archE906ELNS1_3gpuE6ELNS1_3repE0EEENS1_38merge_mergepath_config_static_selectorELNS0_4arch9wavefront6targetE1EEEvSL_.num_named_barrier, 0
	.set _ZN7rocprim17ROCPRIM_400000_NS6detail17trampoline_kernelINS0_14default_configENS1_38merge_sort_block_merge_config_selectorIiNS0_10empty_typeEEEZZNS1_27merge_sort_block_merge_implIS3_N6thrust23THRUST_200600_302600_NS6detail15normal_iteratorINS9_10device_ptrIiEEEEPS5_jNS1_19radix_merge_compareILb1ELb1EiNS0_19identity_decomposerEEEEE10hipError_tT0_T1_T2_jT3_P12ihipStream_tbPNSt15iterator_traitsISK_E10value_typeEPNSQ_ISL_E10value_typeEPSM_NS1_7vsmem_tEENKUlT_SK_SL_SM_E_clIPiSE_SF_SF_EESJ_SZ_SK_SL_SM_EUlSZ_E0_NS1_11comp_targetILNS1_3genE2ELNS1_11target_archE906ELNS1_3gpuE6ELNS1_3repE0EEENS1_38merge_mergepath_config_static_selectorELNS0_4arch9wavefront6targetE1EEEvSL_.private_seg_size, 0
	.set _ZN7rocprim17ROCPRIM_400000_NS6detail17trampoline_kernelINS0_14default_configENS1_38merge_sort_block_merge_config_selectorIiNS0_10empty_typeEEEZZNS1_27merge_sort_block_merge_implIS3_N6thrust23THRUST_200600_302600_NS6detail15normal_iteratorINS9_10device_ptrIiEEEEPS5_jNS1_19radix_merge_compareILb1ELb1EiNS0_19identity_decomposerEEEEE10hipError_tT0_T1_T2_jT3_P12ihipStream_tbPNSt15iterator_traitsISK_E10value_typeEPNSQ_ISL_E10value_typeEPSM_NS1_7vsmem_tEENKUlT_SK_SL_SM_E_clIPiSE_SF_SF_EESJ_SZ_SK_SL_SM_EUlSZ_E0_NS1_11comp_targetILNS1_3genE2ELNS1_11target_archE906ELNS1_3gpuE6ELNS1_3repE0EEENS1_38merge_mergepath_config_static_selectorELNS0_4arch9wavefront6targetE1EEEvSL_.uses_vcc, 0
	.set _ZN7rocprim17ROCPRIM_400000_NS6detail17trampoline_kernelINS0_14default_configENS1_38merge_sort_block_merge_config_selectorIiNS0_10empty_typeEEEZZNS1_27merge_sort_block_merge_implIS3_N6thrust23THRUST_200600_302600_NS6detail15normal_iteratorINS9_10device_ptrIiEEEEPS5_jNS1_19radix_merge_compareILb1ELb1EiNS0_19identity_decomposerEEEEE10hipError_tT0_T1_T2_jT3_P12ihipStream_tbPNSt15iterator_traitsISK_E10value_typeEPNSQ_ISL_E10value_typeEPSM_NS1_7vsmem_tEENKUlT_SK_SL_SM_E_clIPiSE_SF_SF_EESJ_SZ_SK_SL_SM_EUlSZ_E0_NS1_11comp_targetILNS1_3genE2ELNS1_11target_archE906ELNS1_3gpuE6ELNS1_3repE0EEENS1_38merge_mergepath_config_static_selectorELNS0_4arch9wavefront6targetE1EEEvSL_.uses_flat_scratch, 0
	.set _ZN7rocprim17ROCPRIM_400000_NS6detail17trampoline_kernelINS0_14default_configENS1_38merge_sort_block_merge_config_selectorIiNS0_10empty_typeEEEZZNS1_27merge_sort_block_merge_implIS3_N6thrust23THRUST_200600_302600_NS6detail15normal_iteratorINS9_10device_ptrIiEEEEPS5_jNS1_19radix_merge_compareILb1ELb1EiNS0_19identity_decomposerEEEEE10hipError_tT0_T1_T2_jT3_P12ihipStream_tbPNSt15iterator_traitsISK_E10value_typeEPNSQ_ISL_E10value_typeEPSM_NS1_7vsmem_tEENKUlT_SK_SL_SM_E_clIPiSE_SF_SF_EESJ_SZ_SK_SL_SM_EUlSZ_E0_NS1_11comp_targetILNS1_3genE2ELNS1_11target_archE906ELNS1_3gpuE6ELNS1_3repE0EEENS1_38merge_mergepath_config_static_selectorELNS0_4arch9wavefront6targetE1EEEvSL_.has_dyn_sized_stack, 0
	.set _ZN7rocprim17ROCPRIM_400000_NS6detail17trampoline_kernelINS0_14default_configENS1_38merge_sort_block_merge_config_selectorIiNS0_10empty_typeEEEZZNS1_27merge_sort_block_merge_implIS3_N6thrust23THRUST_200600_302600_NS6detail15normal_iteratorINS9_10device_ptrIiEEEEPS5_jNS1_19radix_merge_compareILb1ELb1EiNS0_19identity_decomposerEEEEE10hipError_tT0_T1_T2_jT3_P12ihipStream_tbPNSt15iterator_traitsISK_E10value_typeEPNSQ_ISL_E10value_typeEPSM_NS1_7vsmem_tEENKUlT_SK_SL_SM_E_clIPiSE_SF_SF_EESJ_SZ_SK_SL_SM_EUlSZ_E0_NS1_11comp_targetILNS1_3genE2ELNS1_11target_archE906ELNS1_3gpuE6ELNS1_3repE0EEENS1_38merge_mergepath_config_static_selectorELNS0_4arch9wavefront6targetE1EEEvSL_.has_recursion, 0
	.set _ZN7rocprim17ROCPRIM_400000_NS6detail17trampoline_kernelINS0_14default_configENS1_38merge_sort_block_merge_config_selectorIiNS0_10empty_typeEEEZZNS1_27merge_sort_block_merge_implIS3_N6thrust23THRUST_200600_302600_NS6detail15normal_iteratorINS9_10device_ptrIiEEEEPS5_jNS1_19radix_merge_compareILb1ELb1EiNS0_19identity_decomposerEEEEE10hipError_tT0_T1_T2_jT3_P12ihipStream_tbPNSt15iterator_traitsISK_E10value_typeEPNSQ_ISL_E10value_typeEPSM_NS1_7vsmem_tEENKUlT_SK_SL_SM_E_clIPiSE_SF_SF_EESJ_SZ_SK_SL_SM_EUlSZ_E0_NS1_11comp_targetILNS1_3genE2ELNS1_11target_archE906ELNS1_3gpuE6ELNS1_3repE0EEENS1_38merge_mergepath_config_static_selectorELNS0_4arch9wavefront6targetE1EEEvSL_.has_indirect_call, 0
	.section	.AMDGPU.csdata,"",@progbits
; Kernel info:
; codeLenInByte = 0
; TotalNumSgprs: 6
; NumVgprs: 0
; NumAgprs: 0
; TotalNumVgprs: 0
; ScratchSize: 0
; MemoryBound: 0
; FloatMode: 240
; IeeeMode: 1
; LDSByteSize: 0 bytes/workgroup (compile time only)
; SGPRBlocks: 0
; VGPRBlocks: 0
; NumSGPRsForWavesPerEU: 6
; NumVGPRsForWavesPerEU: 1
; AccumOffset: 4
; Occupancy: 8
; WaveLimiterHint : 0
; COMPUTE_PGM_RSRC2:SCRATCH_EN: 0
; COMPUTE_PGM_RSRC2:USER_SGPR: 2
; COMPUTE_PGM_RSRC2:TRAP_HANDLER: 0
; COMPUTE_PGM_RSRC2:TGID_X_EN: 1
; COMPUTE_PGM_RSRC2:TGID_Y_EN: 0
; COMPUTE_PGM_RSRC2:TGID_Z_EN: 0
; COMPUTE_PGM_RSRC2:TIDIG_COMP_CNT: 0
; COMPUTE_PGM_RSRC3_GFX90A:ACCUM_OFFSET: 0
; COMPUTE_PGM_RSRC3_GFX90A:TG_SPLIT: 0
	.section	.text._ZN7rocprim17ROCPRIM_400000_NS6detail17trampoline_kernelINS0_14default_configENS1_38merge_sort_block_merge_config_selectorIiNS0_10empty_typeEEEZZNS1_27merge_sort_block_merge_implIS3_N6thrust23THRUST_200600_302600_NS6detail15normal_iteratorINS9_10device_ptrIiEEEEPS5_jNS1_19radix_merge_compareILb1ELb1EiNS0_19identity_decomposerEEEEE10hipError_tT0_T1_T2_jT3_P12ihipStream_tbPNSt15iterator_traitsISK_E10value_typeEPNSQ_ISL_E10value_typeEPSM_NS1_7vsmem_tEENKUlT_SK_SL_SM_E_clIPiSE_SF_SF_EESJ_SZ_SK_SL_SM_EUlSZ_E0_NS1_11comp_targetILNS1_3genE9ELNS1_11target_archE1100ELNS1_3gpuE3ELNS1_3repE0EEENS1_38merge_mergepath_config_static_selectorELNS0_4arch9wavefront6targetE1EEEvSL_,"axG",@progbits,_ZN7rocprim17ROCPRIM_400000_NS6detail17trampoline_kernelINS0_14default_configENS1_38merge_sort_block_merge_config_selectorIiNS0_10empty_typeEEEZZNS1_27merge_sort_block_merge_implIS3_N6thrust23THRUST_200600_302600_NS6detail15normal_iteratorINS9_10device_ptrIiEEEEPS5_jNS1_19radix_merge_compareILb1ELb1EiNS0_19identity_decomposerEEEEE10hipError_tT0_T1_T2_jT3_P12ihipStream_tbPNSt15iterator_traitsISK_E10value_typeEPNSQ_ISL_E10value_typeEPSM_NS1_7vsmem_tEENKUlT_SK_SL_SM_E_clIPiSE_SF_SF_EESJ_SZ_SK_SL_SM_EUlSZ_E0_NS1_11comp_targetILNS1_3genE9ELNS1_11target_archE1100ELNS1_3gpuE3ELNS1_3repE0EEENS1_38merge_mergepath_config_static_selectorELNS0_4arch9wavefront6targetE1EEEvSL_,comdat
	.protected	_ZN7rocprim17ROCPRIM_400000_NS6detail17trampoline_kernelINS0_14default_configENS1_38merge_sort_block_merge_config_selectorIiNS0_10empty_typeEEEZZNS1_27merge_sort_block_merge_implIS3_N6thrust23THRUST_200600_302600_NS6detail15normal_iteratorINS9_10device_ptrIiEEEEPS5_jNS1_19radix_merge_compareILb1ELb1EiNS0_19identity_decomposerEEEEE10hipError_tT0_T1_T2_jT3_P12ihipStream_tbPNSt15iterator_traitsISK_E10value_typeEPNSQ_ISL_E10value_typeEPSM_NS1_7vsmem_tEENKUlT_SK_SL_SM_E_clIPiSE_SF_SF_EESJ_SZ_SK_SL_SM_EUlSZ_E0_NS1_11comp_targetILNS1_3genE9ELNS1_11target_archE1100ELNS1_3gpuE3ELNS1_3repE0EEENS1_38merge_mergepath_config_static_selectorELNS0_4arch9wavefront6targetE1EEEvSL_ ; -- Begin function _ZN7rocprim17ROCPRIM_400000_NS6detail17trampoline_kernelINS0_14default_configENS1_38merge_sort_block_merge_config_selectorIiNS0_10empty_typeEEEZZNS1_27merge_sort_block_merge_implIS3_N6thrust23THRUST_200600_302600_NS6detail15normal_iteratorINS9_10device_ptrIiEEEEPS5_jNS1_19radix_merge_compareILb1ELb1EiNS0_19identity_decomposerEEEEE10hipError_tT0_T1_T2_jT3_P12ihipStream_tbPNSt15iterator_traitsISK_E10value_typeEPNSQ_ISL_E10value_typeEPSM_NS1_7vsmem_tEENKUlT_SK_SL_SM_E_clIPiSE_SF_SF_EESJ_SZ_SK_SL_SM_EUlSZ_E0_NS1_11comp_targetILNS1_3genE9ELNS1_11target_archE1100ELNS1_3gpuE3ELNS1_3repE0EEENS1_38merge_mergepath_config_static_selectorELNS0_4arch9wavefront6targetE1EEEvSL_
	.globl	_ZN7rocprim17ROCPRIM_400000_NS6detail17trampoline_kernelINS0_14default_configENS1_38merge_sort_block_merge_config_selectorIiNS0_10empty_typeEEEZZNS1_27merge_sort_block_merge_implIS3_N6thrust23THRUST_200600_302600_NS6detail15normal_iteratorINS9_10device_ptrIiEEEEPS5_jNS1_19radix_merge_compareILb1ELb1EiNS0_19identity_decomposerEEEEE10hipError_tT0_T1_T2_jT3_P12ihipStream_tbPNSt15iterator_traitsISK_E10value_typeEPNSQ_ISL_E10value_typeEPSM_NS1_7vsmem_tEENKUlT_SK_SL_SM_E_clIPiSE_SF_SF_EESJ_SZ_SK_SL_SM_EUlSZ_E0_NS1_11comp_targetILNS1_3genE9ELNS1_11target_archE1100ELNS1_3gpuE3ELNS1_3repE0EEENS1_38merge_mergepath_config_static_selectorELNS0_4arch9wavefront6targetE1EEEvSL_
	.p2align	8
	.type	_ZN7rocprim17ROCPRIM_400000_NS6detail17trampoline_kernelINS0_14default_configENS1_38merge_sort_block_merge_config_selectorIiNS0_10empty_typeEEEZZNS1_27merge_sort_block_merge_implIS3_N6thrust23THRUST_200600_302600_NS6detail15normal_iteratorINS9_10device_ptrIiEEEEPS5_jNS1_19radix_merge_compareILb1ELb1EiNS0_19identity_decomposerEEEEE10hipError_tT0_T1_T2_jT3_P12ihipStream_tbPNSt15iterator_traitsISK_E10value_typeEPNSQ_ISL_E10value_typeEPSM_NS1_7vsmem_tEENKUlT_SK_SL_SM_E_clIPiSE_SF_SF_EESJ_SZ_SK_SL_SM_EUlSZ_E0_NS1_11comp_targetILNS1_3genE9ELNS1_11target_archE1100ELNS1_3gpuE3ELNS1_3repE0EEENS1_38merge_mergepath_config_static_selectorELNS0_4arch9wavefront6targetE1EEEvSL_,@function
_ZN7rocprim17ROCPRIM_400000_NS6detail17trampoline_kernelINS0_14default_configENS1_38merge_sort_block_merge_config_selectorIiNS0_10empty_typeEEEZZNS1_27merge_sort_block_merge_implIS3_N6thrust23THRUST_200600_302600_NS6detail15normal_iteratorINS9_10device_ptrIiEEEEPS5_jNS1_19radix_merge_compareILb1ELb1EiNS0_19identity_decomposerEEEEE10hipError_tT0_T1_T2_jT3_P12ihipStream_tbPNSt15iterator_traitsISK_E10value_typeEPNSQ_ISL_E10value_typeEPSM_NS1_7vsmem_tEENKUlT_SK_SL_SM_E_clIPiSE_SF_SF_EESJ_SZ_SK_SL_SM_EUlSZ_E0_NS1_11comp_targetILNS1_3genE9ELNS1_11target_archE1100ELNS1_3gpuE3ELNS1_3repE0EEENS1_38merge_mergepath_config_static_selectorELNS0_4arch9wavefront6targetE1EEEvSL_: ; @_ZN7rocprim17ROCPRIM_400000_NS6detail17trampoline_kernelINS0_14default_configENS1_38merge_sort_block_merge_config_selectorIiNS0_10empty_typeEEEZZNS1_27merge_sort_block_merge_implIS3_N6thrust23THRUST_200600_302600_NS6detail15normal_iteratorINS9_10device_ptrIiEEEEPS5_jNS1_19radix_merge_compareILb1ELb1EiNS0_19identity_decomposerEEEEE10hipError_tT0_T1_T2_jT3_P12ihipStream_tbPNSt15iterator_traitsISK_E10value_typeEPNSQ_ISL_E10value_typeEPSM_NS1_7vsmem_tEENKUlT_SK_SL_SM_E_clIPiSE_SF_SF_EESJ_SZ_SK_SL_SM_EUlSZ_E0_NS1_11comp_targetILNS1_3genE9ELNS1_11target_archE1100ELNS1_3gpuE3ELNS1_3repE0EEENS1_38merge_mergepath_config_static_selectorELNS0_4arch9wavefront6targetE1EEEvSL_
; %bb.0:
	.section	.rodata,"a",@progbits
	.p2align	6, 0x0
	.amdhsa_kernel _ZN7rocprim17ROCPRIM_400000_NS6detail17trampoline_kernelINS0_14default_configENS1_38merge_sort_block_merge_config_selectorIiNS0_10empty_typeEEEZZNS1_27merge_sort_block_merge_implIS3_N6thrust23THRUST_200600_302600_NS6detail15normal_iteratorINS9_10device_ptrIiEEEEPS5_jNS1_19radix_merge_compareILb1ELb1EiNS0_19identity_decomposerEEEEE10hipError_tT0_T1_T2_jT3_P12ihipStream_tbPNSt15iterator_traitsISK_E10value_typeEPNSQ_ISL_E10value_typeEPSM_NS1_7vsmem_tEENKUlT_SK_SL_SM_E_clIPiSE_SF_SF_EESJ_SZ_SK_SL_SM_EUlSZ_E0_NS1_11comp_targetILNS1_3genE9ELNS1_11target_archE1100ELNS1_3gpuE3ELNS1_3repE0EEENS1_38merge_mergepath_config_static_selectorELNS0_4arch9wavefront6targetE1EEEvSL_
		.amdhsa_group_segment_fixed_size 0
		.amdhsa_private_segment_fixed_size 0
		.amdhsa_kernarg_size 64
		.amdhsa_user_sgpr_count 2
		.amdhsa_user_sgpr_dispatch_ptr 0
		.amdhsa_user_sgpr_queue_ptr 0
		.amdhsa_user_sgpr_kernarg_segment_ptr 1
		.amdhsa_user_sgpr_dispatch_id 0
		.amdhsa_user_sgpr_kernarg_preload_length 0
		.amdhsa_user_sgpr_kernarg_preload_offset 0
		.amdhsa_user_sgpr_private_segment_size 0
		.amdhsa_uses_dynamic_stack 0
		.amdhsa_enable_private_segment 0
		.amdhsa_system_sgpr_workgroup_id_x 1
		.amdhsa_system_sgpr_workgroup_id_y 0
		.amdhsa_system_sgpr_workgroup_id_z 0
		.amdhsa_system_sgpr_workgroup_info 0
		.amdhsa_system_vgpr_workitem_id 0
		.amdhsa_next_free_vgpr 1
		.amdhsa_next_free_sgpr 0
		.amdhsa_accum_offset 4
		.amdhsa_reserve_vcc 0
		.amdhsa_float_round_mode_32 0
		.amdhsa_float_round_mode_16_64 0
		.amdhsa_float_denorm_mode_32 3
		.amdhsa_float_denorm_mode_16_64 3
		.amdhsa_dx10_clamp 1
		.amdhsa_ieee_mode 1
		.amdhsa_fp16_overflow 0
		.amdhsa_tg_split 0
		.amdhsa_exception_fp_ieee_invalid_op 0
		.amdhsa_exception_fp_denorm_src 0
		.amdhsa_exception_fp_ieee_div_zero 0
		.amdhsa_exception_fp_ieee_overflow 0
		.amdhsa_exception_fp_ieee_underflow 0
		.amdhsa_exception_fp_ieee_inexact 0
		.amdhsa_exception_int_div_zero 0
	.end_amdhsa_kernel
	.section	.text._ZN7rocprim17ROCPRIM_400000_NS6detail17trampoline_kernelINS0_14default_configENS1_38merge_sort_block_merge_config_selectorIiNS0_10empty_typeEEEZZNS1_27merge_sort_block_merge_implIS3_N6thrust23THRUST_200600_302600_NS6detail15normal_iteratorINS9_10device_ptrIiEEEEPS5_jNS1_19radix_merge_compareILb1ELb1EiNS0_19identity_decomposerEEEEE10hipError_tT0_T1_T2_jT3_P12ihipStream_tbPNSt15iterator_traitsISK_E10value_typeEPNSQ_ISL_E10value_typeEPSM_NS1_7vsmem_tEENKUlT_SK_SL_SM_E_clIPiSE_SF_SF_EESJ_SZ_SK_SL_SM_EUlSZ_E0_NS1_11comp_targetILNS1_3genE9ELNS1_11target_archE1100ELNS1_3gpuE3ELNS1_3repE0EEENS1_38merge_mergepath_config_static_selectorELNS0_4arch9wavefront6targetE1EEEvSL_,"axG",@progbits,_ZN7rocprim17ROCPRIM_400000_NS6detail17trampoline_kernelINS0_14default_configENS1_38merge_sort_block_merge_config_selectorIiNS0_10empty_typeEEEZZNS1_27merge_sort_block_merge_implIS3_N6thrust23THRUST_200600_302600_NS6detail15normal_iteratorINS9_10device_ptrIiEEEEPS5_jNS1_19radix_merge_compareILb1ELb1EiNS0_19identity_decomposerEEEEE10hipError_tT0_T1_T2_jT3_P12ihipStream_tbPNSt15iterator_traitsISK_E10value_typeEPNSQ_ISL_E10value_typeEPSM_NS1_7vsmem_tEENKUlT_SK_SL_SM_E_clIPiSE_SF_SF_EESJ_SZ_SK_SL_SM_EUlSZ_E0_NS1_11comp_targetILNS1_3genE9ELNS1_11target_archE1100ELNS1_3gpuE3ELNS1_3repE0EEENS1_38merge_mergepath_config_static_selectorELNS0_4arch9wavefront6targetE1EEEvSL_,comdat
.Lfunc_end284:
	.size	_ZN7rocprim17ROCPRIM_400000_NS6detail17trampoline_kernelINS0_14default_configENS1_38merge_sort_block_merge_config_selectorIiNS0_10empty_typeEEEZZNS1_27merge_sort_block_merge_implIS3_N6thrust23THRUST_200600_302600_NS6detail15normal_iteratorINS9_10device_ptrIiEEEEPS5_jNS1_19radix_merge_compareILb1ELb1EiNS0_19identity_decomposerEEEEE10hipError_tT0_T1_T2_jT3_P12ihipStream_tbPNSt15iterator_traitsISK_E10value_typeEPNSQ_ISL_E10value_typeEPSM_NS1_7vsmem_tEENKUlT_SK_SL_SM_E_clIPiSE_SF_SF_EESJ_SZ_SK_SL_SM_EUlSZ_E0_NS1_11comp_targetILNS1_3genE9ELNS1_11target_archE1100ELNS1_3gpuE3ELNS1_3repE0EEENS1_38merge_mergepath_config_static_selectorELNS0_4arch9wavefront6targetE1EEEvSL_, .Lfunc_end284-_ZN7rocprim17ROCPRIM_400000_NS6detail17trampoline_kernelINS0_14default_configENS1_38merge_sort_block_merge_config_selectorIiNS0_10empty_typeEEEZZNS1_27merge_sort_block_merge_implIS3_N6thrust23THRUST_200600_302600_NS6detail15normal_iteratorINS9_10device_ptrIiEEEEPS5_jNS1_19radix_merge_compareILb1ELb1EiNS0_19identity_decomposerEEEEE10hipError_tT0_T1_T2_jT3_P12ihipStream_tbPNSt15iterator_traitsISK_E10value_typeEPNSQ_ISL_E10value_typeEPSM_NS1_7vsmem_tEENKUlT_SK_SL_SM_E_clIPiSE_SF_SF_EESJ_SZ_SK_SL_SM_EUlSZ_E0_NS1_11comp_targetILNS1_3genE9ELNS1_11target_archE1100ELNS1_3gpuE3ELNS1_3repE0EEENS1_38merge_mergepath_config_static_selectorELNS0_4arch9wavefront6targetE1EEEvSL_
                                        ; -- End function
	.set _ZN7rocprim17ROCPRIM_400000_NS6detail17trampoline_kernelINS0_14default_configENS1_38merge_sort_block_merge_config_selectorIiNS0_10empty_typeEEEZZNS1_27merge_sort_block_merge_implIS3_N6thrust23THRUST_200600_302600_NS6detail15normal_iteratorINS9_10device_ptrIiEEEEPS5_jNS1_19radix_merge_compareILb1ELb1EiNS0_19identity_decomposerEEEEE10hipError_tT0_T1_T2_jT3_P12ihipStream_tbPNSt15iterator_traitsISK_E10value_typeEPNSQ_ISL_E10value_typeEPSM_NS1_7vsmem_tEENKUlT_SK_SL_SM_E_clIPiSE_SF_SF_EESJ_SZ_SK_SL_SM_EUlSZ_E0_NS1_11comp_targetILNS1_3genE9ELNS1_11target_archE1100ELNS1_3gpuE3ELNS1_3repE0EEENS1_38merge_mergepath_config_static_selectorELNS0_4arch9wavefront6targetE1EEEvSL_.num_vgpr, 0
	.set _ZN7rocprim17ROCPRIM_400000_NS6detail17trampoline_kernelINS0_14default_configENS1_38merge_sort_block_merge_config_selectorIiNS0_10empty_typeEEEZZNS1_27merge_sort_block_merge_implIS3_N6thrust23THRUST_200600_302600_NS6detail15normal_iteratorINS9_10device_ptrIiEEEEPS5_jNS1_19radix_merge_compareILb1ELb1EiNS0_19identity_decomposerEEEEE10hipError_tT0_T1_T2_jT3_P12ihipStream_tbPNSt15iterator_traitsISK_E10value_typeEPNSQ_ISL_E10value_typeEPSM_NS1_7vsmem_tEENKUlT_SK_SL_SM_E_clIPiSE_SF_SF_EESJ_SZ_SK_SL_SM_EUlSZ_E0_NS1_11comp_targetILNS1_3genE9ELNS1_11target_archE1100ELNS1_3gpuE3ELNS1_3repE0EEENS1_38merge_mergepath_config_static_selectorELNS0_4arch9wavefront6targetE1EEEvSL_.num_agpr, 0
	.set _ZN7rocprim17ROCPRIM_400000_NS6detail17trampoline_kernelINS0_14default_configENS1_38merge_sort_block_merge_config_selectorIiNS0_10empty_typeEEEZZNS1_27merge_sort_block_merge_implIS3_N6thrust23THRUST_200600_302600_NS6detail15normal_iteratorINS9_10device_ptrIiEEEEPS5_jNS1_19radix_merge_compareILb1ELb1EiNS0_19identity_decomposerEEEEE10hipError_tT0_T1_T2_jT3_P12ihipStream_tbPNSt15iterator_traitsISK_E10value_typeEPNSQ_ISL_E10value_typeEPSM_NS1_7vsmem_tEENKUlT_SK_SL_SM_E_clIPiSE_SF_SF_EESJ_SZ_SK_SL_SM_EUlSZ_E0_NS1_11comp_targetILNS1_3genE9ELNS1_11target_archE1100ELNS1_3gpuE3ELNS1_3repE0EEENS1_38merge_mergepath_config_static_selectorELNS0_4arch9wavefront6targetE1EEEvSL_.numbered_sgpr, 0
	.set _ZN7rocprim17ROCPRIM_400000_NS6detail17trampoline_kernelINS0_14default_configENS1_38merge_sort_block_merge_config_selectorIiNS0_10empty_typeEEEZZNS1_27merge_sort_block_merge_implIS3_N6thrust23THRUST_200600_302600_NS6detail15normal_iteratorINS9_10device_ptrIiEEEEPS5_jNS1_19radix_merge_compareILb1ELb1EiNS0_19identity_decomposerEEEEE10hipError_tT0_T1_T2_jT3_P12ihipStream_tbPNSt15iterator_traitsISK_E10value_typeEPNSQ_ISL_E10value_typeEPSM_NS1_7vsmem_tEENKUlT_SK_SL_SM_E_clIPiSE_SF_SF_EESJ_SZ_SK_SL_SM_EUlSZ_E0_NS1_11comp_targetILNS1_3genE9ELNS1_11target_archE1100ELNS1_3gpuE3ELNS1_3repE0EEENS1_38merge_mergepath_config_static_selectorELNS0_4arch9wavefront6targetE1EEEvSL_.num_named_barrier, 0
	.set _ZN7rocprim17ROCPRIM_400000_NS6detail17trampoline_kernelINS0_14default_configENS1_38merge_sort_block_merge_config_selectorIiNS0_10empty_typeEEEZZNS1_27merge_sort_block_merge_implIS3_N6thrust23THRUST_200600_302600_NS6detail15normal_iteratorINS9_10device_ptrIiEEEEPS5_jNS1_19radix_merge_compareILb1ELb1EiNS0_19identity_decomposerEEEEE10hipError_tT0_T1_T2_jT3_P12ihipStream_tbPNSt15iterator_traitsISK_E10value_typeEPNSQ_ISL_E10value_typeEPSM_NS1_7vsmem_tEENKUlT_SK_SL_SM_E_clIPiSE_SF_SF_EESJ_SZ_SK_SL_SM_EUlSZ_E0_NS1_11comp_targetILNS1_3genE9ELNS1_11target_archE1100ELNS1_3gpuE3ELNS1_3repE0EEENS1_38merge_mergepath_config_static_selectorELNS0_4arch9wavefront6targetE1EEEvSL_.private_seg_size, 0
	.set _ZN7rocprim17ROCPRIM_400000_NS6detail17trampoline_kernelINS0_14default_configENS1_38merge_sort_block_merge_config_selectorIiNS0_10empty_typeEEEZZNS1_27merge_sort_block_merge_implIS3_N6thrust23THRUST_200600_302600_NS6detail15normal_iteratorINS9_10device_ptrIiEEEEPS5_jNS1_19radix_merge_compareILb1ELb1EiNS0_19identity_decomposerEEEEE10hipError_tT0_T1_T2_jT3_P12ihipStream_tbPNSt15iterator_traitsISK_E10value_typeEPNSQ_ISL_E10value_typeEPSM_NS1_7vsmem_tEENKUlT_SK_SL_SM_E_clIPiSE_SF_SF_EESJ_SZ_SK_SL_SM_EUlSZ_E0_NS1_11comp_targetILNS1_3genE9ELNS1_11target_archE1100ELNS1_3gpuE3ELNS1_3repE0EEENS1_38merge_mergepath_config_static_selectorELNS0_4arch9wavefront6targetE1EEEvSL_.uses_vcc, 0
	.set _ZN7rocprim17ROCPRIM_400000_NS6detail17trampoline_kernelINS0_14default_configENS1_38merge_sort_block_merge_config_selectorIiNS0_10empty_typeEEEZZNS1_27merge_sort_block_merge_implIS3_N6thrust23THRUST_200600_302600_NS6detail15normal_iteratorINS9_10device_ptrIiEEEEPS5_jNS1_19radix_merge_compareILb1ELb1EiNS0_19identity_decomposerEEEEE10hipError_tT0_T1_T2_jT3_P12ihipStream_tbPNSt15iterator_traitsISK_E10value_typeEPNSQ_ISL_E10value_typeEPSM_NS1_7vsmem_tEENKUlT_SK_SL_SM_E_clIPiSE_SF_SF_EESJ_SZ_SK_SL_SM_EUlSZ_E0_NS1_11comp_targetILNS1_3genE9ELNS1_11target_archE1100ELNS1_3gpuE3ELNS1_3repE0EEENS1_38merge_mergepath_config_static_selectorELNS0_4arch9wavefront6targetE1EEEvSL_.uses_flat_scratch, 0
	.set _ZN7rocprim17ROCPRIM_400000_NS6detail17trampoline_kernelINS0_14default_configENS1_38merge_sort_block_merge_config_selectorIiNS0_10empty_typeEEEZZNS1_27merge_sort_block_merge_implIS3_N6thrust23THRUST_200600_302600_NS6detail15normal_iteratorINS9_10device_ptrIiEEEEPS5_jNS1_19radix_merge_compareILb1ELb1EiNS0_19identity_decomposerEEEEE10hipError_tT0_T1_T2_jT3_P12ihipStream_tbPNSt15iterator_traitsISK_E10value_typeEPNSQ_ISL_E10value_typeEPSM_NS1_7vsmem_tEENKUlT_SK_SL_SM_E_clIPiSE_SF_SF_EESJ_SZ_SK_SL_SM_EUlSZ_E0_NS1_11comp_targetILNS1_3genE9ELNS1_11target_archE1100ELNS1_3gpuE3ELNS1_3repE0EEENS1_38merge_mergepath_config_static_selectorELNS0_4arch9wavefront6targetE1EEEvSL_.has_dyn_sized_stack, 0
	.set _ZN7rocprim17ROCPRIM_400000_NS6detail17trampoline_kernelINS0_14default_configENS1_38merge_sort_block_merge_config_selectorIiNS0_10empty_typeEEEZZNS1_27merge_sort_block_merge_implIS3_N6thrust23THRUST_200600_302600_NS6detail15normal_iteratorINS9_10device_ptrIiEEEEPS5_jNS1_19radix_merge_compareILb1ELb1EiNS0_19identity_decomposerEEEEE10hipError_tT0_T1_T2_jT3_P12ihipStream_tbPNSt15iterator_traitsISK_E10value_typeEPNSQ_ISL_E10value_typeEPSM_NS1_7vsmem_tEENKUlT_SK_SL_SM_E_clIPiSE_SF_SF_EESJ_SZ_SK_SL_SM_EUlSZ_E0_NS1_11comp_targetILNS1_3genE9ELNS1_11target_archE1100ELNS1_3gpuE3ELNS1_3repE0EEENS1_38merge_mergepath_config_static_selectorELNS0_4arch9wavefront6targetE1EEEvSL_.has_recursion, 0
	.set _ZN7rocprim17ROCPRIM_400000_NS6detail17trampoline_kernelINS0_14default_configENS1_38merge_sort_block_merge_config_selectorIiNS0_10empty_typeEEEZZNS1_27merge_sort_block_merge_implIS3_N6thrust23THRUST_200600_302600_NS6detail15normal_iteratorINS9_10device_ptrIiEEEEPS5_jNS1_19radix_merge_compareILb1ELb1EiNS0_19identity_decomposerEEEEE10hipError_tT0_T1_T2_jT3_P12ihipStream_tbPNSt15iterator_traitsISK_E10value_typeEPNSQ_ISL_E10value_typeEPSM_NS1_7vsmem_tEENKUlT_SK_SL_SM_E_clIPiSE_SF_SF_EESJ_SZ_SK_SL_SM_EUlSZ_E0_NS1_11comp_targetILNS1_3genE9ELNS1_11target_archE1100ELNS1_3gpuE3ELNS1_3repE0EEENS1_38merge_mergepath_config_static_selectorELNS0_4arch9wavefront6targetE1EEEvSL_.has_indirect_call, 0
	.section	.AMDGPU.csdata,"",@progbits
; Kernel info:
; codeLenInByte = 0
; TotalNumSgprs: 6
; NumVgprs: 0
; NumAgprs: 0
; TotalNumVgprs: 0
; ScratchSize: 0
; MemoryBound: 0
; FloatMode: 240
; IeeeMode: 1
; LDSByteSize: 0 bytes/workgroup (compile time only)
; SGPRBlocks: 0
; VGPRBlocks: 0
; NumSGPRsForWavesPerEU: 6
; NumVGPRsForWavesPerEU: 1
; AccumOffset: 4
; Occupancy: 8
; WaveLimiterHint : 0
; COMPUTE_PGM_RSRC2:SCRATCH_EN: 0
; COMPUTE_PGM_RSRC2:USER_SGPR: 2
; COMPUTE_PGM_RSRC2:TRAP_HANDLER: 0
; COMPUTE_PGM_RSRC2:TGID_X_EN: 1
; COMPUTE_PGM_RSRC2:TGID_Y_EN: 0
; COMPUTE_PGM_RSRC2:TGID_Z_EN: 0
; COMPUTE_PGM_RSRC2:TIDIG_COMP_CNT: 0
; COMPUTE_PGM_RSRC3_GFX90A:ACCUM_OFFSET: 0
; COMPUTE_PGM_RSRC3_GFX90A:TG_SPLIT: 0
	.section	.text._ZN7rocprim17ROCPRIM_400000_NS6detail17trampoline_kernelINS0_14default_configENS1_38merge_sort_block_merge_config_selectorIiNS0_10empty_typeEEEZZNS1_27merge_sort_block_merge_implIS3_N6thrust23THRUST_200600_302600_NS6detail15normal_iteratorINS9_10device_ptrIiEEEEPS5_jNS1_19radix_merge_compareILb1ELb1EiNS0_19identity_decomposerEEEEE10hipError_tT0_T1_T2_jT3_P12ihipStream_tbPNSt15iterator_traitsISK_E10value_typeEPNSQ_ISL_E10value_typeEPSM_NS1_7vsmem_tEENKUlT_SK_SL_SM_E_clIPiSE_SF_SF_EESJ_SZ_SK_SL_SM_EUlSZ_E0_NS1_11comp_targetILNS1_3genE8ELNS1_11target_archE1030ELNS1_3gpuE2ELNS1_3repE0EEENS1_38merge_mergepath_config_static_selectorELNS0_4arch9wavefront6targetE1EEEvSL_,"axG",@progbits,_ZN7rocprim17ROCPRIM_400000_NS6detail17trampoline_kernelINS0_14default_configENS1_38merge_sort_block_merge_config_selectorIiNS0_10empty_typeEEEZZNS1_27merge_sort_block_merge_implIS3_N6thrust23THRUST_200600_302600_NS6detail15normal_iteratorINS9_10device_ptrIiEEEEPS5_jNS1_19radix_merge_compareILb1ELb1EiNS0_19identity_decomposerEEEEE10hipError_tT0_T1_T2_jT3_P12ihipStream_tbPNSt15iterator_traitsISK_E10value_typeEPNSQ_ISL_E10value_typeEPSM_NS1_7vsmem_tEENKUlT_SK_SL_SM_E_clIPiSE_SF_SF_EESJ_SZ_SK_SL_SM_EUlSZ_E0_NS1_11comp_targetILNS1_3genE8ELNS1_11target_archE1030ELNS1_3gpuE2ELNS1_3repE0EEENS1_38merge_mergepath_config_static_selectorELNS0_4arch9wavefront6targetE1EEEvSL_,comdat
	.protected	_ZN7rocprim17ROCPRIM_400000_NS6detail17trampoline_kernelINS0_14default_configENS1_38merge_sort_block_merge_config_selectorIiNS0_10empty_typeEEEZZNS1_27merge_sort_block_merge_implIS3_N6thrust23THRUST_200600_302600_NS6detail15normal_iteratorINS9_10device_ptrIiEEEEPS5_jNS1_19radix_merge_compareILb1ELb1EiNS0_19identity_decomposerEEEEE10hipError_tT0_T1_T2_jT3_P12ihipStream_tbPNSt15iterator_traitsISK_E10value_typeEPNSQ_ISL_E10value_typeEPSM_NS1_7vsmem_tEENKUlT_SK_SL_SM_E_clIPiSE_SF_SF_EESJ_SZ_SK_SL_SM_EUlSZ_E0_NS1_11comp_targetILNS1_3genE8ELNS1_11target_archE1030ELNS1_3gpuE2ELNS1_3repE0EEENS1_38merge_mergepath_config_static_selectorELNS0_4arch9wavefront6targetE1EEEvSL_ ; -- Begin function _ZN7rocprim17ROCPRIM_400000_NS6detail17trampoline_kernelINS0_14default_configENS1_38merge_sort_block_merge_config_selectorIiNS0_10empty_typeEEEZZNS1_27merge_sort_block_merge_implIS3_N6thrust23THRUST_200600_302600_NS6detail15normal_iteratorINS9_10device_ptrIiEEEEPS5_jNS1_19radix_merge_compareILb1ELb1EiNS0_19identity_decomposerEEEEE10hipError_tT0_T1_T2_jT3_P12ihipStream_tbPNSt15iterator_traitsISK_E10value_typeEPNSQ_ISL_E10value_typeEPSM_NS1_7vsmem_tEENKUlT_SK_SL_SM_E_clIPiSE_SF_SF_EESJ_SZ_SK_SL_SM_EUlSZ_E0_NS1_11comp_targetILNS1_3genE8ELNS1_11target_archE1030ELNS1_3gpuE2ELNS1_3repE0EEENS1_38merge_mergepath_config_static_selectorELNS0_4arch9wavefront6targetE1EEEvSL_
	.globl	_ZN7rocprim17ROCPRIM_400000_NS6detail17trampoline_kernelINS0_14default_configENS1_38merge_sort_block_merge_config_selectorIiNS0_10empty_typeEEEZZNS1_27merge_sort_block_merge_implIS3_N6thrust23THRUST_200600_302600_NS6detail15normal_iteratorINS9_10device_ptrIiEEEEPS5_jNS1_19radix_merge_compareILb1ELb1EiNS0_19identity_decomposerEEEEE10hipError_tT0_T1_T2_jT3_P12ihipStream_tbPNSt15iterator_traitsISK_E10value_typeEPNSQ_ISL_E10value_typeEPSM_NS1_7vsmem_tEENKUlT_SK_SL_SM_E_clIPiSE_SF_SF_EESJ_SZ_SK_SL_SM_EUlSZ_E0_NS1_11comp_targetILNS1_3genE8ELNS1_11target_archE1030ELNS1_3gpuE2ELNS1_3repE0EEENS1_38merge_mergepath_config_static_selectorELNS0_4arch9wavefront6targetE1EEEvSL_
	.p2align	8
	.type	_ZN7rocprim17ROCPRIM_400000_NS6detail17trampoline_kernelINS0_14default_configENS1_38merge_sort_block_merge_config_selectorIiNS0_10empty_typeEEEZZNS1_27merge_sort_block_merge_implIS3_N6thrust23THRUST_200600_302600_NS6detail15normal_iteratorINS9_10device_ptrIiEEEEPS5_jNS1_19radix_merge_compareILb1ELb1EiNS0_19identity_decomposerEEEEE10hipError_tT0_T1_T2_jT3_P12ihipStream_tbPNSt15iterator_traitsISK_E10value_typeEPNSQ_ISL_E10value_typeEPSM_NS1_7vsmem_tEENKUlT_SK_SL_SM_E_clIPiSE_SF_SF_EESJ_SZ_SK_SL_SM_EUlSZ_E0_NS1_11comp_targetILNS1_3genE8ELNS1_11target_archE1030ELNS1_3gpuE2ELNS1_3repE0EEENS1_38merge_mergepath_config_static_selectorELNS0_4arch9wavefront6targetE1EEEvSL_,@function
_ZN7rocprim17ROCPRIM_400000_NS6detail17trampoline_kernelINS0_14default_configENS1_38merge_sort_block_merge_config_selectorIiNS0_10empty_typeEEEZZNS1_27merge_sort_block_merge_implIS3_N6thrust23THRUST_200600_302600_NS6detail15normal_iteratorINS9_10device_ptrIiEEEEPS5_jNS1_19radix_merge_compareILb1ELb1EiNS0_19identity_decomposerEEEEE10hipError_tT0_T1_T2_jT3_P12ihipStream_tbPNSt15iterator_traitsISK_E10value_typeEPNSQ_ISL_E10value_typeEPSM_NS1_7vsmem_tEENKUlT_SK_SL_SM_E_clIPiSE_SF_SF_EESJ_SZ_SK_SL_SM_EUlSZ_E0_NS1_11comp_targetILNS1_3genE8ELNS1_11target_archE1030ELNS1_3gpuE2ELNS1_3repE0EEENS1_38merge_mergepath_config_static_selectorELNS0_4arch9wavefront6targetE1EEEvSL_: ; @_ZN7rocprim17ROCPRIM_400000_NS6detail17trampoline_kernelINS0_14default_configENS1_38merge_sort_block_merge_config_selectorIiNS0_10empty_typeEEEZZNS1_27merge_sort_block_merge_implIS3_N6thrust23THRUST_200600_302600_NS6detail15normal_iteratorINS9_10device_ptrIiEEEEPS5_jNS1_19radix_merge_compareILb1ELb1EiNS0_19identity_decomposerEEEEE10hipError_tT0_T1_T2_jT3_P12ihipStream_tbPNSt15iterator_traitsISK_E10value_typeEPNSQ_ISL_E10value_typeEPSM_NS1_7vsmem_tEENKUlT_SK_SL_SM_E_clIPiSE_SF_SF_EESJ_SZ_SK_SL_SM_EUlSZ_E0_NS1_11comp_targetILNS1_3genE8ELNS1_11target_archE1030ELNS1_3gpuE2ELNS1_3repE0EEENS1_38merge_mergepath_config_static_selectorELNS0_4arch9wavefront6targetE1EEEvSL_
; %bb.0:
	.section	.rodata,"a",@progbits
	.p2align	6, 0x0
	.amdhsa_kernel _ZN7rocprim17ROCPRIM_400000_NS6detail17trampoline_kernelINS0_14default_configENS1_38merge_sort_block_merge_config_selectorIiNS0_10empty_typeEEEZZNS1_27merge_sort_block_merge_implIS3_N6thrust23THRUST_200600_302600_NS6detail15normal_iteratorINS9_10device_ptrIiEEEEPS5_jNS1_19radix_merge_compareILb1ELb1EiNS0_19identity_decomposerEEEEE10hipError_tT0_T1_T2_jT3_P12ihipStream_tbPNSt15iterator_traitsISK_E10value_typeEPNSQ_ISL_E10value_typeEPSM_NS1_7vsmem_tEENKUlT_SK_SL_SM_E_clIPiSE_SF_SF_EESJ_SZ_SK_SL_SM_EUlSZ_E0_NS1_11comp_targetILNS1_3genE8ELNS1_11target_archE1030ELNS1_3gpuE2ELNS1_3repE0EEENS1_38merge_mergepath_config_static_selectorELNS0_4arch9wavefront6targetE1EEEvSL_
		.amdhsa_group_segment_fixed_size 0
		.amdhsa_private_segment_fixed_size 0
		.amdhsa_kernarg_size 64
		.amdhsa_user_sgpr_count 2
		.amdhsa_user_sgpr_dispatch_ptr 0
		.amdhsa_user_sgpr_queue_ptr 0
		.amdhsa_user_sgpr_kernarg_segment_ptr 1
		.amdhsa_user_sgpr_dispatch_id 0
		.amdhsa_user_sgpr_kernarg_preload_length 0
		.amdhsa_user_sgpr_kernarg_preload_offset 0
		.amdhsa_user_sgpr_private_segment_size 0
		.amdhsa_uses_dynamic_stack 0
		.amdhsa_enable_private_segment 0
		.amdhsa_system_sgpr_workgroup_id_x 1
		.amdhsa_system_sgpr_workgroup_id_y 0
		.amdhsa_system_sgpr_workgroup_id_z 0
		.amdhsa_system_sgpr_workgroup_info 0
		.amdhsa_system_vgpr_workitem_id 0
		.amdhsa_next_free_vgpr 1
		.amdhsa_next_free_sgpr 0
		.amdhsa_accum_offset 4
		.amdhsa_reserve_vcc 0
		.amdhsa_float_round_mode_32 0
		.amdhsa_float_round_mode_16_64 0
		.amdhsa_float_denorm_mode_32 3
		.amdhsa_float_denorm_mode_16_64 3
		.amdhsa_dx10_clamp 1
		.amdhsa_ieee_mode 1
		.amdhsa_fp16_overflow 0
		.amdhsa_tg_split 0
		.amdhsa_exception_fp_ieee_invalid_op 0
		.amdhsa_exception_fp_denorm_src 0
		.amdhsa_exception_fp_ieee_div_zero 0
		.amdhsa_exception_fp_ieee_overflow 0
		.amdhsa_exception_fp_ieee_underflow 0
		.amdhsa_exception_fp_ieee_inexact 0
		.amdhsa_exception_int_div_zero 0
	.end_amdhsa_kernel
	.section	.text._ZN7rocprim17ROCPRIM_400000_NS6detail17trampoline_kernelINS0_14default_configENS1_38merge_sort_block_merge_config_selectorIiNS0_10empty_typeEEEZZNS1_27merge_sort_block_merge_implIS3_N6thrust23THRUST_200600_302600_NS6detail15normal_iteratorINS9_10device_ptrIiEEEEPS5_jNS1_19radix_merge_compareILb1ELb1EiNS0_19identity_decomposerEEEEE10hipError_tT0_T1_T2_jT3_P12ihipStream_tbPNSt15iterator_traitsISK_E10value_typeEPNSQ_ISL_E10value_typeEPSM_NS1_7vsmem_tEENKUlT_SK_SL_SM_E_clIPiSE_SF_SF_EESJ_SZ_SK_SL_SM_EUlSZ_E0_NS1_11comp_targetILNS1_3genE8ELNS1_11target_archE1030ELNS1_3gpuE2ELNS1_3repE0EEENS1_38merge_mergepath_config_static_selectorELNS0_4arch9wavefront6targetE1EEEvSL_,"axG",@progbits,_ZN7rocprim17ROCPRIM_400000_NS6detail17trampoline_kernelINS0_14default_configENS1_38merge_sort_block_merge_config_selectorIiNS0_10empty_typeEEEZZNS1_27merge_sort_block_merge_implIS3_N6thrust23THRUST_200600_302600_NS6detail15normal_iteratorINS9_10device_ptrIiEEEEPS5_jNS1_19radix_merge_compareILb1ELb1EiNS0_19identity_decomposerEEEEE10hipError_tT0_T1_T2_jT3_P12ihipStream_tbPNSt15iterator_traitsISK_E10value_typeEPNSQ_ISL_E10value_typeEPSM_NS1_7vsmem_tEENKUlT_SK_SL_SM_E_clIPiSE_SF_SF_EESJ_SZ_SK_SL_SM_EUlSZ_E0_NS1_11comp_targetILNS1_3genE8ELNS1_11target_archE1030ELNS1_3gpuE2ELNS1_3repE0EEENS1_38merge_mergepath_config_static_selectorELNS0_4arch9wavefront6targetE1EEEvSL_,comdat
.Lfunc_end285:
	.size	_ZN7rocprim17ROCPRIM_400000_NS6detail17trampoline_kernelINS0_14default_configENS1_38merge_sort_block_merge_config_selectorIiNS0_10empty_typeEEEZZNS1_27merge_sort_block_merge_implIS3_N6thrust23THRUST_200600_302600_NS6detail15normal_iteratorINS9_10device_ptrIiEEEEPS5_jNS1_19radix_merge_compareILb1ELb1EiNS0_19identity_decomposerEEEEE10hipError_tT0_T1_T2_jT3_P12ihipStream_tbPNSt15iterator_traitsISK_E10value_typeEPNSQ_ISL_E10value_typeEPSM_NS1_7vsmem_tEENKUlT_SK_SL_SM_E_clIPiSE_SF_SF_EESJ_SZ_SK_SL_SM_EUlSZ_E0_NS1_11comp_targetILNS1_3genE8ELNS1_11target_archE1030ELNS1_3gpuE2ELNS1_3repE0EEENS1_38merge_mergepath_config_static_selectorELNS0_4arch9wavefront6targetE1EEEvSL_, .Lfunc_end285-_ZN7rocprim17ROCPRIM_400000_NS6detail17trampoline_kernelINS0_14default_configENS1_38merge_sort_block_merge_config_selectorIiNS0_10empty_typeEEEZZNS1_27merge_sort_block_merge_implIS3_N6thrust23THRUST_200600_302600_NS6detail15normal_iteratorINS9_10device_ptrIiEEEEPS5_jNS1_19radix_merge_compareILb1ELb1EiNS0_19identity_decomposerEEEEE10hipError_tT0_T1_T2_jT3_P12ihipStream_tbPNSt15iterator_traitsISK_E10value_typeEPNSQ_ISL_E10value_typeEPSM_NS1_7vsmem_tEENKUlT_SK_SL_SM_E_clIPiSE_SF_SF_EESJ_SZ_SK_SL_SM_EUlSZ_E0_NS1_11comp_targetILNS1_3genE8ELNS1_11target_archE1030ELNS1_3gpuE2ELNS1_3repE0EEENS1_38merge_mergepath_config_static_selectorELNS0_4arch9wavefront6targetE1EEEvSL_
                                        ; -- End function
	.set _ZN7rocprim17ROCPRIM_400000_NS6detail17trampoline_kernelINS0_14default_configENS1_38merge_sort_block_merge_config_selectorIiNS0_10empty_typeEEEZZNS1_27merge_sort_block_merge_implIS3_N6thrust23THRUST_200600_302600_NS6detail15normal_iteratorINS9_10device_ptrIiEEEEPS5_jNS1_19radix_merge_compareILb1ELb1EiNS0_19identity_decomposerEEEEE10hipError_tT0_T1_T2_jT3_P12ihipStream_tbPNSt15iterator_traitsISK_E10value_typeEPNSQ_ISL_E10value_typeEPSM_NS1_7vsmem_tEENKUlT_SK_SL_SM_E_clIPiSE_SF_SF_EESJ_SZ_SK_SL_SM_EUlSZ_E0_NS1_11comp_targetILNS1_3genE8ELNS1_11target_archE1030ELNS1_3gpuE2ELNS1_3repE0EEENS1_38merge_mergepath_config_static_selectorELNS0_4arch9wavefront6targetE1EEEvSL_.num_vgpr, 0
	.set _ZN7rocprim17ROCPRIM_400000_NS6detail17trampoline_kernelINS0_14default_configENS1_38merge_sort_block_merge_config_selectorIiNS0_10empty_typeEEEZZNS1_27merge_sort_block_merge_implIS3_N6thrust23THRUST_200600_302600_NS6detail15normal_iteratorINS9_10device_ptrIiEEEEPS5_jNS1_19radix_merge_compareILb1ELb1EiNS0_19identity_decomposerEEEEE10hipError_tT0_T1_T2_jT3_P12ihipStream_tbPNSt15iterator_traitsISK_E10value_typeEPNSQ_ISL_E10value_typeEPSM_NS1_7vsmem_tEENKUlT_SK_SL_SM_E_clIPiSE_SF_SF_EESJ_SZ_SK_SL_SM_EUlSZ_E0_NS1_11comp_targetILNS1_3genE8ELNS1_11target_archE1030ELNS1_3gpuE2ELNS1_3repE0EEENS1_38merge_mergepath_config_static_selectorELNS0_4arch9wavefront6targetE1EEEvSL_.num_agpr, 0
	.set _ZN7rocprim17ROCPRIM_400000_NS6detail17trampoline_kernelINS0_14default_configENS1_38merge_sort_block_merge_config_selectorIiNS0_10empty_typeEEEZZNS1_27merge_sort_block_merge_implIS3_N6thrust23THRUST_200600_302600_NS6detail15normal_iteratorINS9_10device_ptrIiEEEEPS5_jNS1_19radix_merge_compareILb1ELb1EiNS0_19identity_decomposerEEEEE10hipError_tT0_T1_T2_jT3_P12ihipStream_tbPNSt15iterator_traitsISK_E10value_typeEPNSQ_ISL_E10value_typeEPSM_NS1_7vsmem_tEENKUlT_SK_SL_SM_E_clIPiSE_SF_SF_EESJ_SZ_SK_SL_SM_EUlSZ_E0_NS1_11comp_targetILNS1_3genE8ELNS1_11target_archE1030ELNS1_3gpuE2ELNS1_3repE0EEENS1_38merge_mergepath_config_static_selectorELNS0_4arch9wavefront6targetE1EEEvSL_.numbered_sgpr, 0
	.set _ZN7rocprim17ROCPRIM_400000_NS6detail17trampoline_kernelINS0_14default_configENS1_38merge_sort_block_merge_config_selectorIiNS0_10empty_typeEEEZZNS1_27merge_sort_block_merge_implIS3_N6thrust23THRUST_200600_302600_NS6detail15normal_iteratorINS9_10device_ptrIiEEEEPS5_jNS1_19radix_merge_compareILb1ELb1EiNS0_19identity_decomposerEEEEE10hipError_tT0_T1_T2_jT3_P12ihipStream_tbPNSt15iterator_traitsISK_E10value_typeEPNSQ_ISL_E10value_typeEPSM_NS1_7vsmem_tEENKUlT_SK_SL_SM_E_clIPiSE_SF_SF_EESJ_SZ_SK_SL_SM_EUlSZ_E0_NS1_11comp_targetILNS1_3genE8ELNS1_11target_archE1030ELNS1_3gpuE2ELNS1_3repE0EEENS1_38merge_mergepath_config_static_selectorELNS0_4arch9wavefront6targetE1EEEvSL_.num_named_barrier, 0
	.set _ZN7rocprim17ROCPRIM_400000_NS6detail17trampoline_kernelINS0_14default_configENS1_38merge_sort_block_merge_config_selectorIiNS0_10empty_typeEEEZZNS1_27merge_sort_block_merge_implIS3_N6thrust23THRUST_200600_302600_NS6detail15normal_iteratorINS9_10device_ptrIiEEEEPS5_jNS1_19radix_merge_compareILb1ELb1EiNS0_19identity_decomposerEEEEE10hipError_tT0_T1_T2_jT3_P12ihipStream_tbPNSt15iterator_traitsISK_E10value_typeEPNSQ_ISL_E10value_typeEPSM_NS1_7vsmem_tEENKUlT_SK_SL_SM_E_clIPiSE_SF_SF_EESJ_SZ_SK_SL_SM_EUlSZ_E0_NS1_11comp_targetILNS1_3genE8ELNS1_11target_archE1030ELNS1_3gpuE2ELNS1_3repE0EEENS1_38merge_mergepath_config_static_selectorELNS0_4arch9wavefront6targetE1EEEvSL_.private_seg_size, 0
	.set _ZN7rocprim17ROCPRIM_400000_NS6detail17trampoline_kernelINS0_14default_configENS1_38merge_sort_block_merge_config_selectorIiNS0_10empty_typeEEEZZNS1_27merge_sort_block_merge_implIS3_N6thrust23THRUST_200600_302600_NS6detail15normal_iteratorINS9_10device_ptrIiEEEEPS5_jNS1_19radix_merge_compareILb1ELb1EiNS0_19identity_decomposerEEEEE10hipError_tT0_T1_T2_jT3_P12ihipStream_tbPNSt15iterator_traitsISK_E10value_typeEPNSQ_ISL_E10value_typeEPSM_NS1_7vsmem_tEENKUlT_SK_SL_SM_E_clIPiSE_SF_SF_EESJ_SZ_SK_SL_SM_EUlSZ_E0_NS1_11comp_targetILNS1_3genE8ELNS1_11target_archE1030ELNS1_3gpuE2ELNS1_3repE0EEENS1_38merge_mergepath_config_static_selectorELNS0_4arch9wavefront6targetE1EEEvSL_.uses_vcc, 0
	.set _ZN7rocprim17ROCPRIM_400000_NS6detail17trampoline_kernelINS0_14default_configENS1_38merge_sort_block_merge_config_selectorIiNS0_10empty_typeEEEZZNS1_27merge_sort_block_merge_implIS3_N6thrust23THRUST_200600_302600_NS6detail15normal_iteratorINS9_10device_ptrIiEEEEPS5_jNS1_19radix_merge_compareILb1ELb1EiNS0_19identity_decomposerEEEEE10hipError_tT0_T1_T2_jT3_P12ihipStream_tbPNSt15iterator_traitsISK_E10value_typeEPNSQ_ISL_E10value_typeEPSM_NS1_7vsmem_tEENKUlT_SK_SL_SM_E_clIPiSE_SF_SF_EESJ_SZ_SK_SL_SM_EUlSZ_E0_NS1_11comp_targetILNS1_3genE8ELNS1_11target_archE1030ELNS1_3gpuE2ELNS1_3repE0EEENS1_38merge_mergepath_config_static_selectorELNS0_4arch9wavefront6targetE1EEEvSL_.uses_flat_scratch, 0
	.set _ZN7rocprim17ROCPRIM_400000_NS6detail17trampoline_kernelINS0_14default_configENS1_38merge_sort_block_merge_config_selectorIiNS0_10empty_typeEEEZZNS1_27merge_sort_block_merge_implIS3_N6thrust23THRUST_200600_302600_NS6detail15normal_iteratorINS9_10device_ptrIiEEEEPS5_jNS1_19radix_merge_compareILb1ELb1EiNS0_19identity_decomposerEEEEE10hipError_tT0_T1_T2_jT3_P12ihipStream_tbPNSt15iterator_traitsISK_E10value_typeEPNSQ_ISL_E10value_typeEPSM_NS1_7vsmem_tEENKUlT_SK_SL_SM_E_clIPiSE_SF_SF_EESJ_SZ_SK_SL_SM_EUlSZ_E0_NS1_11comp_targetILNS1_3genE8ELNS1_11target_archE1030ELNS1_3gpuE2ELNS1_3repE0EEENS1_38merge_mergepath_config_static_selectorELNS0_4arch9wavefront6targetE1EEEvSL_.has_dyn_sized_stack, 0
	.set _ZN7rocprim17ROCPRIM_400000_NS6detail17trampoline_kernelINS0_14default_configENS1_38merge_sort_block_merge_config_selectorIiNS0_10empty_typeEEEZZNS1_27merge_sort_block_merge_implIS3_N6thrust23THRUST_200600_302600_NS6detail15normal_iteratorINS9_10device_ptrIiEEEEPS5_jNS1_19radix_merge_compareILb1ELb1EiNS0_19identity_decomposerEEEEE10hipError_tT0_T1_T2_jT3_P12ihipStream_tbPNSt15iterator_traitsISK_E10value_typeEPNSQ_ISL_E10value_typeEPSM_NS1_7vsmem_tEENKUlT_SK_SL_SM_E_clIPiSE_SF_SF_EESJ_SZ_SK_SL_SM_EUlSZ_E0_NS1_11comp_targetILNS1_3genE8ELNS1_11target_archE1030ELNS1_3gpuE2ELNS1_3repE0EEENS1_38merge_mergepath_config_static_selectorELNS0_4arch9wavefront6targetE1EEEvSL_.has_recursion, 0
	.set _ZN7rocprim17ROCPRIM_400000_NS6detail17trampoline_kernelINS0_14default_configENS1_38merge_sort_block_merge_config_selectorIiNS0_10empty_typeEEEZZNS1_27merge_sort_block_merge_implIS3_N6thrust23THRUST_200600_302600_NS6detail15normal_iteratorINS9_10device_ptrIiEEEEPS5_jNS1_19radix_merge_compareILb1ELb1EiNS0_19identity_decomposerEEEEE10hipError_tT0_T1_T2_jT3_P12ihipStream_tbPNSt15iterator_traitsISK_E10value_typeEPNSQ_ISL_E10value_typeEPSM_NS1_7vsmem_tEENKUlT_SK_SL_SM_E_clIPiSE_SF_SF_EESJ_SZ_SK_SL_SM_EUlSZ_E0_NS1_11comp_targetILNS1_3genE8ELNS1_11target_archE1030ELNS1_3gpuE2ELNS1_3repE0EEENS1_38merge_mergepath_config_static_selectorELNS0_4arch9wavefront6targetE1EEEvSL_.has_indirect_call, 0
	.section	.AMDGPU.csdata,"",@progbits
; Kernel info:
; codeLenInByte = 0
; TotalNumSgprs: 6
; NumVgprs: 0
; NumAgprs: 0
; TotalNumVgprs: 0
; ScratchSize: 0
; MemoryBound: 0
; FloatMode: 240
; IeeeMode: 1
; LDSByteSize: 0 bytes/workgroup (compile time only)
; SGPRBlocks: 0
; VGPRBlocks: 0
; NumSGPRsForWavesPerEU: 6
; NumVGPRsForWavesPerEU: 1
; AccumOffset: 4
; Occupancy: 8
; WaveLimiterHint : 0
; COMPUTE_PGM_RSRC2:SCRATCH_EN: 0
; COMPUTE_PGM_RSRC2:USER_SGPR: 2
; COMPUTE_PGM_RSRC2:TRAP_HANDLER: 0
; COMPUTE_PGM_RSRC2:TGID_X_EN: 1
; COMPUTE_PGM_RSRC2:TGID_Y_EN: 0
; COMPUTE_PGM_RSRC2:TGID_Z_EN: 0
; COMPUTE_PGM_RSRC2:TIDIG_COMP_CNT: 0
; COMPUTE_PGM_RSRC3_GFX90A:ACCUM_OFFSET: 0
; COMPUTE_PGM_RSRC3_GFX90A:TG_SPLIT: 0
	.section	.text._ZN7rocprim17ROCPRIM_400000_NS6detail17trampoline_kernelINS0_14default_configENS1_38merge_sort_block_merge_config_selectorIiNS0_10empty_typeEEEZZNS1_27merge_sort_block_merge_implIS3_N6thrust23THRUST_200600_302600_NS6detail15normal_iteratorINS9_10device_ptrIiEEEEPS5_jNS1_19radix_merge_compareILb1ELb1EiNS0_19identity_decomposerEEEEE10hipError_tT0_T1_T2_jT3_P12ihipStream_tbPNSt15iterator_traitsISK_E10value_typeEPNSQ_ISL_E10value_typeEPSM_NS1_7vsmem_tEENKUlT_SK_SL_SM_E_clIPiSE_SF_SF_EESJ_SZ_SK_SL_SM_EUlSZ_E1_NS1_11comp_targetILNS1_3genE0ELNS1_11target_archE4294967295ELNS1_3gpuE0ELNS1_3repE0EEENS1_36merge_oddeven_config_static_selectorELNS0_4arch9wavefront6targetE1EEEvSL_,"axG",@progbits,_ZN7rocprim17ROCPRIM_400000_NS6detail17trampoline_kernelINS0_14default_configENS1_38merge_sort_block_merge_config_selectorIiNS0_10empty_typeEEEZZNS1_27merge_sort_block_merge_implIS3_N6thrust23THRUST_200600_302600_NS6detail15normal_iteratorINS9_10device_ptrIiEEEEPS5_jNS1_19radix_merge_compareILb1ELb1EiNS0_19identity_decomposerEEEEE10hipError_tT0_T1_T2_jT3_P12ihipStream_tbPNSt15iterator_traitsISK_E10value_typeEPNSQ_ISL_E10value_typeEPSM_NS1_7vsmem_tEENKUlT_SK_SL_SM_E_clIPiSE_SF_SF_EESJ_SZ_SK_SL_SM_EUlSZ_E1_NS1_11comp_targetILNS1_3genE0ELNS1_11target_archE4294967295ELNS1_3gpuE0ELNS1_3repE0EEENS1_36merge_oddeven_config_static_selectorELNS0_4arch9wavefront6targetE1EEEvSL_,comdat
	.protected	_ZN7rocprim17ROCPRIM_400000_NS6detail17trampoline_kernelINS0_14default_configENS1_38merge_sort_block_merge_config_selectorIiNS0_10empty_typeEEEZZNS1_27merge_sort_block_merge_implIS3_N6thrust23THRUST_200600_302600_NS6detail15normal_iteratorINS9_10device_ptrIiEEEEPS5_jNS1_19radix_merge_compareILb1ELb1EiNS0_19identity_decomposerEEEEE10hipError_tT0_T1_T2_jT3_P12ihipStream_tbPNSt15iterator_traitsISK_E10value_typeEPNSQ_ISL_E10value_typeEPSM_NS1_7vsmem_tEENKUlT_SK_SL_SM_E_clIPiSE_SF_SF_EESJ_SZ_SK_SL_SM_EUlSZ_E1_NS1_11comp_targetILNS1_3genE0ELNS1_11target_archE4294967295ELNS1_3gpuE0ELNS1_3repE0EEENS1_36merge_oddeven_config_static_selectorELNS0_4arch9wavefront6targetE1EEEvSL_ ; -- Begin function _ZN7rocprim17ROCPRIM_400000_NS6detail17trampoline_kernelINS0_14default_configENS1_38merge_sort_block_merge_config_selectorIiNS0_10empty_typeEEEZZNS1_27merge_sort_block_merge_implIS3_N6thrust23THRUST_200600_302600_NS6detail15normal_iteratorINS9_10device_ptrIiEEEEPS5_jNS1_19radix_merge_compareILb1ELb1EiNS0_19identity_decomposerEEEEE10hipError_tT0_T1_T2_jT3_P12ihipStream_tbPNSt15iterator_traitsISK_E10value_typeEPNSQ_ISL_E10value_typeEPSM_NS1_7vsmem_tEENKUlT_SK_SL_SM_E_clIPiSE_SF_SF_EESJ_SZ_SK_SL_SM_EUlSZ_E1_NS1_11comp_targetILNS1_3genE0ELNS1_11target_archE4294967295ELNS1_3gpuE0ELNS1_3repE0EEENS1_36merge_oddeven_config_static_selectorELNS0_4arch9wavefront6targetE1EEEvSL_
	.globl	_ZN7rocprim17ROCPRIM_400000_NS6detail17trampoline_kernelINS0_14default_configENS1_38merge_sort_block_merge_config_selectorIiNS0_10empty_typeEEEZZNS1_27merge_sort_block_merge_implIS3_N6thrust23THRUST_200600_302600_NS6detail15normal_iteratorINS9_10device_ptrIiEEEEPS5_jNS1_19radix_merge_compareILb1ELb1EiNS0_19identity_decomposerEEEEE10hipError_tT0_T1_T2_jT3_P12ihipStream_tbPNSt15iterator_traitsISK_E10value_typeEPNSQ_ISL_E10value_typeEPSM_NS1_7vsmem_tEENKUlT_SK_SL_SM_E_clIPiSE_SF_SF_EESJ_SZ_SK_SL_SM_EUlSZ_E1_NS1_11comp_targetILNS1_3genE0ELNS1_11target_archE4294967295ELNS1_3gpuE0ELNS1_3repE0EEENS1_36merge_oddeven_config_static_selectorELNS0_4arch9wavefront6targetE1EEEvSL_
	.p2align	8
	.type	_ZN7rocprim17ROCPRIM_400000_NS6detail17trampoline_kernelINS0_14default_configENS1_38merge_sort_block_merge_config_selectorIiNS0_10empty_typeEEEZZNS1_27merge_sort_block_merge_implIS3_N6thrust23THRUST_200600_302600_NS6detail15normal_iteratorINS9_10device_ptrIiEEEEPS5_jNS1_19radix_merge_compareILb1ELb1EiNS0_19identity_decomposerEEEEE10hipError_tT0_T1_T2_jT3_P12ihipStream_tbPNSt15iterator_traitsISK_E10value_typeEPNSQ_ISL_E10value_typeEPSM_NS1_7vsmem_tEENKUlT_SK_SL_SM_E_clIPiSE_SF_SF_EESJ_SZ_SK_SL_SM_EUlSZ_E1_NS1_11comp_targetILNS1_3genE0ELNS1_11target_archE4294967295ELNS1_3gpuE0ELNS1_3repE0EEENS1_36merge_oddeven_config_static_selectorELNS0_4arch9wavefront6targetE1EEEvSL_,@function
_ZN7rocprim17ROCPRIM_400000_NS6detail17trampoline_kernelINS0_14default_configENS1_38merge_sort_block_merge_config_selectorIiNS0_10empty_typeEEEZZNS1_27merge_sort_block_merge_implIS3_N6thrust23THRUST_200600_302600_NS6detail15normal_iteratorINS9_10device_ptrIiEEEEPS5_jNS1_19radix_merge_compareILb1ELb1EiNS0_19identity_decomposerEEEEE10hipError_tT0_T1_T2_jT3_P12ihipStream_tbPNSt15iterator_traitsISK_E10value_typeEPNSQ_ISL_E10value_typeEPSM_NS1_7vsmem_tEENKUlT_SK_SL_SM_E_clIPiSE_SF_SF_EESJ_SZ_SK_SL_SM_EUlSZ_E1_NS1_11comp_targetILNS1_3genE0ELNS1_11target_archE4294967295ELNS1_3gpuE0ELNS1_3repE0EEENS1_36merge_oddeven_config_static_selectorELNS0_4arch9wavefront6targetE1EEEvSL_: ; @_ZN7rocprim17ROCPRIM_400000_NS6detail17trampoline_kernelINS0_14default_configENS1_38merge_sort_block_merge_config_selectorIiNS0_10empty_typeEEEZZNS1_27merge_sort_block_merge_implIS3_N6thrust23THRUST_200600_302600_NS6detail15normal_iteratorINS9_10device_ptrIiEEEEPS5_jNS1_19radix_merge_compareILb1ELb1EiNS0_19identity_decomposerEEEEE10hipError_tT0_T1_T2_jT3_P12ihipStream_tbPNSt15iterator_traitsISK_E10value_typeEPNSQ_ISL_E10value_typeEPSM_NS1_7vsmem_tEENKUlT_SK_SL_SM_E_clIPiSE_SF_SF_EESJ_SZ_SK_SL_SM_EUlSZ_E1_NS1_11comp_targetILNS1_3genE0ELNS1_11target_archE4294967295ELNS1_3gpuE0ELNS1_3repE0EEENS1_36merge_oddeven_config_static_selectorELNS0_4arch9wavefront6targetE1EEEvSL_
; %bb.0:
	s_load_dword s18, s[0:1], 0x20
	s_waitcnt lgkmcnt(0)
	s_lshr_b32 s3, s18, 8
	s_cmp_lg_u32 s2, s3
	s_cselect_b64 s[14:15], -1, 0
	s_cmp_eq_u32 s2, s3
	s_cselect_b64 s[12:13], -1, 0
	s_lshl_b32 s16, s2, 8
	s_sub_i32 s3, s18, s16
	v_cmp_gt_u32_e64 s[6:7], s3, v0
	s_or_b64 s[4:5], s[14:15], s[6:7]
	s_and_saveexec_b64 s[8:9], s[4:5]
	s_cbranch_execz .LBB286_20
; %bb.1:
	s_load_dwordx4 s[8:11], s[0:1], 0x0
	s_load_dword s19, s[0:1], 0x24
	s_mov_b32 s17, 0
	s_lshl_b64 s[4:5], s[16:17], 2
	v_lshlrev_b32_e32 v1, 2, v0
	s_waitcnt lgkmcnt(0)
	s_add_u32 s4, s8, s4
	s_addc_u32 s5, s9, s5
	global_load_dword v2, v1, s[4:5]
	s_lshr_b32 s3, s19, 8
	s_sub_i32 s4, 0, s3
	s_and_b32 s2, s2, s4
	s_and_b32 s3, s2, s3
	s_lshl_b32 s20, s2, 8
	s_sub_i32 s17, 0, s19
	s_cmp_eq_u32 s3, 0
	s_cselect_b64 s[4:5], -1, 0
	s_and_b64 s[2:3], s[4:5], exec
	s_cselect_b32 s17, s19, s17
	s_add_i32 s17, s17, s20
	s_cmp_gt_u32 s18, s17
	v_add_u32_e32 v0, s16, v0
	s_cbranch_scc1 .LBB286_3
; %bb.2:
	v_cmp_gt_u32_e32 vcc, s18, v0
	s_or_b64 s[2:3], vcc, s[14:15]
	s_and_b64 s[2:3], s[2:3], exec
	s_cbranch_execz .LBB286_4
	s_branch .LBB286_18
.LBB286_3:
	s_mov_b64 s[2:3], 0
.LBB286_4:
	s_load_dword s14, s[0:1], 0x28
	s_min_u32 s15, s17, s18
	s_add_i32 s0, s15, s19
	s_min_u32 s16, s0, s18
	s_min_u32 s0, s20, s15
	s_add_i32 s20, s20, s15
	v_subrev_u32_e32 v0, s20, v0
	v_add_u32_e32 v3, s0, v0
	s_waitcnt vmcnt(0) lgkmcnt(0)
	v_and_b32_e32 v4, s14, v2
	s_and_b64 vcc, exec, s[12:13]
	s_cbranch_vccz .LBB286_12
; %bb.5:
                                        ; implicit-def: $vgpr0
	s_and_saveexec_b64 s[0:1], s[6:7]
	s_cbranch_execz .LBB286_11
; %bb.6:
	s_cmp_ge_u32 s17, s16
	v_mov_b32_e32 v5, s15
	s_cbranch_scc1 .LBB286_10
; %bb.7:
	s_mov_b64 s[6:7], 0
	v_mov_b32_e32 v6, s16
	v_mov_b32_e32 v5, s15
	v_mov_b32_e32 v1, 0
.LBB286_8:                              ; =>This Inner Loop Header: Depth=1
	v_add_u32_e32 v0, v5, v6
	v_lshrrev_b32_e32 v0, 1, v0
	v_lshl_add_u64 v[8:9], v[0:1], 2, s[8:9]
	global_load_dword v7, v[8:9], off
	v_add_u32_e32 v8, 1, v0
	s_waitcnt vmcnt(0)
	v_and_b32_e32 v7, s14, v7
	v_cmp_gt_i32_e32 vcc, v7, v4
	s_nop 1
	v_cndmask_b32_e64 v9, 0, 1, vcc
	v_cmp_le_i32_e32 vcc, v4, v7
	s_nop 1
	v_cndmask_b32_e64 v7, 0, 1, vcc
	v_cndmask_b32_e64 v7, v7, v9, s[4:5]
	v_and_b32_e32 v7, 1, v7
	v_cmp_eq_u32_e32 vcc, 1, v7
	s_nop 1
	v_cndmask_b32_e32 v6, v0, v6, vcc
	v_cndmask_b32_e32 v5, v5, v8, vcc
	v_cmp_ge_u32_e32 vcc, v5, v6
	s_or_b64 s[6:7], vcc, s[6:7]
	s_andn2_b64 exec, exec, s[6:7]
	s_cbranch_execnz .LBB286_8
; %bb.9:
	s_or_b64 exec, exec, s[6:7]
.LBB286_10:
	v_add_u32_e32 v0, v5, v3
	s_or_b64 s[2:3], s[2:3], exec
.LBB286_11:
	s_or_b64 exec, exec, s[0:1]
	s_branch .LBB286_18
.LBB286_12:
                                        ; implicit-def: $vgpr0
	s_cbranch_execz .LBB286_18
; %bb.13:
	s_cmp_ge_u32 s17, s16
	v_mov_b32_e32 v5, s15
	s_cbranch_scc1 .LBB286_17
; %bb.14:
	s_mov_b64 s[0:1], 0
	v_mov_b32_e32 v6, s16
	v_mov_b32_e32 v5, s15
	v_mov_b32_e32 v1, 0
.LBB286_15:                             ; =>This Inner Loop Header: Depth=1
	v_add_u32_e32 v0, v5, v6
	v_lshrrev_b32_e32 v0, 1, v0
	v_lshl_add_u64 v[8:9], v[0:1], 2, s[8:9]
	global_load_dword v7, v[8:9], off
	v_add_u32_e32 v8, 1, v0
	s_waitcnt vmcnt(0)
	v_and_b32_e32 v7, s14, v7
	v_cmp_gt_i32_e32 vcc, v7, v4
	s_nop 1
	v_cndmask_b32_e64 v9, 0, 1, vcc
	v_cmp_le_i32_e32 vcc, v4, v7
	s_nop 1
	v_cndmask_b32_e64 v7, 0, 1, vcc
	v_cndmask_b32_e64 v7, v7, v9, s[4:5]
	v_and_b32_e32 v7, 1, v7
	v_cmp_eq_u32_e32 vcc, 1, v7
	s_nop 1
	v_cndmask_b32_e32 v6, v0, v6, vcc
	v_cndmask_b32_e32 v5, v5, v8, vcc
	v_cmp_ge_u32_e32 vcc, v5, v6
	s_or_b64 s[0:1], vcc, s[0:1]
	s_andn2_b64 exec, exec, s[0:1]
	s_cbranch_execnz .LBB286_15
; %bb.16:
	s_or_b64 exec, exec, s[0:1]
.LBB286_17:
	v_add_u32_e32 v0, v5, v3
	s_mov_b64 s[2:3], -1
.LBB286_18:
	s_and_b64 exec, exec, s[2:3]
	s_cbranch_execz .LBB286_20
; %bb.19:
	v_mov_b32_e32 v4, s10
	v_mov_b32_e32 v5, s11
	;; [unrolled: 1-line block ×3, first 2 shown]
	v_lshl_add_u64 v[0:1], v[0:1], 2, v[4:5]
	s_waitcnt vmcnt(0)
	global_store_dword v[0:1], v2, off
.LBB286_20:
	s_endpgm
	.section	.rodata,"a",@progbits
	.p2align	6, 0x0
	.amdhsa_kernel _ZN7rocprim17ROCPRIM_400000_NS6detail17trampoline_kernelINS0_14default_configENS1_38merge_sort_block_merge_config_selectorIiNS0_10empty_typeEEEZZNS1_27merge_sort_block_merge_implIS3_N6thrust23THRUST_200600_302600_NS6detail15normal_iteratorINS9_10device_ptrIiEEEEPS5_jNS1_19radix_merge_compareILb1ELb1EiNS0_19identity_decomposerEEEEE10hipError_tT0_T1_T2_jT3_P12ihipStream_tbPNSt15iterator_traitsISK_E10value_typeEPNSQ_ISL_E10value_typeEPSM_NS1_7vsmem_tEENKUlT_SK_SL_SM_E_clIPiSE_SF_SF_EESJ_SZ_SK_SL_SM_EUlSZ_E1_NS1_11comp_targetILNS1_3genE0ELNS1_11target_archE4294967295ELNS1_3gpuE0ELNS1_3repE0EEENS1_36merge_oddeven_config_static_selectorELNS0_4arch9wavefront6targetE1EEEvSL_
		.amdhsa_group_segment_fixed_size 0
		.amdhsa_private_segment_fixed_size 0
		.amdhsa_kernarg_size 48
		.amdhsa_user_sgpr_count 2
		.amdhsa_user_sgpr_dispatch_ptr 0
		.amdhsa_user_sgpr_queue_ptr 0
		.amdhsa_user_sgpr_kernarg_segment_ptr 1
		.amdhsa_user_sgpr_dispatch_id 0
		.amdhsa_user_sgpr_kernarg_preload_length 0
		.amdhsa_user_sgpr_kernarg_preload_offset 0
		.amdhsa_user_sgpr_private_segment_size 0
		.amdhsa_uses_dynamic_stack 0
		.amdhsa_enable_private_segment 0
		.amdhsa_system_sgpr_workgroup_id_x 1
		.amdhsa_system_sgpr_workgroup_id_y 0
		.amdhsa_system_sgpr_workgroup_id_z 0
		.amdhsa_system_sgpr_workgroup_info 0
		.amdhsa_system_vgpr_workitem_id 0
		.amdhsa_next_free_vgpr 10
		.amdhsa_next_free_sgpr 21
		.amdhsa_accum_offset 12
		.amdhsa_reserve_vcc 1
		.amdhsa_float_round_mode_32 0
		.amdhsa_float_round_mode_16_64 0
		.amdhsa_float_denorm_mode_32 3
		.amdhsa_float_denorm_mode_16_64 3
		.amdhsa_dx10_clamp 1
		.amdhsa_ieee_mode 1
		.amdhsa_fp16_overflow 0
		.amdhsa_tg_split 0
		.amdhsa_exception_fp_ieee_invalid_op 0
		.amdhsa_exception_fp_denorm_src 0
		.amdhsa_exception_fp_ieee_div_zero 0
		.amdhsa_exception_fp_ieee_overflow 0
		.amdhsa_exception_fp_ieee_underflow 0
		.amdhsa_exception_fp_ieee_inexact 0
		.amdhsa_exception_int_div_zero 0
	.end_amdhsa_kernel
	.section	.text._ZN7rocprim17ROCPRIM_400000_NS6detail17trampoline_kernelINS0_14default_configENS1_38merge_sort_block_merge_config_selectorIiNS0_10empty_typeEEEZZNS1_27merge_sort_block_merge_implIS3_N6thrust23THRUST_200600_302600_NS6detail15normal_iteratorINS9_10device_ptrIiEEEEPS5_jNS1_19radix_merge_compareILb1ELb1EiNS0_19identity_decomposerEEEEE10hipError_tT0_T1_T2_jT3_P12ihipStream_tbPNSt15iterator_traitsISK_E10value_typeEPNSQ_ISL_E10value_typeEPSM_NS1_7vsmem_tEENKUlT_SK_SL_SM_E_clIPiSE_SF_SF_EESJ_SZ_SK_SL_SM_EUlSZ_E1_NS1_11comp_targetILNS1_3genE0ELNS1_11target_archE4294967295ELNS1_3gpuE0ELNS1_3repE0EEENS1_36merge_oddeven_config_static_selectorELNS0_4arch9wavefront6targetE1EEEvSL_,"axG",@progbits,_ZN7rocprim17ROCPRIM_400000_NS6detail17trampoline_kernelINS0_14default_configENS1_38merge_sort_block_merge_config_selectorIiNS0_10empty_typeEEEZZNS1_27merge_sort_block_merge_implIS3_N6thrust23THRUST_200600_302600_NS6detail15normal_iteratorINS9_10device_ptrIiEEEEPS5_jNS1_19radix_merge_compareILb1ELb1EiNS0_19identity_decomposerEEEEE10hipError_tT0_T1_T2_jT3_P12ihipStream_tbPNSt15iterator_traitsISK_E10value_typeEPNSQ_ISL_E10value_typeEPSM_NS1_7vsmem_tEENKUlT_SK_SL_SM_E_clIPiSE_SF_SF_EESJ_SZ_SK_SL_SM_EUlSZ_E1_NS1_11comp_targetILNS1_3genE0ELNS1_11target_archE4294967295ELNS1_3gpuE0ELNS1_3repE0EEENS1_36merge_oddeven_config_static_selectorELNS0_4arch9wavefront6targetE1EEEvSL_,comdat
.Lfunc_end286:
	.size	_ZN7rocprim17ROCPRIM_400000_NS6detail17trampoline_kernelINS0_14default_configENS1_38merge_sort_block_merge_config_selectorIiNS0_10empty_typeEEEZZNS1_27merge_sort_block_merge_implIS3_N6thrust23THRUST_200600_302600_NS6detail15normal_iteratorINS9_10device_ptrIiEEEEPS5_jNS1_19radix_merge_compareILb1ELb1EiNS0_19identity_decomposerEEEEE10hipError_tT0_T1_T2_jT3_P12ihipStream_tbPNSt15iterator_traitsISK_E10value_typeEPNSQ_ISL_E10value_typeEPSM_NS1_7vsmem_tEENKUlT_SK_SL_SM_E_clIPiSE_SF_SF_EESJ_SZ_SK_SL_SM_EUlSZ_E1_NS1_11comp_targetILNS1_3genE0ELNS1_11target_archE4294967295ELNS1_3gpuE0ELNS1_3repE0EEENS1_36merge_oddeven_config_static_selectorELNS0_4arch9wavefront6targetE1EEEvSL_, .Lfunc_end286-_ZN7rocprim17ROCPRIM_400000_NS6detail17trampoline_kernelINS0_14default_configENS1_38merge_sort_block_merge_config_selectorIiNS0_10empty_typeEEEZZNS1_27merge_sort_block_merge_implIS3_N6thrust23THRUST_200600_302600_NS6detail15normal_iteratorINS9_10device_ptrIiEEEEPS5_jNS1_19radix_merge_compareILb1ELb1EiNS0_19identity_decomposerEEEEE10hipError_tT0_T1_T2_jT3_P12ihipStream_tbPNSt15iterator_traitsISK_E10value_typeEPNSQ_ISL_E10value_typeEPSM_NS1_7vsmem_tEENKUlT_SK_SL_SM_E_clIPiSE_SF_SF_EESJ_SZ_SK_SL_SM_EUlSZ_E1_NS1_11comp_targetILNS1_3genE0ELNS1_11target_archE4294967295ELNS1_3gpuE0ELNS1_3repE0EEENS1_36merge_oddeven_config_static_selectorELNS0_4arch9wavefront6targetE1EEEvSL_
                                        ; -- End function
	.set _ZN7rocprim17ROCPRIM_400000_NS6detail17trampoline_kernelINS0_14default_configENS1_38merge_sort_block_merge_config_selectorIiNS0_10empty_typeEEEZZNS1_27merge_sort_block_merge_implIS3_N6thrust23THRUST_200600_302600_NS6detail15normal_iteratorINS9_10device_ptrIiEEEEPS5_jNS1_19radix_merge_compareILb1ELb1EiNS0_19identity_decomposerEEEEE10hipError_tT0_T1_T2_jT3_P12ihipStream_tbPNSt15iterator_traitsISK_E10value_typeEPNSQ_ISL_E10value_typeEPSM_NS1_7vsmem_tEENKUlT_SK_SL_SM_E_clIPiSE_SF_SF_EESJ_SZ_SK_SL_SM_EUlSZ_E1_NS1_11comp_targetILNS1_3genE0ELNS1_11target_archE4294967295ELNS1_3gpuE0ELNS1_3repE0EEENS1_36merge_oddeven_config_static_selectorELNS0_4arch9wavefront6targetE1EEEvSL_.num_vgpr, 10
	.set _ZN7rocprim17ROCPRIM_400000_NS6detail17trampoline_kernelINS0_14default_configENS1_38merge_sort_block_merge_config_selectorIiNS0_10empty_typeEEEZZNS1_27merge_sort_block_merge_implIS3_N6thrust23THRUST_200600_302600_NS6detail15normal_iteratorINS9_10device_ptrIiEEEEPS5_jNS1_19radix_merge_compareILb1ELb1EiNS0_19identity_decomposerEEEEE10hipError_tT0_T1_T2_jT3_P12ihipStream_tbPNSt15iterator_traitsISK_E10value_typeEPNSQ_ISL_E10value_typeEPSM_NS1_7vsmem_tEENKUlT_SK_SL_SM_E_clIPiSE_SF_SF_EESJ_SZ_SK_SL_SM_EUlSZ_E1_NS1_11comp_targetILNS1_3genE0ELNS1_11target_archE4294967295ELNS1_3gpuE0ELNS1_3repE0EEENS1_36merge_oddeven_config_static_selectorELNS0_4arch9wavefront6targetE1EEEvSL_.num_agpr, 0
	.set _ZN7rocprim17ROCPRIM_400000_NS6detail17trampoline_kernelINS0_14default_configENS1_38merge_sort_block_merge_config_selectorIiNS0_10empty_typeEEEZZNS1_27merge_sort_block_merge_implIS3_N6thrust23THRUST_200600_302600_NS6detail15normal_iteratorINS9_10device_ptrIiEEEEPS5_jNS1_19radix_merge_compareILb1ELb1EiNS0_19identity_decomposerEEEEE10hipError_tT0_T1_T2_jT3_P12ihipStream_tbPNSt15iterator_traitsISK_E10value_typeEPNSQ_ISL_E10value_typeEPSM_NS1_7vsmem_tEENKUlT_SK_SL_SM_E_clIPiSE_SF_SF_EESJ_SZ_SK_SL_SM_EUlSZ_E1_NS1_11comp_targetILNS1_3genE0ELNS1_11target_archE4294967295ELNS1_3gpuE0ELNS1_3repE0EEENS1_36merge_oddeven_config_static_selectorELNS0_4arch9wavefront6targetE1EEEvSL_.numbered_sgpr, 21
	.set _ZN7rocprim17ROCPRIM_400000_NS6detail17trampoline_kernelINS0_14default_configENS1_38merge_sort_block_merge_config_selectorIiNS0_10empty_typeEEEZZNS1_27merge_sort_block_merge_implIS3_N6thrust23THRUST_200600_302600_NS6detail15normal_iteratorINS9_10device_ptrIiEEEEPS5_jNS1_19radix_merge_compareILb1ELb1EiNS0_19identity_decomposerEEEEE10hipError_tT0_T1_T2_jT3_P12ihipStream_tbPNSt15iterator_traitsISK_E10value_typeEPNSQ_ISL_E10value_typeEPSM_NS1_7vsmem_tEENKUlT_SK_SL_SM_E_clIPiSE_SF_SF_EESJ_SZ_SK_SL_SM_EUlSZ_E1_NS1_11comp_targetILNS1_3genE0ELNS1_11target_archE4294967295ELNS1_3gpuE0ELNS1_3repE0EEENS1_36merge_oddeven_config_static_selectorELNS0_4arch9wavefront6targetE1EEEvSL_.num_named_barrier, 0
	.set _ZN7rocprim17ROCPRIM_400000_NS6detail17trampoline_kernelINS0_14default_configENS1_38merge_sort_block_merge_config_selectorIiNS0_10empty_typeEEEZZNS1_27merge_sort_block_merge_implIS3_N6thrust23THRUST_200600_302600_NS6detail15normal_iteratorINS9_10device_ptrIiEEEEPS5_jNS1_19radix_merge_compareILb1ELb1EiNS0_19identity_decomposerEEEEE10hipError_tT0_T1_T2_jT3_P12ihipStream_tbPNSt15iterator_traitsISK_E10value_typeEPNSQ_ISL_E10value_typeEPSM_NS1_7vsmem_tEENKUlT_SK_SL_SM_E_clIPiSE_SF_SF_EESJ_SZ_SK_SL_SM_EUlSZ_E1_NS1_11comp_targetILNS1_3genE0ELNS1_11target_archE4294967295ELNS1_3gpuE0ELNS1_3repE0EEENS1_36merge_oddeven_config_static_selectorELNS0_4arch9wavefront6targetE1EEEvSL_.private_seg_size, 0
	.set _ZN7rocprim17ROCPRIM_400000_NS6detail17trampoline_kernelINS0_14default_configENS1_38merge_sort_block_merge_config_selectorIiNS0_10empty_typeEEEZZNS1_27merge_sort_block_merge_implIS3_N6thrust23THRUST_200600_302600_NS6detail15normal_iteratorINS9_10device_ptrIiEEEEPS5_jNS1_19radix_merge_compareILb1ELb1EiNS0_19identity_decomposerEEEEE10hipError_tT0_T1_T2_jT3_P12ihipStream_tbPNSt15iterator_traitsISK_E10value_typeEPNSQ_ISL_E10value_typeEPSM_NS1_7vsmem_tEENKUlT_SK_SL_SM_E_clIPiSE_SF_SF_EESJ_SZ_SK_SL_SM_EUlSZ_E1_NS1_11comp_targetILNS1_3genE0ELNS1_11target_archE4294967295ELNS1_3gpuE0ELNS1_3repE0EEENS1_36merge_oddeven_config_static_selectorELNS0_4arch9wavefront6targetE1EEEvSL_.uses_vcc, 1
	.set _ZN7rocprim17ROCPRIM_400000_NS6detail17trampoline_kernelINS0_14default_configENS1_38merge_sort_block_merge_config_selectorIiNS0_10empty_typeEEEZZNS1_27merge_sort_block_merge_implIS3_N6thrust23THRUST_200600_302600_NS6detail15normal_iteratorINS9_10device_ptrIiEEEEPS5_jNS1_19radix_merge_compareILb1ELb1EiNS0_19identity_decomposerEEEEE10hipError_tT0_T1_T2_jT3_P12ihipStream_tbPNSt15iterator_traitsISK_E10value_typeEPNSQ_ISL_E10value_typeEPSM_NS1_7vsmem_tEENKUlT_SK_SL_SM_E_clIPiSE_SF_SF_EESJ_SZ_SK_SL_SM_EUlSZ_E1_NS1_11comp_targetILNS1_3genE0ELNS1_11target_archE4294967295ELNS1_3gpuE0ELNS1_3repE0EEENS1_36merge_oddeven_config_static_selectorELNS0_4arch9wavefront6targetE1EEEvSL_.uses_flat_scratch, 0
	.set _ZN7rocprim17ROCPRIM_400000_NS6detail17trampoline_kernelINS0_14default_configENS1_38merge_sort_block_merge_config_selectorIiNS0_10empty_typeEEEZZNS1_27merge_sort_block_merge_implIS3_N6thrust23THRUST_200600_302600_NS6detail15normal_iteratorINS9_10device_ptrIiEEEEPS5_jNS1_19radix_merge_compareILb1ELb1EiNS0_19identity_decomposerEEEEE10hipError_tT0_T1_T2_jT3_P12ihipStream_tbPNSt15iterator_traitsISK_E10value_typeEPNSQ_ISL_E10value_typeEPSM_NS1_7vsmem_tEENKUlT_SK_SL_SM_E_clIPiSE_SF_SF_EESJ_SZ_SK_SL_SM_EUlSZ_E1_NS1_11comp_targetILNS1_3genE0ELNS1_11target_archE4294967295ELNS1_3gpuE0ELNS1_3repE0EEENS1_36merge_oddeven_config_static_selectorELNS0_4arch9wavefront6targetE1EEEvSL_.has_dyn_sized_stack, 0
	.set _ZN7rocprim17ROCPRIM_400000_NS6detail17trampoline_kernelINS0_14default_configENS1_38merge_sort_block_merge_config_selectorIiNS0_10empty_typeEEEZZNS1_27merge_sort_block_merge_implIS3_N6thrust23THRUST_200600_302600_NS6detail15normal_iteratorINS9_10device_ptrIiEEEEPS5_jNS1_19radix_merge_compareILb1ELb1EiNS0_19identity_decomposerEEEEE10hipError_tT0_T1_T2_jT3_P12ihipStream_tbPNSt15iterator_traitsISK_E10value_typeEPNSQ_ISL_E10value_typeEPSM_NS1_7vsmem_tEENKUlT_SK_SL_SM_E_clIPiSE_SF_SF_EESJ_SZ_SK_SL_SM_EUlSZ_E1_NS1_11comp_targetILNS1_3genE0ELNS1_11target_archE4294967295ELNS1_3gpuE0ELNS1_3repE0EEENS1_36merge_oddeven_config_static_selectorELNS0_4arch9wavefront6targetE1EEEvSL_.has_recursion, 0
	.set _ZN7rocprim17ROCPRIM_400000_NS6detail17trampoline_kernelINS0_14default_configENS1_38merge_sort_block_merge_config_selectorIiNS0_10empty_typeEEEZZNS1_27merge_sort_block_merge_implIS3_N6thrust23THRUST_200600_302600_NS6detail15normal_iteratorINS9_10device_ptrIiEEEEPS5_jNS1_19radix_merge_compareILb1ELb1EiNS0_19identity_decomposerEEEEE10hipError_tT0_T1_T2_jT3_P12ihipStream_tbPNSt15iterator_traitsISK_E10value_typeEPNSQ_ISL_E10value_typeEPSM_NS1_7vsmem_tEENKUlT_SK_SL_SM_E_clIPiSE_SF_SF_EESJ_SZ_SK_SL_SM_EUlSZ_E1_NS1_11comp_targetILNS1_3genE0ELNS1_11target_archE4294967295ELNS1_3gpuE0ELNS1_3repE0EEENS1_36merge_oddeven_config_static_selectorELNS0_4arch9wavefront6targetE1EEEvSL_.has_indirect_call, 0
	.section	.AMDGPU.csdata,"",@progbits
; Kernel info:
; codeLenInByte = 608
; TotalNumSgprs: 27
; NumVgprs: 10
; NumAgprs: 0
; TotalNumVgprs: 10
; ScratchSize: 0
; MemoryBound: 0
; FloatMode: 240
; IeeeMode: 1
; LDSByteSize: 0 bytes/workgroup (compile time only)
; SGPRBlocks: 3
; VGPRBlocks: 1
; NumSGPRsForWavesPerEU: 27
; NumVGPRsForWavesPerEU: 10
; AccumOffset: 12
; Occupancy: 8
; WaveLimiterHint : 0
; COMPUTE_PGM_RSRC2:SCRATCH_EN: 0
; COMPUTE_PGM_RSRC2:USER_SGPR: 2
; COMPUTE_PGM_RSRC2:TRAP_HANDLER: 0
; COMPUTE_PGM_RSRC2:TGID_X_EN: 1
; COMPUTE_PGM_RSRC2:TGID_Y_EN: 0
; COMPUTE_PGM_RSRC2:TGID_Z_EN: 0
; COMPUTE_PGM_RSRC2:TIDIG_COMP_CNT: 0
; COMPUTE_PGM_RSRC3_GFX90A:ACCUM_OFFSET: 2
; COMPUTE_PGM_RSRC3_GFX90A:TG_SPLIT: 0
	.section	.text._ZN7rocprim17ROCPRIM_400000_NS6detail17trampoline_kernelINS0_14default_configENS1_38merge_sort_block_merge_config_selectorIiNS0_10empty_typeEEEZZNS1_27merge_sort_block_merge_implIS3_N6thrust23THRUST_200600_302600_NS6detail15normal_iteratorINS9_10device_ptrIiEEEEPS5_jNS1_19radix_merge_compareILb1ELb1EiNS0_19identity_decomposerEEEEE10hipError_tT0_T1_T2_jT3_P12ihipStream_tbPNSt15iterator_traitsISK_E10value_typeEPNSQ_ISL_E10value_typeEPSM_NS1_7vsmem_tEENKUlT_SK_SL_SM_E_clIPiSE_SF_SF_EESJ_SZ_SK_SL_SM_EUlSZ_E1_NS1_11comp_targetILNS1_3genE10ELNS1_11target_archE1201ELNS1_3gpuE5ELNS1_3repE0EEENS1_36merge_oddeven_config_static_selectorELNS0_4arch9wavefront6targetE1EEEvSL_,"axG",@progbits,_ZN7rocprim17ROCPRIM_400000_NS6detail17trampoline_kernelINS0_14default_configENS1_38merge_sort_block_merge_config_selectorIiNS0_10empty_typeEEEZZNS1_27merge_sort_block_merge_implIS3_N6thrust23THRUST_200600_302600_NS6detail15normal_iteratorINS9_10device_ptrIiEEEEPS5_jNS1_19radix_merge_compareILb1ELb1EiNS0_19identity_decomposerEEEEE10hipError_tT0_T1_T2_jT3_P12ihipStream_tbPNSt15iterator_traitsISK_E10value_typeEPNSQ_ISL_E10value_typeEPSM_NS1_7vsmem_tEENKUlT_SK_SL_SM_E_clIPiSE_SF_SF_EESJ_SZ_SK_SL_SM_EUlSZ_E1_NS1_11comp_targetILNS1_3genE10ELNS1_11target_archE1201ELNS1_3gpuE5ELNS1_3repE0EEENS1_36merge_oddeven_config_static_selectorELNS0_4arch9wavefront6targetE1EEEvSL_,comdat
	.protected	_ZN7rocprim17ROCPRIM_400000_NS6detail17trampoline_kernelINS0_14default_configENS1_38merge_sort_block_merge_config_selectorIiNS0_10empty_typeEEEZZNS1_27merge_sort_block_merge_implIS3_N6thrust23THRUST_200600_302600_NS6detail15normal_iteratorINS9_10device_ptrIiEEEEPS5_jNS1_19radix_merge_compareILb1ELb1EiNS0_19identity_decomposerEEEEE10hipError_tT0_T1_T2_jT3_P12ihipStream_tbPNSt15iterator_traitsISK_E10value_typeEPNSQ_ISL_E10value_typeEPSM_NS1_7vsmem_tEENKUlT_SK_SL_SM_E_clIPiSE_SF_SF_EESJ_SZ_SK_SL_SM_EUlSZ_E1_NS1_11comp_targetILNS1_3genE10ELNS1_11target_archE1201ELNS1_3gpuE5ELNS1_3repE0EEENS1_36merge_oddeven_config_static_selectorELNS0_4arch9wavefront6targetE1EEEvSL_ ; -- Begin function _ZN7rocprim17ROCPRIM_400000_NS6detail17trampoline_kernelINS0_14default_configENS1_38merge_sort_block_merge_config_selectorIiNS0_10empty_typeEEEZZNS1_27merge_sort_block_merge_implIS3_N6thrust23THRUST_200600_302600_NS6detail15normal_iteratorINS9_10device_ptrIiEEEEPS5_jNS1_19radix_merge_compareILb1ELb1EiNS0_19identity_decomposerEEEEE10hipError_tT0_T1_T2_jT3_P12ihipStream_tbPNSt15iterator_traitsISK_E10value_typeEPNSQ_ISL_E10value_typeEPSM_NS1_7vsmem_tEENKUlT_SK_SL_SM_E_clIPiSE_SF_SF_EESJ_SZ_SK_SL_SM_EUlSZ_E1_NS1_11comp_targetILNS1_3genE10ELNS1_11target_archE1201ELNS1_3gpuE5ELNS1_3repE0EEENS1_36merge_oddeven_config_static_selectorELNS0_4arch9wavefront6targetE1EEEvSL_
	.globl	_ZN7rocprim17ROCPRIM_400000_NS6detail17trampoline_kernelINS0_14default_configENS1_38merge_sort_block_merge_config_selectorIiNS0_10empty_typeEEEZZNS1_27merge_sort_block_merge_implIS3_N6thrust23THRUST_200600_302600_NS6detail15normal_iteratorINS9_10device_ptrIiEEEEPS5_jNS1_19radix_merge_compareILb1ELb1EiNS0_19identity_decomposerEEEEE10hipError_tT0_T1_T2_jT3_P12ihipStream_tbPNSt15iterator_traitsISK_E10value_typeEPNSQ_ISL_E10value_typeEPSM_NS1_7vsmem_tEENKUlT_SK_SL_SM_E_clIPiSE_SF_SF_EESJ_SZ_SK_SL_SM_EUlSZ_E1_NS1_11comp_targetILNS1_3genE10ELNS1_11target_archE1201ELNS1_3gpuE5ELNS1_3repE0EEENS1_36merge_oddeven_config_static_selectorELNS0_4arch9wavefront6targetE1EEEvSL_
	.p2align	8
	.type	_ZN7rocprim17ROCPRIM_400000_NS6detail17trampoline_kernelINS0_14default_configENS1_38merge_sort_block_merge_config_selectorIiNS0_10empty_typeEEEZZNS1_27merge_sort_block_merge_implIS3_N6thrust23THRUST_200600_302600_NS6detail15normal_iteratorINS9_10device_ptrIiEEEEPS5_jNS1_19radix_merge_compareILb1ELb1EiNS0_19identity_decomposerEEEEE10hipError_tT0_T1_T2_jT3_P12ihipStream_tbPNSt15iterator_traitsISK_E10value_typeEPNSQ_ISL_E10value_typeEPSM_NS1_7vsmem_tEENKUlT_SK_SL_SM_E_clIPiSE_SF_SF_EESJ_SZ_SK_SL_SM_EUlSZ_E1_NS1_11comp_targetILNS1_3genE10ELNS1_11target_archE1201ELNS1_3gpuE5ELNS1_3repE0EEENS1_36merge_oddeven_config_static_selectorELNS0_4arch9wavefront6targetE1EEEvSL_,@function
_ZN7rocprim17ROCPRIM_400000_NS6detail17trampoline_kernelINS0_14default_configENS1_38merge_sort_block_merge_config_selectorIiNS0_10empty_typeEEEZZNS1_27merge_sort_block_merge_implIS3_N6thrust23THRUST_200600_302600_NS6detail15normal_iteratorINS9_10device_ptrIiEEEEPS5_jNS1_19radix_merge_compareILb1ELb1EiNS0_19identity_decomposerEEEEE10hipError_tT0_T1_T2_jT3_P12ihipStream_tbPNSt15iterator_traitsISK_E10value_typeEPNSQ_ISL_E10value_typeEPSM_NS1_7vsmem_tEENKUlT_SK_SL_SM_E_clIPiSE_SF_SF_EESJ_SZ_SK_SL_SM_EUlSZ_E1_NS1_11comp_targetILNS1_3genE10ELNS1_11target_archE1201ELNS1_3gpuE5ELNS1_3repE0EEENS1_36merge_oddeven_config_static_selectorELNS0_4arch9wavefront6targetE1EEEvSL_: ; @_ZN7rocprim17ROCPRIM_400000_NS6detail17trampoline_kernelINS0_14default_configENS1_38merge_sort_block_merge_config_selectorIiNS0_10empty_typeEEEZZNS1_27merge_sort_block_merge_implIS3_N6thrust23THRUST_200600_302600_NS6detail15normal_iteratorINS9_10device_ptrIiEEEEPS5_jNS1_19radix_merge_compareILb1ELb1EiNS0_19identity_decomposerEEEEE10hipError_tT0_T1_T2_jT3_P12ihipStream_tbPNSt15iterator_traitsISK_E10value_typeEPNSQ_ISL_E10value_typeEPSM_NS1_7vsmem_tEENKUlT_SK_SL_SM_E_clIPiSE_SF_SF_EESJ_SZ_SK_SL_SM_EUlSZ_E1_NS1_11comp_targetILNS1_3genE10ELNS1_11target_archE1201ELNS1_3gpuE5ELNS1_3repE0EEENS1_36merge_oddeven_config_static_selectorELNS0_4arch9wavefront6targetE1EEEvSL_
; %bb.0:
	.section	.rodata,"a",@progbits
	.p2align	6, 0x0
	.amdhsa_kernel _ZN7rocprim17ROCPRIM_400000_NS6detail17trampoline_kernelINS0_14default_configENS1_38merge_sort_block_merge_config_selectorIiNS0_10empty_typeEEEZZNS1_27merge_sort_block_merge_implIS3_N6thrust23THRUST_200600_302600_NS6detail15normal_iteratorINS9_10device_ptrIiEEEEPS5_jNS1_19radix_merge_compareILb1ELb1EiNS0_19identity_decomposerEEEEE10hipError_tT0_T1_T2_jT3_P12ihipStream_tbPNSt15iterator_traitsISK_E10value_typeEPNSQ_ISL_E10value_typeEPSM_NS1_7vsmem_tEENKUlT_SK_SL_SM_E_clIPiSE_SF_SF_EESJ_SZ_SK_SL_SM_EUlSZ_E1_NS1_11comp_targetILNS1_3genE10ELNS1_11target_archE1201ELNS1_3gpuE5ELNS1_3repE0EEENS1_36merge_oddeven_config_static_selectorELNS0_4arch9wavefront6targetE1EEEvSL_
		.amdhsa_group_segment_fixed_size 0
		.amdhsa_private_segment_fixed_size 0
		.amdhsa_kernarg_size 48
		.amdhsa_user_sgpr_count 2
		.amdhsa_user_sgpr_dispatch_ptr 0
		.amdhsa_user_sgpr_queue_ptr 0
		.amdhsa_user_sgpr_kernarg_segment_ptr 1
		.amdhsa_user_sgpr_dispatch_id 0
		.amdhsa_user_sgpr_kernarg_preload_length 0
		.amdhsa_user_sgpr_kernarg_preload_offset 0
		.amdhsa_user_sgpr_private_segment_size 0
		.amdhsa_uses_dynamic_stack 0
		.amdhsa_enable_private_segment 0
		.amdhsa_system_sgpr_workgroup_id_x 1
		.amdhsa_system_sgpr_workgroup_id_y 0
		.amdhsa_system_sgpr_workgroup_id_z 0
		.amdhsa_system_sgpr_workgroup_info 0
		.amdhsa_system_vgpr_workitem_id 0
		.amdhsa_next_free_vgpr 1
		.amdhsa_next_free_sgpr 0
		.amdhsa_accum_offset 4
		.amdhsa_reserve_vcc 0
		.amdhsa_float_round_mode_32 0
		.amdhsa_float_round_mode_16_64 0
		.amdhsa_float_denorm_mode_32 3
		.amdhsa_float_denorm_mode_16_64 3
		.amdhsa_dx10_clamp 1
		.amdhsa_ieee_mode 1
		.amdhsa_fp16_overflow 0
		.amdhsa_tg_split 0
		.amdhsa_exception_fp_ieee_invalid_op 0
		.amdhsa_exception_fp_denorm_src 0
		.amdhsa_exception_fp_ieee_div_zero 0
		.amdhsa_exception_fp_ieee_overflow 0
		.amdhsa_exception_fp_ieee_underflow 0
		.amdhsa_exception_fp_ieee_inexact 0
		.amdhsa_exception_int_div_zero 0
	.end_amdhsa_kernel
	.section	.text._ZN7rocprim17ROCPRIM_400000_NS6detail17trampoline_kernelINS0_14default_configENS1_38merge_sort_block_merge_config_selectorIiNS0_10empty_typeEEEZZNS1_27merge_sort_block_merge_implIS3_N6thrust23THRUST_200600_302600_NS6detail15normal_iteratorINS9_10device_ptrIiEEEEPS5_jNS1_19radix_merge_compareILb1ELb1EiNS0_19identity_decomposerEEEEE10hipError_tT0_T1_T2_jT3_P12ihipStream_tbPNSt15iterator_traitsISK_E10value_typeEPNSQ_ISL_E10value_typeEPSM_NS1_7vsmem_tEENKUlT_SK_SL_SM_E_clIPiSE_SF_SF_EESJ_SZ_SK_SL_SM_EUlSZ_E1_NS1_11comp_targetILNS1_3genE10ELNS1_11target_archE1201ELNS1_3gpuE5ELNS1_3repE0EEENS1_36merge_oddeven_config_static_selectorELNS0_4arch9wavefront6targetE1EEEvSL_,"axG",@progbits,_ZN7rocprim17ROCPRIM_400000_NS6detail17trampoline_kernelINS0_14default_configENS1_38merge_sort_block_merge_config_selectorIiNS0_10empty_typeEEEZZNS1_27merge_sort_block_merge_implIS3_N6thrust23THRUST_200600_302600_NS6detail15normal_iteratorINS9_10device_ptrIiEEEEPS5_jNS1_19radix_merge_compareILb1ELb1EiNS0_19identity_decomposerEEEEE10hipError_tT0_T1_T2_jT3_P12ihipStream_tbPNSt15iterator_traitsISK_E10value_typeEPNSQ_ISL_E10value_typeEPSM_NS1_7vsmem_tEENKUlT_SK_SL_SM_E_clIPiSE_SF_SF_EESJ_SZ_SK_SL_SM_EUlSZ_E1_NS1_11comp_targetILNS1_3genE10ELNS1_11target_archE1201ELNS1_3gpuE5ELNS1_3repE0EEENS1_36merge_oddeven_config_static_selectorELNS0_4arch9wavefront6targetE1EEEvSL_,comdat
.Lfunc_end287:
	.size	_ZN7rocprim17ROCPRIM_400000_NS6detail17trampoline_kernelINS0_14default_configENS1_38merge_sort_block_merge_config_selectorIiNS0_10empty_typeEEEZZNS1_27merge_sort_block_merge_implIS3_N6thrust23THRUST_200600_302600_NS6detail15normal_iteratorINS9_10device_ptrIiEEEEPS5_jNS1_19radix_merge_compareILb1ELb1EiNS0_19identity_decomposerEEEEE10hipError_tT0_T1_T2_jT3_P12ihipStream_tbPNSt15iterator_traitsISK_E10value_typeEPNSQ_ISL_E10value_typeEPSM_NS1_7vsmem_tEENKUlT_SK_SL_SM_E_clIPiSE_SF_SF_EESJ_SZ_SK_SL_SM_EUlSZ_E1_NS1_11comp_targetILNS1_3genE10ELNS1_11target_archE1201ELNS1_3gpuE5ELNS1_3repE0EEENS1_36merge_oddeven_config_static_selectorELNS0_4arch9wavefront6targetE1EEEvSL_, .Lfunc_end287-_ZN7rocprim17ROCPRIM_400000_NS6detail17trampoline_kernelINS0_14default_configENS1_38merge_sort_block_merge_config_selectorIiNS0_10empty_typeEEEZZNS1_27merge_sort_block_merge_implIS3_N6thrust23THRUST_200600_302600_NS6detail15normal_iteratorINS9_10device_ptrIiEEEEPS5_jNS1_19radix_merge_compareILb1ELb1EiNS0_19identity_decomposerEEEEE10hipError_tT0_T1_T2_jT3_P12ihipStream_tbPNSt15iterator_traitsISK_E10value_typeEPNSQ_ISL_E10value_typeEPSM_NS1_7vsmem_tEENKUlT_SK_SL_SM_E_clIPiSE_SF_SF_EESJ_SZ_SK_SL_SM_EUlSZ_E1_NS1_11comp_targetILNS1_3genE10ELNS1_11target_archE1201ELNS1_3gpuE5ELNS1_3repE0EEENS1_36merge_oddeven_config_static_selectorELNS0_4arch9wavefront6targetE1EEEvSL_
                                        ; -- End function
	.set _ZN7rocprim17ROCPRIM_400000_NS6detail17trampoline_kernelINS0_14default_configENS1_38merge_sort_block_merge_config_selectorIiNS0_10empty_typeEEEZZNS1_27merge_sort_block_merge_implIS3_N6thrust23THRUST_200600_302600_NS6detail15normal_iteratorINS9_10device_ptrIiEEEEPS5_jNS1_19radix_merge_compareILb1ELb1EiNS0_19identity_decomposerEEEEE10hipError_tT0_T1_T2_jT3_P12ihipStream_tbPNSt15iterator_traitsISK_E10value_typeEPNSQ_ISL_E10value_typeEPSM_NS1_7vsmem_tEENKUlT_SK_SL_SM_E_clIPiSE_SF_SF_EESJ_SZ_SK_SL_SM_EUlSZ_E1_NS1_11comp_targetILNS1_3genE10ELNS1_11target_archE1201ELNS1_3gpuE5ELNS1_3repE0EEENS1_36merge_oddeven_config_static_selectorELNS0_4arch9wavefront6targetE1EEEvSL_.num_vgpr, 0
	.set _ZN7rocprim17ROCPRIM_400000_NS6detail17trampoline_kernelINS0_14default_configENS1_38merge_sort_block_merge_config_selectorIiNS0_10empty_typeEEEZZNS1_27merge_sort_block_merge_implIS3_N6thrust23THRUST_200600_302600_NS6detail15normal_iteratorINS9_10device_ptrIiEEEEPS5_jNS1_19radix_merge_compareILb1ELb1EiNS0_19identity_decomposerEEEEE10hipError_tT0_T1_T2_jT3_P12ihipStream_tbPNSt15iterator_traitsISK_E10value_typeEPNSQ_ISL_E10value_typeEPSM_NS1_7vsmem_tEENKUlT_SK_SL_SM_E_clIPiSE_SF_SF_EESJ_SZ_SK_SL_SM_EUlSZ_E1_NS1_11comp_targetILNS1_3genE10ELNS1_11target_archE1201ELNS1_3gpuE5ELNS1_3repE0EEENS1_36merge_oddeven_config_static_selectorELNS0_4arch9wavefront6targetE1EEEvSL_.num_agpr, 0
	.set _ZN7rocprim17ROCPRIM_400000_NS6detail17trampoline_kernelINS0_14default_configENS1_38merge_sort_block_merge_config_selectorIiNS0_10empty_typeEEEZZNS1_27merge_sort_block_merge_implIS3_N6thrust23THRUST_200600_302600_NS6detail15normal_iteratorINS9_10device_ptrIiEEEEPS5_jNS1_19radix_merge_compareILb1ELb1EiNS0_19identity_decomposerEEEEE10hipError_tT0_T1_T2_jT3_P12ihipStream_tbPNSt15iterator_traitsISK_E10value_typeEPNSQ_ISL_E10value_typeEPSM_NS1_7vsmem_tEENKUlT_SK_SL_SM_E_clIPiSE_SF_SF_EESJ_SZ_SK_SL_SM_EUlSZ_E1_NS1_11comp_targetILNS1_3genE10ELNS1_11target_archE1201ELNS1_3gpuE5ELNS1_3repE0EEENS1_36merge_oddeven_config_static_selectorELNS0_4arch9wavefront6targetE1EEEvSL_.numbered_sgpr, 0
	.set _ZN7rocprim17ROCPRIM_400000_NS6detail17trampoline_kernelINS0_14default_configENS1_38merge_sort_block_merge_config_selectorIiNS0_10empty_typeEEEZZNS1_27merge_sort_block_merge_implIS3_N6thrust23THRUST_200600_302600_NS6detail15normal_iteratorINS9_10device_ptrIiEEEEPS5_jNS1_19radix_merge_compareILb1ELb1EiNS0_19identity_decomposerEEEEE10hipError_tT0_T1_T2_jT3_P12ihipStream_tbPNSt15iterator_traitsISK_E10value_typeEPNSQ_ISL_E10value_typeEPSM_NS1_7vsmem_tEENKUlT_SK_SL_SM_E_clIPiSE_SF_SF_EESJ_SZ_SK_SL_SM_EUlSZ_E1_NS1_11comp_targetILNS1_3genE10ELNS1_11target_archE1201ELNS1_3gpuE5ELNS1_3repE0EEENS1_36merge_oddeven_config_static_selectorELNS0_4arch9wavefront6targetE1EEEvSL_.num_named_barrier, 0
	.set _ZN7rocprim17ROCPRIM_400000_NS6detail17trampoline_kernelINS0_14default_configENS1_38merge_sort_block_merge_config_selectorIiNS0_10empty_typeEEEZZNS1_27merge_sort_block_merge_implIS3_N6thrust23THRUST_200600_302600_NS6detail15normal_iteratorINS9_10device_ptrIiEEEEPS5_jNS1_19radix_merge_compareILb1ELb1EiNS0_19identity_decomposerEEEEE10hipError_tT0_T1_T2_jT3_P12ihipStream_tbPNSt15iterator_traitsISK_E10value_typeEPNSQ_ISL_E10value_typeEPSM_NS1_7vsmem_tEENKUlT_SK_SL_SM_E_clIPiSE_SF_SF_EESJ_SZ_SK_SL_SM_EUlSZ_E1_NS1_11comp_targetILNS1_3genE10ELNS1_11target_archE1201ELNS1_3gpuE5ELNS1_3repE0EEENS1_36merge_oddeven_config_static_selectorELNS0_4arch9wavefront6targetE1EEEvSL_.private_seg_size, 0
	.set _ZN7rocprim17ROCPRIM_400000_NS6detail17trampoline_kernelINS0_14default_configENS1_38merge_sort_block_merge_config_selectorIiNS0_10empty_typeEEEZZNS1_27merge_sort_block_merge_implIS3_N6thrust23THRUST_200600_302600_NS6detail15normal_iteratorINS9_10device_ptrIiEEEEPS5_jNS1_19radix_merge_compareILb1ELb1EiNS0_19identity_decomposerEEEEE10hipError_tT0_T1_T2_jT3_P12ihipStream_tbPNSt15iterator_traitsISK_E10value_typeEPNSQ_ISL_E10value_typeEPSM_NS1_7vsmem_tEENKUlT_SK_SL_SM_E_clIPiSE_SF_SF_EESJ_SZ_SK_SL_SM_EUlSZ_E1_NS1_11comp_targetILNS1_3genE10ELNS1_11target_archE1201ELNS1_3gpuE5ELNS1_3repE0EEENS1_36merge_oddeven_config_static_selectorELNS0_4arch9wavefront6targetE1EEEvSL_.uses_vcc, 0
	.set _ZN7rocprim17ROCPRIM_400000_NS6detail17trampoline_kernelINS0_14default_configENS1_38merge_sort_block_merge_config_selectorIiNS0_10empty_typeEEEZZNS1_27merge_sort_block_merge_implIS3_N6thrust23THRUST_200600_302600_NS6detail15normal_iteratorINS9_10device_ptrIiEEEEPS5_jNS1_19radix_merge_compareILb1ELb1EiNS0_19identity_decomposerEEEEE10hipError_tT0_T1_T2_jT3_P12ihipStream_tbPNSt15iterator_traitsISK_E10value_typeEPNSQ_ISL_E10value_typeEPSM_NS1_7vsmem_tEENKUlT_SK_SL_SM_E_clIPiSE_SF_SF_EESJ_SZ_SK_SL_SM_EUlSZ_E1_NS1_11comp_targetILNS1_3genE10ELNS1_11target_archE1201ELNS1_3gpuE5ELNS1_3repE0EEENS1_36merge_oddeven_config_static_selectorELNS0_4arch9wavefront6targetE1EEEvSL_.uses_flat_scratch, 0
	.set _ZN7rocprim17ROCPRIM_400000_NS6detail17trampoline_kernelINS0_14default_configENS1_38merge_sort_block_merge_config_selectorIiNS0_10empty_typeEEEZZNS1_27merge_sort_block_merge_implIS3_N6thrust23THRUST_200600_302600_NS6detail15normal_iteratorINS9_10device_ptrIiEEEEPS5_jNS1_19radix_merge_compareILb1ELb1EiNS0_19identity_decomposerEEEEE10hipError_tT0_T1_T2_jT3_P12ihipStream_tbPNSt15iterator_traitsISK_E10value_typeEPNSQ_ISL_E10value_typeEPSM_NS1_7vsmem_tEENKUlT_SK_SL_SM_E_clIPiSE_SF_SF_EESJ_SZ_SK_SL_SM_EUlSZ_E1_NS1_11comp_targetILNS1_3genE10ELNS1_11target_archE1201ELNS1_3gpuE5ELNS1_3repE0EEENS1_36merge_oddeven_config_static_selectorELNS0_4arch9wavefront6targetE1EEEvSL_.has_dyn_sized_stack, 0
	.set _ZN7rocprim17ROCPRIM_400000_NS6detail17trampoline_kernelINS0_14default_configENS1_38merge_sort_block_merge_config_selectorIiNS0_10empty_typeEEEZZNS1_27merge_sort_block_merge_implIS3_N6thrust23THRUST_200600_302600_NS6detail15normal_iteratorINS9_10device_ptrIiEEEEPS5_jNS1_19radix_merge_compareILb1ELb1EiNS0_19identity_decomposerEEEEE10hipError_tT0_T1_T2_jT3_P12ihipStream_tbPNSt15iterator_traitsISK_E10value_typeEPNSQ_ISL_E10value_typeEPSM_NS1_7vsmem_tEENKUlT_SK_SL_SM_E_clIPiSE_SF_SF_EESJ_SZ_SK_SL_SM_EUlSZ_E1_NS1_11comp_targetILNS1_3genE10ELNS1_11target_archE1201ELNS1_3gpuE5ELNS1_3repE0EEENS1_36merge_oddeven_config_static_selectorELNS0_4arch9wavefront6targetE1EEEvSL_.has_recursion, 0
	.set _ZN7rocprim17ROCPRIM_400000_NS6detail17trampoline_kernelINS0_14default_configENS1_38merge_sort_block_merge_config_selectorIiNS0_10empty_typeEEEZZNS1_27merge_sort_block_merge_implIS3_N6thrust23THRUST_200600_302600_NS6detail15normal_iteratorINS9_10device_ptrIiEEEEPS5_jNS1_19radix_merge_compareILb1ELb1EiNS0_19identity_decomposerEEEEE10hipError_tT0_T1_T2_jT3_P12ihipStream_tbPNSt15iterator_traitsISK_E10value_typeEPNSQ_ISL_E10value_typeEPSM_NS1_7vsmem_tEENKUlT_SK_SL_SM_E_clIPiSE_SF_SF_EESJ_SZ_SK_SL_SM_EUlSZ_E1_NS1_11comp_targetILNS1_3genE10ELNS1_11target_archE1201ELNS1_3gpuE5ELNS1_3repE0EEENS1_36merge_oddeven_config_static_selectorELNS0_4arch9wavefront6targetE1EEEvSL_.has_indirect_call, 0
	.section	.AMDGPU.csdata,"",@progbits
; Kernel info:
; codeLenInByte = 0
; TotalNumSgprs: 6
; NumVgprs: 0
; NumAgprs: 0
; TotalNumVgprs: 0
; ScratchSize: 0
; MemoryBound: 0
; FloatMode: 240
; IeeeMode: 1
; LDSByteSize: 0 bytes/workgroup (compile time only)
; SGPRBlocks: 0
; VGPRBlocks: 0
; NumSGPRsForWavesPerEU: 6
; NumVGPRsForWavesPerEU: 1
; AccumOffset: 4
; Occupancy: 8
; WaveLimiterHint : 0
; COMPUTE_PGM_RSRC2:SCRATCH_EN: 0
; COMPUTE_PGM_RSRC2:USER_SGPR: 2
; COMPUTE_PGM_RSRC2:TRAP_HANDLER: 0
; COMPUTE_PGM_RSRC2:TGID_X_EN: 1
; COMPUTE_PGM_RSRC2:TGID_Y_EN: 0
; COMPUTE_PGM_RSRC2:TGID_Z_EN: 0
; COMPUTE_PGM_RSRC2:TIDIG_COMP_CNT: 0
; COMPUTE_PGM_RSRC3_GFX90A:ACCUM_OFFSET: 0
; COMPUTE_PGM_RSRC3_GFX90A:TG_SPLIT: 0
	.section	.text._ZN7rocprim17ROCPRIM_400000_NS6detail17trampoline_kernelINS0_14default_configENS1_38merge_sort_block_merge_config_selectorIiNS0_10empty_typeEEEZZNS1_27merge_sort_block_merge_implIS3_N6thrust23THRUST_200600_302600_NS6detail15normal_iteratorINS9_10device_ptrIiEEEEPS5_jNS1_19radix_merge_compareILb1ELb1EiNS0_19identity_decomposerEEEEE10hipError_tT0_T1_T2_jT3_P12ihipStream_tbPNSt15iterator_traitsISK_E10value_typeEPNSQ_ISL_E10value_typeEPSM_NS1_7vsmem_tEENKUlT_SK_SL_SM_E_clIPiSE_SF_SF_EESJ_SZ_SK_SL_SM_EUlSZ_E1_NS1_11comp_targetILNS1_3genE5ELNS1_11target_archE942ELNS1_3gpuE9ELNS1_3repE0EEENS1_36merge_oddeven_config_static_selectorELNS0_4arch9wavefront6targetE1EEEvSL_,"axG",@progbits,_ZN7rocprim17ROCPRIM_400000_NS6detail17trampoline_kernelINS0_14default_configENS1_38merge_sort_block_merge_config_selectorIiNS0_10empty_typeEEEZZNS1_27merge_sort_block_merge_implIS3_N6thrust23THRUST_200600_302600_NS6detail15normal_iteratorINS9_10device_ptrIiEEEEPS5_jNS1_19radix_merge_compareILb1ELb1EiNS0_19identity_decomposerEEEEE10hipError_tT0_T1_T2_jT3_P12ihipStream_tbPNSt15iterator_traitsISK_E10value_typeEPNSQ_ISL_E10value_typeEPSM_NS1_7vsmem_tEENKUlT_SK_SL_SM_E_clIPiSE_SF_SF_EESJ_SZ_SK_SL_SM_EUlSZ_E1_NS1_11comp_targetILNS1_3genE5ELNS1_11target_archE942ELNS1_3gpuE9ELNS1_3repE0EEENS1_36merge_oddeven_config_static_selectorELNS0_4arch9wavefront6targetE1EEEvSL_,comdat
	.protected	_ZN7rocprim17ROCPRIM_400000_NS6detail17trampoline_kernelINS0_14default_configENS1_38merge_sort_block_merge_config_selectorIiNS0_10empty_typeEEEZZNS1_27merge_sort_block_merge_implIS3_N6thrust23THRUST_200600_302600_NS6detail15normal_iteratorINS9_10device_ptrIiEEEEPS5_jNS1_19radix_merge_compareILb1ELb1EiNS0_19identity_decomposerEEEEE10hipError_tT0_T1_T2_jT3_P12ihipStream_tbPNSt15iterator_traitsISK_E10value_typeEPNSQ_ISL_E10value_typeEPSM_NS1_7vsmem_tEENKUlT_SK_SL_SM_E_clIPiSE_SF_SF_EESJ_SZ_SK_SL_SM_EUlSZ_E1_NS1_11comp_targetILNS1_3genE5ELNS1_11target_archE942ELNS1_3gpuE9ELNS1_3repE0EEENS1_36merge_oddeven_config_static_selectorELNS0_4arch9wavefront6targetE1EEEvSL_ ; -- Begin function _ZN7rocprim17ROCPRIM_400000_NS6detail17trampoline_kernelINS0_14default_configENS1_38merge_sort_block_merge_config_selectorIiNS0_10empty_typeEEEZZNS1_27merge_sort_block_merge_implIS3_N6thrust23THRUST_200600_302600_NS6detail15normal_iteratorINS9_10device_ptrIiEEEEPS5_jNS1_19radix_merge_compareILb1ELb1EiNS0_19identity_decomposerEEEEE10hipError_tT0_T1_T2_jT3_P12ihipStream_tbPNSt15iterator_traitsISK_E10value_typeEPNSQ_ISL_E10value_typeEPSM_NS1_7vsmem_tEENKUlT_SK_SL_SM_E_clIPiSE_SF_SF_EESJ_SZ_SK_SL_SM_EUlSZ_E1_NS1_11comp_targetILNS1_3genE5ELNS1_11target_archE942ELNS1_3gpuE9ELNS1_3repE0EEENS1_36merge_oddeven_config_static_selectorELNS0_4arch9wavefront6targetE1EEEvSL_
	.globl	_ZN7rocprim17ROCPRIM_400000_NS6detail17trampoline_kernelINS0_14default_configENS1_38merge_sort_block_merge_config_selectorIiNS0_10empty_typeEEEZZNS1_27merge_sort_block_merge_implIS3_N6thrust23THRUST_200600_302600_NS6detail15normal_iteratorINS9_10device_ptrIiEEEEPS5_jNS1_19radix_merge_compareILb1ELb1EiNS0_19identity_decomposerEEEEE10hipError_tT0_T1_T2_jT3_P12ihipStream_tbPNSt15iterator_traitsISK_E10value_typeEPNSQ_ISL_E10value_typeEPSM_NS1_7vsmem_tEENKUlT_SK_SL_SM_E_clIPiSE_SF_SF_EESJ_SZ_SK_SL_SM_EUlSZ_E1_NS1_11comp_targetILNS1_3genE5ELNS1_11target_archE942ELNS1_3gpuE9ELNS1_3repE0EEENS1_36merge_oddeven_config_static_selectorELNS0_4arch9wavefront6targetE1EEEvSL_
	.p2align	8
	.type	_ZN7rocprim17ROCPRIM_400000_NS6detail17trampoline_kernelINS0_14default_configENS1_38merge_sort_block_merge_config_selectorIiNS0_10empty_typeEEEZZNS1_27merge_sort_block_merge_implIS3_N6thrust23THRUST_200600_302600_NS6detail15normal_iteratorINS9_10device_ptrIiEEEEPS5_jNS1_19radix_merge_compareILb1ELb1EiNS0_19identity_decomposerEEEEE10hipError_tT0_T1_T2_jT3_P12ihipStream_tbPNSt15iterator_traitsISK_E10value_typeEPNSQ_ISL_E10value_typeEPSM_NS1_7vsmem_tEENKUlT_SK_SL_SM_E_clIPiSE_SF_SF_EESJ_SZ_SK_SL_SM_EUlSZ_E1_NS1_11comp_targetILNS1_3genE5ELNS1_11target_archE942ELNS1_3gpuE9ELNS1_3repE0EEENS1_36merge_oddeven_config_static_selectorELNS0_4arch9wavefront6targetE1EEEvSL_,@function
_ZN7rocprim17ROCPRIM_400000_NS6detail17trampoline_kernelINS0_14default_configENS1_38merge_sort_block_merge_config_selectorIiNS0_10empty_typeEEEZZNS1_27merge_sort_block_merge_implIS3_N6thrust23THRUST_200600_302600_NS6detail15normal_iteratorINS9_10device_ptrIiEEEEPS5_jNS1_19radix_merge_compareILb1ELb1EiNS0_19identity_decomposerEEEEE10hipError_tT0_T1_T2_jT3_P12ihipStream_tbPNSt15iterator_traitsISK_E10value_typeEPNSQ_ISL_E10value_typeEPSM_NS1_7vsmem_tEENKUlT_SK_SL_SM_E_clIPiSE_SF_SF_EESJ_SZ_SK_SL_SM_EUlSZ_E1_NS1_11comp_targetILNS1_3genE5ELNS1_11target_archE942ELNS1_3gpuE9ELNS1_3repE0EEENS1_36merge_oddeven_config_static_selectorELNS0_4arch9wavefront6targetE1EEEvSL_: ; @_ZN7rocprim17ROCPRIM_400000_NS6detail17trampoline_kernelINS0_14default_configENS1_38merge_sort_block_merge_config_selectorIiNS0_10empty_typeEEEZZNS1_27merge_sort_block_merge_implIS3_N6thrust23THRUST_200600_302600_NS6detail15normal_iteratorINS9_10device_ptrIiEEEEPS5_jNS1_19radix_merge_compareILb1ELb1EiNS0_19identity_decomposerEEEEE10hipError_tT0_T1_T2_jT3_P12ihipStream_tbPNSt15iterator_traitsISK_E10value_typeEPNSQ_ISL_E10value_typeEPSM_NS1_7vsmem_tEENKUlT_SK_SL_SM_E_clIPiSE_SF_SF_EESJ_SZ_SK_SL_SM_EUlSZ_E1_NS1_11comp_targetILNS1_3genE5ELNS1_11target_archE942ELNS1_3gpuE9ELNS1_3repE0EEENS1_36merge_oddeven_config_static_selectorELNS0_4arch9wavefront6targetE1EEEvSL_
; %bb.0:
	.section	.rodata,"a",@progbits
	.p2align	6, 0x0
	.amdhsa_kernel _ZN7rocprim17ROCPRIM_400000_NS6detail17trampoline_kernelINS0_14default_configENS1_38merge_sort_block_merge_config_selectorIiNS0_10empty_typeEEEZZNS1_27merge_sort_block_merge_implIS3_N6thrust23THRUST_200600_302600_NS6detail15normal_iteratorINS9_10device_ptrIiEEEEPS5_jNS1_19radix_merge_compareILb1ELb1EiNS0_19identity_decomposerEEEEE10hipError_tT0_T1_T2_jT3_P12ihipStream_tbPNSt15iterator_traitsISK_E10value_typeEPNSQ_ISL_E10value_typeEPSM_NS1_7vsmem_tEENKUlT_SK_SL_SM_E_clIPiSE_SF_SF_EESJ_SZ_SK_SL_SM_EUlSZ_E1_NS1_11comp_targetILNS1_3genE5ELNS1_11target_archE942ELNS1_3gpuE9ELNS1_3repE0EEENS1_36merge_oddeven_config_static_selectorELNS0_4arch9wavefront6targetE1EEEvSL_
		.amdhsa_group_segment_fixed_size 0
		.amdhsa_private_segment_fixed_size 0
		.amdhsa_kernarg_size 48
		.amdhsa_user_sgpr_count 2
		.amdhsa_user_sgpr_dispatch_ptr 0
		.amdhsa_user_sgpr_queue_ptr 0
		.amdhsa_user_sgpr_kernarg_segment_ptr 1
		.amdhsa_user_sgpr_dispatch_id 0
		.amdhsa_user_sgpr_kernarg_preload_length 0
		.amdhsa_user_sgpr_kernarg_preload_offset 0
		.amdhsa_user_sgpr_private_segment_size 0
		.amdhsa_uses_dynamic_stack 0
		.amdhsa_enable_private_segment 0
		.amdhsa_system_sgpr_workgroup_id_x 1
		.amdhsa_system_sgpr_workgroup_id_y 0
		.amdhsa_system_sgpr_workgroup_id_z 0
		.amdhsa_system_sgpr_workgroup_info 0
		.amdhsa_system_vgpr_workitem_id 0
		.amdhsa_next_free_vgpr 1
		.amdhsa_next_free_sgpr 0
		.amdhsa_accum_offset 4
		.amdhsa_reserve_vcc 0
		.amdhsa_float_round_mode_32 0
		.amdhsa_float_round_mode_16_64 0
		.amdhsa_float_denorm_mode_32 3
		.amdhsa_float_denorm_mode_16_64 3
		.amdhsa_dx10_clamp 1
		.amdhsa_ieee_mode 1
		.amdhsa_fp16_overflow 0
		.amdhsa_tg_split 0
		.amdhsa_exception_fp_ieee_invalid_op 0
		.amdhsa_exception_fp_denorm_src 0
		.amdhsa_exception_fp_ieee_div_zero 0
		.amdhsa_exception_fp_ieee_overflow 0
		.amdhsa_exception_fp_ieee_underflow 0
		.amdhsa_exception_fp_ieee_inexact 0
		.amdhsa_exception_int_div_zero 0
	.end_amdhsa_kernel
	.section	.text._ZN7rocprim17ROCPRIM_400000_NS6detail17trampoline_kernelINS0_14default_configENS1_38merge_sort_block_merge_config_selectorIiNS0_10empty_typeEEEZZNS1_27merge_sort_block_merge_implIS3_N6thrust23THRUST_200600_302600_NS6detail15normal_iteratorINS9_10device_ptrIiEEEEPS5_jNS1_19radix_merge_compareILb1ELb1EiNS0_19identity_decomposerEEEEE10hipError_tT0_T1_T2_jT3_P12ihipStream_tbPNSt15iterator_traitsISK_E10value_typeEPNSQ_ISL_E10value_typeEPSM_NS1_7vsmem_tEENKUlT_SK_SL_SM_E_clIPiSE_SF_SF_EESJ_SZ_SK_SL_SM_EUlSZ_E1_NS1_11comp_targetILNS1_3genE5ELNS1_11target_archE942ELNS1_3gpuE9ELNS1_3repE0EEENS1_36merge_oddeven_config_static_selectorELNS0_4arch9wavefront6targetE1EEEvSL_,"axG",@progbits,_ZN7rocprim17ROCPRIM_400000_NS6detail17trampoline_kernelINS0_14default_configENS1_38merge_sort_block_merge_config_selectorIiNS0_10empty_typeEEEZZNS1_27merge_sort_block_merge_implIS3_N6thrust23THRUST_200600_302600_NS6detail15normal_iteratorINS9_10device_ptrIiEEEEPS5_jNS1_19radix_merge_compareILb1ELb1EiNS0_19identity_decomposerEEEEE10hipError_tT0_T1_T2_jT3_P12ihipStream_tbPNSt15iterator_traitsISK_E10value_typeEPNSQ_ISL_E10value_typeEPSM_NS1_7vsmem_tEENKUlT_SK_SL_SM_E_clIPiSE_SF_SF_EESJ_SZ_SK_SL_SM_EUlSZ_E1_NS1_11comp_targetILNS1_3genE5ELNS1_11target_archE942ELNS1_3gpuE9ELNS1_3repE0EEENS1_36merge_oddeven_config_static_selectorELNS0_4arch9wavefront6targetE1EEEvSL_,comdat
.Lfunc_end288:
	.size	_ZN7rocprim17ROCPRIM_400000_NS6detail17trampoline_kernelINS0_14default_configENS1_38merge_sort_block_merge_config_selectorIiNS0_10empty_typeEEEZZNS1_27merge_sort_block_merge_implIS3_N6thrust23THRUST_200600_302600_NS6detail15normal_iteratorINS9_10device_ptrIiEEEEPS5_jNS1_19radix_merge_compareILb1ELb1EiNS0_19identity_decomposerEEEEE10hipError_tT0_T1_T2_jT3_P12ihipStream_tbPNSt15iterator_traitsISK_E10value_typeEPNSQ_ISL_E10value_typeEPSM_NS1_7vsmem_tEENKUlT_SK_SL_SM_E_clIPiSE_SF_SF_EESJ_SZ_SK_SL_SM_EUlSZ_E1_NS1_11comp_targetILNS1_3genE5ELNS1_11target_archE942ELNS1_3gpuE9ELNS1_3repE0EEENS1_36merge_oddeven_config_static_selectorELNS0_4arch9wavefront6targetE1EEEvSL_, .Lfunc_end288-_ZN7rocprim17ROCPRIM_400000_NS6detail17trampoline_kernelINS0_14default_configENS1_38merge_sort_block_merge_config_selectorIiNS0_10empty_typeEEEZZNS1_27merge_sort_block_merge_implIS3_N6thrust23THRUST_200600_302600_NS6detail15normal_iteratorINS9_10device_ptrIiEEEEPS5_jNS1_19radix_merge_compareILb1ELb1EiNS0_19identity_decomposerEEEEE10hipError_tT0_T1_T2_jT3_P12ihipStream_tbPNSt15iterator_traitsISK_E10value_typeEPNSQ_ISL_E10value_typeEPSM_NS1_7vsmem_tEENKUlT_SK_SL_SM_E_clIPiSE_SF_SF_EESJ_SZ_SK_SL_SM_EUlSZ_E1_NS1_11comp_targetILNS1_3genE5ELNS1_11target_archE942ELNS1_3gpuE9ELNS1_3repE0EEENS1_36merge_oddeven_config_static_selectorELNS0_4arch9wavefront6targetE1EEEvSL_
                                        ; -- End function
	.set _ZN7rocprim17ROCPRIM_400000_NS6detail17trampoline_kernelINS0_14default_configENS1_38merge_sort_block_merge_config_selectorIiNS0_10empty_typeEEEZZNS1_27merge_sort_block_merge_implIS3_N6thrust23THRUST_200600_302600_NS6detail15normal_iteratorINS9_10device_ptrIiEEEEPS5_jNS1_19radix_merge_compareILb1ELb1EiNS0_19identity_decomposerEEEEE10hipError_tT0_T1_T2_jT3_P12ihipStream_tbPNSt15iterator_traitsISK_E10value_typeEPNSQ_ISL_E10value_typeEPSM_NS1_7vsmem_tEENKUlT_SK_SL_SM_E_clIPiSE_SF_SF_EESJ_SZ_SK_SL_SM_EUlSZ_E1_NS1_11comp_targetILNS1_3genE5ELNS1_11target_archE942ELNS1_3gpuE9ELNS1_3repE0EEENS1_36merge_oddeven_config_static_selectorELNS0_4arch9wavefront6targetE1EEEvSL_.num_vgpr, 0
	.set _ZN7rocprim17ROCPRIM_400000_NS6detail17trampoline_kernelINS0_14default_configENS1_38merge_sort_block_merge_config_selectorIiNS0_10empty_typeEEEZZNS1_27merge_sort_block_merge_implIS3_N6thrust23THRUST_200600_302600_NS6detail15normal_iteratorINS9_10device_ptrIiEEEEPS5_jNS1_19radix_merge_compareILb1ELb1EiNS0_19identity_decomposerEEEEE10hipError_tT0_T1_T2_jT3_P12ihipStream_tbPNSt15iterator_traitsISK_E10value_typeEPNSQ_ISL_E10value_typeEPSM_NS1_7vsmem_tEENKUlT_SK_SL_SM_E_clIPiSE_SF_SF_EESJ_SZ_SK_SL_SM_EUlSZ_E1_NS1_11comp_targetILNS1_3genE5ELNS1_11target_archE942ELNS1_3gpuE9ELNS1_3repE0EEENS1_36merge_oddeven_config_static_selectorELNS0_4arch9wavefront6targetE1EEEvSL_.num_agpr, 0
	.set _ZN7rocprim17ROCPRIM_400000_NS6detail17trampoline_kernelINS0_14default_configENS1_38merge_sort_block_merge_config_selectorIiNS0_10empty_typeEEEZZNS1_27merge_sort_block_merge_implIS3_N6thrust23THRUST_200600_302600_NS6detail15normal_iteratorINS9_10device_ptrIiEEEEPS5_jNS1_19radix_merge_compareILb1ELb1EiNS0_19identity_decomposerEEEEE10hipError_tT0_T1_T2_jT3_P12ihipStream_tbPNSt15iterator_traitsISK_E10value_typeEPNSQ_ISL_E10value_typeEPSM_NS1_7vsmem_tEENKUlT_SK_SL_SM_E_clIPiSE_SF_SF_EESJ_SZ_SK_SL_SM_EUlSZ_E1_NS1_11comp_targetILNS1_3genE5ELNS1_11target_archE942ELNS1_3gpuE9ELNS1_3repE0EEENS1_36merge_oddeven_config_static_selectorELNS0_4arch9wavefront6targetE1EEEvSL_.numbered_sgpr, 0
	.set _ZN7rocprim17ROCPRIM_400000_NS6detail17trampoline_kernelINS0_14default_configENS1_38merge_sort_block_merge_config_selectorIiNS0_10empty_typeEEEZZNS1_27merge_sort_block_merge_implIS3_N6thrust23THRUST_200600_302600_NS6detail15normal_iteratorINS9_10device_ptrIiEEEEPS5_jNS1_19radix_merge_compareILb1ELb1EiNS0_19identity_decomposerEEEEE10hipError_tT0_T1_T2_jT3_P12ihipStream_tbPNSt15iterator_traitsISK_E10value_typeEPNSQ_ISL_E10value_typeEPSM_NS1_7vsmem_tEENKUlT_SK_SL_SM_E_clIPiSE_SF_SF_EESJ_SZ_SK_SL_SM_EUlSZ_E1_NS1_11comp_targetILNS1_3genE5ELNS1_11target_archE942ELNS1_3gpuE9ELNS1_3repE0EEENS1_36merge_oddeven_config_static_selectorELNS0_4arch9wavefront6targetE1EEEvSL_.num_named_barrier, 0
	.set _ZN7rocprim17ROCPRIM_400000_NS6detail17trampoline_kernelINS0_14default_configENS1_38merge_sort_block_merge_config_selectorIiNS0_10empty_typeEEEZZNS1_27merge_sort_block_merge_implIS3_N6thrust23THRUST_200600_302600_NS6detail15normal_iteratorINS9_10device_ptrIiEEEEPS5_jNS1_19radix_merge_compareILb1ELb1EiNS0_19identity_decomposerEEEEE10hipError_tT0_T1_T2_jT3_P12ihipStream_tbPNSt15iterator_traitsISK_E10value_typeEPNSQ_ISL_E10value_typeEPSM_NS1_7vsmem_tEENKUlT_SK_SL_SM_E_clIPiSE_SF_SF_EESJ_SZ_SK_SL_SM_EUlSZ_E1_NS1_11comp_targetILNS1_3genE5ELNS1_11target_archE942ELNS1_3gpuE9ELNS1_3repE0EEENS1_36merge_oddeven_config_static_selectorELNS0_4arch9wavefront6targetE1EEEvSL_.private_seg_size, 0
	.set _ZN7rocprim17ROCPRIM_400000_NS6detail17trampoline_kernelINS0_14default_configENS1_38merge_sort_block_merge_config_selectorIiNS0_10empty_typeEEEZZNS1_27merge_sort_block_merge_implIS3_N6thrust23THRUST_200600_302600_NS6detail15normal_iteratorINS9_10device_ptrIiEEEEPS5_jNS1_19radix_merge_compareILb1ELb1EiNS0_19identity_decomposerEEEEE10hipError_tT0_T1_T2_jT3_P12ihipStream_tbPNSt15iterator_traitsISK_E10value_typeEPNSQ_ISL_E10value_typeEPSM_NS1_7vsmem_tEENKUlT_SK_SL_SM_E_clIPiSE_SF_SF_EESJ_SZ_SK_SL_SM_EUlSZ_E1_NS1_11comp_targetILNS1_3genE5ELNS1_11target_archE942ELNS1_3gpuE9ELNS1_3repE0EEENS1_36merge_oddeven_config_static_selectorELNS0_4arch9wavefront6targetE1EEEvSL_.uses_vcc, 0
	.set _ZN7rocprim17ROCPRIM_400000_NS6detail17trampoline_kernelINS0_14default_configENS1_38merge_sort_block_merge_config_selectorIiNS0_10empty_typeEEEZZNS1_27merge_sort_block_merge_implIS3_N6thrust23THRUST_200600_302600_NS6detail15normal_iteratorINS9_10device_ptrIiEEEEPS5_jNS1_19radix_merge_compareILb1ELb1EiNS0_19identity_decomposerEEEEE10hipError_tT0_T1_T2_jT3_P12ihipStream_tbPNSt15iterator_traitsISK_E10value_typeEPNSQ_ISL_E10value_typeEPSM_NS1_7vsmem_tEENKUlT_SK_SL_SM_E_clIPiSE_SF_SF_EESJ_SZ_SK_SL_SM_EUlSZ_E1_NS1_11comp_targetILNS1_3genE5ELNS1_11target_archE942ELNS1_3gpuE9ELNS1_3repE0EEENS1_36merge_oddeven_config_static_selectorELNS0_4arch9wavefront6targetE1EEEvSL_.uses_flat_scratch, 0
	.set _ZN7rocprim17ROCPRIM_400000_NS6detail17trampoline_kernelINS0_14default_configENS1_38merge_sort_block_merge_config_selectorIiNS0_10empty_typeEEEZZNS1_27merge_sort_block_merge_implIS3_N6thrust23THRUST_200600_302600_NS6detail15normal_iteratorINS9_10device_ptrIiEEEEPS5_jNS1_19radix_merge_compareILb1ELb1EiNS0_19identity_decomposerEEEEE10hipError_tT0_T1_T2_jT3_P12ihipStream_tbPNSt15iterator_traitsISK_E10value_typeEPNSQ_ISL_E10value_typeEPSM_NS1_7vsmem_tEENKUlT_SK_SL_SM_E_clIPiSE_SF_SF_EESJ_SZ_SK_SL_SM_EUlSZ_E1_NS1_11comp_targetILNS1_3genE5ELNS1_11target_archE942ELNS1_3gpuE9ELNS1_3repE0EEENS1_36merge_oddeven_config_static_selectorELNS0_4arch9wavefront6targetE1EEEvSL_.has_dyn_sized_stack, 0
	.set _ZN7rocprim17ROCPRIM_400000_NS6detail17trampoline_kernelINS0_14default_configENS1_38merge_sort_block_merge_config_selectorIiNS0_10empty_typeEEEZZNS1_27merge_sort_block_merge_implIS3_N6thrust23THRUST_200600_302600_NS6detail15normal_iteratorINS9_10device_ptrIiEEEEPS5_jNS1_19radix_merge_compareILb1ELb1EiNS0_19identity_decomposerEEEEE10hipError_tT0_T1_T2_jT3_P12ihipStream_tbPNSt15iterator_traitsISK_E10value_typeEPNSQ_ISL_E10value_typeEPSM_NS1_7vsmem_tEENKUlT_SK_SL_SM_E_clIPiSE_SF_SF_EESJ_SZ_SK_SL_SM_EUlSZ_E1_NS1_11comp_targetILNS1_3genE5ELNS1_11target_archE942ELNS1_3gpuE9ELNS1_3repE0EEENS1_36merge_oddeven_config_static_selectorELNS0_4arch9wavefront6targetE1EEEvSL_.has_recursion, 0
	.set _ZN7rocprim17ROCPRIM_400000_NS6detail17trampoline_kernelINS0_14default_configENS1_38merge_sort_block_merge_config_selectorIiNS0_10empty_typeEEEZZNS1_27merge_sort_block_merge_implIS3_N6thrust23THRUST_200600_302600_NS6detail15normal_iteratorINS9_10device_ptrIiEEEEPS5_jNS1_19radix_merge_compareILb1ELb1EiNS0_19identity_decomposerEEEEE10hipError_tT0_T1_T2_jT3_P12ihipStream_tbPNSt15iterator_traitsISK_E10value_typeEPNSQ_ISL_E10value_typeEPSM_NS1_7vsmem_tEENKUlT_SK_SL_SM_E_clIPiSE_SF_SF_EESJ_SZ_SK_SL_SM_EUlSZ_E1_NS1_11comp_targetILNS1_3genE5ELNS1_11target_archE942ELNS1_3gpuE9ELNS1_3repE0EEENS1_36merge_oddeven_config_static_selectorELNS0_4arch9wavefront6targetE1EEEvSL_.has_indirect_call, 0
	.section	.AMDGPU.csdata,"",@progbits
; Kernel info:
; codeLenInByte = 0
; TotalNumSgprs: 6
; NumVgprs: 0
; NumAgprs: 0
; TotalNumVgprs: 0
; ScratchSize: 0
; MemoryBound: 0
; FloatMode: 240
; IeeeMode: 1
; LDSByteSize: 0 bytes/workgroup (compile time only)
; SGPRBlocks: 0
; VGPRBlocks: 0
; NumSGPRsForWavesPerEU: 6
; NumVGPRsForWavesPerEU: 1
; AccumOffset: 4
; Occupancy: 8
; WaveLimiterHint : 0
; COMPUTE_PGM_RSRC2:SCRATCH_EN: 0
; COMPUTE_PGM_RSRC2:USER_SGPR: 2
; COMPUTE_PGM_RSRC2:TRAP_HANDLER: 0
; COMPUTE_PGM_RSRC2:TGID_X_EN: 1
; COMPUTE_PGM_RSRC2:TGID_Y_EN: 0
; COMPUTE_PGM_RSRC2:TGID_Z_EN: 0
; COMPUTE_PGM_RSRC2:TIDIG_COMP_CNT: 0
; COMPUTE_PGM_RSRC3_GFX90A:ACCUM_OFFSET: 0
; COMPUTE_PGM_RSRC3_GFX90A:TG_SPLIT: 0
	.section	.text._ZN7rocprim17ROCPRIM_400000_NS6detail17trampoline_kernelINS0_14default_configENS1_38merge_sort_block_merge_config_selectorIiNS0_10empty_typeEEEZZNS1_27merge_sort_block_merge_implIS3_N6thrust23THRUST_200600_302600_NS6detail15normal_iteratorINS9_10device_ptrIiEEEEPS5_jNS1_19radix_merge_compareILb1ELb1EiNS0_19identity_decomposerEEEEE10hipError_tT0_T1_T2_jT3_P12ihipStream_tbPNSt15iterator_traitsISK_E10value_typeEPNSQ_ISL_E10value_typeEPSM_NS1_7vsmem_tEENKUlT_SK_SL_SM_E_clIPiSE_SF_SF_EESJ_SZ_SK_SL_SM_EUlSZ_E1_NS1_11comp_targetILNS1_3genE4ELNS1_11target_archE910ELNS1_3gpuE8ELNS1_3repE0EEENS1_36merge_oddeven_config_static_selectorELNS0_4arch9wavefront6targetE1EEEvSL_,"axG",@progbits,_ZN7rocprim17ROCPRIM_400000_NS6detail17trampoline_kernelINS0_14default_configENS1_38merge_sort_block_merge_config_selectorIiNS0_10empty_typeEEEZZNS1_27merge_sort_block_merge_implIS3_N6thrust23THRUST_200600_302600_NS6detail15normal_iteratorINS9_10device_ptrIiEEEEPS5_jNS1_19radix_merge_compareILb1ELb1EiNS0_19identity_decomposerEEEEE10hipError_tT0_T1_T2_jT3_P12ihipStream_tbPNSt15iterator_traitsISK_E10value_typeEPNSQ_ISL_E10value_typeEPSM_NS1_7vsmem_tEENKUlT_SK_SL_SM_E_clIPiSE_SF_SF_EESJ_SZ_SK_SL_SM_EUlSZ_E1_NS1_11comp_targetILNS1_3genE4ELNS1_11target_archE910ELNS1_3gpuE8ELNS1_3repE0EEENS1_36merge_oddeven_config_static_selectorELNS0_4arch9wavefront6targetE1EEEvSL_,comdat
	.protected	_ZN7rocprim17ROCPRIM_400000_NS6detail17trampoline_kernelINS0_14default_configENS1_38merge_sort_block_merge_config_selectorIiNS0_10empty_typeEEEZZNS1_27merge_sort_block_merge_implIS3_N6thrust23THRUST_200600_302600_NS6detail15normal_iteratorINS9_10device_ptrIiEEEEPS5_jNS1_19radix_merge_compareILb1ELb1EiNS0_19identity_decomposerEEEEE10hipError_tT0_T1_T2_jT3_P12ihipStream_tbPNSt15iterator_traitsISK_E10value_typeEPNSQ_ISL_E10value_typeEPSM_NS1_7vsmem_tEENKUlT_SK_SL_SM_E_clIPiSE_SF_SF_EESJ_SZ_SK_SL_SM_EUlSZ_E1_NS1_11comp_targetILNS1_3genE4ELNS1_11target_archE910ELNS1_3gpuE8ELNS1_3repE0EEENS1_36merge_oddeven_config_static_selectorELNS0_4arch9wavefront6targetE1EEEvSL_ ; -- Begin function _ZN7rocprim17ROCPRIM_400000_NS6detail17trampoline_kernelINS0_14default_configENS1_38merge_sort_block_merge_config_selectorIiNS0_10empty_typeEEEZZNS1_27merge_sort_block_merge_implIS3_N6thrust23THRUST_200600_302600_NS6detail15normal_iteratorINS9_10device_ptrIiEEEEPS5_jNS1_19radix_merge_compareILb1ELb1EiNS0_19identity_decomposerEEEEE10hipError_tT0_T1_T2_jT3_P12ihipStream_tbPNSt15iterator_traitsISK_E10value_typeEPNSQ_ISL_E10value_typeEPSM_NS1_7vsmem_tEENKUlT_SK_SL_SM_E_clIPiSE_SF_SF_EESJ_SZ_SK_SL_SM_EUlSZ_E1_NS1_11comp_targetILNS1_3genE4ELNS1_11target_archE910ELNS1_3gpuE8ELNS1_3repE0EEENS1_36merge_oddeven_config_static_selectorELNS0_4arch9wavefront6targetE1EEEvSL_
	.globl	_ZN7rocprim17ROCPRIM_400000_NS6detail17trampoline_kernelINS0_14default_configENS1_38merge_sort_block_merge_config_selectorIiNS0_10empty_typeEEEZZNS1_27merge_sort_block_merge_implIS3_N6thrust23THRUST_200600_302600_NS6detail15normal_iteratorINS9_10device_ptrIiEEEEPS5_jNS1_19radix_merge_compareILb1ELb1EiNS0_19identity_decomposerEEEEE10hipError_tT0_T1_T2_jT3_P12ihipStream_tbPNSt15iterator_traitsISK_E10value_typeEPNSQ_ISL_E10value_typeEPSM_NS1_7vsmem_tEENKUlT_SK_SL_SM_E_clIPiSE_SF_SF_EESJ_SZ_SK_SL_SM_EUlSZ_E1_NS1_11comp_targetILNS1_3genE4ELNS1_11target_archE910ELNS1_3gpuE8ELNS1_3repE0EEENS1_36merge_oddeven_config_static_selectorELNS0_4arch9wavefront6targetE1EEEvSL_
	.p2align	8
	.type	_ZN7rocprim17ROCPRIM_400000_NS6detail17trampoline_kernelINS0_14default_configENS1_38merge_sort_block_merge_config_selectorIiNS0_10empty_typeEEEZZNS1_27merge_sort_block_merge_implIS3_N6thrust23THRUST_200600_302600_NS6detail15normal_iteratorINS9_10device_ptrIiEEEEPS5_jNS1_19radix_merge_compareILb1ELb1EiNS0_19identity_decomposerEEEEE10hipError_tT0_T1_T2_jT3_P12ihipStream_tbPNSt15iterator_traitsISK_E10value_typeEPNSQ_ISL_E10value_typeEPSM_NS1_7vsmem_tEENKUlT_SK_SL_SM_E_clIPiSE_SF_SF_EESJ_SZ_SK_SL_SM_EUlSZ_E1_NS1_11comp_targetILNS1_3genE4ELNS1_11target_archE910ELNS1_3gpuE8ELNS1_3repE0EEENS1_36merge_oddeven_config_static_selectorELNS0_4arch9wavefront6targetE1EEEvSL_,@function
_ZN7rocprim17ROCPRIM_400000_NS6detail17trampoline_kernelINS0_14default_configENS1_38merge_sort_block_merge_config_selectorIiNS0_10empty_typeEEEZZNS1_27merge_sort_block_merge_implIS3_N6thrust23THRUST_200600_302600_NS6detail15normal_iteratorINS9_10device_ptrIiEEEEPS5_jNS1_19radix_merge_compareILb1ELb1EiNS0_19identity_decomposerEEEEE10hipError_tT0_T1_T2_jT3_P12ihipStream_tbPNSt15iterator_traitsISK_E10value_typeEPNSQ_ISL_E10value_typeEPSM_NS1_7vsmem_tEENKUlT_SK_SL_SM_E_clIPiSE_SF_SF_EESJ_SZ_SK_SL_SM_EUlSZ_E1_NS1_11comp_targetILNS1_3genE4ELNS1_11target_archE910ELNS1_3gpuE8ELNS1_3repE0EEENS1_36merge_oddeven_config_static_selectorELNS0_4arch9wavefront6targetE1EEEvSL_: ; @_ZN7rocprim17ROCPRIM_400000_NS6detail17trampoline_kernelINS0_14default_configENS1_38merge_sort_block_merge_config_selectorIiNS0_10empty_typeEEEZZNS1_27merge_sort_block_merge_implIS3_N6thrust23THRUST_200600_302600_NS6detail15normal_iteratorINS9_10device_ptrIiEEEEPS5_jNS1_19radix_merge_compareILb1ELb1EiNS0_19identity_decomposerEEEEE10hipError_tT0_T1_T2_jT3_P12ihipStream_tbPNSt15iterator_traitsISK_E10value_typeEPNSQ_ISL_E10value_typeEPSM_NS1_7vsmem_tEENKUlT_SK_SL_SM_E_clIPiSE_SF_SF_EESJ_SZ_SK_SL_SM_EUlSZ_E1_NS1_11comp_targetILNS1_3genE4ELNS1_11target_archE910ELNS1_3gpuE8ELNS1_3repE0EEENS1_36merge_oddeven_config_static_selectorELNS0_4arch9wavefront6targetE1EEEvSL_
; %bb.0:
	.section	.rodata,"a",@progbits
	.p2align	6, 0x0
	.amdhsa_kernel _ZN7rocprim17ROCPRIM_400000_NS6detail17trampoline_kernelINS0_14default_configENS1_38merge_sort_block_merge_config_selectorIiNS0_10empty_typeEEEZZNS1_27merge_sort_block_merge_implIS3_N6thrust23THRUST_200600_302600_NS6detail15normal_iteratorINS9_10device_ptrIiEEEEPS5_jNS1_19radix_merge_compareILb1ELb1EiNS0_19identity_decomposerEEEEE10hipError_tT0_T1_T2_jT3_P12ihipStream_tbPNSt15iterator_traitsISK_E10value_typeEPNSQ_ISL_E10value_typeEPSM_NS1_7vsmem_tEENKUlT_SK_SL_SM_E_clIPiSE_SF_SF_EESJ_SZ_SK_SL_SM_EUlSZ_E1_NS1_11comp_targetILNS1_3genE4ELNS1_11target_archE910ELNS1_3gpuE8ELNS1_3repE0EEENS1_36merge_oddeven_config_static_selectorELNS0_4arch9wavefront6targetE1EEEvSL_
		.amdhsa_group_segment_fixed_size 0
		.amdhsa_private_segment_fixed_size 0
		.amdhsa_kernarg_size 48
		.amdhsa_user_sgpr_count 2
		.amdhsa_user_sgpr_dispatch_ptr 0
		.amdhsa_user_sgpr_queue_ptr 0
		.amdhsa_user_sgpr_kernarg_segment_ptr 1
		.amdhsa_user_sgpr_dispatch_id 0
		.amdhsa_user_sgpr_kernarg_preload_length 0
		.amdhsa_user_sgpr_kernarg_preload_offset 0
		.amdhsa_user_sgpr_private_segment_size 0
		.amdhsa_uses_dynamic_stack 0
		.amdhsa_enable_private_segment 0
		.amdhsa_system_sgpr_workgroup_id_x 1
		.amdhsa_system_sgpr_workgroup_id_y 0
		.amdhsa_system_sgpr_workgroup_id_z 0
		.amdhsa_system_sgpr_workgroup_info 0
		.amdhsa_system_vgpr_workitem_id 0
		.amdhsa_next_free_vgpr 1
		.amdhsa_next_free_sgpr 0
		.amdhsa_accum_offset 4
		.amdhsa_reserve_vcc 0
		.amdhsa_float_round_mode_32 0
		.amdhsa_float_round_mode_16_64 0
		.amdhsa_float_denorm_mode_32 3
		.amdhsa_float_denorm_mode_16_64 3
		.amdhsa_dx10_clamp 1
		.amdhsa_ieee_mode 1
		.amdhsa_fp16_overflow 0
		.amdhsa_tg_split 0
		.amdhsa_exception_fp_ieee_invalid_op 0
		.amdhsa_exception_fp_denorm_src 0
		.amdhsa_exception_fp_ieee_div_zero 0
		.amdhsa_exception_fp_ieee_overflow 0
		.amdhsa_exception_fp_ieee_underflow 0
		.amdhsa_exception_fp_ieee_inexact 0
		.amdhsa_exception_int_div_zero 0
	.end_amdhsa_kernel
	.section	.text._ZN7rocprim17ROCPRIM_400000_NS6detail17trampoline_kernelINS0_14default_configENS1_38merge_sort_block_merge_config_selectorIiNS0_10empty_typeEEEZZNS1_27merge_sort_block_merge_implIS3_N6thrust23THRUST_200600_302600_NS6detail15normal_iteratorINS9_10device_ptrIiEEEEPS5_jNS1_19radix_merge_compareILb1ELb1EiNS0_19identity_decomposerEEEEE10hipError_tT0_T1_T2_jT3_P12ihipStream_tbPNSt15iterator_traitsISK_E10value_typeEPNSQ_ISL_E10value_typeEPSM_NS1_7vsmem_tEENKUlT_SK_SL_SM_E_clIPiSE_SF_SF_EESJ_SZ_SK_SL_SM_EUlSZ_E1_NS1_11comp_targetILNS1_3genE4ELNS1_11target_archE910ELNS1_3gpuE8ELNS1_3repE0EEENS1_36merge_oddeven_config_static_selectorELNS0_4arch9wavefront6targetE1EEEvSL_,"axG",@progbits,_ZN7rocprim17ROCPRIM_400000_NS6detail17trampoline_kernelINS0_14default_configENS1_38merge_sort_block_merge_config_selectorIiNS0_10empty_typeEEEZZNS1_27merge_sort_block_merge_implIS3_N6thrust23THRUST_200600_302600_NS6detail15normal_iteratorINS9_10device_ptrIiEEEEPS5_jNS1_19radix_merge_compareILb1ELb1EiNS0_19identity_decomposerEEEEE10hipError_tT0_T1_T2_jT3_P12ihipStream_tbPNSt15iterator_traitsISK_E10value_typeEPNSQ_ISL_E10value_typeEPSM_NS1_7vsmem_tEENKUlT_SK_SL_SM_E_clIPiSE_SF_SF_EESJ_SZ_SK_SL_SM_EUlSZ_E1_NS1_11comp_targetILNS1_3genE4ELNS1_11target_archE910ELNS1_3gpuE8ELNS1_3repE0EEENS1_36merge_oddeven_config_static_selectorELNS0_4arch9wavefront6targetE1EEEvSL_,comdat
.Lfunc_end289:
	.size	_ZN7rocprim17ROCPRIM_400000_NS6detail17trampoline_kernelINS0_14default_configENS1_38merge_sort_block_merge_config_selectorIiNS0_10empty_typeEEEZZNS1_27merge_sort_block_merge_implIS3_N6thrust23THRUST_200600_302600_NS6detail15normal_iteratorINS9_10device_ptrIiEEEEPS5_jNS1_19radix_merge_compareILb1ELb1EiNS0_19identity_decomposerEEEEE10hipError_tT0_T1_T2_jT3_P12ihipStream_tbPNSt15iterator_traitsISK_E10value_typeEPNSQ_ISL_E10value_typeEPSM_NS1_7vsmem_tEENKUlT_SK_SL_SM_E_clIPiSE_SF_SF_EESJ_SZ_SK_SL_SM_EUlSZ_E1_NS1_11comp_targetILNS1_3genE4ELNS1_11target_archE910ELNS1_3gpuE8ELNS1_3repE0EEENS1_36merge_oddeven_config_static_selectorELNS0_4arch9wavefront6targetE1EEEvSL_, .Lfunc_end289-_ZN7rocprim17ROCPRIM_400000_NS6detail17trampoline_kernelINS0_14default_configENS1_38merge_sort_block_merge_config_selectorIiNS0_10empty_typeEEEZZNS1_27merge_sort_block_merge_implIS3_N6thrust23THRUST_200600_302600_NS6detail15normal_iteratorINS9_10device_ptrIiEEEEPS5_jNS1_19radix_merge_compareILb1ELb1EiNS0_19identity_decomposerEEEEE10hipError_tT0_T1_T2_jT3_P12ihipStream_tbPNSt15iterator_traitsISK_E10value_typeEPNSQ_ISL_E10value_typeEPSM_NS1_7vsmem_tEENKUlT_SK_SL_SM_E_clIPiSE_SF_SF_EESJ_SZ_SK_SL_SM_EUlSZ_E1_NS1_11comp_targetILNS1_3genE4ELNS1_11target_archE910ELNS1_3gpuE8ELNS1_3repE0EEENS1_36merge_oddeven_config_static_selectorELNS0_4arch9wavefront6targetE1EEEvSL_
                                        ; -- End function
	.set _ZN7rocprim17ROCPRIM_400000_NS6detail17trampoline_kernelINS0_14default_configENS1_38merge_sort_block_merge_config_selectorIiNS0_10empty_typeEEEZZNS1_27merge_sort_block_merge_implIS3_N6thrust23THRUST_200600_302600_NS6detail15normal_iteratorINS9_10device_ptrIiEEEEPS5_jNS1_19radix_merge_compareILb1ELb1EiNS0_19identity_decomposerEEEEE10hipError_tT0_T1_T2_jT3_P12ihipStream_tbPNSt15iterator_traitsISK_E10value_typeEPNSQ_ISL_E10value_typeEPSM_NS1_7vsmem_tEENKUlT_SK_SL_SM_E_clIPiSE_SF_SF_EESJ_SZ_SK_SL_SM_EUlSZ_E1_NS1_11comp_targetILNS1_3genE4ELNS1_11target_archE910ELNS1_3gpuE8ELNS1_3repE0EEENS1_36merge_oddeven_config_static_selectorELNS0_4arch9wavefront6targetE1EEEvSL_.num_vgpr, 0
	.set _ZN7rocprim17ROCPRIM_400000_NS6detail17trampoline_kernelINS0_14default_configENS1_38merge_sort_block_merge_config_selectorIiNS0_10empty_typeEEEZZNS1_27merge_sort_block_merge_implIS3_N6thrust23THRUST_200600_302600_NS6detail15normal_iteratorINS9_10device_ptrIiEEEEPS5_jNS1_19radix_merge_compareILb1ELb1EiNS0_19identity_decomposerEEEEE10hipError_tT0_T1_T2_jT3_P12ihipStream_tbPNSt15iterator_traitsISK_E10value_typeEPNSQ_ISL_E10value_typeEPSM_NS1_7vsmem_tEENKUlT_SK_SL_SM_E_clIPiSE_SF_SF_EESJ_SZ_SK_SL_SM_EUlSZ_E1_NS1_11comp_targetILNS1_3genE4ELNS1_11target_archE910ELNS1_3gpuE8ELNS1_3repE0EEENS1_36merge_oddeven_config_static_selectorELNS0_4arch9wavefront6targetE1EEEvSL_.num_agpr, 0
	.set _ZN7rocprim17ROCPRIM_400000_NS6detail17trampoline_kernelINS0_14default_configENS1_38merge_sort_block_merge_config_selectorIiNS0_10empty_typeEEEZZNS1_27merge_sort_block_merge_implIS3_N6thrust23THRUST_200600_302600_NS6detail15normal_iteratorINS9_10device_ptrIiEEEEPS5_jNS1_19radix_merge_compareILb1ELb1EiNS0_19identity_decomposerEEEEE10hipError_tT0_T1_T2_jT3_P12ihipStream_tbPNSt15iterator_traitsISK_E10value_typeEPNSQ_ISL_E10value_typeEPSM_NS1_7vsmem_tEENKUlT_SK_SL_SM_E_clIPiSE_SF_SF_EESJ_SZ_SK_SL_SM_EUlSZ_E1_NS1_11comp_targetILNS1_3genE4ELNS1_11target_archE910ELNS1_3gpuE8ELNS1_3repE0EEENS1_36merge_oddeven_config_static_selectorELNS0_4arch9wavefront6targetE1EEEvSL_.numbered_sgpr, 0
	.set _ZN7rocprim17ROCPRIM_400000_NS6detail17trampoline_kernelINS0_14default_configENS1_38merge_sort_block_merge_config_selectorIiNS0_10empty_typeEEEZZNS1_27merge_sort_block_merge_implIS3_N6thrust23THRUST_200600_302600_NS6detail15normal_iteratorINS9_10device_ptrIiEEEEPS5_jNS1_19radix_merge_compareILb1ELb1EiNS0_19identity_decomposerEEEEE10hipError_tT0_T1_T2_jT3_P12ihipStream_tbPNSt15iterator_traitsISK_E10value_typeEPNSQ_ISL_E10value_typeEPSM_NS1_7vsmem_tEENKUlT_SK_SL_SM_E_clIPiSE_SF_SF_EESJ_SZ_SK_SL_SM_EUlSZ_E1_NS1_11comp_targetILNS1_3genE4ELNS1_11target_archE910ELNS1_3gpuE8ELNS1_3repE0EEENS1_36merge_oddeven_config_static_selectorELNS0_4arch9wavefront6targetE1EEEvSL_.num_named_barrier, 0
	.set _ZN7rocprim17ROCPRIM_400000_NS6detail17trampoline_kernelINS0_14default_configENS1_38merge_sort_block_merge_config_selectorIiNS0_10empty_typeEEEZZNS1_27merge_sort_block_merge_implIS3_N6thrust23THRUST_200600_302600_NS6detail15normal_iteratorINS9_10device_ptrIiEEEEPS5_jNS1_19radix_merge_compareILb1ELb1EiNS0_19identity_decomposerEEEEE10hipError_tT0_T1_T2_jT3_P12ihipStream_tbPNSt15iterator_traitsISK_E10value_typeEPNSQ_ISL_E10value_typeEPSM_NS1_7vsmem_tEENKUlT_SK_SL_SM_E_clIPiSE_SF_SF_EESJ_SZ_SK_SL_SM_EUlSZ_E1_NS1_11comp_targetILNS1_3genE4ELNS1_11target_archE910ELNS1_3gpuE8ELNS1_3repE0EEENS1_36merge_oddeven_config_static_selectorELNS0_4arch9wavefront6targetE1EEEvSL_.private_seg_size, 0
	.set _ZN7rocprim17ROCPRIM_400000_NS6detail17trampoline_kernelINS0_14default_configENS1_38merge_sort_block_merge_config_selectorIiNS0_10empty_typeEEEZZNS1_27merge_sort_block_merge_implIS3_N6thrust23THRUST_200600_302600_NS6detail15normal_iteratorINS9_10device_ptrIiEEEEPS5_jNS1_19radix_merge_compareILb1ELb1EiNS0_19identity_decomposerEEEEE10hipError_tT0_T1_T2_jT3_P12ihipStream_tbPNSt15iterator_traitsISK_E10value_typeEPNSQ_ISL_E10value_typeEPSM_NS1_7vsmem_tEENKUlT_SK_SL_SM_E_clIPiSE_SF_SF_EESJ_SZ_SK_SL_SM_EUlSZ_E1_NS1_11comp_targetILNS1_3genE4ELNS1_11target_archE910ELNS1_3gpuE8ELNS1_3repE0EEENS1_36merge_oddeven_config_static_selectorELNS0_4arch9wavefront6targetE1EEEvSL_.uses_vcc, 0
	.set _ZN7rocprim17ROCPRIM_400000_NS6detail17trampoline_kernelINS0_14default_configENS1_38merge_sort_block_merge_config_selectorIiNS0_10empty_typeEEEZZNS1_27merge_sort_block_merge_implIS3_N6thrust23THRUST_200600_302600_NS6detail15normal_iteratorINS9_10device_ptrIiEEEEPS5_jNS1_19radix_merge_compareILb1ELb1EiNS0_19identity_decomposerEEEEE10hipError_tT0_T1_T2_jT3_P12ihipStream_tbPNSt15iterator_traitsISK_E10value_typeEPNSQ_ISL_E10value_typeEPSM_NS1_7vsmem_tEENKUlT_SK_SL_SM_E_clIPiSE_SF_SF_EESJ_SZ_SK_SL_SM_EUlSZ_E1_NS1_11comp_targetILNS1_3genE4ELNS1_11target_archE910ELNS1_3gpuE8ELNS1_3repE0EEENS1_36merge_oddeven_config_static_selectorELNS0_4arch9wavefront6targetE1EEEvSL_.uses_flat_scratch, 0
	.set _ZN7rocprim17ROCPRIM_400000_NS6detail17trampoline_kernelINS0_14default_configENS1_38merge_sort_block_merge_config_selectorIiNS0_10empty_typeEEEZZNS1_27merge_sort_block_merge_implIS3_N6thrust23THRUST_200600_302600_NS6detail15normal_iteratorINS9_10device_ptrIiEEEEPS5_jNS1_19radix_merge_compareILb1ELb1EiNS0_19identity_decomposerEEEEE10hipError_tT0_T1_T2_jT3_P12ihipStream_tbPNSt15iterator_traitsISK_E10value_typeEPNSQ_ISL_E10value_typeEPSM_NS1_7vsmem_tEENKUlT_SK_SL_SM_E_clIPiSE_SF_SF_EESJ_SZ_SK_SL_SM_EUlSZ_E1_NS1_11comp_targetILNS1_3genE4ELNS1_11target_archE910ELNS1_3gpuE8ELNS1_3repE0EEENS1_36merge_oddeven_config_static_selectorELNS0_4arch9wavefront6targetE1EEEvSL_.has_dyn_sized_stack, 0
	.set _ZN7rocprim17ROCPRIM_400000_NS6detail17trampoline_kernelINS0_14default_configENS1_38merge_sort_block_merge_config_selectorIiNS0_10empty_typeEEEZZNS1_27merge_sort_block_merge_implIS3_N6thrust23THRUST_200600_302600_NS6detail15normal_iteratorINS9_10device_ptrIiEEEEPS5_jNS1_19radix_merge_compareILb1ELb1EiNS0_19identity_decomposerEEEEE10hipError_tT0_T1_T2_jT3_P12ihipStream_tbPNSt15iterator_traitsISK_E10value_typeEPNSQ_ISL_E10value_typeEPSM_NS1_7vsmem_tEENKUlT_SK_SL_SM_E_clIPiSE_SF_SF_EESJ_SZ_SK_SL_SM_EUlSZ_E1_NS1_11comp_targetILNS1_3genE4ELNS1_11target_archE910ELNS1_3gpuE8ELNS1_3repE0EEENS1_36merge_oddeven_config_static_selectorELNS0_4arch9wavefront6targetE1EEEvSL_.has_recursion, 0
	.set _ZN7rocprim17ROCPRIM_400000_NS6detail17trampoline_kernelINS0_14default_configENS1_38merge_sort_block_merge_config_selectorIiNS0_10empty_typeEEEZZNS1_27merge_sort_block_merge_implIS3_N6thrust23THRUST_200600_302600_NS6detail15normal_iteratorINS9_10device_ptrIiEEEEPS5_jNS1_19radix_merge_compareILb1ELb1EiNS0_19identity_decomposerEEEEE10hipError_tT0_T1_T2_jT3_P12ihipStream_tbPNSt15iterator_traitsISK_E10value_typeEPNSQ_ISL_E10value_typeEPSM_NS1_7vsmem_tEENKUlT_SK_SL_SM_E_clIPiSE_SF_SF_EESJ_SZ_SK_SL_SM_EUlSZ_E1_NS1_11comp_targetILNS1_3genE4ELNS1_11target_archE910ELNS1_3gpuE8ELNS1_3repE0EEENS1_36merge_oddeven_config_static_selectorELNS0_4arch9wavefront6targetE1EEEvSL_.has_indirect_call, 0
	.section	.AMDGPU.csdata,"",@progbits
; Kernel info:
; codeLenInByte = 0
; TotalNumSgprs: 6
; NumVgprs: 0
; NumAgprs: 0
; TotalNumVgprs: 0
; ScratchSize: 0
; MemoryBound: 0
; FloatMode: 240
; IeeeMode: 1
; LDSByteSize: 0 bytes/workgroup (compile time only)
; SGPRBlocks: 0
; VGPRBlocks: 0
; NumSGPRsForWavesPerEU: 6
; NumVGPRsForWavesPerEU: 1
; AccumOffset: 4
; Occupancy: 8
; WaveLimiterHint : 0
; COMPUTE_PGM_RSRC2:SCRATCH_EN: 0
; COMPUTE_PGM_RSRC2:USER_SGPR: 2
; COMPUTE_PGM_RSRC2:TRAP_HANDLER: 0
; COMPUTE_PGM_RSRC2:TGID_X_EN: 1
; COMPUTE_PGM_RSRC2:TGID_Y_EN: 0
; COMPUTE_PGM_RSRC2:TGID_Z_EN: 0
; COMPUTE_PGM_RSRC2:TIDIG_COMP_CNT: 0
; COMPUTE_PGM_RSRC3_GFX90A:ACCUM_OFFSET: 0
; COMPUTE_PGM_RSRC3_GFX90A:TG_SPLIT: 0
	.section	.text._ZN7rocprim17ROCPRIM_400000_NS6detail17trampoline_kernelINS0_14default_configENS1_38merge_sort_block_merge_config_selectorIiNS0_10empty_typeEEEZZNS1_27merge_sort_block_merge_implIS3_N6thrust23THRUST_200600_302600_NS6detail15normal_iteratorINS9_10device_ptrIiEEEEPS5_jNS1_19radix_merge_compareILb1ELb1EiNS0_19identity_decomposerEEEEE10hipError_tT0_T1_T2_jT3_P12ihipStream_tbPNSt15iterator_traitsISK_E10value_typeEPNSQ_ISL_E10value_typeEPSM_NS1_7vsmem_tEENKUlT_SK_SL_SM_E_clIPiSE_SF_SF_EESJ_SZ_SK_SL_SM_EUlSZ_E1_NS1_11comp_targetILNS1_3genE3ELNS1_11target_archE908ELNS1_3gpuE7ELNS1_3repE0EEENS1_36merge_oddeven_config_static_selectorELNS0_4arch9wavefront6targetE1EEEvSL_,"axG",@progbits,_ZN7rocprim17ROCPRIM_400000_NS6detail17trampoline_kernelINS0_14default_configENS1_38merge_sort_block_merge_config_selectorIiNS0_10empty_typeEEEZZNS1_27merge_sort_block_merge_implIS3_N6thrust23THRUST_200600_302600_NS6detail15normal_iteratorINS9_10device_ptrIiEEEEPS5_jNS1_19radix_merge_compareILb1ELb1EiNS0_19identity_decomposerEEEEE10hipError_tT0_T1_T2_jT3_P12ihipStream_tbPNSt15iterator_traitsISK_E10value_typeEPNSQ_ISL_E10value_typeEPSM_NS1_7vsmem_tEENKUlT_SK_SL_SM_E_clIPiSE_SF_SF_EESJ_SZ_SK_SL_SM_EUlSZ_E1_NS1_11comp_targetILNS1_3genE3ELNS1_11target_archE908ELNS1_3gpuE7ELNS1_3repE0EEENS1_36merge_oddeven_config_static_selectorELNS0_4arch9wavefront6targetE1EEEvSL_,comdat
	.protected	_ZN7rocprim17ROCPRIM_400000_NS6detail17trampoline_kernelINS0_14default_configENS1_38merge_sort_block_merge_config_selectorIiNS0_10empty_typeEEEZZNS1_27merge_sort_block_merge_implIS3_N6thrust23THRUST_200600_302600_NS6detail15normal_iteratorINS9_10device_ptrIiEEEEPS5_jNS1_19radix_merge_compareILb1ELb1EiNS0_19identity_decomposerEEEEE10hipError_tT0_T1_T2_jT3_P12ihipStream_tbPNSt15iterator_traitsISK_E10value_typeEPNSQ_ISL_E10value_typeEPSM_NS1_7vsmem_tEENKUlT_SK_SL_SM_E_clIPiSE_SF_SF_EESJ_SZ_SK_SL_SM_EUlSZ_E1_NS1_11comp_targetILNS1_3genE3ELNS1_11target_archE908ELNS1_3gpuE7ELNS1_3repE0EEENS1_36merge_oddeven_config_static_selectorELNS0_4arch9wavefront6targetE1EEEvSL_ ; -- Begin function _ZN7rocprim17ROCPRIM_400000_NS6detail17trampoline_kernelINS0_14default_configENS1_38merge_sort_block_merge_config_selectorIiNS0_10empty_typeEEEZZNS1_27merge_sort_block_merge_implIS3_N6thrust23THRUST_200600_302600_NS6detail15normal_iteratorINS9_10device_ptrIiEEEEPS5_jNS1_19radix_merge_compareILb1ELb1EiNS0_19identity_decomposerEEEEE10hipError_tT0_T1_T2_jT3_P12ihipStream_tbPNSt15iterator_traitsISK_E10value_typeEPNSQ_ISL_E10value_typeEPSM_NS1_7vsmem_tEENKUlT_SK_SL_SM_E_clIPiSE_SF_SF_EESJ_SZ_SK_SL_SM_EUlSZ_E1_NS1_11comp_targetILNS1_3genE3ELNS1_11target_archE908ELNS1_3gpuE7ELNS1_3repE0EEENS1_36merge_oddeven_config_static_selectorELNS0_4arch9wavefront6targetE1EEEvSL_
	.globl	_ZN7rocprim17ROCPRIM_400000_NS6detail17trampoline_kernelINS0_14default_configENS1_38merge_sort_block_merge_config_selectorIiNS0_10empty_typeEEEZZNS1_27merge_sort_block_merge_implIS3_N6thrust23THRUST_200600_302600_NS6detail15normal_iteratorINS9_10device_ptrIiEEEEPS5_jNS1_19radix_merge_compareILb1ELb1EiNS0_19identity_decomposerEEEEE10hipError_tT0_T1_T2_jT3_P12ihipStream_tbPNSt15iterator_traitsISK_E10value_typeEPNSQ_ISL_E10value_typeEPSM_NS1_7vsmem_tEENKUlT_SK_SL_SM_E_clIPiSE_SF_SF_EESJ_SZ_SK_SL_SM_EUlSZ_E1_NS1_11comp_targetILNS1_3genE3ELNS1_11target_archE908ELNS1_3gpuE7ELNS1_3repE0EEENS1_36merge_oddeven_config_static_selectorELNS0_4arch9wavefront6targetE1EEEvSL_
	.p2align	8
	.type	_ZN7rocprim17ROCPRIM_400000_NS6detail17trampoline_kernelINS0_14default_configENS1_38merge_sort_block_merge_config_selectorIiNS0_10empty_typeEEEZZNS1_27merge_sort_block_merge_implIS3_N6thrust23THRUST_200600_302600_NS6detail15normal_iteratorINS9_10device_ptrIiEEEEPS5_jNS1_19radix_merge_compareILb1ELb1EiNS0_19identity_decomposerEEEEE10hipError_tT0_T1_T2_jT3_P12ihipStream_tbPNSt15iterator_traitsISK_E10value_typeEPNSQ_ISL_E10value_typeEPSM_NS1_7vsmem_tEENKUlT_SK_SL_SM_E_clIPiSE_SF_SF_EESJ_SZ_SK_SL_SM_EUlSZ_E1_NS1_11comp_targetILNS1_3genE3ELNS1_11target_archE908ELNS1_3gpuE7ELNS1_3repE0EEENS1_36merge_oddeven_config_static_selectorELNS0_4arch9wavefront6targetE1EEEvSL_,@function
_ZN7rocprim17ROCPRIM_400000_NS6detail17trampoline_kernelINS0_14default_configENS1_38merge_sort_block_merge_config_selectorIiNS0_10empty_typeEEEZZNS1_27merge_sort_block_merge_implIS3_N6thrust23THRUST_200600_302600_NS6detail15normal_iteratorINS9_10device_ptrIiEEEEPS5_jNS1_19radix_merge_compareILb1ELb1EiNS0_19identity_decomposerEEEEE10hipError_tT0_T1_T2_jT3_P12ihipStream_tbPNSt15iterator_traitsISK_E10value_typeEPNSQ_ISL_E10value_typeEPSM_NS1_7vsmem_tEENKUlT_SK_SL_SM_E_clIPiSE_SF_SF_EESJ_SZ_SK_SL_SM_EUlSZ_E1_NS1_11comp_targetILNS1_3genE3ELNS1_11target_archE908ELNS1_3gpuE7ELNS1_3repE0EEENS1_36merge_oddeven_config_static_selectorELNS0_4arch9wavefront6targetE1EEEvSL_: ; @_ZN7rocprim17ROCPRIM_400000_NS6detail17trampoline_kernelINS0_14default_configENS1_38merge_sort_block_merge_config_selectorIiNS0_10empty_typeEEEZZNS1_27merge_sort_block_merge_implIS3_N6thrust23THRUST_200600_302600_NS6detail15normal_iteratorINS9_10device_ptrIiEEEEPS5_jNS1_19radix_merge_compareILb1ELb1EiNS0_19identity_decomposerEEEEE10hipError_tT0_T1_T2_jT3_P12ihipStream_tbPNSt15iterator_traitsISK_E10value_typeEPNSQ_ISL_E10value_typeEPSM_NS1_7vsmem_tEENKUlT_SK_SL_SM_E_clIPiSE_SF_SF_EESJ_SZ_SK_SL_SM_EUlSZ_E1_NS1_11comp_targetILNS1_3genE3ELNS1_11target_archE908ELNS1_3gpuE7ELNS1_3repE0EEENS1_36merge_oddeven_config_static_selectorELNS0_4arch9wavefront6targetE1EEEvSL_
; %bb.0:
	.section	.rodata,"a",@progbits
	.p2align	6, 0x0
	.amdhsa_kernel _ZN7rocprim17ROCPRIM_400000_NS6detail17trampoline_kernelINS0_14default_configENS1_38merge_sort_block_merge_config_selectorIiNS0_10empty_typeEEEZZNS1_27merge_sort_block_merge_implIS3_N6thrust23THRUST_200600_302600_NS6detail15normal_iteratorINS9_10device_ptrIiEEEEPS5_jNS1_19radix_merge_compareILb1ELb1EiNS0_19identity_decomposerEEEEE10hipError_tT0_T1_T2_jT3_P12ihipStream_tbPNSt15iterator_traitsISK_E10value_typeEPNSQ_ISL_E10value_typeEPSM_NS1_7vsmem_tEENKUlT_SK_SL_SM_E_clIPiSE_SF_SF_EESJ_SZ_SK_SL_SM_EUlSZ_E1_NS1_11comp_targetILNS1_3genE3ELNS1_11target_archE908ELNS1_3gpuE7ELNS1_3repE0EEENS1_36merge_oddeven_config_static_selectorELNS0_4arch9wavefront6targetE1EEEvSL_
		.amdhsa_group_segment_fixed_size 0
		.amdhsa_private_segment_fixed_size 0
		.amdhsa_kernarg_size 48
		.amdhsa_user_sgpr_count 2
		.amdhsa_user_sgpr_dispatch_ptr 0
		.amdhsa_user_sgpr_queue_ptr 0
		.amdhsa_user_sgpr_kernarg_segment_ptr 1
		.amdhsa_user_sgpr_dispatch_id 0
		.amdhsa_user_sgpr_kernarg_preload_length 0
		.amdhsa_user_sgpr_kernarg_preload_offset 0
		.amdhsa_user_sgpr_private_segment_size 0
		.amdhsa_uses_dynamic_stack 0
		.amdhsa_enable_private_segment 0
		.amdhsa_system_sgpr_workgroup_id_x 1
		.amdhsa_system_sgpr_workgroup_id_y 0
		.amdhsa_system_sgpr_workgroup_id_z 0
		.amdhsa_system_sgpr_workgroup_info 0
		.amdhsa_system_vgpr_workitem_id 0
		.amdhsa_next_free_vgpr 1
		.amdhsa_next_free_sgpr 0
		.amdhsa_accum_offset 4
		.amdhsa_reserve_vcc 0
		.amdhsa_float_round_mode_32 0
		.amdhsa_float_round_mode_16_64 0
		.amdhsa_float_denorm_mode_32 3
		.amdhsa_float_denorm_mode_16_64 3
		.amdhsa_dx10_clamp 1
		.amdhsa_ieee_mode 1
		.amdhsa_fp16_overflow 0
		.amdhsa_tg_split 0
		.amdhsa_exception_fp_ieee_invalid_op 0
		.amdhsa_exception_fp_denorm_src 0
		.amdhsa_exception_fp_ieee_div_zero 0
		.amdhsa_exception_fp_ieee_overflow 0
		.amdhsa_exception_fp_ieee_underflow 0
		.amdhsa_exception_fp_ieee_inexact 0
		.amdhsa_exception_int_div_zero 0
	.end_amdhsa_kernel
	.section	.text._ZN7rocprim17ROCPRIM_400000_NS6detail17trampoline_kernelINS0_14default_configENS1_38merge_sort_block_merge_config_selectorIiNS0_10empty_typeEEEZZNS1_27merge_sort_block_merge_implIS3_N6thrust23THRUST_200600_302600_NS6detail15normal_iteratorINS9_10device_ptrIiEEEEPS5_jNS1_19radix_merge_compareILb1ELb1EiNS0_19identity_decomposerEEEEE10hipError_tT0_T1_T2_jT3_P12ihipStream_tbPNSt15iterator_traitsISK_E10value_typeEPNSQ_ISL_E10value_typeEPSM_NS1_7vsmem_tEENKUlT_SK_SL_SM_E_clIPiSE_SF_SF_EESJ_SZ_SK_SL_SM_EUlSZ_E1_NS1_11comp_targetILNS1_3genE3ELNS1_11target_archE908ELNS1_3gpuE7ELNS1_3repE0EEENS1_36merge_oddeven_config_static_selectorELNS0_4arch9wavefront6targetE1EEEvSL_,"axG",@progbits,_ZN7rocprim17ROCPRIM_400000_NS6detail17trampoline_kernelINS0_14default_configENS1_38merge_sort_block_merge_config_selectorIiNS0_10empty_typeEEEZZNS1_27merge_sort_block_merge_implIS3_N6thrust23THRUST_200600_302600_NS6detail15normal_iteratorINS9_10device_ptrIiEEEEPS5_jNS1_19radix_merge_compareILb1ELb1EiNS0_19identity_decomposerEEEEE10hipError_tT0_T1_T2_jT3_P12ihipStream_tbPNSt15iterator_traitsISK_E10value_typeEPNSQ_ISL_E10value_typeEPSM_NS1_7vsmem_tEENKUlT_SK_SL_SM_E_clIPiSE_SF_SF_EESJ_SZ_SK_SL_SM_EUlSZ_E1_NS1_11comp_targetILNS1_3genE3ELNS1_11target_archE908ELNS1_3gpuE7ELNS1_3repE0EEENS1_36merge_oddeven_config_static_selectorELNS0_4arch9wavefront6targetE1EEEvSL_,comdat
.Lfunc_end290:
	.size	_ZN7rocprim17ROCPRIM_400000_NS6detail17trampoline_kernelINS0_14default_configENS1_38merge_sort_block_merge_config_selectorIiNS0_10empty_typeEEEZZNS1_27merge_sort_block_merge_implIS3_N6thrust23THRUST_200600_302600_NS6detail15normal_iteratorINS9_10device_ptrIiEEEEPS5_jNS1_19radix_merge_compareILb1ELb1EiNS0_19identity_decomposerEEEEE10hipError_tT0_T1_T2_jT3_P12ihipStream_tbPNSt15iterator_traitsISK_E10value_typeEPNSQ_ISL_E10value_typeEPSM_NS1_7vsmem_tEENKUlT_SK_SL_SM_E_clIPiSE_SF_SF_EESJ_SZ_SK_SL_SM_EUlSZ_E1_NS1_11comp_targetILNS1_3genE3ELNS1_11target_archE908ELNS1_3gpuE7ELNS1_3repE0EEENS1_36merge_oddeven_config_static_selectorELNS0_4arch9wavefront6targetE1EEEvSL_, .Lfunc_end290-_ZN7rocprim17ROCPRIM_400000_NS6detail17trampoline_kernelINS0_14default_configENS1_38merge_sort_block_merge_config_selectorIiNS0_10empty_typeEEEZZNS1_27merge_sort_block_merge_implIS3_N6thrust23THRUST_200600_302600_NS6detail15normal_iteratorINS9_10device_ptrIiEEEEPS5_jNS1_19radix_merge_compareILb1ELb1EiNS0_19identity_decomposerEEEEE10hipError_tT0_T1_T2_jT3_P12ihipStream_tbPNSt15iterator_traitsISK_E10value_typeEPNSQ_ISL_E10value_typeEPSM_NS1_7vsmem_tEENKUlT_SK_SL_SM_E_clIPiSE_SF_SF_EESJ_SZ_SK_SL_SM_EUlSZ_E1_NS1_11comp_targetILNS1_3genE3ELNS1_11target_archE908ELNS1_3gpuE7ELNS1_3repE0EEENS1_36merge_oddeven_config_static_selectorELNS0_4arch9wavefront6targetE1EEEvSL_
                                        ; -- End function
	.set _ZN7rocprim17ROCPRIM_400000_NS6detail17trampoline_kernelINS0_14default_configENS1_38merge_sort_block_merge_config_selectorIiNS0_10empty_typeEEEZZNS1_27merge_sort_block_merge_implIS3_N6thrust23THRUST_200600_302600_NS6detail15normal_iteratorINS9_10device_ptrIiEEEEPS5_jNS1_19radix_merge_compareILb1ELb1EiNS0_19identity_decomposerEEEEE10hipError_tT0_T1_T2_jT3_P12ihipStream_tbPNSt15iterator_traitsISK_E10value_typeEPNSQ_ISL_E10value_typeEPSM_NS1_7vsmem_tEENKUlT_SK_SL_SM_E_clIPiSE_SF_SF_EESJ_SZ_SK_SL_SM_EUlSZ_E1_NS1_11comp_targetILNS1_3genE3ELNS1_11target_archE908ELNS1_3gpuE7ELNS1_3repE0EEENS1_36merge_oddeven_config_static_selectorELNS0_4arch9wavefront6targetE1EEEvSL_.num_vgpr, 0
	.set _ZN7rocprim17ROCPRIM_400000_NS6detail17trampoline_kernelINS0_14default_configENS1_38merge_sort_block_merge_config_selectorIiNS0_10empty_typeEEEZZNS1_27merge_sort_block_merge_implIS3_N6thrust23THRUST_200600_302600_NS6detail15normal_iteratorINS9_10device_ptrIiEEEEPS5_jNS1_19radix_merge_compareILb1ELb1EiNS0_19identity_decomposerEEEEE10hipError_tT0_T1_T2_jT3_P12ihipStream_tbPNSt15iterator_traitsISK_E10value_typeEPNSQ_ISL_E10value_typeEPSM_NS1_7vsmem_tEENKUlT_SK_SL_SM_E_clIPiSE_SF_SF_EESJ_SZ_SK_SL_SM_EUlSZ_E1_NS1_11comp_targetILNS1_3genE3ELNS1_11target_archE908ELNS1_3gpuE7ELNS1_3repE0EEENS1_36merge_oddeven_config_static_selectorELNS0_4arch9wavefront6targetE1EEEvSL_.num_agpr, 0
	.set _ZN7rocprim17ROCPRIM_400000_NS6detail17trampoline_kernelINS0_14default_configENS1_38merge_sort_block_merge_config_selectorIiNS0_10empty_typeEEEZZNS1_27merge_sort_block_merge_implIS3_N6thrust23THRUST_200600_302600_NS6detail15normal_iteratorINS9_10device_ptrIiEEEEPS5_jNS1_19radix_merge_compareILb1ELb1EiNS0_19identity_decomposerEEEEE10hipError_tT0_T1_T2_jT3_P12ihipStream_tbPNSt15iterator_traitsISK_E10value_typeEPNSQ_ISL_E10value_typeEPSM_NS1_7vsmem_tEENKUlT_SK_SL_SM_E_clIPiSE_SF_SF_EESJ_SZ_SK_SL_SM_EUlSZ_E1_NS1_11comp_targetILNS1_3genE3ELNS1_11target_archE908ELNS1_3gpuE7ELNS1_3repE0EEENS1_36merge_oddeven_config_static_selectorELNS0_4arch9wavefront6targetE1EEEvSL_.numbered_sgpr, 0
	.set _ZN7rocprim17ROCPRIM_400000_NS6detail17trampoline_kernelINS0_14default_configENS1_38merge_sort_block_merge_config_selectorIiNS0_10empty_typeEEEZZNS1_27merge_sort_block_merge_implIS3_N6thrust23THRUST_200600_302600_NS6detail15normal_iteratorINS9_10device_ptrIiEEEEPS5_jNS1_19radix_merge_compareILb1ELb1EiNS0_19identity_decomposerEEEEE10hipError_tT0_T1_T2_jT3_P12ihipStream_tbPNSt15iterator_traitsISK_E10value_typeEPNSQ_ISL_E10value_typeEPSM_NS1_7vsmem_tEENKUlT_SK_SL_SM_E_clIPiSE_SF_SF_EESJ_SZ_SK_SL_SM_EUlSZ_E1_NS1_11comp_targetILNS1_3genE3ELNS1_11target_archE908ELNS1_3gpuE7ELNS1_3repE0EEENS1_36merge_oddeven_config_static_selectorELNS0_4arch9wavefront6targetE1EEEvSL_.num_named_barrier, 0
	.set _ZN7rocprim17ROCPRIM_400000_NS6detail17trampoline_kernelINS0_14default_configENS1_38merge_sort_block_merge_config_selectorIiNS0_10empty_typeEEEZZNS1_27merge_sort_block_merge_implIS3_N6thrust23THRUST_200600_302600_NS6detail15normal_iteratorINS9_10device_ptrIiEEEEPS5_jNS1_19radix_merge_compareILb1ELb1EiNS0_19identity_decomposerEEEEE10hipError_tT0_T1_T2_jT3_P12ihipStream_tbPNSt15iterator_traitsISK_E10value_typeEPNSQ_ISL_E10value_typeEPSM_NS1_7vsmem_tEENKUlT_SK_SL_SM_E_clIPiSE_SF_SF_EESJ_SZ_SK_SL_SM_EUlSZ_E1_NS1_11comp_targetILNS1_3genE3ELNS1_11target_archE908ELNS1_3gpuE7ELNS1_3repE0EEENS1_36merge_oddeven_config_static_selectorELNS0_4arch9wavefront6targetE1EEEvSL_.private_seg_size, 0
	.set _ZN7rocprim17ROCPRIM_400000_NS6detail17trampoline_kernelINS0_14default_configENS1_38merge_sort_block_merge_config_selectorIiNS0_10empty_typeEEEZZNS1_27merge_sort_block_merge_implIS3_N6thrust23THRUST_200600_302600_NS6detail15normal_iteratorINS9_10device_ptrIiEEEEPS5_jNS1_19radix_merge_compareILb1ELb1EiNS0_19identity_decomposerEEEEE10hipError_tT0_T1_T2_jT3_P12ihipStream_tbPNSt15iterator_traitsISK_E10value_typeEPNSQ_ISL_E10value_typeEPSM_NS1_7vsmem_tEENKUlT_SK_SL_SM_E_clIPiSE_SF_SF_EESJ_SZ_SK_SL_SM_EUlSZ_E1_NS1_11comp_targetILNS1_3genE3ELNS1_11target_archE908ELNS1_3gpuE7ELNS1_3repE0EEENS1_36merge_oddeven_config_static_selectorELNS0_4arch9wavefront6targetE1EEEvSL_.uses_vcc, 0
	.set _ZN7rocprim17ROCPRIM_400000_NS6detail17trampoline_kernelINS0_14default_configENS1_38merge_sort_block_merge_config_selectorIiNS0_10empty_typeEEEZZNS1_27merge_sort_block_merge_implIS3_N6thrust23THRUST_200600_302600_NS6detail15normal_iteratorINS9_10device_ptrIiEEEEPS5_jNS1_19radix_merge_compareILb1ELb1EiNS0_19identity_decomposerEEEEE10hipError_tT0_T1_T2_jT3_P12ihipStream_tbPNSt15iterator_traitsISK_E10value_typeEPNSQ_ISL_E10value_typeEPSM_NS1_7vsmem_tEENKUlT_SK_SL_SM_E_clIPiSE_SF_SF_EESJ_SZ_SK_SL_SM_EUlSZ_E1_NS1_11comp_targetILNS1_3genE3ELNS1_11target_archE908ELNS1_3gpuE7ELNS1_3repE0EEENS1_36merge_oddeven_config_static_selectorELNS0_4arch9wavefront6targetE1EEEvSL_.uses_flat_scratch, 0
	.set _ZN7rocprim17ROCPRIM_400000_NS6detail17trampoline_kernelINS0_14default_configENS1_38merge_sort_block_merge_config_selectorIiNS0_10empty_typeEEEZZNS1_27merge_sort_block_merge_implIS3_N6thrust23THRUST_200600_302600_NS6detail15normal_iteratorINS9_10device_ptrIiEEEEPS5_jNS1_19radix_merge_compareILb1ELb1EiNS0_19identity_decomposerEEEEE10hipError_tT0_T1_T2_jT3_P12ihipStream_tbPNSt15iterator_traitsISK_E10value_typeEPNSQ_ISL_E10value_typeEPSM_NS1_7vsmem_tEENKUlT_SK_SL_SM_E_clIPiSE_SF_SF_EESJ_SZ_SK_SL_SM_EUlSZ_E1_NS1_11comp_targetILNS1_3genE3ELNS1_11target_archE908ELNS1_3gpuE7ELNS1_3repE0EEENS1_36merge_oddeven_config_static_selectorELNS0_4arch9wavefront6targetE1EEEvSL_.has_dyn_sized_stack, 0
	.set _ZN7rocprim17ROCPRIM_400000_NS6detail17trampoline_kernelINS0_14default_configENS1_38merge_sort_block_merge_config_selectorIiNS0_10empty_typeEEEZZNS1_27merge_sort_block_merge_implIS3_N6thrust23THRUST_200600_302600_NS6detail15normal_iteratorINS9_10device_ptrIiEEEEPS5_jNS1_19radix_merge_compareILb1ELb1EiNS0_19identity_decomposerEEEEE10hipError_tT0_T1_T2_jT3_P12ihipStream_tbPNSt15iterator_traitsISK_E10value_typeEPNSQ_ISL_E10value_typeEPSM_NS1_7vsmem_tEENKUlT_SK_SL_SM_E_clIPiSE_SF_SF_EESJ_SZ_SK_SL_SM_EUlSZ_E1_NS1_11comp_targetILNS1_3genE3ELNS1_11target_archE908ELNS1_3gpuE7ELNS1_3repE0EEENS1_36merge_oddeven_config_static_selectorELNS0_4arch9wavefront6targetE1EEEvSL_.has_recursion, 0
	.set _ZN7rocprim17ROCPRIM_400000_NS6detail17trampoline_kernelINS0_14default_configENS1_38merge_sort_block_merge_config_selectorIiNS0_10empty_typeEEEZZNS1_27merge_sort_block_merge_implIS3_N6thrust23THRUST_200600_302600_NS6detail15normal_iteratorINS9_10device_ptrIiEEEEPS5_jNS1_19radix_merge_compareILb1ELb1EiNS0_19identity_decomposerEEEEE10hipError_tT0_T1_T2_jT3_P12ihipStream_tbPNSt15iterator_traitsISK_E10value_typeEPNSQ_ISL_E10value_typeEPSM_NS1_7vsmem_tEENKUlT_SK_SL_SM_E_clIPiSE_SF_SF_EESJ_SZ_SK_SL_SM_EUlSZ_E1_NS1_11comp_targetILNS1_3genE3ELNS1_11target_archE908ELNS1_3gpuE7ELNS1_3repE0EEENS1_36merge_oddeven_config_static_selectorELNS0_4arch9wavefront6targetE1EEEvSL_.has_indirect_call, 0
	.section	.AMDGPU.csdata,"",@progbits
; Kernel info:
; codeLenInByte = 0
; TotalNumSgprs: 6
; NumVgprs: 0
; NumAgprs: 0
; TotalNumVgprs: 0
; ScratchSize: 0
; MemoryBound: 0
; FloatMode: 240
; IeeeMode: 1
; LDSByteSize: 0 bytes/workgroup (compile time only)
; SGPRBlocks: 0
; VGPRBlocks: 0
; NumSGPRsForWavesPerEU: 6
; NumVGPRsForWavesPerEU: 1
; AccumOffset: 4
; Occupancy: 8
; WaveLimiterHint : 0
; COMPUTE_PGM_RSRC2:SCRATCH_EN: 0
; COMPUTE_PGM_RSRC2:USER_SGPR: 2
; COMPUTE_PGM_RSRC2:TRAP_HANDLER: 0
; COMPUTE_PGM_RSRC2:TGID_X_EN: 1
; COMPUTE_PGM_RSRC2:TGID_Y_EN: 0
; COMPUTE_PGM_RSRC2:TGID_Z_EN: 0
; COMPUTE_PGM_RSRC2:TIDIG_COMP_CNT: 0
; COMPUTE_PGM_RSRC3_GFX90A:ACCUM_OFFSET: 0
; COMPUTE_PGM_RSRC3_GFX90A:TG_SPLIT: 0
	.section	.text._ZN7rocprim17ROCPRIM_400000_NS6detail17trampoline_kernelINS0_14default_configENS1_38merge_sort_block_merge_config_selectorIiNS0_10empty_typeEEEZZNS1_27merge_sort_block_merge_implIS3_N6thrust23THRUST_200600_302600_NS6detail15normal_iteratorINS9_10device_ptrIiEEEEPS5_jNS1_19radix_merge_compareILb1ELb1EiNS0_19identity_decomposerEEEEE10hipError_tT0_T1_T2_jT3_P12ihipStream_tbPNSt15iterator_traitsISK_E10value_typeEPNSQ_ISL_E10value_typeEPSM_NS1_7vsmem_tEENKUlT_SK_SL_SM_E_clIPiSE_SF_SF_EESJ_SZ_SK_SL_SM_EUlSZ_E1_NS1_11comp_targetILNS1_3genE2ELNS1_11target_archE906ELNS1_3gpuE6ELNS1_3repE0EEENS1_36merge_oddeven_config_static_selectorELNS0_4arch9wavefront6targetE1EEEvSL_,"axG",@progbits,_ZN7rocprim17ROCPRIM_400000_NS6detail17trampoline_kernelINS0_14default_configENS1_38merge_sort_block_merge_config_selectorIiNS0_10empty_typeEEEZZNS1_27merge_sort_block_merge_implIS3_N6thrust23THRUST_200600_302600_NS6detail15normal_iteratorINS9_10device_ptrIiEEEEPS5_jNS1_19radix_merge_compareILb1ELb1EiNS0_19identity_decomposerEEEEE10hipError_tT0_T1_T2_jT3_P12ihipStream_tbPNSt15iterator_traitsISK_E10value_typeEPNSQ_ISL_E10value_typeEPSM_NS1_7vsmem_tEENKUlT_SK_SL_SM_E_clIPiSE_SF_SF_EESJ_SZ_SK_SL_SM_EUlSZ_E1_NS1_11comp_targetILNS1_3genE2ELNS1_11target_archE906ELNS1_3gpuE6ELNS1_3repE0EEENS1_36merge_oddeven_config_static_selectorELNS0_4arch9wavefront6targetE1EEEvSL_,comdat
	.protected	_ZN7rocprim17ROCPRIM_400000_NS6detail17trampoline_kernelINS0_14default_configENS1_38merge_sort_block_merge_config_selectorIiNS0_10empty_typeEEEZZNS1_27merge_sort_block_merge_implIS3_N6thrust23THRUST_200600_302600_NS6detail15normal_iteratorINS9_10device_ptrIiEEEEPS5_jNS1_19radix_merge_compareILb1ELb1EiNS0_19identity_decomposerEEEEE10hipError_tT0_T1_T2_jT3_P12ihipStream_tbPNSt15iterator_traitsISK_E10value_typeEPNSQ_ISL_E10value_typeEPSM_NS1_7vsmem_tEENKUlT_SK_SL_SM_E_clIPiSE_SF_SF_EESJ_SZ_SK_SL_SM_EUlSZ_E1_NS1_11comp_targetILNS1_3genE2ELNS1_11target_archE906ELNS1_3gpuE6ELNS1_3repE0EEENS1_36merge_oddeven_config_static_selectorELNS0_4arch9wavefront6targetE1EEEvSL_ ; -- Begin function _ZN7rocprim17ROCPRIM_400000_NS6detail17trampoline_kernelINS0_14default_configENS1_38merge_sort_block_merge_config_selectorIiNS0_10empty_typeEEEZZNS1_27merge_sort_block_merge_implIS3_N6thrust23THRUST_200600_302600_NS6detail15normal_iteratorINS9_10device_ptrIiEEEEPS5_jNS1_19radix_merge_compareILb1ELb1EiNS0_19identity_decomposerEEEEE10hipError_tT0_T1_T2_jT3_P12ihipStream_tbPNSt15iterator_traitsISK_E10value_typeEPNSQ_ISL_E10value_typeEPSM_NS1_7vsmem_tEENKUlT_SK_SL_SM_E_clIPiSE_SF_SF_EESJ_SZ_SK_SL_SM_EUlSZ_E1_NS1_11comp_targetILNS1_3genE2ELNS1_11target_archE906ELNS1_3gpuE6ELNS1_3repE0EEENS1_36merge_oddeven_config_static_selectorELNS0_4arch9wavefront6targetE1EEEvSL_
	.globl	_ZN7rocprim17ROCPRIM_400000_NS6detail17trampoline_kernelINS0_14default_configENS1_38merge_sort_block_merge_config_selectorIiNS0_10empty_typeEEEZZNS1_27merge_sort_block_merge_implIS3_N6thrust23THRUST_200600_302600_NS6detail15normal_iteratorINS9_10device_ptrIiEEEEPS5_jNS1_19radix_merge_compareILb1ELb1EiNS0_19identity_decomposerEEEEE10hipError_tT0_T1_T2_jT3_P12ihipStream_tbPNSt15iterator_traitsISK_E10value_typeEPNSQ_ISL_E10value_typeEPSM_NS1_7vsmem_tEENKUlT_SK_SL_SM_E_clIPiSE_SF_SF_EESJ_SZ_SK_SL_SM_EUlSZ_E1_NS1_11comp_targetILNS1_3genE2ELNS1_11target_archE906ELNS1_3gpuE6ELNS1_3repE0EEENS1_36merge_oddeven_config_static_selectorELNS0_4arch9wavefront6targetE1EEEvSL_
	.p2align	8
	.type	_ZN7rocprim17ROCPRIM_400000_NS6detail17trampoline_kernelINS0_14default_configENS1_38merge_sort_block_merge_config_selectorIiNS0_10empty_typeEEEZZNS1_27merge_sort_block_merge_implIS3_N6thrust23THRUST_200600_302600_NS6detail15normal_iteratorINS9_10device_ptrIiEEEEPS5_jNS1_19radix_merge_compareILb1ELb1EiNS0_19identity_decomposerEEEEE10hipError_tT0_T1_T2_jT3_P12ihipStream_tbPNSt15iterator_traitsISK_E10value_typeEPNSQ_ISL_E10value_typeEPSM_NS1_7vsmem_tEENKUlT_SK_SL_SM_E_clIPiSE_SF_SF_EESJ_SZ_SK_SL_SM_EUlSZ_E1_NS1_11comp_targetILNS1_3genE2ELNS1_11target_archE906ELNS1_3gpuE6ELNS1_3repE0EEENS1_36merge_oddeven_config_static_selectorELNS0_4arch9wavefront6targetE1EEEvSL_,@function
_ZN7rocprim17ROCPRIM_400000_NS6detail17trampoline_kernelINS0_14default_configENS1_38merge_sort_block_merge_config_selectorIiNS0_10empty_typeEEEZZNS1_27merge_sort_block_merge_implIS3_N6thrust23THRUST_200600_302600_NS6detail15normal_iteratorINS9_10device_ptrIiEEEEPS5_jNS1_19radix_merge_compareILb1ELb1EiNS0_19identity_decomposerEEEEE10hipError_tT0_T1_T2_jT3_P12ihipStream_tbPNSt15iterator_traitsISK_E10value_typeEPNSQ_ISL_E10value_typeEPSM_NS1_7vsmem_tEENKUlT_SK_SL_SM_E_clIPiSE_SF_SF_EESJ_SZ_SK_SL_SM_EUlSZ_E1_NS1_11comp_targetILNS1_3genE2ELNS1_11target_archE906ELNS1_3gpuE6ELNS1_3repE0EEENS1_36merge_oddeven_config_static_selectorELNS0_4arch9wavefront6targetE1EEEvSL_: ; @_ZN7rocprim17ROCPRIM_400000_NS6detail17trampoline_kernelINS0_14default_configENS1_38merge_sort_block_merge_config_selectorIiNS0_10empty_typeEEEZZNS1_27merge_sort_block_merge_implIS3_N6thrust23THRUST_200600_302600_NS6detail15normal_iteratorINS9_10device_ptrIiEEEEPS5_jNS1_19radix_merge_compareILb1ELb1EiNS0_19identity_decomposerEEEEE10hipError_tT0_T1_T2_jT3_P12ihipStream_tbPNSt15iterator_traitsISK_E10value_typeEPNSQ_ISL_E10value_typeEPSM_NS1_7vsmem_tEENKUlT_SK_SL_SM_E_clIPiSE_SF_SF_EESJ_SZ_SK_SL_SM_EUlSZ_E1_NS1_11comp_targetILNS1_3genE2ELNS1_11target_archE906ELNS1_3gpuE6ELNS1_3repE0EEENS1_36merge_oddeven_config_static_selectorELNS0_4arch9wavefront6targetE1EEEvSL_
; %bb.0:
	.section	.rodata,"a",@progbits
	.p2align	6, 0x0
	.amdhsa_kernel _ZN7rocprim17ROCPRIM_400000_NS6detail17trampoline_kernelINS0_14default_configENS1_38merge_sort_block_merge_config_selectorIiNS0_10empty_typeEEEZZNS1_27merge_sort_block_merge_implIS3_N6thrust23THRUST_200600_302600_NS6detail15normal_iteratorINS9_10device_ptrIiEEEEPS5_jNS1_19radix_merge_compareILb1ELb1EiNS0_19identity_decomposerEEEEE10hipError_tT0_T1_T2_jT3_P12ihipStream_tbPNSt15iterator_traitsISK_E10value_typeEPNSQ_ISL_E10value_typeEPSM_NS1_7vsmem_tEENKUlT_SK_SL_SM_E_clIPiSE_SF_SF_EESJ_SZ_SK_SL_SM_EUlSZ_E1_NS1_11comp_targetILNS1_3genE2ELNS1_11target_archE906ELNS1_3gpuE6ELNS1_3repE0EEENS1_36merge_oddeven_config_static_selectorELNS0_4arch9wavefront6targetE1EEEvSL_
		.amdhsa_group_segment_fixed_size 0
		.amdhsa_private_segment_fixed_size 0
		.amdhsa_kernarg_size 48
		.amdhsa_user_sgpr_count 2
		.amdhsa_user_sgpr_dispatch_ptr 0
		.amdhsa_user_sgpr_queue_ptr 0
		.amdhsa_user_sgpr_kernarg_segment_ptr 1
		.amdhsa_user_sgpr_dispatch_id 0
		.amdhsa_user_sgpr_kernarg_preload_length 0
		.amdhsa_user_sgpr_kernarg_preload_offset 0
		.amdhsa_user_sgpr_private_segment_size 0
		.amdhsa_uses_dynamic_stack 0
		.amdhsa_enable_private_segment 0
		.amdhsa_system_sgpr_workgroup_id_x 1
		.amdhsa_system_sgpr_workgroup_id_y 0
		.amdhsa_system_sgpr_workgroup_id_z 0
		.amdhsa_system_sgpr_workgroup_info 0
		.amdhsa_system_vgpr_workitem_id 0
		.amdhsa_next_free_vgpr 1
		.amdhsa_next_free_sgpr 0
		.amdhsa_accum_offset 4
		.amdhsa_reserve_vcc 0
		.amdhsa_float_round_mode_32 0
		.amdhsa_float_round_mode_16_64 0
		.amdhsa_float_denorm_mode_32 3
		.amdhsa_float_denorm_mode_16_64 3
		.amdhsa_dx10_clamp 1
		.amdhsa_ieee_mode 1
		.amdhsa_fp16_overflow 0
		.amdhsa_tg_split 0
		.amdhsa_exception_fp_ieee_invalid_op 0
		.amdhsa_exception_fp_denorm_src 0
		.amdhsa_exception_fp_ieee_div_zero 0
		.amdhsa_exception_fp_ieee_overflow 0
		.amdhsa_exception_fp_ieee_underflow 0
		.amdhsa_exception_fp_ieee_inexact 0
		.amdhsa_exception_int_div_zero 0
	.end_amdhsa_kernel
	.section	.text._ZN7rocprim17ROCPRIM_400000_NS6detail17trampoline_kernelINS0_14default_configENS1_38merge_sort_block_merge_config_selectorIiNS0_10empty_typeEEEZZNS1_27merge_sort_block_merge_implIS3_N6thrust23THRUST_200600_302600_NS6detail15normal_iteratorINS9_10device_ptrIiEEEEPS5_jNS1_19radix_merge_compareILb1ELb1EiNS0_19identity_decomposerEEEEE10hipError_tT0_T1_T2_jT3_P12ihipStream_tbPNSt15iterator_traitsISK_E10value_typeEPNSQ_ISL_E10value_typeEPSM_NS1_7vsmem_tEENKUlT_SK_SL_SM_E_clIPiSE_SF_SF_EESJ_SZ_SK_SL_SM_EUlSZ_E1_NS1_11comp_targetILNS1_3genE2ELNS1_11target_archE906ELNS1_3gpuE6ELNS1_3repE0EEENS1_36merge_oddeven_config_static_selectorELNS0_4arch9wavefront6targetE1EEEvSL_,"axG",@progbits,_ZN7rocprim17ROCPRIM_400000_NS6detail17trampoline_kernelINS0_14default_configENS1_38merge_sort_block_merge_config_selectorIiNS0_10empty_typeEEEZZNS1_27merge_sort_block_merge_implIS3_N6thrust23THRUST_200600_302600_NS6detail15normal_iteratorINS9_10device_ptrIiEEEEPS5_jNS1_19radix_merge_compareILb1ELb1EiNS0_19identity_decomposerEEEEE10hipError_tT0_T1_T2_jT3_P12ihipStream_tbPNSt15iterator_traitsISK_E10value_typeEPNSQ_ISL_E10value_typeEPSM_NS1_7vsmem_tEENKUlT_SK_SL_SM_E_clIPiSE_SF_SF_EESJ_SZ_SK_SL_SM_EUlSZ_E1_NS1_11comp_targetILNS1_3genE2ELNS1_11target_archE906ELNS1_3gpuE6ELNS1_3repE0EEENS1_36merge_oddeven_config_static_selectorELNS0_4arch9wavefront6targetE1EEEvSL_,comdat
.Lfunc_end291:
	.size	_ZN7rocprim17ROCPRIM_400000_NS6detail17trampoline_kernelINS0_14default_configENS1_38merge_sort_block_merge_config_selectorIiNS0_10empty_typeEEEZZNS1_27merge_sort_block_merge_implIS3_N6thrust23THRUST_200600_302600_NS6detail15normal_iteratorINS9_10device_ptrIiEEEEPS5_jNS1_19radix_merge_compareILb1ELb1EiNS0_19identity_decomposerEEEEE10hipError_tT0_T1_T2_jT3_P12ihipStream_tbPNSt15iterator_traitsISK_E10value_typeEPNSQ_ISL_E10value_typeEPSM_NS1_7vsmem_tEENKUlT_SK_SL_SM_E_clIPiSE_SF_SF_EESJ_SZ_SK_SL_SM_EUlSZ_E1_NS1_11comp_targetILNS1_3genE2ELNS1_11target_archE906ELNS1_3gpuE6ELNS1_3repE0EEENS1_36merge_oddeven_config_static_selectorELNS0_4arch9wavefront6targetE1EEEvSL_, .Lfunc_end291-_ZN7rocprim17ROCPRIM_400000_NS6detail17trampoline_kernelINS0_14default_configENS1_38merge_sort_block_merge_config_selectorIiNS0_10empty_typeEEEZZNS1_27merge_sort_block_merge_implIS3_N6thrust23THRUST_200600_302600_NS6detail15normal_iteratorINS9_10device_ptrIiEEEEPS5_jNS1_19radix_merge_compareILb1ELb1EiNS0_19identity_decomposerEEEEE10hipError_tT0_T1_T2_jT3_P12ihipStream_tbPNSt15iterator_traitsISK_E10value_typeEPNSQ_ISL_E10value_typeEPSM_NS1_7vsmem_tEENKUlT_SK_SL_SM_E_clIPiSE_SF_SF_EESJ_SZ_SK_SL_SM_EUlSZ_E1_NS1_11comp_targetILNS1_3genE2ELNS1_11target_archE906ELNS1_3gpuE6ELNS1_3repE0EEENS1_36merge_oddeven_config_static_selectorELNS0_4arch9wavefront6targetE1EEEvSL_
                                        ; -- End function
	.set _ZN7rocprim17ROCPRIM_400000_NS6detail17trampoline_kernelINS0_14default_configENS1_38merge_sort_block_merge_config_selectorIiNS0_10empty_typeEEEZZNS1_27merge_sort_block_merge_implIS3_N6thrust23THRUST_200600_302600_NS6detail15normal_iteratorINS9_10device_ptrIiEEEEPS5_jNS1_19radix_merge_compareILb1ELb1EiNS0_19identity_decomposerEEEEE10hipError_tT0_T1_T2_jT3_P12ihipStream_tbPNSt15iterator_traitsISK_E10value_typeEPNSQ_ISL_E10value_typeEPSM_NS1_7vsmem_tEENKUlT_SK_SL_SM_E_clIPiSE_SF_SF_EESJ_SZ_SK_SL_SM_EUlSZ_E1_NS1_11comp_targetILNS1_3genE2ELNS1_11target_archE906ELNS1_3gpuE6ELNS1_3repE0EEENS1_36merge_oddeven_config_static_selectorELNS0_4arch9wavefront6targetE1EEEvSL_.num_vgpr, 0
	.set _ZN7rocprim17ROCPRIM_400000_NS6detail17trampoline_kernelINS0_14default_configENS1_38merge_sort_block_merge_config_selectorIiNS0_10empty_typeEEEZZNS1_27merge_sort_block_merge_implIS3_N6thrust23THRUST_200600_302600_NS6detail15normal_iteratorINS9_10device_ptrIiEEEEPS5_jNS1_19radix_merge_compareILb1ELb1EiNS0_19identity_decomposerEEEEE10hipError_tT0_T1_T2_jT3_P12ihipStream_tbPNSt15iterator_traitsISK_E10value_typeEPNSQ_ISL_E10value_typeEPSM_NS1_7vsmem_tEENKUlT_SK_SL_SM_E_clIPiSE_SF_SF_EESJ_SZ_SK_SL_SM_EUlSZ_E1_NS1_11comp_targetILNS1_3genE2ELNS1_11target_archE906ELNS1_3gpuE6ELNS1_3repE0EEENS1_36merge_oddeven_config_static_selectorELNS0_4arch9wavefront6targetE1EEEvSL_.num_agpr, 0
	.set _ZN7rocprim17ROCPRIM_400000_NS6detail17trampoline_kernelINS0_14default_configENS1_38merge_sort_block_merge_config_selectorIiNS0_10empty_typeEEEZZNS1_27merge_sort_block_merge_implIS3_N6thrust23THRUST_200600_302600_NS6detail15normal_iteratorINS9_10device_ptrIiEEEEPS5_jNS1_19radix_merge_compareILb1ELb1EiNS0_19identity_decomposerEEEEE10hipError_tT0_T1_T2_jT3_P12ihipStream_tbPNSt15iterator_traitsISK_E10value_typeEPNSQ_ISL_E10value_typeEPSM_NS1_7vsmem_tEENKUlT_SK_SL_SM_E_clIPiSE_SF_SF_EESJ_SZ_SK_SL_SM_EUlSZ_E1_NS1_11comp_targetILNS1_3genE2ELNS1_11target_archE906ELNS1_3gpuE6ELNS1_3repE0EEENS1_36merge_oddeven_config_static_selectorELNS0_4arch9wavefront6targetE1EEEvSL_.numbered_sgpr, 0
	.set _ZN7rocprim17ROCPRIM_400000_NS6detail17trampoline_kernelINS0_14default_configENS1_38merge_sort_block_merge_config_selectorIiNS0_10empty_typeEEEZZNS1_27merge_sort_block_merge_implIS3_N6thrust23THRUST_200600_302600_NS6detail15normal_iteratorINS9_10device_ptrIiEEEEPS5_jNS1_19radix_merge_compareILb1ELb1EiNS0_19identity_decomposerEEEEE10hipError_tT0_T1_T2_jT3_P12ihipStream_tbPNSt15iterator_traitsISK_E10value_typeEPNSQ_ISL_E10value_typeEPSM_NS1_7vsmem_tEENKUlT_SK_SL_SM_E_clIPiSE_SF_SF_EESJ_SZ_SK_SL_SM_EUlSZ_E1_NS1_11comp_targetILNS1_3genE2ELNS1_11target_archE906ELNS1_3gpuE6ELNS1_3repE0EEENS1_36merge_oddeven_config_static_selectorELNS0_4arch9wavefront6targetE1EEEvSL_.num_named_barrier, 0
	.set _ZN7rocprim17ROCPRIM_400000_NS6detail17trampoline_kernelINS0_14default_configENS1_38merge_sort_block_merge_config_selectorIiNS0_10empty_typeEEEZZNS1_27merge_sort_block_merge_implIS3_N6thrust23THRUST_200600_302600_NS6detail15normal_iteratorINS9_10device_ptrIiEEEEPS5_jNS1_19radix_merge_compareILb1ELb1EiNS0_19identity_decomposerEEEEE10hipError_tT0_T1_T2_jT3_P12ihipStream_tbPNSt15iterator_traitsISK_E10value_typeEPNSQ_ISL_E10value_typeEPSM_NS1_7vsmem_tEENKUlT_SK_SL_SM_E_clIPiSE_SF_SF_EESJ_SZ_SK_SL_SM_EUlSZ_E1_NS1_11comp_targetILNS1_3genE2ELNS1_11target_archE906ELNS1_3gpuE6ELNS1_3repE0EEENS1_36merge_oddeven_config_static_selectorELNS0_4arch9wavefront6targetE1EEEvSL_.private_seg_size, 0
	.set _ZN7rocprim17ROCPRIM_400000_NS6detail17trampoline_kernelINS0_14default_configENS1_38merge_sort_block_merge_config_selectorIiNS0_10empty_typeEEEZZNS1_27merge_sort_block_merge_implIS3_N6thrust23THRUST_200600_302600_NS6detail15normal_iteratorINS9_10device_ptrIiEEEEPS5_jNS1_19radix_merge_compareILb1ELb1EiNS0_19identity_decomposerEEEEE10hipError_tT0_T1_T2_jT3_P12ihipStream_tbPNSt15iterator_traitsISK_E10value_typeEPNSQ_ISL_E10value_typeEPSM_NS1_7vsmem_tEENKUlT_SK_SL_SM_E_clIPiSE_SF_SF_EESJ_SZ_SK_SL_SM_EUlSZ_E1_NS1_11comp_targetILNS1_3genE2ELNS1_11target_archE906ELNS1_3gpuE6ELNS1_3repE0EEENS1_36merge_oddeven_config_static_selectorELNS0_4arch9wavefront6targetE1EEEvSL_.uses_vcc, 0
	.set _ZN7rocprim17ROCPRIM_400000_NS6detail17trampoline_kernelINS0_14default_configENS1_38merge_sort_block_merge_config_selectorIiNS0_10empty_typeEEEZZNS1_27merge_sort_block_merge_implIS3_N6thrust23THRUST_200600_302600_NS6detail15normal_iteratorINS9_10device_ptrIiEEEEPS5_jNS1_19radix_merge_compareILb1ELb1EiNS0_19identity_decomposerEEEEE10hipError_tT0_T1_T2_jT3_P12ihipStream_tbPNSt15iterator_traitsISK_E10value_typeEPNSQ_ISL_E10value_typeEPSM_NS1_7vsmem_tEENKUlT_SK_SL_SM_E_clIPiSE_SF_SF_EESJ_SZ_SK_SL_SM_EUlSZ_E1_NS1_11comp_targetILNS1_3genE2ELNS1_11target_archE906ELNS1_3gpuE6ELNS1_3repE0EEENS1_36merge_oddeven_config_static_selectorELNS0_4arch9wavefront6targetE1EEEvSL_.uses_flat_scratch, 0
	.set _ZN7rocprim17ROCPRIM_400000_NS6detail17trampoline_kernelINS0_14default_configENS1_38merge_sort_block_merge_config_selectorIiNS0_10empty_typeEEEZZNS1_27merge_sort_block_merge_implIS3_N6thrust23THRUST_200600_302600_NS6detail15normal_iteratorINS9_10device_ptrIiEEEEPS5_jNS1_19radix_merge_compareILb1ELb1EiNS0_19identity_decomposerEEEEE10hipError_tT0_T1_T2_jT3_P12ihipStream_tbPNSt15iterator_traitsISK_E10value_typeEPNSQ_ISL_E10value_typeEPSM_NS1_7vsmem_tEENKUlT_SK_SL_SM_E_clIPiSE_SF_SF_EESJ_SZ_SK_SL_SM_EUlSZ_E1_NS1_11comp_targetILNS1_3genE2ELNS1_11target_archE906ELNS1_3gpuE6ELNS1_3repE0EEENS1_36merge_oddeven_config_static_selectorELNS0_4arch9wavefront6targetE1EEEvSL_.has_dyn_sized_stack, 0
	.set _ZN7rocprim17ROCPRIM_400000_NS6detail17trampoline_kernelINS0_14default_configENS1_38merge_sort_block_merge_config_selectorIiNS0_10empty_typeEEEZZNS1_27merge_sort_block_merge_implIS3_N6thrust23THRUST_200600_302600_NS6detail15normal_iteratorINS9_10device_ptrIiEEEEPS5_jNS1_19radix_merge_compareILb1ELb1EiNS0_19identity_decomposerEEEEE10hipError_tT0_T1_T2_jT3_P12ihipStream_tbPNSt15iterator_traitsISK_E10value_typeEPNSQ_ISL_E10value_typeEPSM_NS1_7vsmem_tEENKUlT_SK_SL_SM_E_clIPiSE_SF_SF_EESJ_SZ_SK_SL_SM_EUlSZ_E1_NS1_11comp_targetILNS1_3genE2ELNS1_11target_archE906ELNS1_3gpuE6ELNS1_3repE0EEENS1_36merge_oddeven_config_static_selectorELNS0_4arch9wavefront6targetE1EEEvSL_.has_recursion, 0
	.set _ZN7rocprim17ROCPRIM_400000_NS6detail17trampoline_kernelINS0_14default_configENS1_38merge_sort_block_merge_config_selectorIiNS0_10empty_typeEEEZZNS1_27merge_sort_block_merge_implIS3_N6thrust23THRUST_200600_302600_NS6detail15normal_iteratorINS9_10device_ptrIiEEEEPS5_jNS1_19radix_merge_compareILb1ELb1EiNS0_19identity_decomposerEEEEE10hipError_tT0_T1_T2_jT3_P12ihipStream_tbPNSt15iterator_traitsISK_E10value_typeEPNSQ_ISL_E10value_typeEPSM_NS1_7vsmem_tEENKUlT_SK_SL_SM_E_clIPiSE_SF_SF_EESJ_SZ_SK_SL_SM_EUlSZ_E1_NS1_11comp_targetILNS1_3genE2ELNS1_11target_archE906ELNS1_3gpuE6ELNS1_3repE0EEENS1_36merge_oddeven_config_static_selectorELNS0_4arch9wavefront6targetE1EEEvSL_.has_indirect_call, 0
	.section	.AMDGPU.csdata,"",@progbits
; Kernel info:
; codeLenInByte = 0
; TotalNumSgprs: 6
; NumVgprs: 0
; NumAgprs: 0
; TotalNumVgprs: 0
; ScratchSize: 0
; MemoryBound: 0
; FloatMode: 240
; IeeeMode: 1
; LDSByteSize: 0 bytes/workgroup (compile time only)
; SGPRBlocks: 0
; VGPRBlocks: 0
; NumSGPRsForWavesPerEU: 6
; NumVGPRsForWavesPerEU: 1
; AccumOffset: 4
; Occupancy: 8
; WaveLimiterHint : 0
; COMPUTE_PGM_RSRC2:SCRATCH_EN: 0
; COMPUTE_PGM_RSRC2:USER_SGPR: 2
; COMPUTE_PGM_RSRC2:TRAP_HANDLER: 0
; COMPUTE_PGM_RSRC2:TGID_X_EN: 1
; COMPUTE_PGM_RSRC2:TGID_Y_EN: 0
; COMPUTE_PGM_RSRC2:TGID_Z_EN: 0
; COMPUTE_PGM_RSRC2:TIDIG_COMP_CNT: 0
; COMPUTE_PGM_RSRC3_GFX90A:ACCUM_OFFSET: 0
; COMPUTE_PGM_RSRC3_GFX90A:TG_SPLIT: 0
	.section	.text._ZN7rocprim17ROCPRIM_400000_NS6detail17trampoline_kernelINS0_14default_configENS1_38merge_sort_block_merge_config_selectorIiNS0_10empty_typeEEEZZNS1_27merge_sort_block_merge_implIS3_N6thrust23THRUST_200600_302600_NS6detail15normal_iteratorINS9_10device_ptrIiEEEEPS5_jNS1_19radix_merge_compareILb1ELb1EiNS0_19identity_decomposerEEEEE10hipError_tT0_T1_T2_jT3_P12ihipStream_tbPNSt15iterator_traitsISK_E10value_typeEPNSQ_ISL_E10value_typeEPSM_NS1_7vsmem_tEENKUlT_SK_SL_SM_E_clIPiSE_SF_SF_EESJ_SZ_SK_SL_SM_EUlSZ_E1_NS1_11comp_targetILNS1_3genE9ELNS1_11target_archE1100ELNS1_3gpuE3ELNS1_3repE0EEENS1_36merge_oddeven_config_static_selectorELNS0_4arch9wavefront6targetE1EEEvSL_,"axG",@progbits,_ZN7rocprim17ROCPRIM_400000_NS6detail17trampoline_kernelINS0_14default_configENS1_38merge_sort_block_merge_config_selectorIiNS0_10empty_typeEEEZZNS1_27merge_sort_block_merge_implIS3_N6thrust23THRUST_200600_302600_NS6detail15normal_iteratorINS9_10device_ptrIiEEEEPS5_jNS1_19radix_merge_compareILb1ELb1EiNS0_19identity_decomposerEEEEE10hipError_tT0_T1_T2_jT3_P12ihipStream_tbPNSt15iterator_traitsISK_E10value_typeEPNSQ_ISL_E10value_typeEPSM_NS1_7vsmem_tEENKUlT_SK_SL_SM_E_clIPiSE_SF_SF_EESJ_SZ_SK_SL_SM_EUlSZ_E1_NS1_11comp_targetILNS1_3genE9ELNS1_11target_archE1100ELNS1_3gpuE3ELNS1_3repE0EEENS1_36merge_oddeven_config_static_selectorELNS0_4arch9wavefront6targetE1EEEvSL_,comdat
	.protected	_ZN7rocprim17ROCPRIM_400000_NS6detail17trampoline_kernelINS0_14default_configENS1_38merge_sort_block_merge_config_selectorIiNS0_10empty_typeEEEZZNS1_27merge_sort_block_merge_implIS3_N6thrust23THRUST_200600_302600_NS6detail15normal_iteratorINS9_10device_ptrIiEEEEPS5_jNS1_19radix_merge_compareILb1ELb1EiNS0_19identity_decomposerEEEEE10hipError_tT0_T1_T2_jT3_P12ihipStream_tbPNSt15iterator_traitsISK_E10value_typeEPNSQ_ISL_E10value_typeEPSM_NS1_7vsmem_tEENKUlT_SK_SL_SM_E_clIPiSE_SF_SF_EESJ_SZ_SK_SL_SM_EUlSZ_E1_NS1_11comp_targetILNS1_3genE9ELNS1_11target_archE1100ELNS1_3gpuE3ELNS1_3repE0EEENS1_36merge_oddeven_config_static_selectorELNS0_4arch9wavefront6targetE1EEEvSL_ ; -- Begin function _ZN7rocprim17ROCPRIM_400000_NS6detail17trampoline_kernelINS0_14default_configENS1_38merge_sort_block_merge_config_selectorIiNS0_10empty_typeEEEZZNS1_27merge_sort_block_merge_implIS3_N6thrust23THRUST_200600_302600_NS6detail15normal_iteratorINS9_10device_ptrIiEEEEPS5_jNS1_19radix_merge_compareILb1ELb1EiNS0_19identity_decomposerEEEEE10hipError_tT0_T1_T2_jT3_P12ihipStream_tbPNSt15iterator_traitsISK_E10value_typeEPNSQ_ISL_E10value_typeEPSM_NS1_7vsmem_tEENKUlT_SK_SL_SM_E_clIPiSE_SF_SF_EESJ_SZ_SK_SL_SM_EUlSZ_E1_NS1_11comp_targetILNS1_3genE9ELNS1_11target_archE1100ELNS1_3gpuE3ELNS1_3repE0EEENS1_36merge_oddeven_config_static_selectorELNS0_4arch9wavefront6targetE1EEEvSL_
	.globl	_ZN7rocprim17ROCPRIM_400000_NS6detail17trampoline_kernelINS0_14default_configENS1_38merge_sort_block_merge_config_selectorIiNS0_10empty_typeEEEZZNS1_27merge_sort_block_merge_implIS3_N6thrust23THRUST_200600_302600_NS6detail15normal_iteratorINS9_10device_ptrIiEEEEPS5_jNS1_19radix_merge_compareILb1ELb1EiNS0_19identity_decomposerEEEEE10hipError_tT0_T1_T2_jT3_P12ihipStream_tbPNSt15iterator_traitsISK_E10value_typeEPNSQ_ISL_E10value_typeEPSM_NS1_7vsmem_tEENKUlT_SK_SL_SM_E_clIPiSE_SF_SF_EESJ_SZ_SK_SL_SM_EUlSZ_E1_NS1_11comp_targetILNS1_3genE9ELNS1_11target_archE1100ELNS1_3gpuE3ELNS1_3repE0EEENS1_36merge_oddeven_config_static_selectorELNS0_4arch9wavefront6targetE1EEEvSL_
	.p2align	8
	.type	_ZN7rocprim17ROCPRIM_400000_NS6detail17trampoline_kernelINS0_14default_configENS1_38merge_sort_block_merge_config_selectorIiNS0_10empty_typeEEEZZNS1_27merge_sort_block_merge_implIS3_N6thrust23THRUST_200600_302600_NS6detail15normal_iteratorINS9_10device_ptrIiEEEEPS5_jNS1_19radix_merge_compareILb1ELb1EiNS0_19identity_decomposerEEEEE10hipError_tT0_T1_T2_jT3_P12ihipStream_tbPNSt15iterator_traitsISK_E10value_typeEPNSQ_ISL_E10value_typeEPSM_NS1_7vsmem_tEENKUlT_SK_SL_SM_E_clIPiSE_SF_SF_EESJ_SZ_SK_SL_SM_EUlSZ_E1_NS1_11comp_targetILNS1_3genE9ELNS1_11target_archE1100ELNS1_3gpuE3ELNS1_3repE0EEENS1_36merge_oddeven_config_static_selectorELNS0_4arch9wavefront6targetE1EEEvSL_,@function
_ZN7rocprim17ROCPRIM_400000_NS6detail17trampoline_kernelINS0_14default_configENS1_38merge_sort_block_merge_config_selectorIiNS0_10empty_typeEEEZZNS1_27merge_sort_block_merge_implIS3_N6thrust23THRUST_200600_302600_NS6detail15normal_iteratorINS9_10device_ptrIiEEEEPS5_jNS1_19radix_merge_compareILb1ELb1EiNS0_19identity_decomposerEEEEE10hipError_tT0_T1_T2_jT3_P12ihipStream_tbPNSt15iterator_traitsISK_E10value_typeEPNSQ_ISL_E10value_typeEPSM_NS1_7vsmem_tEENKUlT_SK_SL_SM_E_clIPiSE_SF_SF_EESJ_SZ_SK_SL_SM_EUlSZ_E1_NS1_11comp_targetILNS1_3genE9ELNS1_11target_archE1100ELNS1_3gpuE3ELNS1_3repE0EEENS1_36merge_oddeven_config_static_selectorELNS0_4arch9wavefront6targetE1EEEvSL_: ; @_ZN7rocprim17ROCPRIM_400000_NS6detail17trampoline_kernelINS0_14default_configENS1_38merge_sort_block_merge_config_selectorIiNS0_10empty_typeEEEZZNS1_27merge_sort_block_merge_implIS3_N6thrust23THRUST_200600_302600_NS6detail15normal_iteratorINS9_10device_ptrIiEEEEPS5_jNS1_19radix_merge_compareILb1ELb1EiNS0_19identity_decomposerEEEEE10hipError_tT0_T1_T2_jT3_P12ihipStream_tbPNSt15iterator_traitsISK_E10value_typeEPNSQ_ISL_E10value_typeEPSM_NS1_7vsmem_tEENKUlT_SK_SL_SM_E_clIPiSE_SF_SF_EESJ_SZ_SK_SL_SM_EUlSZ_E1_NS1_11comp_targetILNS1_3genE9ELNS1_11target_archE1100ELNS1_3gpuE3ELNS1_3repE0EEENS1_36merge_oddeven_config_static_selectorELNS0_4arch9wavefront6targetE1EEEvSL_
; %bb.0:
	.section	.rodata,"a",@progbits
	.p2align	6, 0x0
	.amdhsa_kernel _ZN7rocprim17ROCPRIM_400000_NS6detail17trampoline_kernelINS0_14default_configENS1_38merge_sort_block_merge_config_selectorIiNS0_10empty_typeEEEZZNS1_27merge_sort_block_merge_implIS3_N6thrust23THRUST_200600_302600_NS6detail15normal_iteratorINS9_10device_ptrIiEEEEPS5_jNS1_19radix_merge_compareILb1ELb1EiNS0_19identity_decomposerEEEEE10hipError_tT0_T1_T2_jT3_P12ihipStream_tbPNSt15iterator_traitsISK_E10value_typeEPNSQ_ISL_E10value_typeEPSM_NS1_7vsmem_tEENKUlT_SK_SL_SM_E_clIPiSE_SF_SF_EESJ_SZ_SK_SL_SM_EUlSZ_E1_NS1_11comp_targetILNS1_3genE9ELNS1_11target_archE1100ELNS1_3gpuE3ELNS1_3repE0EEENS1_36merge_oddeven_config_static_selectorELNS0_4arch9wavefront6targetE1EEEvSL_
		.amdhsa_group_segment_fixed_size 0
		.amdhsa_private_segment_fixed_size 0
		.amdhsa_kernarg_size 48
		.amdhsa_user_sgpr_count 2
		.amdhsa_user_sgpr_dispatch_ptr 0
		.amdhsa_user_sgpr_queue_ptr 0
		.amdhsa_user_sgpr_kernarg_segment_ptr 1
		.amdhsa_user_sgpr_dispatch_id 0
		.amdhsa_user_sgpr_kernarg_preload_length 0
		.amdhsa_user_sgpr_kernarg_preload_offset 0
		.amdhsa_user_sgpr_private_segment_size 0
		.amdhsa_uses_dynamic_stack 0
		.amdhsa_enable_private_segment 0
		.amdhsa_system_sgpr_workgroup_id_x 1
		.amdhsa_system_sgpr_workgroup_id_y 0
		.amdhsa_system_sgpr_workgroup_id_z 0
		.amdhsa_system_sgpr_workgroup_info 0
		.amdhsa_system_vgpr_workitem_id 0
		.amdhsa_next_free_vgpr 1
		.amdhsa_next_free_sgpr 0
		.amdhsa_accum_offset 4
		.amdhsa_reserve_vcc 0
		.amdhsa_float_round_mode_32 0
		.amdhsa_float_round_mode_16_64 0
		.amdhsa_float_denorm_mode_32 3
		.amdhsa_float_denorm_mode_16_64 3
		.amdhsa_dx10_clamp 1
		.amdhsa_ieee_mode 1
		.amdhsa_fp16_overflow 0
		.amdhsa_tg_split 0
		.amdhsa_exception_fp_ieee_invalid_op 0
		.amdhsa_exception_fp_denorm_src 0
		.amdhsa_exception_fp_ieee_div_zero 0
		.amdhsa_exception_fp_ieee_overflow 0
		.amdhsa_exception_fp_ieee_underflow 0
		.amdhsa_exception_fp_ieee_inexact 0
		.amdhsa_exception_int_div_zero 0
	.end_amdhsa_kernel
	.section	.text._ZN7rocprim17ROCPRIM_400000_NS6detail17trampoline_kernelINS0_14default_configENS1_38merge_sort_block_merge_config_selectorIiNS0_10empty_typeEEEZZNS1_27merge_sort_block_merge_implIS3_N6thrust23THRUST_200600_302600_NS6detail15normal_iteratorINS9_10device_ptrIiEEEEPS5_jNS1_19radix_merge_compareILb1ELb1EiNS0_19identity_decomposerEEEEE10hipError_tT0_T1_T2_jT3_P12ihipStream_tbPNSt15iterator_traitsISK_E10value_typeEPNSQ_ISL_E10value_typeEPSM_NS1_7vsmem_tEENKUlT_SK_SL_SM_E_clIPiSE_SF_SF_EESJ_SZ_SK_SL_SM_EUlSZ_E1_NS1_11comp_targetILNS1_3genE9ELNS1_11target_archE1100ELNS1_3gpuE3ELNS1_3repE0EEENS1_36merge_oddeven_config_static_selectorELNS0_4arch9wavefront6targetE1EEEvSL_,"axG",@progbits,_ZN7rocprim17ROCPRIM_400000_NS6detail17trampoline_kernelINS0_14default_configENS1_38merge_sort_block_merge_config_selectorIiNS0_10empty_typeEEEZZNS1_27merge_sort_block_merge_implIS3_N6thrust23THRUST_200600_302600_NS6detail15normal_iteratorINS9_10device_ptrIiEEEEPS5_jNS1_19radix_merge_compareILb1ELb1EiNS0_19identity_decomposerEEEEE10hipError_tT0_T1_T2_jT3_P12ihipStream_tbPNSt15iterator_traitsISK_E10value_typeEPNSQ_ISL_E10value_typeEPSM_NS1_7vsmem_tEENKUlT_SK_SL_SM_E_clIPiSE_SF_SF_EESJ_SZ_SK_SL_SM_EUlSZ_E1_NS1_11comp_targetILNS1_3genE9ELNS1_11target_archE1100ELNS1_3gpuE3ELNS1_3repE0EEENS1_36merge_oddeven_config_static_selectorELNS0_4arch9wavefront6targetE1EEEvSL_,comdat
.Lfunc_end292:
	.size	_ZN7rocprim17ROCPRIM_400000_NS6detail17trampoline_kernelINS0_14default_configENS1_38merge_sort_block_merge_config_selectorIiNS0_10empty_typeEEEZZNS1_27merge_sort_block_merge_implIS3_N6thrust23THRUST_200600_302600_NS6detail15normal_iteratorINS9_10device_ptrIiEEEEPS5_jNS1_19radix_merge_compareILb1ELb1EiNS0_19identity_decomposerEEEEE10hipError_tT0_T1_T2_jT3_P12ihipStream_tbPNSt15iterator_traitsISK_E10value_typeEPNSQ_ISL_E10value_typeEPSM_NS1_7vsmem_tEENKUlT_SK_SL_SM_E_clIPiSE_SF_SF_EESJ_SZ_SK_SL_SM_EUlSZ_E1_NS1_11comp_targetILNS1_3genE9ELNS1_11target_archE1100ELNS1_3gpuE3ELNS1_3repE0EEENS1_36merge_oddeven_config_static_selectorELNS0_4arch9wavefront6targetE1EEEvSL_, .Lfunc_end292-_ZN7rocprim17ROCPRIM_400000_NS6detail17trampoline_kernelINS0_14default_configENS1_38merge_sort_block_merge_config_selectorIiNS0_10empty_typeEEEZZNS1_27merge_sort_block_merge_implIS3_N6thrust23THRUST_200600_302600_NS6detail15normal_iteratorINS9_10device_ptrIiEEEEPS5_jNS1_19radix_merge_compareILb1ELb1EiNS0_19identity_decomposerEEEEE10hipError_tT0_T1_T2_jT3_P12ihipStream_tbPNSt15iterator_traitsISK_E10value_typeEPNSQ_ISL_E10value_typeEPSM_NS1_7vsmem_tEENKUlT_SK_SL_SM_E_clIPiSE_SF_SF_EESJ_SZ_SK_SL_SM_EUlSZ_E1_NS1_11comp_targetILNS1_3genE9ELNS1_11target_archE1100ELNS1_3gpuE3ELNS1_3repE0EEENS1_36merge_oddeven_config_static_selectorELNS0_4arch9wavefront6targetE1EEEvSL_
                                        ; -- End function
	.set _ZN7rocprim17ROCPRIM_400000_NS6detail17trampoline_kernelINS0_14default_configENS1_38merge_sort_block_merge_config_selectorIiNS0_10empty_typeEEEZZNS1_27merge_sort_block_merge_implIS3_N6thrust23THRUST_200600_302600_NS6detail15normal_iteratorINS9_10device_ptrIiEEEEPS5_jNS1_19radix_merge_compareILb1ELb1EiNS0_19identity_decomposerEEEEE10hipError_tT0_T1_T2_jT3_P12ihipStream_tbPNSt15iterator_traitsISK_E10value_typeEPNSQ_ISL_E10value_typeEPSM_NS1_7vsmem_tEENKUlT_SK_SL_SM_E_clIPiSE_SF_SF_EESJ_SZ_SK_SL_SM_EUlSZ_E1_NS1_11comp_targetILNS1_3genE9ELNS1_11target_archE1100ELNS1_3gpuE3ELNS1_3repE0EEENS1_36merge_oddeven_config_static_selectorELNS0_4arch9wavefront6targetE1EEEvSL_.num_vgpr, 0
	.set _ZN7rocprim17ROCPRIM_400000_NS6detail17trampoline_kernelINS0_14default_configENS1_38merge_sort_block_merge_config_selectorIiNS0_10empty_typeEEEZZNS1_27merge_sort_block_merge_implIS3_N6thrust23THRUST_200600_302600_NS6detail15normal_iteratorINS9_10device_ptrIiEEEEPS5_jNS1_19radix_merge_compareILb1ELb1EiNS0_19identity_decomposerEEEEE10hipError_tT0_T1_T2_jT3_P12ihipStream_tbPNSt15iterator_traitsISK_E10value_typeEPNSQ_ISL_E10value_typeEPSM_NS1_7vsmem_tEENKUlT_SK_SL_SM_E_clIPiSE_SF_SF_EESJ_SZ_SK_SL_SM_EUlSZ_E1_NS1_11comp_targetILNS1_3genE9ELNS1_11target_archE1100ELNS1_3gpuE3ELNS1_3repE0EEENS1_36merge_oddeven_config_static_selectorELNS0_4arch9wavefront6targetE1EEEvSL_.num_agpr, 0
	.set _ZN7rocprim17ROCPRIM_400000_NS6detail17trampoline_kernelINS0_14default_configENS1_38merge_sort_block_merge_config_selectorIiNS0_10empty_typeEEEZZNS1_27merge_sort_block_merge_implIS3_N6thrust23THRUST_200600_302600_NS6detail15normal_iteratorINS9_10device_ptrIiEEEEPS5_jNS1_19radix_merge_compareILb1ELb1EiNS0_19identity_decomposerEEEEE10hipError_tT0_T1_T2_jT3_P12ihipStream_tbPNSt15iterator_traitsISK_E10value_typeEPNSQ_ISL_E10value_typeEPSM_NS1_7vsmem_tEENKUlT_SK_SL_SM_E_clIPiSE_SF_SF_EESJ_SZ_SK_SL_SM_EUlSZ_E1_NS1_11comp_targetILNS1_3genE9ELNS1_11target_archE1100ELNS1_3gpuE3ELNS1_3repE0EEENS1_36merge_oddeven_config_static_selectorELNS0_4arch9wavefront6targetE1EEEvSL_.numbered_sgpr, 0
	.set _ZN7rocprim17ROCPRIM_400000_NS6detail17trampoline_kernelINS0_14default_configENS1_38merge_sort_block_merge_config_selectorIiNS0_10empty_typeEEEZZNS1_27merge_sort_block_merge_implIS3_N6thrust23THRUST_200600_302600_NS6detail15normal_iteratorINS9_10device_ptrIiEEEEPS5_jNS1_19radix_merge_compareILb1ELb1EiNS0_19identity_decomposerEEEEE10hipError_tT0_T1_T2_jT3_P12ihipStream_tbPNSt15iterator_traitsISK_E10value_typeEPNSQ_ISL_E10value_typeEPSM_NS1_7vsmem_tEENKUlT_SK_SL_SM_E_clIPiSE_SF_SF_EESJ_SZ_SK_SL_SM_EUlSZ_E1_NS1_11comp_targetILNS1_3genE9ELNS1_11target_archE1100ELNS1_3gpuE3ELNS1_3repE0EEENS1_36merge_oddeven_config_static_selectorELNS0_4arch9wavefront6targetE1EEEvSL_.num_named_barrier, 0
	.set _ZN7rocprim17ROCPRIM_400000_NS6detail17trampoline_kernelINS0_14default_configENS1_38merge_sort_block_merge_config_selectorIiNS0_10empty_typeEEEZZNS1_27merge_sort_block_merge_implIS3_N6thrust23THRUST_200600_302600_NS6detail15normal_iteratorINS9_10device_ptrIiEEEEPS5_jNS1_19radix_merge_compareILb1ELb1EiNS0_19identity_decomposerEEEEE10hipError_tT0_T1_T2_jT3_P12ihipStream_tbPNSt15iterator_traitsISK_E10value_typeEPNSQ_ISL_E10value_typeEPSM_NS1_7vsmem_tEENKUlT_SK_SL_SM_E_clIPiSE_SF_SF_EESJ_SZ_SK_SL_SM_EUlSZ_E1_NS1_11comp_targetILNS1_3genE9ELNS1_11target_archE1100ELNS1_3gpuE3ELNS1_3repE0EEENS1_36merge_oddeven_config_static_selectorELNS0_4arch9wavefront6targetE1EEEvSL_.private_seg_size, 0
	.set _ZN7rocprim17ROCPRIM_400000_NS6detail17trampoline_kernelINS0_14default_configENS1_38merge_sort_block_merge_config_selectorIiNS0_10empty_typeEEEZZNS1_27merge_sort_block_merge_implIS3_N6thrust23THRUST_200600_302600_NS6detail15normal_iteratorINS9_10device_ptrIiEEEEPS5_jNS1_19radix_merge_compareILb1ELb1EiNS0_19identity_decomposerEEEEE10hipError_tT0_T1_T2_jT3_P12ihipStream_tbPNSt15iterator_traitsISK_E10value_typeEPNSQ_ISL_E10value_typeEPSM_NS1_7vsmem_tEENKUlT_SK_SL_SM_E_clIPiSE_SF_SF_EESJ_SZ_SK_SL_SM_EUlSZ_E1_NS1_11comp_targetILNS1_3genE9ELNS1_11target_archE1100ELNS1_3gpuE3ELNS1_3repE0EEENS1_36merge_oddeven_config_static_selectorELNS0_4arch9wavefront6targetE1EEEvSL_.uses_vcc, 0
	.set _ZN7rocprim17ROCPRIM_400000_NS6detail17trampoline_kernelINS0_14default_configENS1_38merge_sort_block_merge_config_selectorIiNS0_10empty_typeEEEZZNS1_27merge_sort_block_merge_implIS3_N6thrust23THRUST_200600_302600_NS6detail15normal_iteratorINS9_10device_ptrIiEEEEPS5_jNS1_19radix_merge_compareILb1ELb1EiNS0_19identity_decomposerEEEEE10hipError_tT0_T1_T2_jT3_P12ihipStream_tbPNSt15iterator_traitsISK_E10value_typeEPNSQ_ISL_E10value_typeEPSM_NS1_7vsmem_tEENKUlT_SK_SL_SM_E_clIPiSE_SF_SF_EESJ_SZ_SK_SL_SM_EUlSZ_E1_NS1_11comp_targetILNS1_3genE9ELNS1_11target_archE1100ELNS1_3gpuE3ELNS1_3repE0EEENS1_36merge_oddeven_config_static_selectorELNS0_4arch9wavefront6targetE1EEEvSL_.uses_flat_scratch, 0
	.set _ZN7rocprim17ROCPRIM_400000_NS6detail17trampoline_kernelINS0_14default_configENS1_38merge_sort_block_merge_config_selectorIiNS0_10empty_typeEEEZZNS1_27merge_sort_block_merge_implIS3_N6thrust23THRUST_200600_302600_NS6detail15normal_iteratorINS9_10device_ptrIiEEEEPS5_jNS1_19radix_merge_compareILb1ELb1EiNS0_19identity_decomposerEEEEE10hipError_tT0_T1_T2_jT3_P12ihipStream_tbPNSt15iterator_traitsISK_E10value_typeEPNSQ_ISL_E10value_typeEPSM_NS1_7vsmem_tEENKUlT_SK_SL_SM_E_clIPiSE_SF_SF_EESJ_SZ_SK_SL_SM_EUlSZ_E1_NS1_11comp_targetILNS1_3genE9ELNS1_11target_archE1100ELNS1_3gpuE3ELNS1_3repE0EEENS1_36merge_oddeven_config_static_selectorELNS0_4arch9wavefront6targetE1EEEvSL_.has_dyn_sized_stack, 0
	.set _ZN7rocprim17ROCPRIM_400000_NS6detail17trampoline_kernelINS0_14default_configENS1_38merge_sort_block_merge_config_selectorIiNS0_10empty_typeEEEZZNS1_27merge_sort_block_merge_implIS3_N6thrust23THRUST_200600_302600_NS6detail15normal_iteratorINS9_10device_ptrIiEEEEPS5_jNS1_19radix_merge_compareILb1ELb1EiNS0_19identity_decomposerEEEEE10hipError_tT0_T1_T2_jT3_P12ihipStream_tbPNSt15iterator_traitsISK_E10value_typeEPNSQ_ISL_E10value_typeEPSM_NS1_7vsmem_tEENKUlT_SK_SL_SM_E_clIPiSE_SF_SF_EESJ_SZ_SK_SL_SM_EUlSZ_E1_NS1_11comp_targetILNS1_3genE9ELNS1_11target_archE1100ELNS1_3gpuE3ELNS1_3repE0EEENS1_36merge_oddeven_config_static_selectorELNS0_4arch9wavefront6targetE1EEEvSL_.has_recursion, 0
	.set _ZN7rocprim17ROCPRIM_400000_NS6detail17trampoline_kernelINS0_14default_configENS1_38merge_sort_block_merge_config_selectorIiNS0_10empty_typeEEEZZNS1_27merge_sort_block_merge_implIS3_N6thrust23THRUST_200600_302600_NS6detail15normal_iteratorINS9_10device_ptrIiEEEEPS5_jNS1_19radix_merge_compareILb1ELb1EiNS0_19identity_decomposerEEEEE10hipError_tT0_T1_T2_jT3_P12ihipStream_tbPNSt15iterator_traitsISK_E10value_typeEPNSQ_ISL_E10value_typeEPSM_NS1_7vsmem_tEENKUlT_SK_SL_SM_E_clIPiSE_SF_SF_EESJ_SZ_SK_SL_SM_EUlSZ_E1_NS1_11comp_targetILNS1_3genE9ELNS1_11target_archE1100ELNS1_3gpuE3ELNS1_3repE0EEENS1_36merge_oddeven_config_static_selectorELNS0_4arch9wavefront6targetE1EEEvSL_.has_indirect_call, 0
	.section	.AMDGPU.csdata,"",@progbits
; Kernel info:
; codeLenInByte = 0
; TotalNumSgprs: 6
; NumVgprs: 0
; NumAgprs: 0
; TotalNumVgprs: 0
; ScratchSize: 0
; MemoryBound: 0
; FloatMode: 240
; IeeeMode: 1
; LDSByteSize: 0 bytes/workgroup (compile time only)
; SGPRBlocks: 0
; VGPRBlocks: 0
; NumSGPRsForWavesPerEU: 6
; NumVGPRsForWavesPerEU: 1
; AccumOffset: 4
; Occupancy: 8
; WaveLimiterHint : 0
; COMPUTE_PGM_RSRC2:SCRATCH_EN: 0
; COMPUTE_PGM_RSRC2:USER_SGPR: 2
; COMPUTE_PGM_RSRC2:TRAP_HANDLER: 0
; COMPUTE_PGM_RSRC2:TGID_X_EN: 1
; COMPUTE_PGM_RSRC2:TGID_Y_EN: 0
; COMPUTE_PGM_RSRC2:TGID_Z_EN: 0
; COMPUTE_PGM_RSRC2:TIDIG_COMP_CNT: 0
; COMPUTE_PGM_RSRC3_GFX90A:ACCUM_OFFSET: 0
; COMPUTE_PGM_RSRC3_GFX90A:TG_SPLIT: 0
	.section	.text._ZN7rocprim17ROCPRIM_400000_NS6detail17trampoline_kernelINS0_14default_configENS1_38merge_sort_block_merge_config_selectorIiNS0_10empty_typeEEEZZNS1_27merge_sort_block_merge_implIS3_N6thrust23THRUST_200600_302600_NS6detail15normal_iteratorINS9_10device_ptrIiEEEEPS5_jNS1_19radix_merge_compareILb1ELb1EiNS0_19identity_decomposerEEEEE10hipError_tT0_T1_T2_jT3_P12ihipStream_tbPNSt15iterator_traitsISK_E10value_typeEPNSQ_ISL_E10value_typeEPSM_NS1_7vsmem_tEENKUlT_SK_SL_SM_E_clIPiSE_SF_SF_EESJ_SZ_SK_SL_SM_EUlSZ_E1_NS1_11comp_targetILNS1_3genE8ELNS1_11target_archE1030ELNS1_3gpuE2ELNS1_3repE0EEENS1_36merge_oddeven_config_static_selectorELNS0_4arch9wavefront6targetE1EEEvSL_,"axG",@progbits,_ZN7rocprim17ROCPRIM_400000_NS6detail17trampoline_kernelINS0_14default_configENS1_38merge_sort_block_merge_config_selectorIiNS0_10empty_typeEEEZZNS1_27merge_sort_block_merge_implIS3_N6thrust23THRUST_200600_302600_NS6detail15normal_iteratorINS9_10device_ptrIiEEEEPS5_jNS1_19radix_merge_compareILb1ELb1EiNS0_19identity_decomposerEEEEE10hipError_tT0_T1_T2_jT3_P12ihipStream_tbPNSt15iterator_traitsISK_E10value_typeEPNSQ_ISL_E10value_typeEPSM_NS1_7vsmem_tEENKUlT_SK_SL_SM_E_clIPiSE_SF_SF_EESJ_SZ_SK_SL_SM_EUlSZ_E1_NS1_11comp_targetILNS1_3genE8ELNS1_11target_archE1030ELNS1_3gpuE2ELNS1_3repE0EEENS1_36merge_oddeven_config_static_selectorELNS0_4arch9wavefront6targetE1EEEvSL_,comdat
	.protected	_ZN7rocprim17ROCPRIM_400000_NS6detail17trampoline_kernelINS0_14default_configENS1_38merge_sort_block_merge_config_selectorIiNS0_10empty_typeEEEZZNS1_27merge_sort_block_merge_implIS3_N6thrust23THRUST_200600_302600_NS6detail15normal_iteratorINS9_10device_ptrIiEEEEPS5_jNS1_19radix_merge_compareILb1ELb1EiNS0_19identity_decomposerEEEEE10hipError_tT0_T1_T2_jT3_P12ihipStream_tbPNSt15iterator_traitsISK_E10value_typeEPNSQ_ISL_E10value_typeEPSM_NS1_7vsmem_tEENKUlT_SK_SL_SM_E_clIPiSE_SF_SF_EESJ_SZ_SK_SL_SM_EUlSZ_E1_NS1_11comp_targetILNS1_3genE8ELNS1_11target_archE1030ELNS1_3gpuE2ELNS1_3repE0EEENS1_36merge_oddeven_config_static_selectorELNS0_4arch9wavefront6targetE1EEEvSL_ ; -- Begin function _ZN7rocprim17ROCPRIM_400000_NS6detail17trampoline_kernelINS0_14default_configENS1_38merge_sort_block_merge_config_selectorIiNS0_10empty_typeEEEZZNS1_27merge_sort_block_merge_implIS3_N6thrust23THRUST_200600_302600_NS6detail15normal_iteratorINS9_10device_ptrIiEEEEPS5_jNS1_19radix_merge_compareILb1ELb1EiNS0_19identity_decomposerEEEEE10hipError_tT0_T1_T2_jT3_P12ihipStream_tbPNSt15iterator_traitsISK_E10value_typeEPNSQ_ISL_E10value_typeEPSM_NS1_7vsmem_tEENKUlT_SK_SL_SM_E_clIPiSE_SF_SF_EESJ_SZ_SK_SL_SM_EUlSZ_E1_NS1_11comp_targetILNS1_3genE8ELNS1_11target_archE1030ELNS1_3gpuE2ELNS1_3repE0EEENS1_36merge_oddeven_config_static_selectorELNS0_4arch9wavefront6targetE1EEEvSL_
	.globl	_ZN7rocprim17ROCPRIM_400000_NS6detail17trampoline_kernelINS0_14default_configENS1_38merge_sort_block_merge_config_selectorIiNS0_10empty_typeEEEZZNS1_27merge_sort_block_merge_implIS3_N6thrust23THRUST_200600_302600_NS6detail15normal_iteratorINS9_10device_ptrIiEEEEPS5_jNS1_19radix_merge_compareILb1ELb1EiNS0_19identity_decomposerEEEEE10hipError_tT0_T1_T2_jT3_P12ihipStream_tbPNSt15iterator_traitsISK_E10value_typeEPNSQ_ISL_E10value_typeEPSM_NS1_7vsmem_tEENKUlT_SK_SL_SM_E_clIPiSE_SF_SF_EESJ_SZ_SK_SL_SM_EUlSZ_E1_NS1_11comp_targetILNS1_3genE8ELNS1_11target_archE1030ELNS1_3gpuE2ELNS1_3repE0EEENS1_36merge_oddeven_config_static_selectorELNS0_4arch9wavefront6targetE1EEEvSL_
	.p2align	8
	.type	_ZN7rocprim17ROCPRIM_400000_NS6detail17trampoline_kernelINS0_14default_configENS1_38merge_sort_block_merge_config_selectorIiNS0_10empty_typeEEEZZNS1_27merge_sort_block_merge_implIS3_N6thrust23THRUST_200600_302600_NS6detail15normal_iteratorINS9_10device_ptrIiEEEEPS5_jNS1_19radix_merge_compareILb1ELb1EiNS0_19identity_decomposerEEEEE10hipError_tT0_T1_T2_jT3_P12ihipStream_tbPNSt15iterator_traitsISK_E10value_typeEPNSQ_ISL_E10value_typeEPSM_NS1_7vsmem_tEENKUlT_SK_SL_SM_E_clIPiSE_SF_SF_EESJ_SZ_SK_SL_SM_EUlSZ_E1_NS1_11comp_targetILNS1_3genE8ELNS1_11target_archE1030ELNS1_3gpuE2ELNS1_3repE0EEENS1_36merge_oddeven_config_static_selectorELNS0_4arch9wavefront6targetE1EEEvSL_,@function
_ZN7rocprim17ROCPRIM_400000_NS6detail17trampoline_kernelINS0_14default_configENS1_38merge_sort_block_merge_config_selectorIiNS0_10empty_typeEEEZZNS1_27merge_sort_block_merge_implIS3_N6thrust23THRUST_200600_302600_NS6detail15normal_iteratorINS9_10device_ptrIiEEEEPS5_jNS1_19radix_merge_compareILb1ELb1EiNS0_19identity_decomposerEEEEE10hipError_tT0_T1_T2_jT3_P12ihipStream_tbPNSt15iterator_traitsISK_E10value_typeEPNSQ_ISL_E10value_typeEPSM_NS1_7vsmem_tEENKUlT_SK_SL_SM_E_clIPiSE_SF_SF_EESJ_SZ_SK_SL_SM_EUlSZ_E1_NS1_11comp_targetILNS1_3genE8ELNS1_11target_archE1030ELNS1_3gpuE2ELNS1_3repE0EEENS1_36merge_oddeven_config_static_selectorELNS0_4arch9wavefront6targetE1EEEvSL_: ; @_ZN7rocprim17ROCPRIM_400000_NS6detail17trampoline_kernelINS0_14default_configENS1_38merge_sort_block_merge_config_selectorIiNS0_10empty_typeEEEZZNS1_27merge_sort_block_merge_implIS3_N6thrust23THRUST_200600_302600_NS6detail15normal_iteratorINS9_10device_ptrIiEEEEPS5_jNS1_19radix_merge_compareILb1ELb1EiNS0_19identity_decomposerEEEEE10hipError_tT0_T1_T2_jT3_P12ihipStream_tbPNSt15iterator_traitsISK_E10value_typeEPNSQ_ISL_E10value_typeEPSM_NS1_7vsmem_tEENKUlT_SK_SL_SM_E_clIPiSE_SF_SF_EESJ_SZ_SK_SL_SM_EUlSZ_E1_NS1_11comp_targetILNS1_3genE8ELNS1_11target_archE1030ELNS1_3gpuE2ELNS1_3repE0EEENS1_36merge_oddeven_config_static_selectorELNS0_4arch9wavefront6targetE1EEEvSL_
; %bb.0:
	.section	.rodata,"a",@progbits
	.p2align	6, 0x0
	.amdhsa_kernel _ZN7rocprim17ROCPRIM_400000_NS6detail17trampoline_kernelINS0_14default_configENS1_38merge_sort_block_merge_config_selectorIiNS0_10empty_typeEEEZZNS1_27merge_sort_block_merge_implIS3_N6thrust23THRUST_200600_302600_NS6detail15normal_iteratorINS9_10device_ptrIiEEEEPS5_jNS1_19radix_merge_compareILb1ELb1EiNS0_19identity_decomposerEEEEE10hipError_tT0_T1_T2_jT3_P12ihipStream_tbPNSt15iterator_traitsISK_E10value_typeEPNSQ_ISL_E10value_typeEPSM_NS1_7vsmem_tEENKUlT_SK_SL_SM_E_clIPiSE_SF_SF_EESJ_SZ_SK_SL_SM_EUlSZ_E1_NS1_11comp_targetILNS1_3genE8ELNS1_11target_archE1030ELNS1_3gpuE2ELNS1_3repE0EEENS1_36merge_oddeven_config_static_selectorELNS0_4arch9wavefront6targetE1EEEvSL_
		.amdhsa_group_segment_fixed_size 0
		.amdhsa_private_segment_fixed_size 0
		.amdhsa_kernarg_size 48
		.amdhsa_user_sgpr_count 2
		.amdhsa_user_sgpr_dispatch_ptr 0
		.amdhsa_user_sgpr_queue_ptr 0
		.amdhsa_user_sgpr_kernarg_segment_ptr 1
		.amdhsa_user_sgpr_dispatch_id 0
		.amdhsa_user_sgpr_kernarg_preload_length 0
		.amdhsa_user_sgpr_kernarg_preload_offset 0
		.amdhsa_user_sgpr_private_segment_size 0
		.amdhsa_uses_dynamic_stack 0
		.amdhsa_enable_private_segment 0
		.amdhsa_system_sgpr_workgroup_id_x 1
		.amdhsa_system_sgpr_workgroup_id_y 0
		.amdhsa_system_sgpr_workgroup_id_z 0
		.amdhsa_system_sgpr_workgroup_info 0
		.amdhsa_system_vgpr_workitem_id 0
		.amdhsa_next_free_vgpr 1
		.amdhsa_next_free_sgpr 0
		.amdhsa_accum_offset 4
		.amdhsa_reserve_vcc 0
		.amdhsa_float_round_mode_32 0
		.amdhsa_float_round_mode_16_64 0
		.amdhsa_float_denorm_mode_32 3
		.amdhsa_float_denorm_mode_16_64 3
		.amdhsa_dx10_clamp 1
		.amdhsa_ieee_mode 1
		.amdhsa_fp16_overflow 0
		.amdhsa_tg_split 0
		.amdhsa_exception_fp_ieee_invalid_op 0
		.amdhsa_exception_fp_denorm_src 0
		.amdhsa_exception_fp_ieee_div_zero 0
		.amdhsa_exception_fp_ieee_overflow 0
		.amdhsa_exception_fp_ieee_underflow 0
		.amdhsa_exception_fp_ieee_inexact 0
		.amdhsa_exception_int_div_zero 0
	.end_amdhsa_kernel
	.section	.text._ZN7rocprim17ROCPRIM_400000_NS6detail17trampoline_kernelINS0_14default_configENS1_38merge_sort_block_merge_config_selectorIiNS0_10empty_typeEEEZZNS1_27merge_sort_block_merge_implIS3_N6thrust23THRUST_200600_302600_NS6detail15normal_iteratorINS9_10device_ptrIiEEEEPS5_jNS1_19radix_merge_compareILb1ELb1EiNS0_19identity_decomposerEEEEE10hipError_tT0_T1_T2_jT3_P12ihipStream_tbPNSt15iterator_traitsISK_E10value_typeEPNSQ_ISL_E10value_typeEPSM_NS1_7vsmem_tEENKUlT_SK_SL_SM_E_clIPiSE_SF_SF_EESJ_SZ_SK_SL_SM_EUlSZ_E1_NS1_11comp_targetILNS1_3genE8ELNS1_11target_archE1030ELNS1_3gpuE2ELNS1_3repE0EEENS1_36merge_oddeven_config_static_selectorELNS0_4arch9wavefront6targetE1EEEvSL_,"axG",@progbits,_ZN7rocprim17ROCPRIM_400000_NS6detail17trampoline_kernelINS0_14default_configENS1_38merge_sort_block_merge_config_selectorIiNS0_10empty_typeEEEZZNS1_27merge_sort_block_merge_implIS3_N6thrust23THRUST_200600_302600_NS6detail15normal_iteratorINS9_10device_ptrIiEEEEPS5_jNS1_19radix_merge_compareILb1ELb1EiNS0_19identity_decomposerEEEEE10hipError_tT0_T1_T2_jT3_P12ihipStream_tbPNSt15iterator_traitsISK_E10value_typeEPNSQ_ISL_E10value_typeEPSM_NS1_7vsmem_tEENKUlT_SK_SL_SM_E_clIPiSE_SF_SF_EESJ_SZ_SK_SL_SM_EUlSZ_E1_NS1_11comp_targetILNS1_3genE8ELNS1_11target_archE1030ELNS1_3gpuE2ELNS1_3repE0EEENS1_36merge_oddeven_config_static_selectorELNS0_4arch9wavefront6targetE1EEEvSL_,comdat
.Lfunc_end293:
	.size	_ZN7rocprim17ROCPRIM_400000_NS6detail17trampoline_kernelINS0_14default_configENS1_38merge_sort_block_merge_config_selectorIiNS0_10empty_typeEEEZZNS1_27merge_sort_block_merge_implIS3_N6thrust23THRUST_200600_302600_NS6detail15normal_iteratorINS9_10device_ptrIiEEEEPS5_jNS1_19radix_merge_compareILb1ELb1EiNS0_19identity_decomposerEEEEE10hipError_tT0_T1_T2_jT3_P12ihipStream_tbPNSt15iterator_traitsISK_E10value_typeEPNSQ_ISL_E10value_typeEPSM_NS1_7vsmem_tEENKUlT_SK_SL_SM_E_clIPiSE_SF_SF_EESJ_SZ_SK_SL_SM_EUlSZ_E1_NS1_11comp_targetILNS1_3genE8ELNS1_11target_archE1030ELNS1_3gpuE2ELNS1_3repE0EEENS1_36merge_oddeven_config_static_selectorELNS0_4arch9wavefront6targetE1EEEvSL_, .Lfunc_end293-_ZN7rocprim17ROCPRIM_400000_NS6detail17trampoline_kernelINS0_14default_configENS1_38merge_sort_block_merge_config_selectorIiNS0_10empty_typeEEEZZNS1_27merge_sort_block_merge_implIS3_N6thrust23THRUST_200600_302600_NS6detail15normal_iteratorINS9_10device_ptrIiEEEEPS5_jNS1_19radix_merge_compareILb1ELb1EiNS0_19identity_decomposerEEEEE10hipError_tT0_T1_T2_jT3_P12ihipStream_tbPNSt15iterator_traitsISK_E10value_typeEPNSQ_ISL_E10value_typeEPSM_NS1_7vsmem_tEENKUlT_SK_SL_SM_E_clIPiSE_SF_SF_EESJ_SZ_SK_SL_SM_EUlSZ_E1_NS1_11comp_targetILNS1_3genE8ELNS1_11target_archE1030ELNS1_3gpuE2ELNS1_3repE0EEENS1_36merge_oddeven_config_static_selectorELNS0_4arch9wavefront6targetE1EEEvSL_
                                        ; -- End function
	.set _ZN7rocprim17ROCPRIM_400000_NS6detail17trampoline_kernelINS0_14default_configENS1_38merge_sort_block_merge_config_selectorIiNS0_10empty_typeEEEZZNS1_27merge_sort_block_merge_implIS3_N6thrust23THRUST_200600_302600_NS6detail15normal_iteratorINS9_10device_ptrIiEEEEPS5_jNS1_19radix_merge_compareILb1ELb1EiNS0_19identity_decomposerEEEEE10hipError_tT0_T1_T2_jT3_P12ihipStream_tbPNSt15iterator_traitsISK_E10value_typeEPNSQ_ISL_E10value_typeEPSM_NS1_7vsmem_tEENKUlT_SK_SL_SM_E_clIPiSE_SF_SF_EESJ_SZ_SK_SL_SM_EUlSZ_E1_NS1_11comp_targetILNS1_3genE8ELNS1_11target_archE1030ELNS1_3gpuE2ELNS1_3repE0EEENS1_36merge_oddeven_config_static_selectorELNS0_4arch9wavefront6targetE1EEEvSL_.num_vgpr, 0
	.set _ZN7rocprim17ROCPRIM_400000_NS6detail17trampoline_kernelINS0_14default_configENS1_38merge_sort_block_merge_config_selectorIiNS0_10empty_typeEEEZZNS1_27merge_sort_block_merge_implIS3_N6thrust23THRUST_200600_302600_NS6detail15normal_iteratorINS9_10device_ptrIiEEEEPS5_jNS1_19radix_merge_compareILb1ELb1EiNS0_19identity_decomposerEEEEE10hipError_tT0_T1_T2_jT3_P12ihipStream_tbPNSt15iterator_traitsISK_E10value_typeEPNSQ_ISL_E10value_typeEPSM_NS1_7vsmem_tEENKUlT_SK_SL_SM_E_clIPiSE_SF_SF_EESJ_SZ_SK_SL_SM_EUlSZ_E1_NS1_11comp_targetILNS1_3genE8ELNS1_11target_archE1030ELNS1_3gpuE2ELNS1_3repE0EEENS1_36merge_oddeven_config_static_selectorELNS0_4arch9wavefront6targetE1EEEvSL_.num_agpr, 0
	.set _ZN7rocprim17ROCPRIM_400000_NS6detail17trampoline_kernelINS0_14default_configENS1_38merge_sort_block_merge_config_selectorIiNS0_10empty_typeEEEZZNS1_27merge_sort_block_merge_implIS3_N6thrust23THRUST_200600_302600_NS6detail15normal_iteratorINS9_10device_ptrIiEEEEPS5_jNS1_19radix_merge_compareILb1ELb1EiNS0_19identity_decomposerEEEEE10hipError_tT0_T1_T2_jT3_P12ihipStream_tbPNSt15iterator_traitsISK_E10value_typeEPNSQ_ISL_E10value_typeEPSM_NS1_7vsmem_tEENKUlT_SK_SL_SM_E_clIPiSE_SF_SF_EESJ_SZ_SK_SL_SM_EUlSZ_E1_NS1_11comp_targetILNS1_3genE8ELNS1_11target_archE1030ELNS1_3gpuE2ELNS1_3repE0EEENS1_36merge_oddeven_config_static_selectorELNS0_4arch9wavefront6targetE1EEEvSL_.numbered_sgpr, 0
	.set _ZN7rocprim17ROCPRIM_400000_NS6detail17trampoline_kernelINS0_14default_configENS1_38merge_sort_block_merge_config_selectorIiNS0_10empty_typeEEEZZNS1_27merge_sort_block_merge_implIS3_N6thrust23THRUST_200600_302600_NS6detail15normal_iteratorINS9_10device_ptrIiEEEEPS5_jNS1_19radix_merge_compareILb1ELb1EiNS0_19identity_decomposerEEEEE10hipError_tT0_T1_T2_jT3_P12ihipStream_tbPNSt15iterator_traitsISK_E10value_typeEPNSQ_ISL_E10value_typeEPSM_NS1_7vsmem_tEENKUlT_SK_SL_SM_E_clIPiSE_SF_SF_EESJ_SZ_SK_SL_SM_EUlSZ_E1_NS1_11comp_targetILNS1_3genE8ELNS1_11target_archE1030ELNS1_3gpuE2ELNS1_3repE0EEENS1_36merge_oddeven_config_static_selectorELNS0_4arch9wavefront6targetE1EEEvSL_.num_named_barrier, 0
	.set _ZN7rocprim17ROCPRIM_400000_NS6detail17trampoline_kernelINS0_14default_configENS1_38merge_sort_block_merge_config_selectorIiNS0_10empty_typeEEEZZNS1_27merge_sort_block_merge_implIS3_N6thrust23THRUST_200600_302600_NS6detail15normal_iteratorINS9_10device_ptrIiEEEEPS5_jNS1_19radix_merge_compareILb1ELb1EiNS0_19identity_decomposerEEEEE10hipError_tT0_T1_T2_jT3_P12ihipStream_tbPNSt15iterator_traitsISK_E10value_typeEPNSQ_ISL_E10value_typeEPSM_NS1_7vsmem_tEENKUlT_SK_SL_SM_E_clIPiSE_SF_SF_EESJ_SZ_SK_SL_SM_EUlSZ_E1_NS1_11comp_targetILNS1_3genE8ELNS1_11target_archE1030ELNS1_3gpuE2ELNS1_3repE0EEENS1_36merge_oddeven_config_static_selectorELNS0_4arch9wavefront6targetE1EEEvSL_.private_seg_size, 0
	.set _ZN7rocprim17ROCPRIM_400000_NS6detail17trampoline_kernelINS0_14default_configENS1_38merge_sort_block_merge_config_selectorIiNS0_10empty_typeEEEZZNS1_27merge_sort_block_merge_implIS3_N6thrust23THRUST_200600_302600_NS6detail15normal_iteratorINS9_10device_ptrIiEEEEPS5_jNS1_19radix_merge_compareILb1ELb1EiNS0_19identity_decomposerEEEEE10hipError_tT0_T1_T2_jT3_P12ihipStream_tbPNSt15iterator_traitsISK_E10value_typeEPNSQ_ISL_E10value_typeEPSM_NS1_7vsmem_tEENKUlT_SK_SL_SM_E_clIPiSE_SF_SF_EESJ_SZ_SK_SL_SM_EUlSZ_E1_NS1_11comp_targetILNS1_3genE8ELNS1_11target_archE1030ELNS1_3gpuE2ELNS1_3repE0EEENS1_36merge_oddeven_config_static_selectorELNS0_4arch9wavefront6targetE1EEEvSL_.uses_vcc, 0
	.set _ZN7rocprim17ROCPRIM_400000_NS6detail17trampoline_kernelINS0_14default_configENS1_38merge_sort_block_merge_config_selectorIiNS0_10empty_typeEEEZZNS1_27merge_sort_block_merge_implIS3_N6thrust23THRUST_200600_302600_NS6detail15normal_iteratorINS9_10device_ptrIiEEEEPS5_jNS1_19radix_merge_compareILb1ELb1EiNS0_19identity_decomposerEEEEE10hipError_tT0_T1_T2_jT3_P12ihipStream_tbPNSt15iterator_traitsISK_E10value_typeEPNSQ_ISL_E10value_typeEPSM_NS1_7vsmem_tEENKUlT_SK_SL_SM_E_clIPiSE_SF_SF_EESJ_SZ_SK_SL_SM_EUlSZ_E1_NS1_11comp_targetILNS1_3genE8ELNS1_11target_archE1030ELNS1_3gpuE2ELNS1_3repE0EEENS1_36merge_oddeven_config_static_selectorELNS0_4arch9wavefront6targetE1EEEvSL_.uses_flat_scratch, 0
	.set _ZN7rocprim17ROCPRIM_400000_NS6detail17trampoline_kernelINS0_14default_configENS1_38merge_sort_block_merge_config_selectorIiNS0_10empty_typeEEEZZNS1_27merge_sort_block_merge_implIS3_N6thrust23THRUST_200600_302600_NS6detail15normal_iteratorINS9_10device_ptrIiEEEEPS5_jNS1_19radix_merge_compareILb1ELb1EiNS0_19identity_decomposerEEEEE10hipError_tT0_T1_T2_jT3_P12ihipStream_tbPNSt15iterator_traitsISK_E10value_typeEPNSQ_ISL_E10value_typeEPSM_NS1_7vsmem_tEENKUlT_SK_SL_SM_E_clIPiSE_SF_SF_EESJ_SZ_SK_SL_SM_EUlSZ_E1_NS1_11comp_targetILNS1_3genE8ELNS1_11target_archE1030ELNS1_3gpuE2ELNS1_3repE0EEENS1_36merge_oddeven_config_static_selectorELNS0_4arch9wavefront6targetE1EEEvSL_.has_dyn_sized_stack, 0
	.set _ZN7rocprim17ROCPRIM_400000_NS6detail17trampoline_kernelINS0_14default_configENS1_38merge_sort_block_merge_config_selectorIiNS0_10empty_typeEEEZZNS1_27merge_sort_block_merge_implIS3_N6thrust23THRUST_200600_302600_NS6detail15normal_iteratorINS9_10device_ptrIiEEEEPS5_jNS1_19radix_merge_compareILb1ELb1EiNS0_19identity_decomposerEEEEE10hipError_tT0_T1_T2_jT3_P12ihipStream_tbPNSt15iterator_traitsISK_E10value_typeEPNSQ_ISL_E10value_typeEPSM_NS1_7vsmem_tEENKUlT_SK_SL_SM_E_clIPiSE_SF_SF_EESJ_SZ_SK_SL_SM_EUlSZ_E1_NS1_11comp_targetILNS1_3genE8ELNS1_11target_archE1030ELNS1_3gpuE2ELNS1_3repE0EEENS1_36merge_oddeven_config_static_selectorELNS0_4arch9wavefront6targetE1EEEvSL_.has_recursion, 0
	.set _ZN7rocprim17ROCPRIM_400000_NS6detail17trampoline_kernelINS0_14default_configENS1_38merge_sort_block_merge_config_selectorIiNS0_10empty_typeEEEZZNS1_27merge_sort_block_merge_implIS3_N6thrust23THRUST_200600_302600_NS6detail15normal_iteratorINS9_10device_ptrIiEEEEPS5_jNS1_19radix_merge_compareILb1ELb1EiNS0_19identity_decomposerEEEEE10hipError_tT0_T1_T2_jT3_P12ihipStream_tbPNSt15iterator_traitsISK_E10value_typeEPNSQ_ISL_E10value_typeEPSM_NS1_7vsmem_tEENKUlT_SK_SL_SM_E_clIPiSE_SF_SF_EESJ_SZ_SK_SL_SM_EUlSZ_E1_NS1_11comp_targetILNS1_3genE8ELNS1_11target_archE1030ELNS1_3gpuE2ELNS1_3repE0EEENS1_36merge_oddeven_config_static_selectorELNS0_4arch9wavefront6targetE1EEEvSL_.has_indirect_call, 0
	.section	.AMDGPU.csdata,"",@progbits
; Kernel info:
; codeLenInByte = 0
; TotalNumSgprs: 6
; NumVgprs: 0
; NumAgprs: 0
; TotalNumVgprs: 0
; ScratchSize: 0
; MemoryBound: 0
; FloatMode: 240
; IeeeMode: 1
; LDSByteSize: 0 bytes/workgroup (compile time only)
; SGPRBlocks: 0
; VGPRBlocks: 0
; NumSGPRsForWavesPerEU: 6
; NumVGPRsForWavesPerEU: 1
; AccumOffset: 4
; Occupancy: 8
; WaveLimiterHint : 0
; COMPUTE_PGM_RSRC2:SCRATCH_EN: 0
; COMPUTE_PGM_RSRC2:USER_SGPR: 2
; COMPUTE_PGM_RSRC2:TRAP_HANDLER: 0
; COMPUTE_PGM_RSRC2:TGID_X_EN: 1
; COMPUTE_PGM_RSRC2:TGID_Y_EN: 0
; COMPUTE_PGM_RSRC2:TGID_Z_EN: 0
; COMPUTE_PGM_RSRC2:TIDIG_COMP_CNT: 0
; COMPUTE_PGM_RSRC3_GFX90A:ACCUM_OFFSET: 0
; COMPUTE_PGM_RSRC3_GFX90A:TG_SPLIT: 0
	.section	.text._ZN7rocprim17ROCPRIM_400000_NS6detail17trampoline_kernelINS0_14default_configENS1_38merge_sort_block_merge_config_selectorIiNS0_10empty_typeEEEZZNS1_27merge_sort_block_merge_implIS3_N6thrust23THRUST_200600_302600_NS6detail15normal_iteratorINS9_10device_ptrIiEEEEPS5_jNS1_19radix_merge_compareILb1ELb1EiNS0_19identity_decomposerEEEEE10hipError_tT0_T1_T2_jT3_P12ihipStream_tbPNSt15iterator_traitsISK_E10value_typeEPNSQ_ISL_E10value_typeEPSM_NS1_7vsmem_tEENKUlT_SK_SL_SM_E_clISE_PiSF_SF_EESJ_SZ_SK_SL_SM_EUlSZ_E_NS1_11comp_targetILNS1_3genE0ELNS1_11target_archE4294967295ELNS1_3gpuE0ELNS1_3repE0EEENS1_48merge_mergepath_partition_config_static_selectorELNS0_4arch9wavefront6targetE1EEEvSL_,"axG",@progbits,_ZN7rocprim17ROCPRIM_400000_NS6detail17trampoline_kernelINS0_14default_configENS1_38merge_sort_block_merge_config_selectorIiNS0_10empty_typeEEEZZNS1_27merge_sort_block_merge_implIS3_N6thrust23THRUST_200600_302600_NS6detail15normal_iteratorINS9_10device_ptrIiEEEEPS5_jNS1_19radix_merge_compareILb1ELb1EiNS0_19identity_decomposerEEEEE10hipError_tT0_T1_T2_jT3_P12ihipStream_tbPNSt15iterator_traitsISK_E10value_typeEPNSQ_ISL_E10value_typeEPSM_NS1_7vsmem_tEENKUlT_SK_SL_SM_E_clISE_PiSF_SF_EESJ_SZ_SK_SL_SM_EUlSZ_E_NS1_11comp_targetILNS1_3genE0ELNS1_11target_archE4294967295ELNS1_3gpuE0ELNS1_3repE0EEENS1_48merge_mergepath_partition_config_static_selectorELNS0_4arch9wavefront6targetE1EEEvSL_,comdat
	.protected	_ZN7rocprim17ROCPRIM_400000_NS6detail17trampoline_kernelINS0_14default_configENS1_38merge_sort_block_merge_config_selectorIiNS0_10empty_typeEEEZZNS1_27merge_sort_block_merge_implIS3_N6thrust23THRUST_200600_302600_NS6detail15normal_iteratorINS9_10device_ptrIiEEEEPS5_jNS1_19radix_merge_compareILb1ELb1EiNS0_19identity_decomposerEEEEE10hipError_tT0_T1_T2_jT3_P12ihipStream_tbPNSt15iterator_traitsISK_E10value_typeEPNSQ_ISL_E10value_typeEPSM_NS1_7vsmem_tEENKUlT_SK_SL_SM_E_clISE_PiSF_SF_EESJ_SZ_SK_SL_SM_EUlSZ_E_NS1_11comp_targetILNS1_3genE0ELNS1_11target_archE4294967295ELNS1_3gpuE0ELNS1_3repE0EEENS1_48merge_mergepath_partition_config_static_selectorELNS0_4arch9wavefront6targetE1EEEvSL_ ; -- Begin function _ZN7rocprim17ROCPRIM_400000_NS6detail17trampoline_kernelINS0_14default_configENS1_38merge_sort_block_merge_config_selectorIiNS0_10empty_typeEEEZZNS1_27merge_sort_block_merge_implIS3_N6thrust23THRUST_200600_302600_NS6detail15normal_iteratorINS9_10device_ptrIiEEEEPS5_jNS1_19radix_merge_compareILb1ELb1EiNS0_19identity_decomposerEEEEE10hipError_tT0_T1_T2_jT3_P12ihipStream_tbPNSt15iterator_traitsISK_E10value_typeEPNSQ_ISL_E10value_typeEPSM_NS1_7vsmem_tEENKUlT_SK_SL_SM_E_clISE_PiSF_SF_EESJ_SZ_SK_SL_SM_EUlSZ_E_NS1_11comp_targetILNS1_3genE0ELNS1_11target_archE4294967295ELNS1_3gpuE0ELNS1_3repE0EEENS1_48merge_mergepath_partition_config_static_selectorELNS0_4arch9wavefront6targetE1EEEvSL_
	.globl	_ZN7rocprim17ROCPRIM_400000_NS6detail17trampoline_kernelINS0_14default_configENS1_38merge_sort_block_merge_config_selectorIiNS0_10empty_typeEEEZZNS1_27merge_sort_block_merge_implIS3_N6thrust23THRUST_200600_302600_NS6detail15normal_iteratorINS9_10device_ptrIiEEEEPS5_jNS1_19radix_merge_compareILb1ELb1EiNS0_19identity_decomposerEEEEE10hipError_tT0_T1_T2_jT3_P12ihipStream_tbPNSt15iterator_traitsISK_E10value_typeEPNSQ_ISL_E10value_typeEPSM_NS1_7vsmem_tEENKUlT_SK_SL_SM_E_clISE_PiSF_SF_EESJ_SZ_SK_SL_SM_EUlSZ_E_NS1_11comp_targetILNS1_3genE0ELNS1_11target_archE4294967295ELNS1_3gpuE0ELNS1_3repE0EEENS1_48merge_mergepath_partition_config_static_selectorELNS0_4arch9wavefront6targetE1EEEvSL_
	.p2align	8
	.type	_ZN7rocprim17ROCPRIM_400000_NS6detail17trampoline_kernelINS0_14default_configENS1_38merge_sort_block_merge_config_selectorIiNS0_10empty_typeEEEZZNS1_27merge_sort_block_merge_implIS3_N6thrust23THRUST_200600_302600_NS6detail15normal_iteratorINS9_10device_ptrIiEEEEPS5_jNS1_19radix_merge_compareILb1ELb1EiNS0_19identity_decomposerEEEEE10hipError_tT0_T1_T2_jT3_P12ihipStream_tbPNSt15iterator_traitsISK_E10value_typeEPNSQ_ISL_E10value_typeEPSM_NS1_7vsmem_tEENKUlT_SK_SL_SM_E_clISE_PiSF_SF_EESJ_SZ_SK_SL_SM_EUlSZ_E_NS1_11comp_targetILNS1_3genE0ELNS1_11target_archE4294967295ELNS1_3gpuE0ELNS1_3repE0EEENS1_48merge_mergepath_partition_config_static_selectorELNS0_4arch9wavefront6targetE1EEEvSL_,@function
_ZN7rocprim17ROCPRIM_400000_NS6detail17trampoline_kernelINS0_14default_configENS1_38merge_sort_block_merge_config_selectorIiNS0_10empty_typeEEEZZNS1_27merge_sort_block_merge_implIS3_N6thrust23THRUST_200600_302600_NS6detail15normal_iteratorINS9_10device_ptrIiEEEEPS5_jNS1_19radix_merge_compareILb1ELb1EiNS0_19identity_decomposerEEEEE10hipError_tT0_T1_T2_jT3_P12ihipStream_tbPNSt15iterator_traitsISK_E10value_typeEPNSQ_ISL_E10value_typeEPSM_NS1_7vsmem_tEENKUlT_SK_SL_SM_E_clISE_PiSF_SF_EESJ_SZ_SK_SL_SM_EUlSZ_E_NS1_11comp_targetILNS1_3genE0ELNS1_11target_archE4294967295ELNS1_3gpuE0ELNS1_3repE0EEENS1_48merge_mergepath_partition_config_static_selectorELNS0_4arch9wavefront6targetE1EEEvSL_: ; @_ZN7rocprim17ROCPRIM_400000_NS6detail17trampoline_kernelINS0_14default_configENS1_38merge_sort_block_merge_config_selectorIiNS0_10empty_typeEEEZZNS1_27merge_sort_block_merge_implIS3_N6thrust23THRUST_200600_302600_NS6detail15normal_iteratorINS9_10device_ptrIiEEEEPS5_jNS1_19radix_merge_compareILb1ELb1EiNS0_19identity_decomposerEEEEE10hipError_tT0_T1_T2_jT3_P12ihipStream_tbPNSt15iterator_traitsISK_E10value_typeEPNSQ_ISL_E10value_typeEPSM_NS1_7vsmem_tEENKUlT_SK_SL_SM_E_clISE_PiSF_SF_EESJ_SZ_SK_SL_SM_EUlSZ_E_NS1_11comp_targetILNS1_3genE0ELNS1_11target_archE4294967295ELNS1_3gpuE0ELNS1_3repE0EEENS1_48merge_mergepath_partition_config_static_selectorELNS0_4arch9wavefront6targetE1EEEvSL_
; %bb.0:
	s_load_dword s3, s[0:1], 0x0
	v_lshl_or_b32 v0, s2, 7, v0
	s_waitcnt lgkmcnt(0)
	v_cmp_gt_u32_e32 vcc, s3, v0
	s_and_saveexec_b64 s[2:3], vcc
	s_cbranch_execz .LBB294_6
; %bb.1:
	s_load_dwordx2 s[4:5], s[0:1], 0x4
	s_load_dwordx2 s[2:3], s[0:1], 0x20
	s_waitcnt lgkmcnt(0)
	s_lshr_b32 s6, s4, 9
	s_and_b32 s6, s6, 0x7ffffe
	s_add_i32 s7, s6, -1
	s_sub_i32 s6, 0, s6
	v_and_b32_e32 v1, s6, v0
	v_lshlrev_b32_e32 v1, 10, v1
	v_min_u32_e32 v2, s5, v1
	v_add_u32_e32 v1, s4, v1
	v_min_u32_e32 v4, s5, v1
	v_add_u32_e32 v1, s4, v4
	v_and_b32_e32 v3, s7, v0
	v_min_u32_e32 v1, s5, v1
	v_sub_u32_e32 v5, v1, v2
	v_lshlrev_b32_e32 v3, 10, v3
	v_min_u32_e32 v10, v5, v3
	v_sub_u32_e32 v3, v4, v2
	v_sub_u32_e32 v1, v1, v4
	v_sub_u32_e64 v1, v10, v1 clamp
	v_min_u32_e32 v11, v10, v3
	v_cmp_lt_u32_e32 vcc, v1, v11
	s_and_saveexec_b64 s[4:5], vcc
	s_cbranch_execz .LBB294_5
; %bb.2:
	s_load_dwordx2 s[8:9], s[0:1], 0x10
	s_load_dword s6, s[0:1], 0x18
	v_mov_b32_e32 v5, 0
	v_mov_b32_e32 v3, v5
	s_mov_b64 s[0:1], 0
	s_waitcnt lgkmcnt(0)
	v_lshl_add_u64 v[6:7], v[2:3], 2, s[8:9]
	v_lshl_add_u64 v[8:9], v[4:5], 2, s[8:9]
.LBB294_3:                              ; =>This Inner Loop Header: Depth=1
	v_add_u32_e32 v3, v11, v1
	v_lshrrev_b32_e32 v4, 1, v3
	v_mov_b32_e32 v13, v5
	v_xad_u32 v12, v4, -1, v10
	v_lshl_add_u64 v[14:15], v[4:5], 2, v[6:7]
	v_lshl_add_u64 v[12:13], v[12:13], 2, v[8:9]
	flat_load_dword v3, v[14:15]
	flat_load_dword v16, v[12:13]
	v_add_u32_e32 v12, 1, v4
	s_waitcnt vmcnt(0) lgkmcnt(0)
	v_and_b32_e32 v3, s6, v3
	v_and_b32_e32 v13, s6, v16
	v_cmp_gt_i32_e32 vcc, v13, v3
	s_nop 1
	v_cndmask_b32_e32 v11, v11, v4, vcc
	v_cndmask_b32_e32 v1, v12, v1, vcc
	v_cmp_ge_u32_e32 vcc, v1, v11
	s_or_b64 s[0:1], vcc, s[0:1]
	s_andn2_b64 exec, exec, s[0:1]
	s_cbranch_execnz .LBB294_3
; %bb.4:
	s_or_b64 exec, exec, s[0:1]
.LBB294_5:
	s_or_b64 exec, exec, s[4:5]
	v_add_u32_e32 v2, v1, v2
	v_mov_b32_e32 v1, 0
	v_lshl_add_u64 v[0:1], v[0:1], 2, s[2:3]
	global_store_dword v[0:1], v2, off
.LBB294_6:
	s_endpgm
	.section	.rodata,"a",@progbits
	.p2align	6, 0x0
	.amdhsa_kernel _ZN7rocprim17ROCPRIM_400000_NS6detail17trampoline_kernelINS0_14default_configENS1_38merge_sort_block_merge_config_selectorIiNS0_10empty_typeEEEZZNS1_27merge_sort_block_merge_implIS3_N6thrust23THRUST_200600_302600_NS6detail15normal_iteratorINS9_10device_ptrIiEEEEPS5_jNS1_19radix_merge_compareILb1ELb1EiNS0_19identity_decomposerEEEEE10hipError_tT0_T1_T2_jT3_P12ihipStream_tbPNSt15iterator_traitsISK_E10value_typeEPNSQ_ISL_E10value_typeEPSM_NS1_7vsmem_tEENKUlT_SK_SL_SM_E_clISE_PiSF_SF_EESJ_SZ_SK_SL_SM_EUlSZ_E_NS1_11comp_targetILNS1_3genE0ELNS1_11target_archE4294967295ELNS1_3gpuE0ELNS1_3repE0EEENS1_48merge_mergepath_partition_config_static_selectorELNS0_4arch9wavefront6targetE1EEEvSL_
		.amdhsa_group_segment_fixed_size 0
		.amdhsa_private_segment_fixed_size 0
		.amdhsa_kernarg_size 40
		.amdhsa_user_sgpr_count 2
		.amdhsa_user_sgpr_dispatch_ptr 0
		.amdhsa_user_sgpr_queue_ptr 0
		.amdhsa_user_sgpr_kernarg_segment_ptr 1
		.amdhsa_user_sgpr_dispatch_id 0
		.amdhsa_user_sgpr_kernarg_preload_length 0
		.amdhsa_user_sgpr_kernarg_preload_offset 0
		.amdhsa_user_sgpr_private_segment_size 0
		.amdhsa_uses_dynamic_stack 0
		.amdhsa_enable_private_segment 0
		.amdhsa_system_sgpr_workgroup_id_x 1
		.amdhsa_system_sgpr_workgroup_id_y 0
		.amdhsa_system_sgpr_workgroup_id_z 0
		.amdhsa_system_sgpr_workgroup_info 0
		.amdhsa_system_vgpr_workitem_id 0
		.amdhsa_next_free_vgpr 17
		.amdhsa_next_free_sgpr 10
		.amdhsa_accum_offset 20
		.amdhsa_reserve_vcc 1
		.amdhsa_float_round_mode_32 0
		.amdhsa_float_round_mode_16_64 0
		.amdhsa_float_denorm_mode_32 3
		.amdhsa_float_denorm_mode_16_64 3
		.amdhsa_dx10_clamp 1
		.amdhsa_ieee_mode 1
		.amdhsa_fp16_overflow 0
		.amdhsa_tg_split 0
		.amdhsa_exception_fp_ieee_invalid_op 0
		.amdhsa_exception_fp_denorm_src 0
		.amdhsa_exception_fp_ieee_div_zero 0
		.amdhsa_exception_fp_ieee_overflow 0
		.amdhsa_exception_fp_ieee_underflow 0
		.amdhsa_exception_fp_ieee_inexact 0
		.amdhsa_exception_int_div_zero 0
	.end_amdhsa_kernel
	.section	.text._ZN7rocprim17ROCPRIM_400000_NS6detail17trampoline_kernelINS0_14default_configENS1_38merge_sort_block_merge_config_selectorIiNS0_10empty_typeEEEZZNS1_27merge_sort_block_merge_implIS3_N6thrust23THRUST_200600_302600_NS6detail15normal_iteratorINS9_10device_ptrIiEEEEPS5_jNS1_19radix_merge_compareILb1ELb1EiNS0_19identity_decomposerEEEEE10hipError_tT0_T1_T2_jT3_P12ihipStream_tbPNSt15iterator_traitsISK_E10value_typeEPNSQ_ISL_E10value_typeEPSM_NS1_7vsmem_tEENKUlT_SK_SL_SM_E_clISE_PiSF_SF_EESJ_SZ_SK_SL_SM_EUlSZ_E_NS1_11comp_targetILNS1_3genE0ELNS1_11target_archE4294967295ELNS1_3gpuE0ELNS1_3repE0EEENS1_48merge_mergepath_partition_config_static_selectorELNS0_4arch9wavefront6targetE1EEEvSL_,"axG",@progbits,_ZN7rocprim17ROCPRIM_400000_NS6detail17trampoline_kernelINS0_14default_configENS1_38merge_sort_block_merge_config_selectorIiNS0_10empty_typeEEEZZNS1_27merge_sort_block_merge_implIS3_N6thrust23THRUST_200600_302600_NS6detail15normal_iteratorINS9_10device_ptrIiEEEEPS5_jNS1_19radix_merge_compareILb1ELb1EiNS0_19identity_decomposerEEEEE10hipError_tT0_T1_T2_jT3_P12ihipStream_tbPNSt15iterator_traitsISK_E10value_typeEPNSQ_ISL_E10value_typeEPSM_NS1_7vsmem_tEENKUlT_SK_SL_SM_E_clISE_PiSF_SF_EESJ_SZ_SK_SL_SM_EUlSZ_E_NS1_11comp_targetILNS1_3genE0ELNS1_11target_archE4294967295ELNS1_3gpuE0ELNS1_3repE0EEENS1_48merge_mergepath_partition_config_static_selectorELNS0_4arch9wavefront6targetE1EEEvSL_,comdat
.Lfunc_end294:
	.size	_ZN7rocprim17ROCPRIM_400000_NS6detail17trampoline_kernelINS0_14default_configENS1_38merge_sort_block_merge_config_selectorIiNS0_10empty_typeEEEZZNS1_27merge_sort_block_merge_implIS3_N6thrust23THRUST_200600_302600_NS6detail15normal_iteratorINS9_10device_ptrIiEEEEPS5_jNS1_19radix_merge_compareILb1ELb1EiNS0_19identity_decomposerEEEEE10hipError_tT0_T1_T2_jT3_P12ihipStream_tbPNSt15iterator_traitsISK_E10value_typeEPNSQ_ISL_E10value_typeEPSM_NS1_7vsmem_tEENKUlT_SK_SL_SM_E_clISE_PiSF_SF_EESJ_SZ_SK_SL_SM_EUlSZ_E_NS1_11comp_targetILNS1_3genE0ELNS1_11target_archE4294967295ELNS1_3gpuE0ELNS1_3repE0EEENS1_48merge_mergepath_partition_config_static_selectorELNS0_4arch9wavefront6targetE1EEEvSL_, .Lfunc_end294-_ZN7rocprim17ROCPRIM_400000_NS6detail17trampoline_kernelINS0_14default_configENS1_38merge_sort_block_merge_config_selectorIiNS0_10empty_typeEEEZZNS1_27merge_sort_block_merge_implIS3_N6thrust23THRUST_200600_302600_NS6detail15normal_iteratorINS9_10device_ptrIiEEEEPS5_jNS1_19radix_merge_compareILb1ELb1EiNS0_19identity_decomposerEEEEE10hipError_tT0_T1_T2_jT3_P12ihipStream_tbPNSt15iterator_traitsISK_E10value_typeEPNSQ_ISL_E10value_typeEPSM_NS1_7vsmem_tEENKUlT_SK_SL_SM_E_clISE_PiSF_SF_EESJ_SZ_SK_SL_SM_EUlSZ_E_NS1_11comp_targetILNS1_3genE0ELNS1_11target_archE4294967295ELNS1_3gpuE0ELNS1_3repE0EEENS1_48merge_mergepath_partition_config_static_selectorELNS0_4arch9wavefront6targetE1EEEvSL_
                                        ; -- End function
	.set _ZN7rocprim17ROCPRIM_400000_NS6detail17trampoline_kernelINS0_14default_configENS1_38merge_sort_block_merge_config_selectorIiNS0_10empty_typeEEEZZNS1_27merge_sort_block_merge_implIS3_N6thrust23THRUST_200600_302600_NS6detail15normal_iteratorINS9_10device_ptrIiEEEEPS5_jNS1_19radix_merge_compareILb1ELb1EiNS0_19identity_decomposerEEEEE10hipError_tT0_T1_T2_jT3_P12ihipStream_tbPNSt15iterator_traitsISK_E10value_typeEPNSQ_ISL_E10value_typeEPSM_NS1_7vsmem_tEENKUlT_SK_SL_SM_E_clISE_PiSF_SF_EESJ_SZ_SK_SL_SM_EUlSZ_E_NS1_11comp_targetILNS1_3genE0ELNS1_11target_archE4294967295ELNS1_3gpuE0ELNS1_3repE0EEENS1_48merge_mergepath_partition_config_static_selectorELNS0_4arch9wavefront6targetE1EEEvSL_.num_vgpr, 17
	.set _ZN7rocprim17ROCPRIM_400000_NS6detail17trampoline_kernelINS0_14default_configENS1_38merge_sort_block_merge_config_selectorIiNS0_10empty_typeEEEZZNS1_27merge_sort_block_merge_implIS3_N6thrust23THRUST_200600_302600_NS6detail15normal_iteratorINS9_10device_ptrIiEEEEPS5_jNS1_19radix_merge_compareILb1ELb1EiNS0_19identity_decomposerEEEEE10hipError_tT0_T1_T2_jT3_P12ihipStream_tbPNSt15iterator_traitsISK_E10value_typeEPNSQ_ISL_E10value_typeEPSM_NS1_7vsmem_tEENKUlT_SK_SL_SM_E_clISE_PiSF_SF_EESJ_SZ_SK_SL_SM_EUlSZ_E_NS1_11comp_targetILNS1_3genE0ELNS1_11target_archE4294967295ELNS1_3gpuE0ELNS1_3repE0EEENS1_48merge_mergepath_partition_config_static_selectorELNS0_4arch9wavefront6targetE1EEEvSL_.num_agpr, 0
	.set _ZN7rocprim17ROCPRIM_400000_NS6detail17trampoline_kernelINS0_14default_configENS1_38merge_sort_block_merge_config_selectorIiNS0_10empty_typeEEEZZNS1_27merge_sort_block_merge_implIS3_N6thrust23THRUST_200600_302600_NS6detail15normal_iteratorINS9_10device_ptrIiEEEEPS5_jNS1_19radix_merge_compareILb1ELb1EiNS0_19identity_decomposerEEEEE10hipError_tT0_T1_T2_jT3_P12ihipStream_tbPNSt15iterator_traitsISK_E10value_typeEPNSQ_ISL_E10value_typeEPSM_NS1_7vsmem_tEENKUlT_SK_SL_SM_E_clISE_PiSF_SF_EESJ_SZ_SK_SL_SM_EUlSZ_E_NS1_11comp_targetILNS1_3genE0ELNS1_11target_archE4294967295ELNS1_3gpuE0ELNS1_3repE0EEENS1_48merge_mergepath_partition_config_static_selectorELNS0_4arch9wavefront6targetE1EEEvSL_.numbered_sgpr, 10
	.set _ZN7rocprim17ROCPRIM_400000_NS6detail17trampoline_kernelINS0_14default_configENS1_38merge_sort_block_merge_config_selectorIiNS0_10empty_typeEEEZZNS1_27merge_sort_block_merge_implIS3_N6thrust23THRUST_200600_302600_NS6detail15normal_iteratorINS9_10device_ptrIiEEEEPS5_jNS1_19radix_merge_compareILb1ELb1EiNS0_19identity_decomposerEEEEE10hipError_tT0_T1_T2_jT3_P12ihipStream_tbPNSt15iterator_traitsISK_E10value_typeEPNSQ_ISL_E10value_typeEPSM_NS1_7vsmem_tEENKUlT_SK_SL_SM_E_clISE_PiSF_SF_EESJ_SZ_SK_SL_SM_EUlSZ_E_NS1_11comp_targetILNS1_3genE0ELNS1_11target_archE4294967295ELNS1_3gpuE0ELNS1_3repE0EEENS1_48merge_mergepath_partition_config_static_selectorELNS0_4arch9wavefront6targetE1EEEvSL_.num_named_barrier, 0
	.set _ZN7rocprim17ROCPRIM_400000_NS6detail17trampoline_kernelINS0_14default_configENS1_38merge_sort_block_merge_config_selectorIiNS0_10empty_typeEEEZZNS1_27merge_sort_block_merge_implIS3_N6thrust23THRUST_200600_302600_NS6detail15normal_iteratorINS9_10device_ptrIiEEEEPS5_jNS1_19radix_merge_compareILb1ELb1EiNS0_19identity_decomposerEEEEE10hipError_tT0_T1_T2_jT3_P12ihipStream_tbPNSt15iterator_traitsISK_E10value_typeEPNSQ_ISL_E10value_typeEPSM_NS1_7vsmem_tEENKUlT_SK_SL_SM_E_clISE_PiSF_SF_EESJ_SZ_SK_SL_SM_EUlSZ_E_NS1_11comp_targetILNS1_3genE0ELNS1_11target_archE4294967295ELNS1_3gpuE0ELNS1_3repE0EEENS1_48merge_mergepath_partition_config_static_selectorELNS0_4arch9wavefront6targetE1EEEvSL_.private_seg_size, 0
	.set _ZN7rocprim17ROCPRIM_400000_NS6detail17trampoline_kernelINS0_14default_configENS1_38merge_sort_block_merge_config_selectorIiNS0_10empty_typeEEEZZNS1_27merge_sort_block_merge_implIS3_N6thrust23THRUST_200600_302600_NS6detail15normal_iteratorINS9_10device_ptrIiEEEEPS5_jNS1_19radix_merge_compareILb1ELb1EiNS0_19identity_decomposerEEEEE10hipError_tT0_T1_T2_jT3_P12ihipStream_tbPNSt15iterator_traitsISK_E10value_typeEPNSQ_ISL_E10value_typeEPSM_NS1_7vsmem_tEENKUlT_SK_SL_SM_E_clISE_PiSF_SF_EESJ_SZ_SK_SL_SM_EUlSZ_E_NS1_11comp_targetILNS1_3genE0ELNS1_11target_archE4294967295ELNS1_3gpuE0ELNS1_3repE0EEENS1_48merge_mergepath_partition_config_static_selectorELNS0_4arch9wavefront6targetE1EEEvSL_.uses_vcc, 1
	.set _ZN7rocprim17ROCPRIM_400000_NS6detail17trampoline_kernelINS0_14default_configENS1_38merge_sort_block_merge_config_selectorIiNS0_10empty_typeEEEZZNS1_27merge_sort_block_merge_implIS3_N6thrust23THRUST_200600_302600_NS6detail15normal_iteratorINS9_10device_ptrIiEEEEPS5_jNS1_19radix_merge_compareILb1ELb1EiNS0_19identity_decomposerEEEEE10hipError_tT0_T1_T2_jT3_P12ihipStream_tbPNSt15iterator_traitsISK_E10value_typeEPNSQ_ISL_E10value_typeEPSM_NS1_7vsmem_tEENKUlT_SK_SL_SM_E_clISE_PiSF_SF_EESJ_SZ_SK_SL_SM_EUlSZ_E_NS1_11comp_targetILNS1_3genE0ELNS1_11target_archE4294967295ELNS1_3gpuE0ELNS1_3repE0EEENS1_48merge_mergepath_partition_config_static_selectorELNS0_4arch9wavefront6targetE1EEEvSL_.uses_flat_scratch, 0
	.set _ZN7rocprim17ROCPRIM_400000_NS6detail17trampoline_kernelINS0_14default_configENS1_38merge_sort_block_merge_config_selectorIiNS0_10empty_typeEEEZZNS1_27merge_sort_block_merge_implIS3_N6thrust23THRUST_200600_302600_NS6detail15normal_iteratorINS9_10device_ptrIiEEEEPS5_jNS1_19radix_merge_compareILb1ELb1EiNS0_19identity_decomposerEEEEE10hipError_tT0_T1_T2_jT3_P12ihipStream_tbPNSt15iterator_traitsISK_E10value_typeEPNSQ_ISL_E10value_typeEPSM_NS1_7vsmem_tEENKUlT_SK_SL_SM_E_clISE_PiSF_SF_EESJ_SZ_SK_SL_SM_EUlSZ_E_NS1_11comp_targetILNS1_3genE0ELNS1_11target_archE4294967295ELNS1_3gpuE0ELNS1_3repE0EEENS1_48merge_mergepath_partition_config_static_selectorELNS0_4arch9wavefront6targetE1EEEvSL_.has_dyn_sized_stack, 0
	.set _ZN7rocprim17ROCPRIM_400000_NS6detail17trampoline_kernelINS0_14default_configENS1_38merge_sort_block_merge_config_selectorIiNS0_10empty_typeEEEZZNS1_27merge_sort_block_merge_implIS3_N6thrust23THRUST_200600_302600_NS6detail15normal_iteratorINS9_10device_ptrIiEEEEPS5_jNS1_19radix_merge_compareILb1ELb1EiNS0_19identity_decomposerEEEEE10hipError_tT0_T1_T2_jT3_P12ihipStream_tbPNSt15iterator_traitsISK_E10value_typeEPNSQ_ISL_E10value_typeEPSM_NS1_7vsmem_tEENKUlT_SK_SL_SM_E_clISE_PiSF_SF_EESJ_SZ_SK_SL_SM_EUlSZ_E_NS1_11comp_targetILNS1_3genE0ELNS1_11target_archE4294967295ELNS1_3gpuE0ELNS1_3repE0EEENS1_48merge_mergepath_partition_config_static_selectorELNS0_4arch9wavefront6targetE1EEEvSL_.has_recursion, 0
	.set _ZN7rocprim17ROCPRIM_400000_NS6detail17trampoline_kernelINS0_14default_configENS1_38merge_sort_block_merge_config_selectorIiNS0_10empty_typeEEEZZNS1_27merge_sort_block_merge_implIS3_N6thrust23THRUST_200600_302600_NS6detail15normal_iteratorINS9_10device_ptrIiEEEEPS5_jNS1_19radix_merge_compareILb1ELb1EiNS0_19identity_decomposerEEEEE10hipError_tT0_T1_T2_jT3_P12ihipStream_tbPNSt15iterator_traitsISK_E10value_typeEPNSQ_ISL_E10value_typeEPSM_NS1_7vsmem_tEENKUlT_SK_SL_SM_E_clISE_PiSF_SF_EESJ_SZ_SK_SL_SM_EUlSZ_E_NS1_11comp_targetILNS1_3genE0ELNS1_11target_archE4294967295ELNS1_3gpuE0ELNS1_3repE0EEENS1_48merge_mergepath_partition_config_static_selectorELNS0_4arch9wavefront6targetE1EEEvSL_.has_indirect_call, 0
	.section	.AMDGPU.csdata,"",@progbits
; Kernel info:
; codeLenInByte = 332
; TotalNumSgprs: 16
; NumVgprs: 17
; NumAgprs: 0
; TotalNumVgprs: 17
; ScratchSize: 0
; MemoryBound: 0
; FloatMode: 240
; IeeeMode: 1
; LDSByteSize: 0 bytes/workgroup (compile time only)
; SGPRBlocks: 1
; VGPRBlocks: 2
; NumSGPRsForWavesPerEU: 16
; NumVGPRsForWavesPerEU: 17
; AccumOffset: 20
; Occupancy: 8
; WaveLimiterHint : 0
; COMPUTE_PGM_RSRC2:SCRATCH_EN: 0
; COMPUTE_PGM_RSRC2:USER_SGPR: 2
; COMPUTE_PGM_RSRC2:TRAP_HANDLER: 0
; COMPUTE_PGM_RSRC2:TGID_X_EN: 1
; COMPUTE_PGM_RSRC2:TGID_Y_EN: 0
; COMPUTE_PGM_RSRC2:TGID_Z_EN: 0
; COMPUTE_PGM_RSRC2:TIDIG_COMP_CNT: 0
; COMPUTE_PGM_RSRC3_GFX90A:ACCUM_OFFSET: 4
; COMPUTE_PGM_RSRC3_GFX90A:TG_SPLIT: 0
	.section	.text._ZN7rocprim17ROCPRIM_400000_NS6detail17trampoline_kernelINS0_14default_configENS1_38merge_sort_block_merge_config_selectorIiNS0_10empty_typeEEEZZNS1_27merge_sort_block_merge_implIS3_N6thrust23THRUST_200600_302600_NS6detail15normal_iteratorINS9_10device_ptrIiEEEEPS5_jNS1_19radix_merge_compareILb1ELb1EiNS0_19identity_decomposerEEEEE10hipError_tT0_T1_T2_jT3_P12ihipStream_tbPNSt15iterator_traitsISK_E10value_typeEPNSQ_ISL_E10value_typeEPSM_NS1_7vsmem_tEENKUlT_SK_SL_SM_E_clISE_PiSF_SF_EESJ_SZ_SK_SL_SM_EUlSZ_E_NS1_11comp_targetILNS1_3genE10ELNS1_11target_archE1201ELNS1_3gpuE5ELNS1_3repE0EEENS1_48merge_mergepath_partition_config_static_selectorELNS0_4arch9wavefront6targetE1EEEvSL_,"axG",@progbits,_ZN7rocprim17ROCPRIM_400000_NS6detail17trampoline_kernelINS0_14default_configENS1_38merge_sort_block_merge_config_selectorIiNS0_10empty_typeEEEZZNS1_27merge_sort_block_merge_implIS3_N6thrust23THRUST_200600_302600_NS6detail15normal_iteratorINS9_10device_ptrIiEEEEPS5_jNS1_19radix_merge_compareILb1ELb1EiNS0_19identity_decomposerEEEEE10hipError_tT0_T1_T2_jT3_P12ihipStream_tbPNSt15iterator_traitsISK_E10value_typeEPNSQ_ISL_E10value_typeEPSM_NS1_7vsmem_tEENKUlT_SK_SL_SM_E_clISE_PiSF_SF_EESJ_SZ_SK_SL_SM_EUlSZ_E_NS1_11comp_targetILNS1_3genE10ELNS1_11target_archE1201ELNS1_3gpuE5ELNS1_3repE0EEENS1_48merge_mergepath_partition_config_static_selectorELNS0_4arch9wavefront6targetE1EEEvSL_,comdat
	.protected	_ZN7rocprim17ROCPRIM_400000_NS6detail17trampoline_kernelINS0_14default_configENS1_38merge_sort_block_merge_config_selectorIiNS0_10empty_typeEEEZZNS1_27merge_sort_block_merge_implIS3_N6thrust23THRUST_200600_302600_NS6detail15normal_iteratorINS9_10device_ptrIiEEEEPS5_jNS1_19radix_merge_compareILb1ELb1EiNS0_19identity_decomposerEEEEE10hipError_tT0_T1_T2_jT3_P12ihipStream_tbPNSt15iterator_traitsISK_E10value_typeEPNSQ_ISL_E10value_typeEPSM_NS1_7vsmem_tEENKUlT_SK_SL_SM_E_clISE_PiSF_SF_EESJ_SZ_SK_SL_SM_EUlSZ_E_NS1_11comp_targetILNS1_3genE10ELNS1_11target_archE1201ELNS1_3gpuE5ELNS1_3repE0EEENS1_48merge_mergepath_partition_config_static_selectorELNS0_4arch9wavefront6targetE1EEEvSL_ ; -- Begin function _ZN7rocprim17ROCPRIM_400000_NS6detail17trampoline_kernelINS0_14default_configENS1_38merge_sort_block_merge_config_selectorIiNS0_10empty_typeEEEZZNS1_27merge_sort_block_merge_implIS3_N6thrust23THRUST_200600_302600_NS6detail15normal_iteratorINS9_10device_ptrIiEEEEPS5_jNS1_19radix_merge_compareILb1ELb1EiNS0_19identity_decomposerEEEEE10hipError_tT0_T1_T2_jT3_P12ihipStream_tbPNSt15iterator_traitsISK_E10value_typeEPNSQ_ISL_E10value_typeEPSM_NS1_7vsmem_tEENKUlT_SK_SL_SM_E_clISE_PiSF_SF_EESJ_SZ_SK_SL_SM_EUlSZ_E_NS1_11comp_targetILNS1_3genE10ELNS1_11target_archE1201ELNS1_3gpuE5ELNS1_3repE0EEENS1_48merge_mergepath_partition_config_static_selectorELNS0_4arch9wavefront6targetE1EEEvSL_
	.globl	_ZN7rocprim17ROCPRIM_400000_NS6detail17trampoline_kernelINS0_14default_configENS1_38merge_sort_block_merge_config_selectorIiNS0_10empty_typeEEEZZNS1_27merge_sort_block_merge_implIS3_N6thrust23THRUST_200600_302600_NS6detail15normal_iteratorINS9_10device_ptrIiEEEEPS5_jNS1_19radix_merge_compareILb1ELb1EiNS0_19identity_decomposerEEEEE10hipError_tT0_T1_T2_jT3_P12ihipStream_tbPNSt15iterator_traitsISK_E10value_typeEPNSQ_ISL_E10value_typeEPSM_NS1_7vsmem_tEENKUlT_SK_SL_SM_E_clISE_PiSF_SF_EESJ_SZ_SK_SL_SM_EUlSZ_E_NS1_11comp_targetILNS1_3genE10ELNS1_11target_archE1201ELNS1_3gpuE5ELNS1_3repE0EEENS1_48merge_mergepath_partition_config_static_selectorELNS0_4arch9wavefront6targetE1EEEvSL_
	.p2align	8
	.type	_ZN7rocprim17ROCPRIM_400000_NS6detail17trampoline_kernelINS0_14default_configENS1_38merge_sort_block_merge_config_selectorIiNS0_10empty_typeEEEZZNS1_27merge_sort_block_merge_implIS3_N6thrust23THRUST_200600_302600_NS6detail15normal_iteratorINS9_10device_ptrIiEEEEPS5_jNS1_19radix_merge_compareILb1ELb1EiNS0_19identity_decomposerEEEEE10hipError_tT0_T1_T2_jT3_P12ihipStream_tbPNSt15iterator_traitsISK_E10value_typeEPNSQ_ISL_E10value_typeEPSM_NS1_7vsmem_tEENKUlT_SK_SL_SM_E_clISE_PiSF_SF_EESJ_SZ_SK_SL_SM_EUlSZ_E_NS1_11comp_targetILNS1_3genE10ELNS1_11target_archE1201ELNS1_3gpuE5ELNS1_3repE0EEENS1_48merge_mergepath_partition_config_static_selectorELNS0_4arch9wavefront6targetE1EEEvSL_,@function
_ZN7rocprim17ROCPRIM_400000_NS6detail17trampoline_kernelINS0_14default_configENS1_38merge_sort_block_merge_config_selectorIiNS0_10empty_typeEEEZZNS1_27merge_sort_block_merge_implIS3_N6thrust23THRUST_200600_302600_NS6detail15normal_iteratorINS9_10device_ptrIiEEEEPS5_jNS1_19radix_merge_compareILb1ELb1EiNS0_19identity_decomposerEEEEE10hipError_tT0_T1_T2_jT3_P12ihipStream_tbPNSt15iterator_traitsISK_E10value_typeEPNSQ_ISL_E10value_typeEPSM_NS1_7vsmem_tEENKUlT_SK_SL_SM_E_clISE_PiSF_SF_EESJ_SZ_SK_SL_SM_EUlSZ_E_NS1_11comp_targetILNS1_3genE10ELNS1_11target_archE1201ELNS1_3gpuE5ELNS1_3repE0EEENS1_48merge_mergepath_partition_config_static_selectorELNS0_4arch9wavefront6targetE1EEEvSL_: ; @_ZN7rocprim17ROCPRIM_400000_NS6detail17trampoline_kernelINS0_14default_configENS1_38merge_sort_block_merge_config_selectorIiNS0_10empty_typeEEEZZNS1_27merge_sort_block_merge_implIS3_N6thrust23THRUST_200600_302600_NS6detail15normal_iteratorINS9_10device_ptrIiEEEEPS5_jNS1_19radix_merge_compareILb1ELb1EiNS0_19identity_decomposerEEEEE10hipError_tT0_T1_T2_jT3_P12ihipStream_tbPNSt15iterator_traitsISK_E10value_typeEPNSQ_ISL_E10value_typeEPSM_NS1_7vsmem_tEENKUlT_SK_SL_SM_E_clISE_PiSF_SF_EESJ_SZ_SK_SL_SM_EUlSZ_E_NS1_11comp_targetILNS1_3genE10ELNS1_11target_archE1201ELNS1_3gpuE5ELNS1_3repE0EEENS1_48merge_mergepath_partition_config_static_selectorELNS0_4arch9wavefront6targetE1EEEvSL_
; %bb.0:
	.section	.rodata,"a",@progbits
	.p2align	6, 0x0
	.amdhsa_kernel _ZN7rocprim17ROCPRIM_400000_NS6detail17trampoline_kernelINS0_14default_configENS1_38merge_sort_block_merge_config_selectorIiNS0_10empty_typeEEEZZNS1_27merge_sort_block_merge_implIS3_N6thrust23THRUST_200600_302600_NS6detail15normal_iteratorINS9_10device_ptrIiEEEEPS5_jNS1_19radix_merge_compareILb1ELb1EiNS0_19identity_decomposerEEEEE10hipError_tT0_T1_T2_jT3_P12ihipStream_tbPNSt15iterator_traitsISK_E10value_typeEPNSQ_ISL_E10value_typeEPSM_NS1_7vsmem_tEENKUlT_SK_SL_SM_E_clISE_PiSF_SF_EESJ_SZ_SK_SL_SM_EUlSZ_E_NS1_11comp_targetILNS1_3genE10ELNS1_11target_archE1201ELNS1_3gpuE5ELNS1_3repE0EEENS1_48merge_mergepath_partition_config_static_selectorELNS0_4arch9wavefront6targetE1EEEvSL_
		.amdhsa_group_segment_fixed_size 0
		.amdhsa_private_segment_fixed_size 0
		.amdhsa_kernarg_size 40
		.amdhsa_user_sgpr_count 2
		.amdhsa_user_sgpr_dispatch_ptr 0
		.amdhsa_user_sgpr_queue_ptr 0
		.amdhsa_user_sgpr_kernarg_segment_ptr 1
		.amdhsa_user_sgpr_dispatch_id 0
		.amdhsa_user_sgpr_kernarg_preload_length 0
		.amdhsa_user_sgpr_kernarg_preload_offset 0
		.amdhsa_user_sgpr_private_segment_size 0
		.amdhsa_uses_dynamic_stack 0
		.amdhsa_enable_private_segment 0
		.amdhsa_system_sgpr_workgroup_id_x 1
		.amdhsa_system_sgpr_workgroup_id_y 0
		.amdhsa_system_sgpr_workgroup_id_z 0
		.amdhsa_system_sgpr_workgroup_info 0
		.amdhsa_system_vgpr_workitem_id 0
		.amdhsa_next_free_vgpr 1
		.amdhsa_next_free_sgpr 0
		.amdhsa_accum_offset 4
		.amdhsa_reserve_vcc 0
		.amdhsa_float_round_mode_32 0
		.amdhsa_float_round_mode_16_64 0
		.amdhsa_float_denorm_mode_32 3
		.amdhsa_float_denorm_mode_16_64 3
		.amdhsa_dx10_clamp 1
		.amdhsa_ieee_mode 1
		.amdhsa_fp16_overflow 0
		.amdhsa_tg_split 0
		.amdhsa_exception_fp_ieee_invalid_op 0
		.amdhsa_exception_fp_denorm_src 0
		.amdhsa_exception_fp_ieee_div_zero 0
		.amdhsa_exception_fp_ieee_overflow 0
		.amdhsa_exception_fp_ieee_underflow 0
		.amdhsa_exception_fp_ieee_inexact 0
		.amdhsa_exception_int_div_zero 0
	.end_amdhsa_kernel
	.section	.text._ZN7rocprim17ROCPRIM_400000_NS6detail17trampoline_kernelINS0_14default_configENS1_38merge_sort_block_merge_config_selectorIiNS0_10empty_typeEEEZZNS1_27merge_sort_block_merge_implIS3_N6thrust23THRUST_200600_302600_NS6detail15normal_iteratorINS9_10device_ptrIiEEEEPS5_jNS1_19radix_merge_compareILb1ELb1EiNS0_19identity_decomposerEEEEE10hipError_tT0_T1_T2_jT3_P12ihipStream_tbPNSt15iterator_traitsISK_E10value_typeEPNSQ_ISL_E10value_typeEPSM_NS1_7vsmem_tEENKUlT_SK_SL_SM_E_clISE_PiSF_SF_EESJ_SZ_SK_SL_SM_EUlSZ_E_NS1_11comp_targetILNS1_3genE10ELNS1_11target_archE1201ELNS1_3gpuE5ELNS1_3repE0EEENS1_48merge_mergepath_partition_config_static_selectorELNS0_4arch9wavefront6targetE1EEEvSL_,"axG",@progbits,_ZN7rocprim17ROCPRIM_400000_NS6detail17trampoline_kernelINS0_14default_configENS1_38merge_sort_block_merge_config_selectorIiNS0_10empty_typeEEEZZNS1_27merge_sort_block_merge_implIS3_N6thrust23THRUST_200600_302600_NS6detail15normal_iteratorINS9_10device_ptrIiEEEEPS5_jNS1_19radix_merge_compareILb1ELb1EiNS0_19identity_decomposerEEEEE10hipError_tT0_T1_T2_jT3_P12ihipStream_tbPNSt15iterator_traitsISK_E10value_typeEPNSQ_ISL_E10value_typeEPSM_NS1_7vsmem_tEENKUlT_SK_SL_SM_E_clISE_PiSF_SF_EESJ_SZ_SK_SL_SM_EUlSZ_E_NS1_11comp_targetILNS1_3genE10ELNS1_11target_archE1201ELNS1_3gpuE5ELNS1_3repE0EEENS1_48merge_mergepath_partition_config_static_selectorELNS0_4arch9wavefront6targetE1EEEvSL_,comdat
.Lfunc_end295:
	.size	_ZN7rocprim17ROCPRIM_400000_NS6detail17trampoline_kernelINS0_14default_configENS1_38merge_sort_block_merge_config_selectorIiNS0_10empty_typeEEEZZNS1_27merge_sort_block_merge_implIS3_N6thrust23THRUST_200600_302600_NS6detail15normal_iteratorINS9_10device_ptrIiEEEEPS5_jNS1_19radix_merge_compareILb1ELb1EiNS0_19identity_decomposerEEEEE10hipError_tT0_T1_T2_jT3_P12ihipStream_tbPNSt15iterator_traitsISK_E10value_typeEPNSQ_ISL_E10value_typeEPSM_NS1_7vsmem_tEENKUlT_SK_SL_SM_E_clISE_PiSF_SF_EESJ_SZ_SK_SL_SM_EUlSZ_E_NS1_11comp_targetILNS1_3genE10ELNS1_11target_archE1201ELNS1_3gpuE5ELNS1_3repE0EEENS1_48merge_mergepath_partition_config_static_selectorELNS0_4arch9wavefront6targetE1EEEvSL_, .Lfunc_end295-_ZN7rocprim17ROCPRIM_400000_NS6detail17trampoline_kernelINS0_14default_configENS1_38merge_sort_block_merge_config_selectorIiNS0_10empty_typeEEEZZNS1_27merge_sort_block_merge_implIS3_N6thrust23THRUST_200600_302600_NS6detail15normal_iteratorINS9_10device_ptrIiEEEEPS5_jNS1_19radix_merge_compareILb1ELb1EiNS0_19identity_decomposerEEEEE10hipError_tT0_T1_T2_jT3_P12ihipStream_tbPNSt15iterator_traitsISK_E10value_typeEPNSQ_ISL_E10value_typeEPSM_NS1_7vsmem_tEENKUlT_SK_SL_SM_E_clISE_PiSF_SF_EESJ_SZ_SK_SL_SM_EUlSZ_E_NS1_11comp_targetILNS1_3genE10ELNS1_11target_archE1201ELNS1_3gpuE5ELNS1_3repE0EEENS1_48merge_mergepath_partition_config_static_selectorELNS0_4arch9wavefront6targetE1EEEvSL_
                                        ; -- End function
	.set _ZN7rocprim17ROCPRIM_400000_NS6detail17trampoline_kernelINS0_14default_configENS1_38merge_sort_block_merge_config_selectorIiNS0_10empty_typeEEEZZNS1_27merge_sort_block_merge_implIS3_N6thrust23THRUST_200600_302600_NS6detail15normal_iteratorINS9_10device_ptrIiEEEEPS5_jNS1_19radix_merge_compareILb1ELb1EiNS0_19identity_decomposerEEEEE10hipError_tT0_T1_T2_jT3_P12ihipStream_tbPNSt15iterator_traitsISK_E10value_typeEPNSQ_ISL_E10value_typeEPSM_NS1_7vsmem_tEENKUlT_SK_SL_SM_E_clISE_PiSF_SF_EESJ_SZ_SK_SL_SM_EUlSZ_E_NS1_11comp_targetILNS1_3genE10ELNS1_11target_archE1201ELNS1_3gpuE5ELNS1_3repE0EEENS1_48merge_mergepath_partition_config_static_selectorELNS0_4arch9wavefront6targetE1EEEvSL_.num_vgpr, 0
	.set _ZN7rocprim17ROCPRIM_400000_NS6detail17trampoline_kernelINS0_14default_configENS1_38merge_sort_block_merge_config_selectorIiNS0_10empty_typeEEEZZNS1_27merge_sort_block_merge_implIS3_N6thrust23THRUST_200600_302600_NS6detail15normal_iteratorINS9_10device_ptrIiEEEEPS5_jNS1_19radix_merge_compareILb1ELb1EiNS0_19identity_decomposerEEEEE10hipError_tT0_T1_T2_jT3_P12ihipStream_tbPNSt15iterator_traitsISK_E10value_typeEPNSQ_ISL_E10value_typeEPSM_NS1_7vsmem_tEENKUlT_SK_SL_SM_E_clISE_PiSF_SF_EESJ_SZ_SK_SL_SM_EUlSZ_E_NS1_11comp_targetILNS1_3genE10ELNS1_11target_archE1201ELNS1_3gpuE5ELNS1_3repE0EEENS1_48merge_mergepath_partition_config_static_selectorELNS0_4arch9wavefront6targetE1EEEvSL_.num_agpr, 0
	.set _ZN7rocprim17ROCPRIM_400000_NS6detail17trampoline_kernelINS0_14default_configENS1_38merge_sort_block_merge_config_selectorIiNS0_10empty_typeEEEZZNS1_27merge_sort_block_merge_implIS3_N6thrust23THRUST_200600_302600_NS6detail15normal_iteratorINS9_10device_ptrIiEEEEPS5_jNS1_19radix_merge_compareILb1ELb1EiNS0_19identity_decomposerEEEEE10hipError_tT0_T1_T2_jT3_P12ihipStream_tbPNSt15iterator_traitsISK_E10value_typeEPNSQ_ISL_E10value_typeEPSM_NS1_7vsmem_tEENKUlT_SK_SL_SM_E_clISE_PiSF_SF_EESJ_SZ_SK_SL_SM_EUlSZ_E_NS1_11comp_targetILNS1_3genE10ELNS1_11target_archE1201ELNS1_3gpuE5ELNS1_3repE0EEENS1_48merge_mergepath_partition_config_static_selectorELNS0_4arch9wavefront6targetE1EEEvSL_.numbered_sgpr, 0
	.set _ZN7rocprim17ROCPRIM_400000_NS6detail17trampoline_kernelINS0_14default_configENS1_38merge_sort_block_merge_config_selectorIiNS0_10empty_typeEEEZZNS1_27merge_sort_block_merge_implIS3_N6thrust23THRUST_200600_302600_NS6detail15normal_iteratorINS9_10device_ptrIiEEEEPS5_jNS1_19radix_merge_compareILb1ELb1EiNS0_19identity_decomposerEEEEE10hipError_tT0_T1_T2_jT3_P12ihipStream_tbPNSt15iterator_traitsISK_E10value_typeEPNSQ_ISL_E10value_typeEPSM_NS1_7vsmem_tEENKUlT_SK_SL_SM_E_clISE_PiSF_SF_EESJ_SZ_SK_SL_SM_EUlSZ_E_NS1_11comp_targetILNS1_3genE10ELNS1_11target_archE1201ELNS1_3gpuE5ELNS1_3repE0EEENS1_48merge_mergepath_partition_config_static_selectorELNS0_4arch9wavefront6targetE1EEEvSL_.num_named_barrier, 0
	.set _ZN7rocprim17ROCPRIM_400000_NS6detail17trampoline_kernelINS0_14default_configENS1_38merge_sort_block_merge_config_selectorIiNS0_10empty_typeEEEZZNS1_27merge_sort_block_merge_implIS3_N6thrust23THRUST_200600_302600_NS6detail15normal_iteratorINS9_10device_ptrIiEEEEPS5_jNS1_19radix_merge_compareILb1ELb1EiNS0_19identity_decomposerEEEEE10hipError_tT0_T1_T2_jT3_P12ihipStream_tbPNSt15iterator_traitsISK_E10value_typeEPNSQ_ISL_E10value_typeEPSM_NS1_7vsmem_tEENKUlT_SK_SL_SM_E_clISE_PiSF_SF_EESJ_SZ_SK_SL_SM_EUlSZ_E_NS1_11comp_targetILNS1_3genE10ELNS1_11target_archE1201ELNS1_3gpuE5ELNS1_3repE0EEENS1_48merge_mergepath_partition_config_static_selectorELNS0_4arch9wavefront6targetE1EEEvSL_.private_seg_size, 0
	.set _ZN7rocprim17ROCPRIM_400000_NS6detail17trampoline_kernelINS0_14default_configENS1_38merge_sort_block_merge_config_selectorIiNS0_10empty_typeEEEZZNS1_27merge_sort_block_merge_implIS3_N6thrust23THRUST_200600_302600_NS6detail15normal_iteratorINS9_10device_ptrIiEEEEPS5_jNS1_19radix_merge_compareILb1ELb1EiNS0_19identity_decomposerEEEEE10hipError_tT0_T1_T2_jT3_P12ihipStream_tbPNSt15iterator_traitsISK_E10value_typeEPNSQ_ISL_E10value_typeEPSM_NS1_7vsmem_tEENKUlT_SK_SL_SM_E_clISE_PiSF_SF_EESJ_SZ_SK_SL_SM_EUlSZ_E_NS1_11comp_targetILNS1_3genE10ELNS1_11target_archE1201ELNS1_3gpuE5ELNS1_3repE0EEENS1_48merge_mergepath_partition_config_static_selectorELNS0_4arch9wavefront6targetE1EEEvSL_.uses_vcc, 0
	.set _ZN7rocprim17ROCPRIM_400000_NS6detail17trampoline_kernelINS0_14default_configENS1_38merge_sort_block_merge_config_selectorIiNS0_10empty_typeEEEZZNS1_27merge_sort_block_merge_implIS3_N6thrust23THRUST_200600_302600_NS6detail15normal_iteratorINS9_10device_ptrIiEEEEPS5_jNS1_19radix_merge_compareILb1ELb1EiNS0_19identity_decomposerEEEEE10hipError_tT0_T1_T2_jT3_P12ihipStream_tbPNSt15iterator_traitsISK_E10value_typeEPNSQ_ISL_E10value_typeEPSM_NS1_7vsmem_tEENKUlT_SK_SL_SM_E_clISE_PiSF_SF_EESJ_SZ_SK_SL_SM_EUlSZ_E_NS1_11comp_targetILNS1_3genE10ELNS1_11target_archE1201ELNS1_3gpuE5ELNS1_3repE0EEENS1_48merge_mergepath_partition_config_static_selectorELNS0_4arch9wavefront6targetE1EEEvSL_.uses_flat_scratch, 0
	.set _ZN7rocprim17ROCPRIM_400000_NS6detail17trampoline_kernelINS0_14default_configENS1_38merge_sort_block_merge_config_selectorIiNS0_10empty_typeEEEZZNS1_27merge_sort_block_merge_implIS3_N6thrust23THRUST_200600_302600_NS6detail15normal_iteratorINS9_10device_ptrIiEEEEPS5_jNS1_19radix_merge_compareILb1ELb1EiNS0_19identity_decomposerEEEEE10hipError_tT0_T1_T2_jT3_P12ihipStream_tbPNSt15iterator_traitsISK_E10value_typeEPNSQ_ISL_E10value_typeEPSM_NS1_7vsmem_tEENKUlT_SK_SL_SM_E_clISE_PiSF_SF_EESJ_SZ_SK_SL_SM_EUlSZ_E_NS1_11comp_targetILNS1_3genE10ELNS1_11target_archE1201ELNS1_3gpuE5ELNS1_3repE0EEENS1_48merge_mergepath_partition_config_static_selectorELNS0_4arch9wavefront6targetE1EEEvSL_.has_dyn_sized_stack, 0
	.set _ZN7rocprim17ROCPRIM_400000_NS6detail17trampoline_kernelINS0_14default_configENS1_38merge_sort_block_merge_config_selectorIiNS0_10empty_typeEEEZZNS1_27merge_sort_block_merge_implIS3_N6thrust23THRUST_200600_302600_NS6detail15normal_iteratorINS9_10device_ptrIiEEEEPS5_jNS1_19radix_merge_compareILb1ELb1EiNS0_19identity_decomposerEEEEE10hipError_tT0_T1_T2_jT3_P12ihipStream_tbPNSt15iterator_traitsISK_E10value_typeEPNSQ_ISL_E10value_typeEPSM_NS1_7vsmem_tEENKUlT_SK_SL_SM_E_clISE_PiSF_SF_EESJ_SZ_SK_SL_SM_EUlSZ_E_NS1_11comp_targetILNS1_3genE10ELNS1_11target_archE1201ELNS1_3gpuE5ELNS1_3repE0EEENS1_48merge_mergepath_partition_config_static_selectorELNS0_4arch9wavefront6targetE1EEEvSL_.has_recursion, 0
	.set _ZN7rocprim17ROCPRIM_400000_NS6detail17trampoline_kernelINS0_14default_configENS1_38merge_sort_block_merge_config_selectorIiNS0_10empty_typeEEEZZNS1_27merge_sort_block_merge_implIS3_N6thrust23THRUST_200600_302600_NS6detail15normal_iteratorINS9_10device_ptrIiEEEEPS5_jNS1_19radix_merge_compareILb1ELb1EiNS0_19identity_decomposerEEEEE10hipError_tT0_T1_T2_jT3_P12ihipStream_tbPNSt15iterator_traitsISK_E10value_typeEPNSQ_ISL_E10value_typeEPSM_NS1_7vsmem_tEENKUlT_SK_SL_SM_E_clISE_PiSF_SF_EESJ_SZ_SK_SL_SM_EUlSZ_E_NS1_11comp_targetILNS1_3genE10ELNS1_11target_archE1201ELNS1_3gpuE5ELNS1_3repE0EEENS1_48merge_mergepath_partition_config_static_selectorELNS0_4arch9wavefront6targetE1EEEvSL_.has_indirect_call, 0
	.section	.AMDGPU.csdata,"",@progbits
; Kernel info:
; codeLenInByte = 0
; TotalNumSgprs: 6
; NumVgprs: 0
; NumAgprs: 0
; TotalNumVgprs: 0
; ScratchSize: 0
; MemoryBound: 0
; FloatMode: 240
; IeeeMode: 1
; LDSByteSize: 0 bytes/workgroup (compile time only)
; SGPRBlocks: 0
; VGPRBlocks: 0
; NumSGPRsForWavesPerEU: 6
; NumVGPRsForWavesPerEU: 1
; AccumOffset: 4
; Occupancy: 8
; WaveLimiterHint : 0
; COMPUTE_PGM_RSRC2:SCRATCH_EN: 0
; COMPUTE_PGM_RSRC2:USER_SGPR: 2
; COMPUTE_PGM_RSRC2:TRAP_HANDLER: 0
; COMPUTE_PGM_RSRC2:TGID_X_EN: 1
; COMPUTE_PGM_RSRC2:TGID_Y_EN: 0
; COMPUTE_PGM_RSRC2:TGID_Z_EN: 0
; COMPUTE_PGM_RSRC2:TIDIG_COMP_CNT: 0
; COMPUTE_PGM_RSRC3_GFX90A:ACCUM_OFFSET: 0
; COMPUTE_PGM_RSRC3_GFX90A:TG_SPLIT: 0
	.section	.text._ZN7rocprim17ROCPRIM_400000_NS6detail17trampoline_kernelINS0_14default_configENS1_38merge_sort_block_merge_config_selectorIiNS0_10empty_typeEEEZZNS1_27merge_sort_block_merge_implIS3_N6thrust23THRUST_200600_302600_NS6detail15normal_iteratorINS9_10device_ptrIiEEEEPS5_jNS1_19radix_merge_compareILb1ELb1EiNS0_19identity_decomposerEEEEE10hipError_tT0_T1_T2_jT3_P12ihipStream_tbPNSt15iterator_traitsISK_E10value_typeEPNSQ_ISL_E10value_typeEPSM_NS1_7vsmem_tEENKUlT_SK_SL_SM_E_clISE_PiSF_SF_EESJ_SZ_SK_SL_SM_EUlSZ_E_NS1_11comp_targetILNS1_3genE5ELNS1_11target_archE942ELNS1_3gpuE9ELNS1_3repE0EEENS1_48merge_mergepath_partition_config_static_selectorELNS0_4arch9wavefront6targetE1EEEvSL_,"axG",@progbits,_ZN7rocprim17ROCPRIM_400000_NS6detail17trampoline_kernelINS0_14default_configENS1_38merge_sort_block_merge_config_selectorIiNS0_10empty_typeEEEZZNS1_27merge_sort_block_merge_implIS3_N6thrust23THRUST_200600_302600_NS6detail15normal_iteratorINS9_10device_ptrIiEEEEPS5_jNS1_19radix_merge_compareILb1ELb1EiNS0_19identity_decomposerEEEEE10hipError_tT0_T1_T2_jT3_P12ihipStream_tbPNSt15iterator_traitsISK_E10value_typeEPNSQ_ISL_E10value_typeEPSM_NS1_7vsmem_tEENKUlT_SK_SL_SM_E_clISE_PiSF_SF_EESJ_SZ_SK_SL_SM_EUlSZ_E_NS1_11comp_targetILNS1_3genE5ELNS1_11target_archE942ELNS1_3gpuE9ELNS1_3repE0EEENS1_48merge_mergepath_partition_config_static_selectorELNS0_4arch9wavefront6targetE1EEEvSL_,comdat
	.protected	_ZN7rocprim17ROCPRIM_400000_NS6detail17trampoline_kernelINS0_14default_configENS1_38merge_sort_block_merge_config_selectorIiNS0_10empty_typeEEEZZNS1_27merge_sort_block_merge_implIS3_N6thrust23THRUST_200600_302600_NS6detail15normal_iteratorINS9_10device_ptrIiEEEEPS5_jNS1_19radix_merge_compareILb1ELb1EiNS0_19identity_decomposerEEEEE10hipError_tT0_T1_T2_jT3_P12ihipStream_tbPNSt15iterator_traitsISK_E10value_typeEPNSQ_ISL_E10value_typeEPSM_NS1_7vsmem_tEENKUlT_SK_SL_SM_E_clISE_PiSF_SF_EESJ_SZ_SK_SL_SM_EUlSZ_E_NS1_11comp_targetILNS1_3genE5ELNS1_11target_archE942ELNS1_3gpuE9ELNS1_3repE0EEENS1_48merge_mergepath_partition_config_static_selectorELNS0_4arch9wavefront6targetE1EEEvSL_ ; -- Begin function _ZN7rocprim17ROCPRIM_400000_NS6detail17trampoline_kernelINS0_14default_configENS1_38merge_sort_block_merge_config_selectorIiNS0_10empty_typeEEEZZNS1_27merge_sort_block_merge_implIS3_N6thrust23THRUST_200600_302600_NS6detail15normal_iteratorINS9_10device_ptrIiEEEEPS5_jNS1_19radix_merge_compareILb1ELb1EiNS0_19identity_decomposerEEEEE10hipError_tT0_T1_T2_jT3_P12ihipStream_tbPNSt15iterator_traitsISK_E10value_typeEPNSQ_ISL_E10value_typeEPSM_NS1_7vsmem_tEENKUlT_SK_SL_SM_E_clISE_PiSF_SF_EESJ_SZ_SK_SL_SM_EUlSZ_E_NS1_11comp_targetILNS1_3genE5ELNS1_11target_archE942ELNS1_3gpuE9ELNS1_3repE0EEENS1_48merge_mergepath_partition_config_static_selectorELNS0_4arch9wavefront6targetE1EEEvSL_
	.globl	_ZN7rocprim17ROCPRIM_400000_NS6detail17trampoline_kernelINS0_14default_configENS1_38merge_sort_block_merge_config_selectorIiNS0_10empty_typeEEEZZNS1_27merge_sort_block_merge_implIS3_N6thrust23THRUST_200600_302600_NS6detail15normal_iteratorINS9_10device_ptrIiEEEEPS5_jNS1_19radix_merge_compareILb1ELb1EiNS0_19identity_decomposerEEEEE10hipError_tT0_T1_T2_jT3_P12ihipStream_tbPNSt15iterator_traitsISK_E10value_typeEPNSQ_ISL_E10value_typeEPSM_NS1_7vsmem_tEENKUlT_SK_SL_SM_E_clISE_PiSF_SF_EESJ_SZ_SK_SL_SM_EUlSZ_E_NS1_11comp_targetILNS1_3genE5ELNS1_11target_archE942ELNS1_3gpuE9ELNS1_3repE0EEENS1_48merge_mergepath_partition_config_static_selectorELNS0_4arch9wavefront6targetE1EEEvSL_
	.p2align	8
	.type	_ZN7rocprim17ROCPRIM_400000_NS6detail17trampoline_kernelINS0_14default_configENS1_38merge_sort_block_merge_config_selectorIiNS0_10empty_typeEEEZZNS1_27merge_sort_block_merge_implIS3_N6thrust23THRUST_200600_302600_NS6detail15normal_iteratorINS9_10device_ptrIiEEEEPS5_jNS1_19radix_merge_compareILb1ELb1EiNS0_19identity_decomposerEEEEE10hipError_tT0_T1_T2_jT3_P12ihipStream_tbPNSt15iterator_traitsISK_E10value_typeEPNSQ_ISL_E10value_typeEPSM_NS1_7vsmem_tEENKUlT_SK_SL_SM_E_clISE_PiSF_SF_EESJ_SZ_SK_SL_SM_EUlSZ_E_NS1_11comp_targetILNS1_3genE5ELNS1_11target_archE942ELNS1_3gpuE9ELNS1_3repE0EEENS1_48merge_mergepath_partition_config_static_selectorELNS0_4arch9wavefront6targetE1EEEvSL_,@function
_ZN7rocprim17ROCPRIM_400000_NS6detail17trampoline_kernelINS0_14default_configENS1_38merge_sort_block_merge_config_selectorIiNS0_10empty_typeEEEZZNS1_27merge_sort_block_merge_implIS3_N6thrust23THRUST_200600_302600_NS6detail15normal_iteratorINS9_10device_ptrIiEEEEPS5_jNS1_19radix_merge_compareILb1ELb1EiNS0_19identity_decomposerEEEEE10hipError_tT0_T1_T2_jT3_P12ihipStream_tbPNSt15iterator_traitsISK_E10value_typeEPNSQ_ISL_E10value_typeEPSM_NS1_7vsmem_tEENKUlT_SK_SL_SM_E_clISE_PiSF_SF_EESJ_SZ_SK_SL_SM_EUlSZ_E_NS1_11comp_targetILNS1_3genE5ELNS1_11target_archE942ELNS1_3gpuE9ELNS1_3repE0EEENS1_48merge_mergepath_partition_config_static_selectorELNS0_4arch9wavefront6targetE1EEEvSL_: ; @_ZN7rocprim17ROCPRIM_400000_NS6detail17trampoline_kernelINS0_14default_configENS1_38merge_sort_block_merge_config_selectorIiNS0_10empty_typeEEEZZNS1_27merge_sort_block_merge_implIS3_N6thrust23THRUST_200600_302600_NS6detail15normal_iteratorINS9_10device_ptrIiEEEEPS5_jNS1_19radix_merge_compareILb1ELb1EiNS0_19identity_decomposerEEEEE10hipError_tT0_T1_T2_jT3_P12ihipStream_tbPNSt15iterator_traitsISK_E10value_typeEPNSQ_ISL_E10value_typeEPSM_NS1_7vsmem_tEENKUlT_SK_SL_SM_E_clISE_PiSF_SF_EESJ_SZ_SK_SL_SM_EUlSZ_E_NS1_11comp_targetILNS1_3genE5ELNS1_11target_archE942ELNS1_3gpuE9ELNS1_3repE0EEENS1_48merge_mergepath_partition_config_static_selectorELNS0_4arch9wavefront6targetE1EEEvSL_
; %bb.0:
	.section	.rodata,"a",@progbits
	.p2align	6, 0x0
	.amdhsa_kernel _ZN7rocprim17ROCPRIM_400000_NS6detail17trampoline_kernelINS0_14default_configENS1_38merge_sort_block_merge_config_selectorIiNS0_10empty_typeEEEZZNS1_27merge_sort_block_merge_implIS3_N6thrust23THRUST_200600_302600_NS6detail15normal_iteratorINS9_10device_ptrIiEEEEPS5_jNS1_19radix_merge_compareILb1ELb1EiNS0_19identity_decomposerEEEEE10hipError_tT0_T1_T2_jT3_P12ihipStream_tbPNSt15iterator_traitsISK_E10value_typeEPNSQ_ISL_E10value_typeEPSM_NS1_7vsmem_tEENKUlT_SK_SL_SM_E_clISE_PiSF_SF_EESJ_SZ_SK_SL_SM_EUlSZ_E_NS1_11comp_targetILNS1_3genE5ELNS1_11target_archE942ELNS1_3gpuE9ELNS1_3repE0EEENS1_48merge_mergepath_partition_config_static_selectorELNS0_4arch9wavefront6targetE1EEEvSL_
		.amdhsa_group_segment_fixed_size 0
		.amdhsa_private_segment_fixed_size 0
		.amdhsa_kernarg_size 40
		.amdhsa_user_sgpr_count 2
		.amdhsa_user_sgpr_dispatch_ptr 0
		.amdhsa_user_sgpr_queue_ptr 0
		.amdhsa_user_sgpr_kernarg_segment_ptr 1
		.amdhsa_user_sgpr_dispatch_id 0
		.amdhsa_user_sgpr_kernarg_preload_length 0
		.amdhsa_user_sgpr_kernarg_preload_offset 0
		.amdhsa_user_sgpr_private_segment_size 0
		.amdhsa_uses_dynamic_stack 0
		.amdhsa_enable_private_segment 0
		.amdhsa_system_sgpr_workgroup_id_x 1
		.amdhsa_system_sgpr_workgroup_id_y 0
		.amdhsa_system_sgpr_workgroup_id_z 0
		.amdhsa_system_sgpr_workgroup_info 0
		.amdhsa_system_vgpr_workitem_id 0
		.amdhsa_next_free_vgpr 1
		.amdhsa_next_free_sgpr 0
		.amdhsa_accum_offset 4
		.amdhsa_reserve_vcc 0
		.amdhsa_float_round_mode_32 0
		.amdhsa_float_round_mode_16_64 0
		.amdhsa_float_denorm_mode_32 3
		.amdhsa_float_denorm_mode_16_64 3
		.amdhsa_dx10_clamp 1
		.amdhsa_ieee_mode 1
		.amdhsa_fp16_overflow 0
		.amdhsa_tg_split 0
		.amdhsa_exception_fp_ieee_invalid_op 0
		.amdhsa_exception_fp_denorm_src 0
		.amdhsa_exception_fp_ieee_div_zero 0
		.amdhsa_exception_fp_ieee_overflow 0
		.amdhsa_exception_fp_ieee_underflow 0
		.amdhsa_exception_fp_ieee_inexact 0
		.amdhsa_exception_int_div_zero 0
	.end_amdhsa_kernel
	.section	.text._ZN7rocprim17ROCPRIM_400000_NS6detail17trampoline_kernelINS0_14default_configENS1_38merge_sort_block_merge_config_selectorIiNS0_10empty_typeEEEZZNS1_27merge_sort_block_merge_implIS3_N6thrust23THRUST_200600_302600_NS6detail15normal_iteratorINS9_10device_ptrIiEEEEPS5_jNS1_19radix_merge_compareILb1ELb1EiNS0_19identity_decomposerEEEEE10hipError_tT0_T1_T2_jT3_P12ihipStream_tbPNSt15iterator_traitsISK_E10value_typeEPNSQ_ISL_E10value_typeEPSM_NS1_7vsmem_tEENKUlT_SK_SL_SM_E_clISE_PiSF_SF_EESJ_SZ_SK_SL_SM_EUlSZ_E_NS1_11comp_targetILNS1_3genE5ELNS1_11target_archE942ELNS1_3gpuE9ELNS1_3repE0EEENS1_48merge_mergepath_partition_config_static_selectorELNS0_4arch9wavefront6targetE1EEEvSL_,"axG",@progbits,_ZN7rocprim17ROCPRIM_400000_NS6detail17trampoline_kernelINS0_14default_configENS1_38merge_sort_block_merge_config_selectorIiNS0_10empty_typeEEEZZNS1_27merge_sort_block_merge_implIS3_N6thrust23THRUST_200600_302600_NS6detail15normal_iteratorINS9_10device_ptrIiEEEEPS5_jNS1_19radix_merge_compareILb1ELb1EiNS0_19identity_decomposerEEEEE10hipError_tT0_T1_T2_jT3_P12ihipStream_tbPNSt15iterator_traitsISK_E10value_typeEPNSQ_ISL_E10value_typeEPSM_NS1_7vsmem_tEENKUlT_SK_SL_SM_E_clISE_PiSF_SF_EESJ_SZ_SK_SL_SM_EUlSZ_E_NS1_11comp_targetILNS1_3genE5ELNS1_11target_archE942ELNS1_3gpuE9ELNS1_3repE0EEENS1_48merge_mergepath_partition_config_static_selectorELNS0_4arch9wavefront6targetE1EEEvSL_,comdat
.Lfunc_end296:
	.size	_ZN7rocprim17ROCPRIM_400000_NS6detail17trampoline_kernelINS0_14default_configENS1_38merge_sort_block_merge_config_selectorIiNS0_10empty_typeEEEZZNS1_27merge_sort_block_merge_implIS3_N6thrust23THRUST_200600_302600_NS6detail15normal_iteratorINS9_10device_ptrIiEEEEPS5_jNS1_19radix_merge_compareILb1ELb1EiNS0_19identity_decomposerEEEEE10hipError_tT0_T1_T2_jT3_P12ihipStream_tbPNSt15iterator_traitsISK_E10value_typeEPNSQ_ISL_E10value_typeEPSM_NS1_7vsmem_tEENKUlT_SK_SL_SM_E_clISE_PiSF_SF_EESJ_SZ_SK_SL_SM_EUlSZ_E_NS1_11comp_targetILNS1_3genE5ELNS1_11target_archE942ELNS1_3gpuE9ELNS1_3repE0EEENS1_48merge_mergepath_partition_config_static_selectorELNS0_4arch9wavefront6targetE1EEEvSL_, .Lfunc_end296-_ZN7rocprim17ROCPRIM_400000_NS6detail17trampoline_kernelINS0_14default_configENS1_38merge_sort_block_merge_config_selectorIiNS0_10empty_typeEEEZZNS1_27merge_sort_block_merge_implIS3_N6thrust23THRUST_200600_302600_NS6detail15normal_iteratorINS9_10device_ptrIiEEEEPS5_jNS1_19radix_merge_compareILb1ELb1EiNS0_19identity_decomposerEEEEE10hipError_tT0_T1_T2_jT3_P12ihipStream_tbPNSt15iterator_traitsISK_E10value_typeEPNSQ_ISL_E10value_typeEPSM_NS1_7vsmem_tEENKUlT_SK_SL_SM_E_clISE_PiSF_SF_EESJ_SZ_SK_SL_SM_EUlSZ_E_NS1_11comp_targetILNS1_3genE5ELNS1_11target_archE942ELNS1_3gpuE9ELNS1_3repE0EEENS1_48merge_mergepath_partition_config_static_selectorELNS0_4arch9wavefront6targetE1EEEvSL_
                                        ; -- End function
	.set _ZN7rocprim17ROCPRIM_400000_NS6detail17trampoline_kernelINS0_14default_configENS1_38merge_sort_block_merge_config_selectorIiNS0_10empty_typeEEEZZNS1_27merge_sort_block_merge_implIS3_N6thrust23THRUST_200600_302600_NS6detail15normal_iteratorINS9_10device_ptrIiEEEEPS5_jNS1_19radix_merge_compareILb1ELb1EiNS0_19identity_decomposerEEEEE10hipError_tT0_T1_T2_jT3_P12ihipStream_tbPNSt15iterator_traitsISK_E10value_typeEPNSQ_ISL_E10value_typeEPSM_NS1_7vsmem_tEENKUlT_SK_SL_SM_E_clISE_PiSF_SF_EESJ_SZ_SK_SL_SM_EUlSZ_E_NS1_11comp_targetILNS1_3genE5ELNS1_11target_archE942ELNS1_3gpuE9ELNS1_3repE0EEENS1_48merge_mergepath_partition_config_static_selectorELNS0_4arch9wavefront6targetE1EEEvSL_.num_vgpr, 0
	.set _ZN7rocprim17ROCPRIM_400000_NS6detail17trampoline_kernelINS0_14default_configENS1_38merge_sort_block_merge_config_selectorIiNS0_10empty_typeEEEZZNS1_27merge_sort_block_merge_implIS3_N6thrust23THRUST_200600_302600_NS6detail15normal_iteratorINS9_10device_ptrIiEEEEPS5_jNS1_19radix_merge_compareILb1ELb1EiNS0_19identity_decomposerEEEEE10hipError_tT0_T1_T2_jT3_P12ihipStream_tbPNSt15iterator_traitsISK_E10value_typeEPNSQ_ISL_E10value_typeEPSM_NS1_7vsmem_tEENKUlT_SK_SL_SM_E_clISE_PiSF_SF_EESJ_SZ_SK_SL_SM_EUlSZ_E_NS1_11comp_targetILNS1_3genE5ELNS1_11target_archE942ELNS1_3gpuE9ELNS1_3repE0EEENS1_48merge_mergepath_partition_config_static_selectorELNS0_4arch9wavefront6targetE1EEEvSL_.num_agpr, 0
	.set _ZN7rocprim17ROCPRIM_400000_NS6detail17trampoline_kernelINS0_14default_configENS1_38merge_sort_block_merge_config_selectorIiNS0_10empty_typeEEEZZNS1_27merge_sort_block_merge_implIS3_N6thrust23THRUST_200600_302600_NS6detail15normal_iteratorINS9_10device_ptrIiEEEEPS5_jNS1_19radix_merge_compareILb1ELb1EiNS0_19identity_decomposerEEEEE10hipError_tT0_T1_T2_jT3_P12ihipStream_tbPNSt15iterator_traitsISK_E10value_typeEPNSQ_ISL_E10value_typeEPSM_NS1_7vsmem_tEENKUlT_SK_SL_SM_E_clISE_PiSF_SF_EESJ_SZ_SK_SL_SM_EUlSZ_E_NS1_11comp_targetILNS1_3genE5ELNS1_11target_archE942ELNS1_3gpuE9ELNS1_3repE0EEENS1_48merge_mergepath_partition_config_static_selectorELNS0_4arch9wavefront6targetE1EEEvSL_.numbered_sgpr, 0
	.set _ZN7rocprim17ROCPRIM_400000_NS6detail17trampoline_kernelINS0_14default_configENS1_38merge_sort_block_merge_config_selectorIiNS0_10empty_typeEEEZZNS1_27merge_sort_block_merge_implIS3_N6thrust23THRUST_200600_302600_NS6detail15normal_iteratorINS9_10device_ptrIiEEEEPS5_jNS1_19radix_merge_compareILb1ELb1EiNS0_19identity_decomposerEEEEE10hipError_tT0_T1_T2_jT3_P12ihipStream_tbPNSt15iterator_traitsISK_E10value_typeEPNSQ_ISL_E10value_typeEPSM_NS1_7vsmem_tEENKUlT_SK_SL_SM_E_clISE_PiSF_SF_EESJ_SZ_SK_SL_SM_EUlSZ_E_NS1_11comp_targetILNS1_3genE5ELNS1_11target_archE942ELNS1_3gpuE9ELNS1_3repE0EEENS1_48merge_mergepath_partition_config_static_selectorELNS0_4arch9wavefront6targetE1EEEvSL_.num_named_barrier, 0
	.set _ZN7rocprim17ROCPRIM_400000_NS6detail17trampoline_kernelINS0_14default_configENS1_38merge_sort_block_merge_config_selectorIiNS0_10empty_typeEEEZZNS1_27merge_sort_block_merge_implIS3_N6thrust23THRUST_200600_302600_NS6detail15normal_iteratorINS9_10device_ptrIiEEEEPS5_jNS1_19radix_merge_compareILb1ELb1EiNS0_19identity_decomposerEEEEE10hipError_tT0_T1_T2_jT3_P12ihipStream_tbPNSt15iterator_traitsISK_E10value_typeEPNSQ_ISL_E10value_typeEPSM_NS1_7vsmem_tEENKUlT_SK_SL_SM_E_clISE_PiSF_SF_EESJ_SZ_SK_SL_SM_EUlSZ_E_NS1_11comp_targetILNS1_3genE5ELNS1_11target_archE942ELNS1_3gpuE9ELNS1_3repE0EEENS1_48merge_mergepath_partition_config_static_selectorELNS0_4arch9wavefront6targetE1EEEvSL_.private_seg_size, 0
	.set _ZN7rocprim17ROCPRIM_400000_NS6detail17trampoline_kernelINS0_14default_configENS1_38merge_sort_block_merge_config_selectorIiNS0_10empty_typeEEEZZNS1_27merge_sort_block_merge_implIS3_N6thrust23THRUST_200600_302600_NS6detail15normal_iteratorINS9_10device_ptrIiEEEEPS5_jNS1_19radix_merge_compareILb1ELb1EiNS0_19identity_decomposerEEEEE10hipError_tT0_T1_T2_jT3_P12ihipStream_tbPNSt15iterator_traitsISK_E10value_typeEPNSQ_ISL_E10value_typeEPSM_NS1_7vsmem_tEENKUlT_SK_SL_SM_E_clISE_PiSF_SF_EESJ_SZ_SK_SL_SM_EUlSZ_E_NS1_11comp_targetILNS1_3genE5ELNS1_11target_archE942ELNS1_3gpuE9ELNS1_3repE0EEENS1_48merge_mergepath_partition_config_static_selectorELNS0_4arch9wavefront6targetE1EEEvSL_.uses_vcc, 0
	.set _ZN7rocprim17ROCPRIM_400000_NS6detail17trampoline_kernelINS0_14default_configENS1_38merge_sort_block_merge_config_selectorIiNS0_10empty_typeEEEZZNS1_27merge_sort_block_merge_implIS3_N6thrust23THRUST_200600_302600_NS6detail15normal_iteratorINS9_10device_ptrIiEEEEPS5_jNS1_19radix_merge_compareILb1ELb1EiNS0_19identity_decomposerEEEEE10hipError_tT0_T1_T2_jT3_P12ihipStream_tbPNSt15iterator_traitsISK_E10value_typeEPNSQ_ISL_E10value_typeEPSM_NS1_7vsmem_tEENKUlT_SK_SL_SM_E_clISE_PiSF_SF_EESJ_SZ_SK_SL_SM_EUlSZ_E_NS1_11comp_targetILNS1_3genE5ELNS1_11target_archE942ELNS1_3gpuE9ELNS1_3repE0EEENS1_48merge_mergepath_partition_config_static_selectorELNS0_4arch9wavefront6targetE1EEEvSL_.uses_flat_scratch, 0
	.set _ZN7rocprim17ROCPRIM_400000_NS6detail17trampoline_kernelINS0_14default_configENS1_38merge_sort_block_merge_config_selectorIiNS0_10empty_typeEEEZZNS1_27merge_sort_block_merge_implIS3_N6thrust23THRUST_200600_302600_NS6detail15normal_iteratorINS9_10device_ptrIiEEEEPS5_jNS1_19radix_merge_compareILb1ELb1EiNS0_19identity_decomposerEEEEE10hipError_tT0_T1_T2_jT3_P12ihipStream_tbPNSt15iterator_traitsISK_E10value_typeEPNSQ_ISL_E10value_typeEPSM_NS1_7vsmem_tEENKUlT_SK_SL_SM_E_clISE_PiSF_SF_EESJ_SZ_SK_SL_SM_EUlSZ_E_NS1_11comp_targetILNS1_3genE5ELNS1_11target_archE942ELNS1_3gpuE9ELNS1_3repE0EEENS1_48merge_mergepath_partition_config_static_selectorELNS0_4arch9wavefront6targetE1EEEvSL_.has_dyn_sized_stack, 0
	.set _ZN7rocprim17ROCPRIM_400000_NS6detail17trampoline_kernelINS0_14default_configENS1_38merge_sort_block_merge_config_selectorIiNS0_10empty_typeEEEZZNS1_27merge_sort_block_merge_implIS3_N6thrust23THRUST_200600_302600_NS6detail15normal_iteratorINS9_10device_ptrIiEEEEPS5_jNS1_19radix_merge_compareILb1ELb1EiNS0_19identity_decomposerEEEEE10hipError_tT0_T1_T2_jT3_P12ihipStream_tbPNSt15iterator_traitsISK_E10value_typeEPNSQ_ISL_E10value_typeEPSM_NS1_7vsmem_tEENKUlT_SK_SL_SM_E_clISE_PiSF_SF_EESJ_SZ_SK_SL_SM_EUlSZ_E_NS1_11comp_targetILNS1_3genE5ELNS1_11target_archE942ELNS1_3gpuE9ELNS1_3repE0EEENS1_48merge_mergepath_partition_config_static_selectorELNS0_4arch9wavefront6targetE1EEEvSL_.has_recursion, 0
	.set _ZN7rocprim17ROCPRIM_400000_NS6detail17trampoline_kernelINS0_14default_configENS1_38merge_sort_block_merge_config_selectorIiNS0_10empty_typeEEEZZNS1_27merge_sort_block_merge_implIS3_N6thrust23THRUST_200600_302600_NS6detail15normal_iteratorINS9_10device_ptrIiEEEEPS5_jNS1_19radix_merge_compareILb1ELb1EiNS0_19identity_decomposerEEEEE10hipError_tT0_T1_T2_jT3_P12ihipStream_tbPNSt15iterator_traitsISK_E10value_typeEPNSQ_ISL_E10value_typeEPSM_NS1_7vsmem_tEENKUlT_SK_SL_SM_E_clISE_PiSF_SF_EESJ_SZ_SK_SL_SM_EUlSZ_E_NS1_11comp_targetILNS1_3genE5ELNS1_11target_archE942ELNS1_3gpuE9ELNS1_3repE0EEENS1_48merge_mergepath_partition_config_static_selectorELNS0_4arch9wavefront6targetE1EEEvSL_.has_indirect_call, 0
	.section	.AMDGPU.csdata,"",@progbits
; Kernel info:
; codeLenInByte = 0
; TotalNumSgprs: 6
; NumVgprs: 0
; NumAgprs: 0
; TotalNumVgprs: 0
; ScratchSize: 0
; MemoryBound: 0
; FloatMode: 240
; IeeeMode: 1
; LDSByteSize: 0 bytes/workgroup (compile time only)
; SGPRBlocks: 0
; VGPRBlocks: 0
; NumSGPRsForWavesPerEU: 6
; NumVGPRsForWavesPerEU: 1
; AccumOffset: 4
; Occupancy: 8
; WaveLimiterHint : 0
; COMPUTE_PGM_RSRC2:SCRATCH_EN: 0
; COMPUTE_PGM_RSRC2:USER_SGPR: 2
; COMPUTE_PGM_RSRC2:TRAP_HANDLER: 0
; COMPUTE_PGM_RSRC2:TGID_X_EN: 1
; COMPUTE_PGM_RSRC2:TGID_Y_EN: 0
; COMPUTE_PGM_RSRC2:TGID_Z_EN: 0
; COMPUTE_PGM_RSRC2:TIDIG_COMP_CNT: 0
; COMPUTE_PGM_RSRC3_GFX90A:ACCUM_OFFSET: 0
; COMPUTE_PGM_RSRC3_GFX90A:TG_SPLIT: 0
	.section	.text._ZN7rocprim17ROCPRIM_400000_NS6detail17trampoline_kernelINS0_14default_configENS1_38merge_sort_block_merge_config_selectorIiNS0_10empty_typeEEEZZNS1_27merge_sort_block_merge_implIS3_N6thrust23THRUST_200600_302600_NS6detail15normal_iteratorINS9_10device_ptrIiEEEEPS5_jNS1_19radix_merge_compareILb1ELb1EiNS0_19identity_decomposerEEEEE10hipError_tT0_T1_T2_jT3_P12ihipStream_tbPNSt15iterator_traitsISK_E10value_typeEPNSQ_ISL_E10value_typeEPSM_NS1_7vsmem_tEENKUlT_SK_SL_SM_E_clISE_PiSF_SF_EESJ_SZ_SK_SL_SM_EUlSZ_E_NS1_11comp_targetILNS1_3genE4ELNS1_11target_archE910ELNS1_3gpuE8ELNS1_3repE0EEENS1_48merge_mergepath_partition_config_static_selectorELNS0_4arch9wavefront6targetE1EEEvSL_,"axG",@progbits,_ZN7rocprim17ROCPRIM_400000_NS6detail17trampoline_kernelINS0_14default_configENS1_38merge_sort_block_merge_config_selectorIiNS0_10empty_typeEEEZZNS1_27merge_sort_block_merge_implIS3_N6thrust23THRUST_200600_302600_NS6detail15normal_iteratorINS9_10device_ptrIiEEEEPS5_jNS1_19radix_merge_compareILb1ELb1EiNS0_19identity_decomposerEEEEE10hipError_tT0_T1_T2_jT3_P12ihipStream_tbPNSt15iterator_traitsISK_E10value_typeEPNSQ_ISL_E10value_typeEPSM_NS1_7vsmem_tEENKUlT_SK_SL_SM_E_clISE_PiSF_SF_EESJ_SZ_SK_SL_SM_EUlSZ_E_NS1_11comp_targetILNS1_3genE4ELNS1_11target_archE910ELNS1_3gpuE8ELNS1_3repE0EEENS1_48merge_mergepath_partition_config_static_selectorELNS0_4arch9wavefront6targetE1EEEvSL_,comdat
	.protected	_ZN7rocprim17ROCPRIM_400000_NS6detail17trampoline_kernelINS0_14default_configENS1_38merge_sort_block_merge_config_selectorIiNS0_10empty_typeEEEZZNS1_27merge_sort_block_merge_implIS3_N6thrust23THRUST_200600_302600_NS6detail15normal_iteratorINS9_10device_ptrIiEEEEPS5_jNS1_19radix_merge_compareILb1ELb1EiNS0_19identity_decomposerEEEEE10hipError_tT0_T1_T2_jT3_P12ihipStream_tbPNSt15iterator_traitsISK_E10value_typeEPNSQ_ISL_E10value_typeEPSM_NS1_7vsmem_tEENKUlT_SK_SL_SM_E_clISE_PiSF_SF_EESJ_SZ_SK_SL_SM_EUlSZ_E_NS1_11comp_targetILNS1_3genE4ELNS1_11target_archE910ELNS1_3gpuE8ELNS1_3repE0EEENS1_48merge_mergepath_partition_config_static_selectorELNS0_4arch9wavefront6targetE1EEEvSL_ ; -- Begin function _ZN7rocprim17ROCPRIM_400000_NS6detail17trampoline_kernelINS0_14default_configENS1_38merge_sort_block_merge_config_selectorIiNS0_10empty_typeEEEZZNS1_27merge_sort_block_merge_implIS3_N6thrust23THRUST_200600_302600_NS6detail15normal_iteratorINS9_10device_ptrIiEEEEPS5_jNS1_19radix_merge_compareILb1ELb1EiNS0_19identity_decomposerEEEEE10hipError_tT0_T1_T2_jT3_P12ihipStream_tbPNSt15iterator_traitsISK_E10value_typeEPNSQ_ISL_E10value_typeEPSM_NS1_7vsmem_tEENKUlT_SK_SL_SM_E_clISE_PiSF_SF_EESJ_SZ_SK_SL_SM_EUlSZ_E_NS1_11comp_targetILNS1_3genE4ELNS1_11target_archE910ELNS1_3gpuE8ELNS1_3repE0EEENS1_48merge_mergepath_partition_config_static_selectorELNS0_4arch9wavefront6targetE1EEEvSL_
	.globl	_ZN7rocprim17ROCPRIM_400000_NS6detail17trampoline_kernelINS0_14default_configENS1_38merge_sort_block_merge_config_selectorIiNS0_10empty_typeEEEZZNS1_27merge_sort_block_merge_implIS3_N6thrust23THRUST_200600_302600_NS6detail15normal_iteratorINS9_10device_ptrIiEEEEPS5_jNS1_19radix_merge_compareILb1ELb1EiNS0_19identity_decomposerEEEEE10hipError_tT0_T1_T2_jT3_P12ihipStream_tbPNSt15iterator_traitsISK_E10value_typeEPNSQ_ISL_E10value_typeEPSM_NS1_7vsmem_tEENKUlT_SK_SL_SM_E_clISE_PiSF_SF_EESJ_SZ_SK_SL_SM_EUlSZ_E_NS1_11comp_targetILNS1_3genE4ELNS1_11target_archE910ELNS1_3gpuE8ELNS1_3repE0EEENS1_48merge_mergepath_partition_config_static_selectorELNS0_4arch9wavefront6targetE1EEEvSL_
	.p2align	8
	.type	_ZN7rocprim17ROCPRIM_400000_NS6detail17trampoline_kernelINS0_14default_configENS1_38merge_sort_block_merge_config_selectorIiNS0_10empty_typeEEEZZNS1_27merge_sort_block_merge_implIS3_N6thrust23THRUST_200600_302600_NS6detail15normal_iteratorINS9_10device_ptrIiEEEEPS5_jNS1_19radix_merge_compareILb1ELb1EiNS0_19identity_decomposerEEEEE10hipError_tT0_T1_T2_jT3_P12ihipStream_tbPNSt15iterator_traitsISK_E10value_typeEPNSQ_ISL_E10value_typeEPSM_NS1_7vsmem_tEENKUlT_SK_SL_SM_E_clISE_PiSF_SF_EESJ_SZ_SK_SL_SM_EUlSZ_E_NS1_11comp_targetILNS1_3genE4ELNS1_11target_archE910ELNS1_3gpuE8ELNS1_3repE0EEENS1_48merge_mergepath_partition_config_static_selectorELNS0_4arch9wavefront6targetE1EEEvSL_,@function
_ZN7rocprim17ROCPRIM_400000_NS6detail17trampoline_kernelINS0_14default_configENS1_38merge_sort_block_merge_config_selectorIiNS0_10empty_typeEEEZZNS1_27merge_sort_block_merge_implIS3_N6thrust23THRUST_200600_302600_NS6detail15normal_iteratorINS9_10device_ptrIiEEEEPS5_jNS1_19radix_merge_compareILb1ELb1EiNS0_19identity_decomposerEEEEE10hipError_tT0_T1_T2_jT3_P12ihipStream_tbPNSt15iterator_traitsISK_E10value_typeEPNSQ_ISL_E10value_typeEPSM_NS1_7vsmem_tEENKUlT_SK_SL_SM_E_clISE_PiSF_SF_EESJ_SZ_SK_SL_SM_EUlSZ_E_NS1_11comp_targetILNS1_3genE4ELNS1_11target_archE910ELNS1_3gpuE8ELNS1_3repE0EEENS1_48merge_mergepath_partition_config_static_selectorELNS0_4arch9wavefront6targetE1EEEvSL_: ; @_ZN7rocprim17ROCPRIM_400000_NS6detail17trampoline_kernelINS0_14default_configENS1_38merge_sort_block_merge_config_selectorIiNS0_10empty_typeEEEZZNS1_27merge_sort_block_merge_implIS3_N6thrust23THRUST_200600_302600_NS6detail15normal_iteratorINS9_10device_ptrIiEEEEPS5_jNS1_19radix_merge_compareILb1ELb1EiNS0_19identity_decomposerEEEEE10hipError_tT0_T1_T2_jT3_P12ihipStream_tbPNSt15iterator_traitsISK_E10value_typeEPNSQ_ISL_E10value_typeEPSM_NS1_7vsmem_tEENKUlT_SK_SL_SM_E_clISE_PiSF_SF_EESJ_SZ_SK_SL_SM_EUlSZ_E_NS1_11comp_targetILNS1_3genE4ELNS1_11target_archE910ELNS1_3gpuE8ELNS1_3repE0EEENS1_48merge_mergepath_partition_config_static_selectorELNS0_4arch9wavefront6targetE1EEEvSL_
; %bb.0:
	.section	.rodata,"a",@progbits
	.p2align	6, 0x0
	.amdhsa_kernel _ZN7rocprim17ROCPRIM_400000_NS6detail17trampoline_kernelINS0_14default_configENS1_38merge_sort_block_merge_config_selectorIiNS0_10empty_typeEEEZZNS1_27merge_sort_block_merge_implIS3_N6thrust23THRUST_200600_302600_NS6detail15normal_iteratorINS9_10device_ptrIiEEEEPS5_jNS1_19radix_merge_compareILb1ELb1EiNS0_19identity_decomposerEEEEE10hipError_tT0_T1_T2_jT3_P12ihipStream_tbPNSt15iterator_traitsISK_E10value_typeEPNSQ_ISL_E10value_typeEPSM_NS1_7vsmem_tEENKUlT_SK_SL_SM_E_clISE_PiSF_SF_EESJ_SZ_SK_SL_SM_EUlSZ_E_NS1_11comp_targetILNS1_3genE4ELNS1_11target_archE910ELNS1_3gpuE8ELNS1_3repE0EEENS1_48merge_mergepath_partition_config_static_selectorELNS0_4arch9wavefront6targetE1EEEvSL_
		.amdhsa_group_segment_fixed_size 0
		.amdhsa_private_segment_fixed_size 0
		.amdhsa_kernarg_size 40
		.amdhsa_user_sgpr_count 2
		.amdhsa_user_sgpr_dispatch_ptr 0
		.amdhsa_user_sgpr_queue_ptr 0
		.amdhsa_user_sgpr_kernarg_segment_ptr 1
		.amdhsa_user_sgpr_dispatch_id 0
		.amdhsa_user_sgpr_kernarg_preload_length 0
		.amdhsa_user_sgpr_kernarg_preload_offset 0
		.amdhsa_user_sgpr_private_segment_size 0
		.amdhsa_uses_dynamic_stack 0
		.amdhsa_enable_private_segment 0
		.amdhsa_system_sgpr_workgroup_id_x 1
		.amdhsa_system_sgpr_workgroup_id_y 0
		.amdhsa_system_sgpr_workgroup_id_z 0
		.amdhsa_system_sgpr_workgroup_info 0
		.amdhsa_system_vgpr_workitem_id 0
		.amdhsa_next_free_vgpr 1
		.amdhsa_next_free_sgpr 0
		.amdhsa_accum_offset 4
		.amdhsa_reserve_vcc 0
		.amdhsa_float_round_mode_32 0
		.amdhsa_float_round_mode_16_64 0
		.amdhsa_float_denorm_mode_32 3
		.amdhsa_float_denorm_mode_16_64 3
		.amdhsa_dx10_clamp 1
		.amdhsa_ieee_mode 1
		.amdhsa_fp16_overflow 0
		.amdhsa_tg_split 0
		.amdhsa_exception_fp_ieee_invalid_op 0
		.amdhsa_exception_fp_denorm_src 0
		.amdhsa_exception_fp_ieee_div_zero 0
		.amdhsa_exception_fp_ieee_overflow 0
		.amdhsa_exception_fp_ieee_underflow 0
		.amdhsa_exception_fp_ieee_inexact 0
		.amdhsa_exception_int_div_zero 0
	.end_amdhsa_kernel
	.section	.text._ZN7rocprim17ROCPRIM_400000_NS6detail17trampoline_kernelINS0_14default_configENS1_38merge_sort_block_merge_config_selectorIiNS0_10empty_typeEEEZZNS1_27merge_sort_block_merge_implIS3_N6thrust23THRUST_200600_302600_NS6detail15normal_iteratorINS9_10device_ptrIiEEEEPS5_jNS1_19radix_merge_compareILb1ELb1EiNS0_19identity_decomposerEEEEE10hipError_tT0_T1_T2_jT3_P12ihipStream_tbPNSt15iterator_traitsISK_E10value_typeEPNSQ_ISL_E10value_typeEPSM_NS1_7vsmem_tEENKUlT_SK_SL_SM_E_clISE_PiSF_SF_EESJ_SZ_SK_SL_SM_EUlSZ_E_NS1_11comp_targetILNS1_3genE4ELNS1_11target_archE910ELNS1_3gpuE8ELNS1_3repE0EEENS1_48merge_mergepath_partition_config_static_selectorELNS0_4arch9wavefront6targetE1EEEvSL_,"axG",@progbits,_ZN7rocprim17ROCPRIM_400000_NS6detail17trampoline_kernelINS0_14default_configENS1_38merge_sort_block_merge_config_selectorIiNS0_10empty_typeEEEZZNS1_27merge_sort_block_merge_implIS3_N6thrust23THRUST_200600_302600_NS6detail15normal_iteratorINS9_10device_ptrIiEEEEPS5_jNS1_19radix_merge_compareILb1ELb1EiNS0_19identity_decomposerEEEEE10hipError_tT0_T1_T2_jT3_P12ihipStream_tbPNSt15iterator_traitsISK_E10value_typeEPNSQ_ISL_E10value_typeEPSM_NS1_7vsmem_tEENKUlT_SK_SL_SM_E_clISE_PiSF_SF_EESJ_SZ_SK_SL_SM_EUlSZ_E_NS1_11comp_targetILNS1_3genE4ELNS1_11target_archE910ELNS1_3gpuE8ELNS1_3repE0EEENS1_48merge_mergepath_partition_config_static_selectorELNS0_4arch9wavefront6targetE1EEEvSL_,comdat
.Lfunc_end297:
	.size	_ZN7rocprim17ROCPRIM_400000_NS6detail17trampoline_kernelINS0_14default_configENS1_38merge_sort_block_merge_config_selectorIiNS0_10empty_typeEEEZZNS1_27merge_sort_block_merge_implIS3_N6thrust23THRUST_200600_302600_NS6detail15normal_iteratorINS9_10device_ptrIiEEEEPS5_jNS1_19radix_merge_compareILb1ELb1EiNS0_19identity_decomposerEEEEE10hipError_tT0_T1_T2_jT3_P12ihipStream_tbPNSt15iterator_traitsISK_E10value_typeEPNSQ_ISL_E10value_typeEPSM_NS1_7vsmem_tEENKUlT_SK_SL_SM_E_clISE_PiSF_SF_EESJ_SZ_SK_SL_SM_EUlSZ_E_NS1_11comp_targetILNS1_3genE4ELNS1_11target_archE910ELNS1_3gpuE8ELNS1_3repE0EEENS1_48merge_mergepath_partition_config_static_selectorELNS0_4arch9wavefront6targetE1EEEvSL_, .Lfunc_end297-_ZN7rocprim17ROCPRIM_400000_NS6detail17trampoline_kernelINS0_14default_configENS1_38merge_sort_block_merge_config_selectorIiNS0_10empty_typeEEEZZNS1_27merge_sort_block_merge_implIS3_N6thrust23THRUST_200600_302600_NS6detail15normal_iteratorINS9_10device_ptrIiEEEEPS5_jNS1_19radix_merge_compareILb1ELb1EiNS0_19identity_decomposerEEEEE10hipError_tT0_T1_T2_jT3_P12ihipStream_tbPNSt15iterator_traitsISK_E10value_typeEPNSQ_ISL_E10value_typeEPSM_NS1_7vsmem_tEENKUlT_SK_SL_SM_E_clISE_PiSF_SF_EESJ_SZ_SK_SL_SM_EUlSZ_E_NS1_11comp_targetILNS1_3genE4ELNS1_11target_archE910ELNS1_3gpuE8ELNS1_3repE0EEENS1_48merge_mergepath_partition_config_static_selectorELNS0_4arch9wavefront6targetE1EEEvSL_
                                        ; -- End function
	.set _ZN7rocprim17ROCPRIM_400000_NS6detail17trampoline_kernelINS0_14default_configENS1_38merge_sort_block_merge_config_selectorIiNS0_10empty_typeEEEZZNS1_27merge_sort_block_merge_implIS3_N6thrust23THRUST_200600_302600_NS6detail15normal_iteratorINS9_10device_ptrIiEEEEPS5_jNS1_19radix_merge_compareILb1ELb1EiNS0_19identity_decomposerEEEEE10hipError_tT0_T1_T2_jT3_P12ihipStream_tbPNSt15iterator_traitsISK_E10value_typeEPNSQ_ISL_E10value_typeEPSM_NS1_7vsmem_tEENKUlT_SK_SL_SM_E_clISE_PiSF_SF_EESJ_SZ_SK_SL_SM_EUlSZ_E_NS1_11comp_targetILNS1_3genE4ELNS1_11target_archE910ELNS1_3gpuE8ELNS1_3repE0EEENS1_48merge_mergepath_partition_config_static_selectorELNS0_4arch9wavefront6targetE1EEEvSL_.num_vgpr, 0
	.set _ZN7rocprim17ROCPRIM_400000_NS6detail17trampoline_kernelINS0_14default_configENS1_38merge_sort_block_merge_config_selectorIiNS0_10empty_typeEEEZZNS1_27merge_sort_block_merge_implIS3_N6thrust23THRUST_200600_302600_NS6detail15normal_iteratorINS9_10device_ptrIiEEEEPS5_jNS1_19radix_merge_compareILb1ELb1EiNS0_19identity_decomposerEEEEE10hipError_tT0_T1_T2_jT3_P12ihipStream_tbPNSt15iterator_traitsISK_E10value_typeEPNSQ_ISL_E10value_typeEPSM_NS1_7vsmem_tEENKUlT_SK_SL_SM_E_clISE_PiSF_SF_EESJ_SZ_SK_SL_SM_EUlSZ_E_NS1_11comp_targetILNS1_3genE4ELNS1_11target_archE910ELNS1_3gpuE8ELNS1_3repE0EEENS1_48merge_mergepath_partition_config_static_selectorELNS0_4arch9wavefront6targetE1EEEvSL_.num_agpr, 0
	.set _ZN7rocprim17ROCPRIM_400000_NS6detail17trampoline_kernelINS0_14default_configENS1_38merge_sort_block_merge_config_selectorIiNS0_10empty_typeEEEZZNS1_27merge_sort_block_merge_implIS3_N6thrust23THRUST_200600_302600_NS6detail15normal_iteratorINS9_10device_ptrIiEEEEPS5_jNS1_19radix_merge_compareILb1ELb1EiNS0_19identity_decomposerEEEEE10hipError_tT0_T1_T2_jT3_P12ihipStream_tbPNSt15iterator_traitsISK_E10value_typeEPNSQ_ISL_E10value_typeEPSM_NS1_7vsmem_tEENKUlT_SK_SL_SM_E_clISE_PiSF_SF_EESJ_SZ_SK_SL_SM_EUlSZ_E_NS1_11comp_targetILNS1_3genE4ELNS1_11target_archE910ELNS1_3gpuE8ELNS1_3repE0EEENS1_48merge_mergepath_partition_config_static_selectorELNS0_4arch9wavefront6targetE1EEEvSL_.numbered_sgpr, 0
	.set _ZN7rocprim17ROCPRIM_400000_NS6detail17trampoline_kernelINS0_14default_configENS1_38merge_sort_block_merge_config_selectorIiNS0_10empty_typeEEEZZNS1_27merge_sort_block_merge_implIS3_N6thrust23THRUST_200600_302600_NS6detail15normal_iteratorINS9_10device_ptrIiEEEEPS5_jNS1_19radix_merge_compareILb1ELb1EiNS0_19identity_decomposerEEEEE10hipError_tT0_T1_T2_jT3_P12ihipStream_tbPNSt15iterator_traitsISK_E10value_typeEPNSQ_ISL_E10value_typeEPSM_NS1_7vsmem_tEENKUlT_SK_SL_SM_E_clISE_PiSF_SF_EESJ_SZ_SK_SL_SM_EUlSZ_E_NS1_11comp_targetILNS1_3genE4ELNS1_11target_archE910ELNS1_3gpuE8ELNS1_3repE0EEENS1_48merge_mergepath_partition_config_static_selectorELNS0_4arch9wavefront6targetE1EEEvSL_.num_named_barrier, 0
	.set _ZN7rocprim17ROCPRIM_400000_NS6detail17trampoline_kernelINS0_14default_configENS1_38merge_sort_block_merge_config_selectorIiNS0_10empty_typeEEEZZNS1_27merge_sort_block_merge_implIS3_N6thrust23THRUST_200600_302600_NS6detail15normal_iteratorINS9_10device_ptrIiEEEEPS5_jNS1_19radix_merge_compareILb1ELb1EiNS0_19identity_decomposerEEEEE10hipError_tT0_T1_T2_jT3_P12ihipStream_tbPNSt15iterator_traitsISK_E10value_typeEPNSQ_ISL_E10value_typeEPSM_NS1_7vsmem_tEENKUlT_SK_SL_SM_E_clISE_PiSF_SF_EESJ_SZ_SK_SL_SM_EUlSZ_E_NS1_11comp_targetILNS1_3genE4ELNS1_11target_archE910ELNS1_3gpuE8ELNS1_3repE0EEENS1_48merge_mergepath_partition_config_static_selectorELNS0_4arch9wavefront6targetE1EEEvSL_.private_seg_size, 0
	.set _ZN7rocprim17ROCPRIM_400000_NS6detail17trampoline_kernelINS0_14default_configENS1_38merge_sort_block_merge_config_selectorIiNS0_10empty_typeEEEZZNS1_27merge_sort_block_merge_implIS3_N6thrust23THRUST_200600_302600_NS6detail15normal_iteratorINS9_10device_ptrIiEEEEPS5_jNS1_19radix_merge_compareILb1ELb1EiNS0_19identity_decomposerEEEEE10hipError_tT0_T1_T2_jT3_P12ihipStream_tbPNSt15iterator_traitsISK_E10value_typeEPNSQ_ISL_E10value_typeEPSM_NS1_7vsmem_tEENKUlT_SK_SL_SM_E_clISE_PiSF_SF_EESJ_SZ_SK_SL_SM_EUlSZ_E_NS1_11comp_targetILNS1_3genE4ELNS1_11target_archE910ELNS1_3gpuE8ELNS1_3repE0EEENS1_48merge_mergepath_partition_config_static_selectorELNS0_4arch9wavefront6targetE1EEEvSL_.uses_vcc, 0
	.set _ZN7rocprim17ROCPRIM_400000_NS6detail17trampoline_kernelINS0_14default_configENS1_38merge_sort_block_merge_config_selectorIiNS0_10empty_typeEEEZZNS1_27merge_sort_block_merge_implIS3_N6thrust23THRUST_200600_302600_NS6detail15normal_iteratorINS9_10device_ptrIiEEEEPS5_jNS1_19radix_merge_compareILb1ELb1EiNS0_19identity_decomposerEEEEE10hipError_tT0_T1_T2_jT3_P12ihipStream_tbPNSt15iterator_traitsISK_E10value_typeEPNSQ_ISL_E10value_typeEPSM_NS1_7vsmem_tEENKUlT_SK_SL_SM_E_clISE_PiSF_SF_EESJ_SZ_SK_SL_SM_EUlSZ_E_NS1_11comp_targetILNS1_3genE4ELNS1_11target_archE910ELNS1_3gpuE8ELNS1_3repE0EEENS1_48merge_mergepath_partition_config_static_selectorELNS0_4arch9wavefront6targetE1EEEvSL_.uses_flat_scratch, 0
	.set _ZN7rocprim17ROCPRIM_400000_NS6detail17trampoline_kernelINS0_14default_configENS1_38merge_sort_block_merge_config_selectorIiNS0_10empty_typeEEEZZNS1_27merge_sort_block_merge_implIS3_N6thrust23THRUST_200600_302600_NS6detail15normal_iteratorINS9_10device_ptrIiEEEEPS5_jNS1_19radix_merge_compareILb1ELb1EiNS0_19identity_decomposerEEEEE10hipError_tT0_T1_T2_jT3_P12ihipStream_tbPNSt15iterator_traitsISK_E10value_typeEPNSQ_ISL_E10value_typeEPSM_NS1_7vsmem_tEENKUlT_SK_SL_SM_E_clISE_PiSF_SF_EESJ_SZ_SK_SL_SM_EUlSZ_E_NS1_11comp_targetILNS1_3genE4ELNS1_11target_archE910ELNS1_3gpuE8ELNS1_3repE0EEENS1_48merge_mergepath_partition_config_static_selectorELNS0_4arch9wavefront6targetE1EEEvSL_.has_dyn_sized_stack, 0
	.set _ZN7rocprim17ROCPRIM_400000_NS6detail17trampoline_kernelINS0_14default_configENS1_38merge_sort_block_merge_config_selectorIiNS0_10empty_typeEEEZZNS1_27merge_sort_block_merge_implIS3_N6thrust23THRUST_200600_302600_NS6detail15normal_iteratorINS9_10device_ptrIiEEEEPS5_jNS1_19radix_merge_compareILb1ELb1EiNS0_19identity_decomposerEEEEE10hipError_tT0_T1_T2_jT3_P12ihipStream_tbPNSt15iterator_traitsISK_E10value_typeEPNSQ_ISL_E10value_typeEPSM_NS1_7vsmem_tEENKUlT_SK_SL_SM_E_clISE_PiSF_SF_EESJ_SZ_SK_SL_SM_EUlSZ_E_NS1_11comp_targetILNS1_3genE4ELNS1_11target_archE910ELNS1_3gpuE8ELNS1_3repE0EEENS1_48merge_mergepath_partition_config_static_selectorELNS0_4arch9wavefront6targetE1EEEvSL_.has_recursion, 0
	.set _ZN7rocprim17ROCPRIM_400000_NS6detail17trampoline_kernelINS0_14default_configENS1_38merge_sort_block_merge_config_selectorIiNS0_10empty_typeEEEZZNS1_27merge_sort_block_merge_implIS3_N6thrust23THRUST_200600_302600_NS6detail15normal_iteratorINS9_10device_ptrIiEEEEPS5_jNS1_19radix_merge_compareILb1ELb1EiNS0_19identity_decomposerEEEEE10hipError_tT0_T1_T2_jT3_P12ihipStream_tbPNSt15iterator_traitsISK_E10value_typeEPNSQ_ISL_E10value_typeEPSM_NS1_7vsmem_tEENKUlT_SK_SL_SM_E_clISE_PiSF_SF_EESJ_SZ_SK_SL_SM_EUlSZ_E_NS1_11comp_targetILNS1_3genE4ELNS1_11target_archE910ELNS1_3gpuE8ELNS1_3repE0EEENS1_48merge_mergepath_partition_config_static_selectorELNS0_4arch9wavefront6targetE1EEEvSL_.has_indirect_call, 0
	.section	.AMDGPU.csdata,"",@progbits
; Kernel info:
; codeLenInByte = 0
; TotalNumSgprs: 6
; NumVgprs: 0
; NumAgprs: 0
; TotalNumVgprs: 0
; ScratchSize: 0
; MemoryBound: 0
; FloatMode: 240
; IeeeMode: 1
; LDSByteSize: 0 bytes/workgroup (compile time only)
; SGPRBlocks: 0
; VGPRBlocks: 0
; NumSGPRsForWavesPerEU: 6
; NumVGPRsForWavesPerEU: 1
; AccumOffset: 4
; Occupancy: 8
; WaveLimiterHint : 0
; COMPUTE_PGM_RSRC2:SCRATCH_EN: 0
; COMPUTE_PGM_RSRC2:USER_SGPR: 2
; COMPUTE_PGM_RSRC2:TRAP_HANDLER: 0
; COMPUTE_PGM_RSRC2:TGID_X_EN: 1
; COMPUTE_PGM_RSRC2:TGID_Y_EN: 0
; COMPUTE_PGM_RSRC2:TGID_Z_EN: 0
; COMPUTE_PGM_RSRC2:TIDIG_COMP_CNT: 0
; COMPUTE_PGM_RSRC3_GFX90A:ACCUM_OFFSET: 0
; COMPUTE_PGM_RSRC3_GFX90A:TG_SPLIT: 0
	.section	.text._ZN7rocprim17ROCPRIM_400000_NS6detail17trampoline_kernelINS0_14default_configENS1_38merge_sort_block_merge_config_selectorIiNS0_10empty_typeEEEZZNS1_27merge_sort_block_merge_implIS3_N6thrust23THRUST_200600_302600_NS6detail15normal_iteratorINS9_10device_ptrIiEEEEPS5_jNS1_19radix_merge_compareILb1ELb1EiNS0_19identity_decomposerEEEEE10hipError_tT0_T1_T2_jT3_P12ihipStream_tbPNSt15iterator_traitsISK_E10value_typeEPNSQ_ISL_E10value_typeEPSM_NS1_7vsmem_tEENKUlT_SK_SL_SM_E_clISE_PiSF_SF_EESJ_SZ_SK_SL_SM_EUlSZ_E_NS1_11comp_targetILNS1_3genE3ELNS1_11target_archE908ELNS1_3gpuE7ELNS1_3repE0EEENS1_48merge_mergepath_partition_config_static_selectorELNS0_4arch9wavefront6targetE1EEEvSL_,"axG",@progbits,_ZN7rocprim17ROCPRIM_400000_NS6detail17trampoline_kernelINS0_14default_configENS1_38merge_sort_block_merge_config_selectorIiNS0_10empty_typeEEEZZNS1_27merge_sort_block_merge_implIS3_N6thrust23THRUST_200600_302600_NS6detail15normal_iteratorINS9_10device_ptrIiEEEEPS5_jNS1_19radix_merge_compareILb1ELb1EiNS0_19identity_decomposerEEEEE10hipError_tT0_T1_T2_jT3_P12ihipStream_tbPNSt15iterator_traitsISK_E10value_typeEPNSQ_ISL_E10value_typeEPSM_NS1_7vsmem_tEENKUlT_SK_SL_SM_E_clISE_PiSF_SF_EESJ_SZ_SK_SL_SM_EUlSZ_E_NS1_11comp_targetILNS1_3genE3ELNS1_11target_archE908ELNS1_3gpuE7ELNS1_3repE0EEENS1_48merge_mergepath_partition_config_static_selectorELNS0_4arch9wavefront6targetE1EEEvSL_,comdat
	.protected	_ZN7rocprim17ROCPRIM_400000_NS6detail17trampoline_kernelINS0_14default_configENS1_38merge_sort_block_merge_config_selectorIiNS0_10empty_typeEEEZZNS1_27merge_sort_block_merge_implIS3_N6thrust23THRUST_200600_302600_NS6detail15normal_iteratorINS9_10device_ptrIiEEEEPS5_jNS1_19radix_merge_compareILb1ELb1EiNS0_19identity_decomposerEEEEE10hipError_tT0_T1_T2_jT3_P12ihipStream_tbPNSt15iterator_traitsISK_E10value_typeEPNSQ_ISL_E10value_typeEPSM_NS1_7vsmem_tEENKUlT_SK_SL_SM_E_clISE_PiSF_SF_EESJ_SZ_SK_SL_SM_EUlSZ_E_NS1_11comp_targetILNS1_3genE3ELNS1_11target_archE908ELNS1_3gpuE7ELNS1_3repE0EEENS1_48merge_mergepath_partition_config_static_selectorELNS0_4arch9wavefront6targetE1EEEvSL_ ; -- Begin function _ZN7rocprim17ROCPRIM_400000_NS6detail17trampoline_kernelINS0_14default_configENS1_38merge_sort_block_merge_config_selectorIiNS0_10empty_typeEEEZZNS1_27merge_sort_block_merge_implIS3_N6thrust23THRUST_200600_302600_NS6detail15normal_iteratorINS9_10device_ptrIiEEEEPS5_jNS1_19radix_merge_compareILb1ELb1EiNS0_19identity_decomposerEEEEE10hipError_tT0_T1_T2_jT3_P12ihipStream_tbPNSt15iterator_traitsISK_E10value_typeEPNSQ_ISL_E10value_typeEPSM_NS1_7vsmem_tEENKUlT_SK_SL_SM_E_clISE_PiSF_SF_EESJ_SZ_SK_SL_SM_EUlSZ_E_NS1_11comp_targetILNS1_3genE3ELNS1_11target_archE908ELNS1_3gpuE7ELNS1_3repE0EEENS1_48merge_mergepath_partition_config_static_selectorELNS0_4arch9wavefront6targetE1EEEvSL_
	.globl	_ZN7rocprim17ROCPRIM_400000_NS6detail17trampoline_kernelINS0_14default_configENS1_38merge_sort_block_merge_config_selectorIiNS0_10empty_typeEEEZZNS1_27merge_sort_block_merge_implIS3_N6thrust23THRUST_200600_302600_NS6detail15normal_iteratorINS9_10device_ptrIiEEEEPS5_jNS1_19radix_merge_compareILb1ELb1EiNS0_19identity_decomposerEEEEE10hipError_tT0_T1_T2_jT3_P12ihipStream_tbPNSt15iterator_traitsISK_E10value_typeEPNSQ_ISL_E10value_typeEPSM_NS1_7vsmem_tEENKUlT_SK_SL_SM_E_clISE_PiSF_SF_EESJ_SZ_SK_SL_SM_EUlSZ_E_NS1_11comp_targetILNS1_3genE3ELNS1_11target_archE908ELNS1_3gpuE7ELNS1_3repE0EEENS1_48merge_mergepath_partition_config_static_selectorELNS0_4arch9wavefront6targetE1EEEvSL_
	.p2align	8
	.type	_ZN7rocprim17ROCPRIM_400000_NS6detail17trampoline_kernelINS0_14default_configENS1_38merge_sort_block_merge_config_selectorIiNS0_10empty_typeEEEZZNS1_27merge_sort_block_merge_implIS3_N6thrust23THRUST_200600_302600_NS6detail15normal_iteratorINS9_10device_ptrIiEEEEPS5_jNS1_19radix_merge_compareILb1ELb1EiNS0_19identity_decomposerEEEEE10hipError_tT0_T1_T2_jT3_P12ihipStream_tbPNSt15iterator_traitsISK_E10value_typeEPNSQ_ISL_E10value_typeEPSM_NS1_7vsmem_tEENKUlT_SK_SL_SM_E_clISE_PiSF_SF_EESJ_SZ_SK_SL_SM_EUlSZ_E_NS1_11comp_targetILNS1_3genE3ELNS1_11target_archE908ELNS1_3gpuE7ELNS1_3repE0EEENS1_48merge_mergepath_partition_config_static_selectorELNS0_4arch9wavefront6targetE1EEEvSL_,@function
_ZN7rocprim17ROCPRIM_400000_NS6detail17trampoline_kernelINS0_14default_configENS1_38merge_sort_block_merge_config_selectorIiNS0_10empty_typeEEEZZNS1_27merge_sort_block_merge_implIS3_N6thrust23THRUST_200600_302600_NS6detail15normal_iteratorINS9_10device_ptrIiEEEEPS5_jNS1_19radix_merge_compareILb1ELb1EiNS0_19identity_decomposerEEEEE10hipError_tT0_T1_T2_jT3_P12ihipStream_tbPNSt15iterator_traitsISK_E10value_typeEPNSQ_ISL_E10value_typeEPSM_NS1_7vsmem_tEENKUlT_SK_SL_SM_E_clISE_PiSF_SF_EESJ_SZ_SK_SL_SM_EUlSZ_E_NS1_11comp_targetILNS1_3genE3ELNS1_11target_archE908ELNS1_3gpuE7ELNS1_3repE0EEENS1_48merge_mergepath_partition_config_static_selectorELNS0_4arch9wavefront6targetE1EEEvSL_: ; @_ZN7rocprim17ROCPRIM_400000_NS6detail17trampoline_kernelINS0_14default_configENS1_38merge_sort_block_merge_config_selectorIiNS0_10empty_typeEEEZZNS1_27merge_sort_block_merge_implIS3_N6thrust23THRUST_200600_302600_NS6detail15normal_iteratorINS9_10device_ptrIiEEEEPS5_jNS1_19radix_merge_compareILb1ELb1EiNS0_19identity_decomposerEEEEE10hipError_tT0_T1_T2_jT3_P12ihipStream_tbPNSt15iterator_traitsISK_E10value_typeEPNSQ_ISL_E10value_typeEPSM_NS1_7vsmem_tEENKUlT_SK_SL_SM_E_clISE_PiSF_SF_EESJ_SZ_SK_SL_SM_EUlSZ_E_NS1_11comp_targetILNS1_3genE3ELNS1_11target_archE908ELNS1_3gpuE7ELNS1_3repE0EEENS1_48merge_mergepath_partition_config_static_selectorELNS0_4arch9wavefront6targetE1EEEvSL_
; %bb.0:
	.section	.rodata,"a",@progbits
	.p2align	6, 0x0
	.amdhsa_kernel _ZN7rocprim17ROCPRIM_400000_NS6detail17trampoline_kernelINS0_14default_configENS1_38merge_sort_block_merge_config_selectorIiNS0_10empty_typeEEEZZNS1_27merge_sort_block_merge_implIS3_N6thrust23THRUST_200600_302600_NS6detail15normal_iteratorINS9_10device_ptrIiEEEEPS5_jNS1_19radix_merge_compareILb1ELb1EiNS0_19identity_decomposerEEEEE10hipError_tT0_T1_T2_jT3_P12ihipStream_tbPNSt15iterator_traitsISK_E10value_typeEPNSQ_ISL_E10value_typeEPSM_NS1_7vsmem_tEENKUlT_SK_SL_SM_E_clISE_PiSF_SF_EESJ_SZ_SK_SL_SM_EUlSZ_E_NS1_11comp_targetILNS1_3genE3ELNS1_11target_archE908ELNS1_3gpuE7ELNS1_3repE0EEENS1_48merge_mergepath_partition_config_static_selectorELNS0_4arch9wavefront6targetE1EEEvSL_
		.amdhsa_group_segment_fixed_size 0
		.amdhsa_private_segment_fixed_size 0
		.amdhsa_kernarg_size 40
		.amdhsa_user_sgpr_count 2
		.amdhsa_user_sgpr_dispatch_ptr 0
		.amdhsa_user_sgpr_queue_ptr 0
		.amdhsa_user_sgpr_kernarg_segment_ptr 1
		.amdhsa_user_sgpr_dispatch_id 0
		.amdhsa_user_sgpr_kernarg_preload_length 0
		.amdhsa_user_sgpr_kernarg_preload_offset 0
		.amdhsa_user_sgpr_private_segment_size 0
		.amdhsa_uses_dynamic_stack 0
		.amdhsa_enable_private_segment 0
		.amdhsa_system_sgpr_workgroup_id_x 1
		.amdhsa_system_sgpr_workgroup_id_y 0
		.amdhsa_system_sgpr_workgroup_id_z 0
		.amdhsa_system_sgpr_workgroup_info 0
		.amdhsa_system_vgpr_workitem_id 0
		.amdhsa_next_free_vgpr 1
		.amdhsa_next_free_sgpr 0
		.amdhsa_accum_offset 4
		.amdhsa_reserve_vcc 0
		.amdhsa_float_round_mode_32 0
		.amdhsa_float_round_mode_16_64 0
		.amdhsa_float_denorm_mode_32 3
		.amdhsa_float_denorm_mode_16_64 3
		.amdhsa_dx10_clamp 1
		.amdhsa_ieee_mode 1
		.amdhsa_fp16_overflow 0
		.amdhsa_tg_split 0
		.amdhsa_exception_fp_ieee_invalid_op 0
		.amdhsa_exception_fp_denorm_src 0
		.amdhsa_exception_fp_ieee_div_zero 0
		.amdhsa_exception_fp_ieee_overflow 0
		.amdhsa_exception_fp_ieee_underflow 0
		.amdhsa_exception_fp_ieee_inexact 0
		.amdhsa_exception_int_div_zero 0
	.end_amdhsa_kernel
	.section	.text._ZN7rocprim17ROCPRIM_400000_NS6detail17trampoline_kernelINS0_14default_configENS1_38merge_sort_block_merge_config_selectorIiNS0_10empty_typeEEEZZNS1_27merge_sort_block_merge_implIS3_N6thrust23THRUST_200600_302600_NS6detail15normal_iteratorINS9_10device_ptrIiEEEEPS5_jNS1_19radix_merge_compareILb1ELb1EiNS0_19identity_decomposerEEEEE10hipError_tT0_T1_T2_jT3_P12ihipStream_tbPNSt15iterator_traitsISK_E10value_typeEPNSQ_ISL_E10value_typeEPSM_NS1_7vsmem_tEENKUlT_SK_SL_SM_E_clISE_PiSF_SF_EESJ_SZ_SK_SL_SM_EUlSZ_E_NS1_11comp_targetILNS1_3genE3ELNS1_11target_archE908ELNS1_3gpuE7ELNS1_3repE0EEENS1_48merge_mergepath_partition_config_static_selectorELNS0_4arch9wavefront6targetE1EEEvSL_,"axG",@progbits,_ZN7rocprim17ROCPRIM_400000_NS6detail17trampoline_kernelINS0_14default_configENS1_38merge_sort_block_merge_config_selectorIiNS0_10empty_typeEEEZZNS1_27merge_sort_block_merge_implIS3_N6thrust23THRUST_200600_302600_NS6detail15normal_iteratorINS9_10device_ptrIiEEEEPS5_jNS1_19radix_merge_compareILb1ELb1EiNS0_19identity_decomposerEEEEE10hipError_tT0_T1_T2_jT3_P12ihipStream_tbPNSt15iterator_traitsISK_E10value_typeEPNSQ_ISL_E10value_typeEPSM_NS1_7vsmem_tEENKUlT_SK_SL_SM_E_clISE_PiSF_SF_EESJ_SZ_SK_SL_SM_EUlSZ_E_NS1_11comp_targetILNS1_3genE3ELNS1_11target_archE908ELNS1_3gpuE7ELNS1_3repE0EEENS1_48merge_mergepath_partition_config_static_selectorELNS0_4arch9wavefront6targetE1EEEvSL_,comdat
.Lfunc_end298:
	.size	_ZN7rocprim17ROCPRIM_400000_NS6detail17trampoline_kernelINS0_14default_configENS1_38merge_sort_block_merge_config_selectorIiNS0_10empty_typeEEEZZNS1_27merge_sort_block_merge_implIS3_N6thrust23THRUST_200600_302600_NS6detail15normal_iteratorINS9_10device_ptrIiEEEEPS5_jNS1_19radix_merge_compareILb1ELb1EiNS0_19identity_decomposerEEEEE10hipError_tT0_T1_T2_jT3_P12ihipStream_tbPNSt15iterator_traitsISK_E10value_typeEPNSQ_ISL_E10value_typeEPSM_NS1_7vsmem_tEENKUlT_SK_SL_SM_E_clISE_PiSF_SF_EESJ_SZ_SK_SL_SM_EUlSZ_E_NS1_11comp_targetILNS1_3genE3ELNS1_11target_archE908ELNS1_3gpuE7ELNS1_3repE0EEENS1_48merge_mergepath_partition_config_static_selectorELNS0_4arch9wavefront6targetE1EEEvSL_, .Lfunc_end298-_ZN7rocprim17ROCPRIM_400000_NS6detail17trampoline_kernelINS0_14default_configENS1_38merge_sort_block_merge_config_selectorIiNS0_10empty_typeEEEZZNS1_27merge_sort_block_merge_implIS3_N6thrust23THRUST_200600_302600_NS6detail15normal_iteratorINS9_10device_ptrIiEEEEPS5_jNS1_19radix_merge_compareILb1ELb1EiNS0_19identity_decomposerEEEEE10hipError_tT0_T1_T2_jT3_P12ihipStream_tbPNSt15iterator_traitsISK_E10value_typeEPNSQ_ISL_E10value_typeEPSM_NS1_7vsmem_tEENKUlT_SK_SL_SM_E_clISE_PiSF_SF_EESJ_SZ_SK_SL_SM_EUlSZ_E_NS1_11comp_targetILNS1_3genE3ELNS1_11target_archE908ELNS1_3gpuE7ELNS1_3repE0EEENS1_48merge_mergepath_partition_config_static_selectorELNS0_4arch9wavefront6targetE1EEEvSL_
                                        ; -- End function
	.set _ZN7rocprim17ROCPRIM_400000_NS6detail17trampoline_kernelINS0_14default_configENS1_38merge_sort_block_merge_config_selectorIiNS0_10empty_typeEEEZZNS1_27merge_sort_block_merge_implIS3_N6thrust23THRUST_200600_302600_NS6detail15normal_iteratorINS9_10device_ptrIiEEEEPS5_jNS1_19radix_merge_compareILb1ELb1EiNS0_19identity_decomposerEEEEE10hipError_tT0_T1_T2_jT3_P12ihipStream_tbPNSt15iterator_traitsISK_E10value_typeEPNSQ_ISL_E10value_typeEPSM_NS1_7vsmem_tEENKUlT_SK_SL_SM_E_clISE_PiSF_SF_EESJ_SZ_SK_SL_SM_EUlSZ_E_NS1_11comp_targetILNS1_3genE3ELNS1_11target_archE908ELNS1_3gpuE7ELNS1_3repE0EEENS1_48merge_mergepath_partition_config_static_selectorELNS0_4arch9wavefront6targetE1EEEvSL_.num_vgpr, 0
	.set _ZN7rocprim17ROCPRIM_400000_NS6detail17trampoline_kernelINS0_14default_configENS1_38merge_sort_block_merge_config_selectorIiNS0_10empty_typeEEEZZNS1_27merge_sort_block_merge_implIS3_N6thrust23THRUST_200600_302600_NS6detail15normal_iteratorINS9_10device_ptrIiEEEEPS5_jNS1_19radix_merge_compareILb1ELb1EiNS0_19identity_decomposerEEEEE10hipError_tT0_T1_T2_jT3_P12ihipStream_tbPNSt15iterator_traitsISK_E10value_typeEPNSQ_ISL_E10value_typeEPSM_NS1_7vsmem_tEENKUlT_SK_SL_SM_E_clISE_PiSF_SF_EESJ_SZ_SK_SL_SM_EUlSZ_E_NS1_11comp_targetILNS1_3genE3ELNS1_11target_archE908ELNS1_3gpuE7ELNS1_3repE0EEENS1_48merge_mergepath_partition_config_static_selectorELNS0_4arch9wavefront6targetE1EEEvSL_.num_agpr, 0
	.set _ZN7rocprim17ROCPRIM_400000_NS6detail17trampoline_kernelINS0_14default_configENS1_38merge_sort_block_merge_config_selectorIiNS0_10empty_typeEEEZZNS1_27merge_sort_block_merge_implIS3_N6thrust23THRUST_200600_302600_NS6detail15normal_iteratorINS9_10device_ptrIiEEEEPS5_jNS1_19radix_merge_compareILb1ELb1EiNS0_19identity_decomposerEEEEE10hipError_tT0_T1_T2_jT3_P12ihipStream_tbPNSt15iterator_traitsISK_E10value_typeEPNSQ_ISL_E10value_typeEPSM_NS1_7vsmem_tEENKUlT_SK_SL_SM_E_clISE_PiSF_SF_EESJ_SZ_SK_SL_SM_EUlSZ_E_NS1_11comp_targetILNS1_3genE3ELNS1_11target_archE908ELNS1_3gpuE7ELNS1_3repE0EEENS1_48merge_mergepath_partition_config_static_selectorELNS0_4arch9wavefront6targetE1EEEvSL_.numbered_sgpr, 0
	.set _ZN7rocprim17ROCPRIM_400000_NS6detail17trampoline_kernelINS0_14default_configENS1_38merge_sort_block_merge_config_selectorIiNS0_10empty_typeEEEZZNS1_27merge_sort_block_merge_implIS3_N6thrust23THRUST_200600_302600_NS6detail15normal_iteratorINS9_10device_ptrIiEEEEPS5_jNS1_19radix_merge_compareILb1ELb1EiNS0_19identity_decomposerEEEEE10hipError_tT0_T1_T2_jT3_P12ihipStream_tbPNSt15iterator_traitsISK_E10value_typeEPNSQ_ISL_E10value_typeEPSM_NS1_7vsmem_tEENKUlT_SK_SL_SM_E_clISE_PiSF_SF_EESJ_SZ_SK_SL_SM_EUlSZ_E_NS1_11comp_targetILNS1_3genE3ELNS1_11target_archE908ELNS1_3gpuE7ELNS1_3repE0EEENS1_48merge_mergepath_partition_config_static_selectorELNS0_4arch9wavefront6targetE1EEEvSL_.num_named_barrier, 0
	.set _ZN7rocprim17ROCPRIM_400000_NS6detail17trampoline_kernelINS0_14default_configENS1_38merge_sort_block_merge_config_selectorIiNS0_10empty_typeEEEZZNS1_27merge_sort_block_merge_implIS3_N6thrust23THRUST_200600_302600_NS6detail15normal_iteratorINS9_10device_ptrIiEEEEPS5_jNS1_19radix_merge_compareILb1ELb1EiNS0_19identity_decomposerEEEEE10hipError_tT0_T1_T2_jT3_P12ihipStream_tbPNSt15iterator_traitsISK_E10value_typeEPNSQ_ISL_E10value_typeEPSM_NS1_7vsmem_tEENKUlT_SK_SL_SM_E_clISE_PiSF_SF_EESJ_SZ_SK_SL_SM_EUlSZ_E_NS1_11comp_targetILNS1_3genE3ELNS1_11target_archE908ELNS1_3gpuE7ELNS1_3repE0EEENS1_48merge_mergepath_partition_config_static_selectorELNS0_4arch9wavefront6targetE1EEEvSL_.private_seg_size, 0
	.set _ZN7rocprim17ROCPRIM_400000_NS6detail17trampoline_kernelINS0_14default_configENS1_38merge_sort_block_merge_config_selectorIiNS0_10empty_typeEEEZZNS1_27merge_sort_block_merge_implIS3_N6thrust23THRUST_200600_302600_NS6detail15normal_iteratorINS9_10device_ptrIiEEEEPS5_jNS1_19radix_merge_compareILb1ELb1EiNS0_19identity_decomposerEEEEE10hipError_tT0_T1_T2_jT3_P12ihipStream_tbPNSt15iterator_traitsISK_E10value_typeEPNSQ_ISL_E10value_typeEPSM_NS1_7vsmem_tEENKUlT_SK_SL_SM_E_clISE_PiSF_SF_EESJ_SZ_SK_SL_SM_EUlSZ_E_NS1_11comp_targetILNS1_3genE3ELNS1_11target_archE908ELNS1_3gpuE7ELNS1_3repE0EEENS1_48merge_mergepath_partition_config_static_selectorELNS0_4arch9wavefront6targetE1EEEvSL_.uses_vcc, 0
	.set _ZN7rocprim17ROCPRIM_400000_NS6detail17trampoline_kernelINS0_14default_configENS1_38merge_sort_block_merge_config_selectorIiNS0_10empty_typeEEEZZNS1_27merge_sort_block_merge_implIS3_N6thrust23THRUST_200600_302600_NS6detail15normal_iteratorINS9_10device_ptrIiEEEEPS5_jNS1_19radix_merge_compareILb1ELb1EiNS0_19identity_decomposerEEEEE10hipError_tT0_T1_T2_jT3_P12ihipStream_tbPNSt15iterator_traitsISK_E10value_typeEPNSQ_ISL_E10value_typeEPSM_NS1_7vsmem_tEENKUlT_SK_SL_SM_E_clISE_PiSF_SF_EESJ_SZ_SK_SL_SM_EUlSZ_E_NS1_11comp_targetILNS1_3genE3ELNS1_11target_archE908ELNS1_3gpuE7ELNS1_3repE0EEENS1_48merge_mergepath_partition_config_static_selectorELNS0_4arch9wavefront6targetE1EEEvSL_.uses_flat_scratch, 0
	.set _ZN7rocprim17ROCPRIM_400000_NS6detail17trampoline_kernelINS0_14default_configENS1_38merge_sort_block_merge_config_selectorIiNS0_10empty_typeEEEZZNS1_27merge_sort_block_merge_implIS3_N6thrust23THRUST_200600_302600_NS6detail15normal_iteratorINS9_10device_ptrIiEEEEPS5_jNS1_19radix_merge_compareILb1ELb1EiNS0_19identity_decomposerEEEEE10hipError_tT0_T1_T2_jT3_P12ihipStream_tbPNSt15iterator_traitsISK_E10value_typeEPNSQ_ISL_E10value_typeEPSM_NS1_7vsmem_tEENKUlT_SK_SL_SM_E_clISE_PiSF_SF_EESJ_SZ_SK_SL_SM_EUlSZ_E_NS1_11comp_targetILNS1_3genE3ELNS1_11target_archE908ELNS1_3gpuE7ELNS1_3repE0EEENS1_48merge_mergepath_partition_config_static_selectorELNS0_4arch9wavefront6targetE1EEEvSL_.has_dyn_sized_stack, 0
	.set _ZN7rocprim17ROCPRIM_400000_NS6detail17trampoline_kernelINS0_14default_configENS1_38merge_sort_block_merge_config_selectorIiNS0_10empty_typeEEEZZNS1_27merge_sort_block_merge_implIS3_N6thrust23THRUST_200600_302600_NS6detail15normal_iteratorINS9_10device_ptrIiEEEEPS5_jNS1_19radix_merge_compareILb1ELb1EiNS0_19identity_decomposerEEEEE10hipError_tT0_T1_T2_jT3_P12ihipStream_tbPNSt15iterator_traitsISK_E10value_typeEPNSQ_ISL_E10value_typeEPSM_NS1_7vsmem_tEENKUlT_SK_SL_SM_E_clISE_PiSF_SF_EESJ_SZ_SK_SL_SM_EUlSZ_E_NS1_11comp_targetILNS1_3genE3ELNS1_11target_archE908ELNS1_3gpuE7ELNS1_3repE0EEENS1_48merge_mergepath_partition_config_static_selectorELNS0_4arch9wavefront6targetE1EEEvSL_.has_recursion, 0
	.set _ZN7rocprim17ROCPRIM_400000_NS6detail17trampoline_kernelINS0_14default_configENS1_38merge_sort_block_merge_config_selectorIiNS0_10empty_typeEEEZZNS1_27merge_sort_block_merge_implIS3_N6thrust23THRUST_200600_302600_NS6detail15normal_iteratorINS9_10device_ptrIiEEEEPS5_jNS1_19radix_merge_compareILb1ELb1EiNS0_19identity_decomposerEEEEE10hipError_tT0_T1_T2_jT3_P12ihipStream_tbPNSt15iterator_traitsISK_E10value_typeEPNSQ_ISL_E10value_typeEPSM_NS1_7vsmem_tEENKUlT_SK_SL_SM_E_clISE_PiSF_SF_EESJ_SZ_SK_SL_SM_EUlSZ_E_NS1_11comp_targetILNS1_3genE3ELNS1_11target_archE908ELNS1_3gpuE7ELNS1_3repE0EEENS1_48merge_mergepath_partition_config_static_selectorELNS0_4arch9wavefront6targetE1EEEvSL_.has_indirect_call, 0
	.section	.AMDGPU.csdata,"",@progbits
; Kernel info:
; codeLenInByte = 0
; TotalNumSgprs: 6
; NumVgprs: 0
; NumAgprs: 0
; TotalNumVgprs: 0
; ScratchSize: 0
; MemoryBound: 0
; FloatMode: 240
; IeeeMode: 1
; LDSByteSize: 0 bytes/workgroup (compile time only)
; SGPRBlocks: 0
; VGPRBlocks: 0
; NumSGPRsForWavesPerEU: 6
; NumVGPRsForWavesPerEU: 1
; AccumOffset: 4
; Occupancy: 8
; WaveLimiterHint : 0
; COMPUTE_PGM_RSRC2:SCRATCH_EN: 0
; COMPUTE_PGM_RSRC2:USER_SGPR: 2
; COMPUTE_PGM_RSRC2:TRAP_HANDLER: 0
; COMPUTE_PGM_RSRC2:TGID_X_EN: 1
; COMPUTE_PGM_RSRC2:TGID_Y_EN: 0
; COMPUTE_PGM_RSRC2:TGID_Z_EN: 0
; COMPUTE_PGM_RSRC2:TIDIG_COMP_CNT: 0
; COMPUTE_PGM_RSRC3_GFX90A:ACCUM_OFFSET: 0
; COMPUTE_PGM_RSRC3_GFX90A:TG_SPLIT: 0
	.section	.text._ZN7rocprim17ROCPRIM_400000_NS6detail17trampoline_kernelINS0_14default_configENS1_38merge_sort_block_merge_config_selectorIiNS0_10empty_typeEEEZZNS1_27merge_sort_block_merge_implIS3_N6thrust23THRUST_200600_302600_NS6detail15normal_iteratorINS9_10device_ptrIiEEEEPS5_jNS1_19radix_merge_compareILb1ELb1EiNS0_19identity_decomposerEEEEE10hipError_tT0_T1_T2_jT3_P12ihipStream_tbPNSt15iterator_traitsISK_E10value_typeEPNSQ_ISL_E10value_typeEPSM_NS1_7vsmem_tEENKUlT_SK_SL_SM_E_clISE_PiSF_SF_EESJ_SZ_SK_SL_SM_EUlSZ_E_NS1_11comp_targetILNS1_3genE2ELNS1_11target_archE906ELNS1_3gpuE6ELNS1_3repE0EEENS1_48merge_mergepath_partition_config_static_selectorELNS0_4arch9wavefront6targetE1EEEvSL_,"axG",@progbits,_ZN7rocprim17ROCPRIM_400000_NS6detail17trampoline_kernelINS0_14default_configENS1_38merge_sort_block_merge_config_selectorIiNS0_10empty_typeEEEZZNS1_27merge_sort_block_merge_implIS3_N6thrust23THRUST_200600_302600_NS6detail15normal_iteratorINS9_10device_ptrIiEEEEPS5_jNS1_19radix_merge_compareILb1ELb1EiNS0_19identity_decomposerEEEEE10hipError_tT0_T1_T2_jT3_P12ihipStream_tbPNSt15iterator_traitsISK_E10value_typeEPNSQ_ISL_E10value_typeEPSM_NS1_7vsmem_tEENKUlT_SK_SL_SM_E_clISE_PiSF_SF_EESJ_SZ_SK_SL_SM_EUlSZ_E_NS1_11comp_targetILNS1_3genE2ELNS1_11target_archE906ELNS1_3gpuE6ELNS1_3repE0EEENS1_48merge_mergepath_partition_config_static_selectorELNS0_4arch9wavefront6targetE1EEEvSL_,comdat
	.protected	_ZN7rocprim17ROCPRIM_400000_NS6detail17trampoline_kernelINS0_14default_configENS1_38merge_sort_block_merge_config_selectorIiNS0_10empty_typeEEEZZNS1_27merge_sort_block_merge_implIS3_N6thrust23THRUST_200600_302600_NS6detail15normal_iteratorINS9_10device_ptrIiEEEEPS5_jNS1_19radix_merge_compareILb1ELb1EiNS0_19identity_decomposerEEEEE10hipError_tT0_T1_T2_jT3_P12ihipStream_tbPNSt15iterator_traitsISK_E10value_typeEPNSQ_ISL_E10value_typeEPSM_NS1_7vsmem_tEENKUlT_SK_SL_SM_E_clISE_PiSF_SF_EESJ_SZ_SK_SL_SM_EUlSZ_E_NS1_11comp_targetILNS1_3genE2ELNS1_11target_archE906ELNS1_3gpuE6ELNS1_3repE0EEENS1_48merge_mergepath_partition_config_static_selectorELNS0_4arch9wavefront6targetE1EEEvSL_ ; -- Begin function _ZN7rocprim17ROCPRIM_400000_NS6detail17trampoline_kernelINS0_14default_configENS1_38merge_sort_block_merge_config_selectorIiNS0_10empty_typeEEEZZNS1_27merge_sort_block_merge_implIS3_N6thrust23THRUST_200600_302600_NS6detail15normal_iteratorINS9_10device_ptrIiEEEEPS5_jNS1_19radix_merge_compareILb1ELb1EiNS0_19identity_decomposerEEEEE10hipError_tT0_T1_T2_jT3_P12ihipStream_tbPNSt15iterator_traitsISK_E10value_typeEPNSQ_ISL_E10value_typeEPSM_NS1_7vsmem_tEENKUlT_SK_SL_SM_E_clISE_PiSF_SF_EESJ_SZ_SK_SL_SM_EUlSZ_E_NS1_11comp_targetILNS1_3genE2ELNS1_11target_archE906ELNS1_3gpuE6ELNS1_3repE0EEENS1_48merge_mergepath_partition_config_static_selectorELNS0_4arch9wavefront6targetE1EEEvSL_
	.globl	_ZN7rocprim17ROCPRIM_400000_NS6detail17trampoline_kernelINS0_14default_configENS1_38merge_sort_block_merge_config_selectorIiNS0_10empty_typeEEEZZNS1_27merge_sort_block_merge_implIS3_N6thrust23THRUST_200600_302600_NS6detail15normal_iteratorINS9_10device_ptrIiEEEEPS5_jNS1_19radix_merge_compareILb1ELb1EiNS0_19identity_decomposerEEEEE10hipError_tT0_T1_T2_jT3_P12ihipStream_tbPNSt15iterator_traitsISK_E10value_typeEPNSQ_ISL_E10value_typeEPSM_NS1_7vsmem_tEENKUlT_SK_SL_SM_E_clISE_PiSF_SF_EESJ_SZ_SK_SL_SM_EUlSZ_E_NS1_11comp_targetILNS1_3genE2ELNS1_11target_archE906ELNS1_3gpuE6ELNS1_3repE0EEENS1_48merge_mergepath_partition_config_static_selectorELNS0_4arch9wavefront6targetE1EEEvSL_
	.p2align	8
	.type	_ZN7rocprim17ROCPRIM_400000_NS6detail17trampoline_kernelINS0_14default_configENS1_38merge_sort_block_merge_config_selectorIiNS0_10empty_typeEEEZZNS1_27merge_sort_block_merge_implIS3_N6thrust23THRUST_200600_302600_NS6detail15normal_iteratorINS9_10device_ptrIiEEEEPS5_jNS1_19radix_merge_compareILb1ELb1EiNS0_19identity_decomposerEEEEE10hipError_tT0_T1_T2_jT3_P12ihipStream_tbPNSt15iterator_traitsISK_E10value_typeEPNSQ_ISL_E10value_typeEPSM_NS1_7vsmem_tEENKUlT_SK_SL_SM_E_clISE_PiSF_SF_EESJ_SZ_SK_SL_SM_EUlSZ_E_NS1_11comp_targetILNS1_3genE2ELNS1_11target_archE906ELNS1_3gpuE6ELNS1_3repE0EEENS1_48merge_mergepath_partition_config_static_selectorELNS0_4arch9wavefront6targetE1EEEvSL_,@function
_ZN7rocprim17ROCPRIM_400000_NS6detail17trampoline_kernelINS0_14default_configENS1_38merge_sort_block_merge_config_selectorIiNS0_10empty_typeEEEZZNS1_27merge_sort_block_merge_implIS3_N6thrust23THRUST_200600_302600_NS6detail15normal_iteratorINS9_10device_ptrIiEEEEPS5_jNS1_19radix_merge_compareILb1ELb1EiNS0_19identity_decomposerEEEEE10hipError_tT0_T1_T2_jT3_P12ihipStream_tbPNSt15iterator_traitsISK_E10value_typeEPNSQ_ISL_E10value_typeEPSM_NS1_7vsmem_tEENKUlT_SK_SL_SM_E_clISE_PiSF_SF_EESJ_SZ_SK_SL_SM_EUlSZ_E_NS1_11comp_targetILNS1_3genE2ELNS1_11target_archE906ELNS1_3gpuE6ELNS1_3repE0EEENS1_48merge_mergepath_partition_config_static_selectorELNS0_4arch9wavefront6targetE1EEEvSL_: ; @_ZN7rocprim17ROCPRIM_400000_NS6detail17trampoline_kernelINS0_14default_configENS1_38merge_sort_block_merge_config_selectorIiNS0_10empty_typeEEEZZNS1_27merge_sort_block_merge_implIS3_N6thrust23THRUST_200600_302600_NS6detail15normal_iteratorINS9_10device_ptrIiEEEEPS5_jNS1_19radix_merge_compareILb1ELb1EiNS0_19identity_decomposerEEEEE10hipError_tT0_T1_T2_jT3_P12ihipStream_tbPNSt15iterator_traitsISK_E10value_typeEPNSQ_ISL_E10value_typeEPSM_NS1_7vsmem_tEENKUlT_SK_SL_SM_E_clISE_PiSF_SF_EESJ_SZ_SK_SL_SM_EUlSZ_E_NS1_11comp_targetILNS1_3genE2ELNS1_11target_archE906ELNS1_3gpuE6ELNS1_3repE0EEENS1_48merge_mergepath_partition_config_static_selectorELNS0_4arch9wavefront6targetE1EEEvSL_
; %bb.0:
	.section	.rodata,"a",@progbits
	.p2align	6, 0x0
	.amdhsa_kernel _ZN7rocprim17ROCPRIM_400000_NS6detail17trampoline_kernelINS0_14default_configENS1_38merge_sort_block_merge_config_selectorIiNS0_10empty_typeEEEZZNS1_27merge_sort_block_merge_implIS3_N6thrust23THRUST_200600_302600_NS6detail15normal_iteratorINS9_10device_ptrIiEEEEPS5_jNS1_19radix_merge_compareILb1ELb1EiNS0_19identity_decomposerEEEEE10hipError_tT0_T1_T2_jT3_P12ihipStream_tbPNSt15iterator_traitsISK_E10value_typeEPNSQ_ISL_E10value_typeEPSM_NS1_7vsmem_tEENKUlT_SK_SL_SM_E_clISE_PiSF_SF_EESJ_SZ_SK_SL_SM_EUlSZ_E_NS1_11comp_targetILNS1_3genE2ELNS1_11target_archE906ELNS1_3gpuE6ELNS1_3repE0EEENS1_48merge_mergepath_partition_config_static_selectorELNS0_4arch9wavefront6targetE1EEEvSL_
		.amdhsa_group_segment_fixed_size 0
		.amdhsa_private_segment_fixed_size 0
		.amdhsa_kernarg_size 40
		.amdhsa_user_sgpr_count 2
		.amdhsa_user_sgpr_dispatch_ptr 0
		.amdhsa_user_sgpr_queue_ptr 0
		.amdhsa_user_sgpr_kernarg_segment_ptr 1
		.amdhsa_user_sgpr_dispatch_id 0
		.amdhsa_user_sgpr_kernarg_preload_length 0
		.amdhsa_user_sgpr_kernarg_preload_offset 0
		.amdhsa_user_sgpr_private_segment_size 0
		.amdhsa_uses_dynamic_stack 0
		.amdhsa_enable_private_segment 0
		.amdhsa_system_sgpr_workgroup_id_x 1
		.amdhsa_system_sgpr_workgroup_id_y 0
		.amdhsa_system_sgpr_workgroup_id_z 0
		.amdhsa_system_sgpr_workgroup_info 0
		.amdhsa_system_vgpr_workitem_id 0
		.amdhsa_next_free_vgpr 1
		.amdhsa_next_free_sgpr 0
		.amdhsa_accum_offset 4
		.amdhsa_reserve_vcc 0
		.amdhsa_float_round_mode_32 0
		.amdhsa_float_round_mode_16_64 0
		.amdhsa_float_denorm_mode_32 3
		.amdhsa_float_denorm_mode_16_64 3
		.amdhsa_dx10_clamp 1
		.amdhsa_ieee_mode 1
		.amdhsa_fp16_overflow 0
		.amdhsa_tg_split 0
		.amdhsa_exception_fp_ieee_invalid_op 0
		.amdhsa_exception_fp_denorm_src 0
		.amdhsa_exception_fp_ieee_div_zero 0
		.amdhsa_exception_fp_ieee_overflow 0
		.amdhsa_exception_fp_ieee_underflow 0
		.amdhsa_exception_fp_ieee_inexact 0
		.amdhsa_exception_int_div_zero 0
	.end_amdhsa_kernel
	.section	.text._ZN7rocprim17ROCPRIM_400000_NS6detail17trampoline_kernelINS0_14default_configENS1_38merge_sort_block_merge_config_selectorIiNS0_10empty_typeEEEZZNS1_27merge_sort_block_merge_implIS3_N6thrust23THRUST_200600_302600_NS6detail15normal_iteratorINS9_10device_ptrIiEEEEPS5_jNS1_19radix_merge_compareILb1ELb1EiNS0_19identity_decomposerEEEEE10hipError_tT0_T1_T2_jT3_P12ihipStream_tbPNSt15iterator_traitsISK_E10value_typeEPNSQ_ISL_E10value_typeEPSM_NS1_7vsmem_tEENKUlT_SK_SL_SM_E_clISE_PiSF_SF_EESJ_SZ_SK_SL_SM_EUlSZ_E_NS1_11comp_targetILNS1_3genE2ELNS1_11target_archE906ELNS1_3gpuE6ELNS1_3repE0EEENS1_48merge_mergepath_partition_config_static_selectorELNS0_4arch9wavefront6targetE1EEEvSL_,"axG",@progbits,_ZN7rocprim17ROCPRIM_400000_NS6detail17trampoline_kernelINS0_14default_configENS1_38merge_sort_block_merge_config_selectorIiNS0_10empty_typeEEEZZNS1_27merge_sort_block_merge_implIS3_N6thrust23THRUST_200600_302600_NS6detail15normal_iteratorINS9_10device_ptrIiEEEEPS5_jNS1_19radix_merge_compareILb1ELb1EiNS0_19identity_decomposerEEEEE10hipError_tT0_T1_T2_jT3_P12ihipStream_tbPNSt15iterator_traitsISK_E10value_typeEPNSQ_ISL_E10value_typeEPSM_NS1_7vsmem_tEENKUlT_SK_SL_SM_E_clISE_PiSF_SF_EESJ_SZ_SK_SL_SM_EUlSZ_E_NS1_11comp_targetILNS1_3genE2ELNS1_11target_archE906ELNS1_3gpuE6ELNS1_3repE0EEENS1_48merge_mergepath_partition_config_static_selectorELNS0_4arch9wavefront6targetE1EEEvSL_,comdat
.Lfunc_end299:
	.size	_ZN7rocprim17ROCPRIM_400000_NS6detail17trampoline_kernelINS0_14default_configENS1_38merge_sort_block_merge_config_selectorIiNS0_10empty_typeEEEZZNS1_27merge_sort_block_merge_implIS3_N6thrust23THRUST_200600_302600_NS6detail15normal_iteratorINS9_10device_ptrIiEEEEPS5_jNS1_19radix_merge_compareILb1ELb1EiNS0_19identity_decomposerEEEEE10hipError_tT0_T1_T2_jT3_P12ihipStream_tbPNSt15iterator_traitsISK_E10value_typeEPNSQ_ISL_E10value_typeEPSM_NS1_7vsmem_tEENKUlT_SK_SL_SM_E_clISE_PiSF_SF_EESJ_SZ_SK_SL_SM_EUlSZ_E_NS1_11comp_targetILNS1_3genE2ELNS1_11target_archE906ELNS1_3gpuE6ELNS1_3repE0EEENS1_48merge_mergepath_partition_config_static_selectorELNS0_4arch9wavefront6targetE1EEEvSL_, .Lfunc_end299-_ZN7rocprim17ROCPRIM_400000_NS6detail17trampoline_kernelINS0_14default_configENS1_38merge_sort_block_merge_config_selectorIiNS0_10empty_typeEEEZZNS1_27merge_sort_block_merge_implIS3_N6thrust23THRUST_200600_302600_NS6detail15normal_iteratorINS9_10device_ptrIiEEEEPS5_jNS1_19radix_merge_compareILb1ELb1EiNS0_19identity_decomposerEEEEE10hipError_tT0_T1_T2_jT3_P12ihipStream_tbPNSt15iterator_traitsISK_E10value_typeEPNSQ_ISL_E10value_typeEPSM_NS1_7vsmem_tEENKUlT_SK_SL_SM_E_clISE_PiSF_SF_EESJ_SZ_SK_SL_SM_EUlSZ_E_NS1_11comp_targetILNS1_3genE2ELNS1_11target_archE906ELNS1_3gpuE6ELNS1_3repE0EEENS1_48merge_mergepath_partition_config_static_selectorELNS0_4arch9wavefront6targetE1EEEvSL_
                                        ; -- End function
	.set _ZN7rocprim17ROCPRIM_400000_NS6detail17trampoline_kernelINS0_14default_configENS1_38merge_sort_block_merge_config_selectorIiNS0_10empty_typeEEEZZNS1_27merge_sort_block_merge_implIS3_N6thrust23THRUST_200600_302600_NS6detail15normal_iteratorINS9_10device_ptrIiEEEEPS5_jNS1_19radix_merge_compareILb1ELb1EiNS0_19identity_decomposerEEEEE10hipError_tT0_T1_T2_jT3_P12ihipStream_tbPNSt15iterator_traitsISK_E10value_typeEPNSQ_ISL_E10value_typeEPSM_NS1_7vsmem_tEENKUlT_SK_SL_SM_E_clISE_PiSF_SF_EESJ_SZ_SK_SL_SM_EUlSZ_E_NS1_11comp_targetILNS1_3genE2ELNS1_11target_archE906ELNS1_3gpuE6ELNS1_3repE0EEENS1_48merge_mergepath_partition_config_static_selectorELNS0_4arch9wavefront6targetE1EEEvSL_.num_vgpr, 0
	.set _ZN7rocprim17ROCPRIM_400000_NS6detail17trampoline_kernelINS0_14default_configENS1_38merge_sort_block_merge_config_selectorIiNS0_10empty_typeEEEZZNS1_27merge_sort_block_merge_implIS3_N6thrust23THRUST_200600_302600_NS6detail15normal_iteratorINS9_10device_ptrIiEEEEPS5_jNS1_19radix_merge_compareILb1ELb1EiNS0_19identity_decomposerEEEEE10hipError_tT0_T1_T2_jT3_P12ihipStream_tbPNSt15iterator_traitsISK_E10value_typeEPNSQ_ISL_E10value_typeEPSM_NS1_7vsmem_tEENKUlT_SK_SL_SM_E_clISE_PiSF_SF_EESJ_SZ_SK_SL_SM_EUlSZ_E_NS1_11comp_targetILNS1_3genE2ELNS1_11target_archE906ELNS1_3gpuE6ELNS1_3repE0EEENS1_48merge_mergepath_partition_config_static_selectorELNS0_4arch9wavefront6targetE1EEEvSL_.num_agpr, 0
	.set _ZN7rocprim17ROCPRIM_400000_NS6detail17trampoline_kernelINS0_14default_configENS1_38merge_sort_block_merge_config_selectorIiNS0_10empty_typeEEEZZNS1_27merge_sort_block_merge_implIS3_N6thrust23THRUST_200600_302600_NS6detail15normal_iteratorINS9_10device_ptrIiEEEEPS5_jNS1_19radix_merge_compareILb1ELb1EiNS0_19identity_decomposerEEEEE10hipError_tT0_T1_T2_jT3_P12ihipStream_tbPNSt15iterator_traitsISK_E10value_typeEPNSQ_ISL_E10value_typeEPSM_NS1_7vsmem_tEENKUlT_SK_SL_SM_E_clISE_PiSF_SF_EESJ_SZ_SK_SL_SM_EUlSZ_E_NS1_11comp_targetILNS1_3genE2ELNS1_11target_archE906ELNS1_3gpuE6ELNS1_3repE0EEENS1_48merge_mergepath_partition_config_static_selectorELNS0_4arch9wavefront6targetE1EEEvSL_.numbered_sgpr, 0
	.set _ZN7rocprim17ROCPRIM_400000_NS6detail17trampoline_kernelINS0_14default_configENS1_38merge_sort_block_merge_config_selectorIiNS0_10empty_typeEEEZZNS1_27merge_sort_block_merge_implIS3_N6thrust23THRUST_200600_302600_NS6detail15normal_iteratorINS9_10device_ptrIiEEEEPS5_jNS1_19radix_merge_compareILb1ELb1EiNS0_19identity_decomposerEEEEE10hipError_tT0_T1_T2_jT3_P12ihipStream_tbPNSt15iterator_traitsISK_E10value_typeEPNSQ_ISL_E10value_typeEPSM_NS1_7vsmem_tEENKUlT_SK_SL_SM_E_clISE_PiSF_SF_EESJ_SZ_SK_SL_SM_EUlSZ_E_NS1_11comp_targetILNS1_3genE2ELNS1_11target_archE906ELNS1_3gpuE6ELNS1_3repE0EEENS1_48merge_mergepath_partition_config_static_selectorELNS0_4arch9wavefront6targetE1EEEvSL_.num_named_barrier, 0
	.set _ZN7rocprim17ROCPRIM_400000_NS6detail17trampoline_kernelINS0_14default_configENS1_38merge_sort_block_merge_config_selectorIiNS0_10empty_typeEEEZZNS1_27merge_sort_block_merge_implIS3_N6thrust23THRUST_200600_302600_NS6detail15normal_iteratorINS9_10device_ptrIiEEEEPS5_jNS1_19radix_merge_compareILb1ELb1EiNS0_19identity_decomposerEEEEE10hipError_tT0_T1_T2_jT3_P12ihipStream_tbPNSt15iterator_traitsISK_E10value_typeEPNSQ_ISL_E10value_typeEPSM_NS1_7vsmem_tEENKUlT_SK_SL_SM_E_clISE_PiSF_SF_EESJ_SZ_SK_SL_SM_EUlSZ_E_NS1_11comp_targetILNS1_3genE2ELNS1_11target_archE906ELNS1_3gpuE6ELNS1_3repE0EEENS1_48merge_mergepath_partition_config_static_selectorELNS0_4arch9wavefront6targetE1EEEvSL_.private_seg_size, 0
	.set _ZN7rocprim17ROCPRIM_400000_NS6detail17trampoline_kernelINS0_14default_configENS1_38merge_sort_block_merge_config_selectorIiNS0_10empty_typeEEEZZNS1_27merge_sort_block_merge_implIS3_N6thrust23THRUST_200600_302600_NS6detail15normal_iteratorINS9_10device_ptrIiEEEEPS5_jNS1_19radix_merge_compareILb1ELb1EiNS0_19identity_decomposerEEEEE10hipError_tT0_T1_T2_jT3_P12ihipStream_tbPNSt15iterator_traitsISK_E10value_typeEPNSQ_ISL_E10value_typeEPSM_NS1_7vsmem_tEENKUlT_SK_SL_SM_E_clISE_PiSF_SF_EESJ_SZ_SK_SL_SM_EUlSZ_E_NS1_11comp_targetILNS1_3genE2ELNS1_11target_archE906ELNS1_3gpuE6ELNS1_3repE0EEENS1_48merge_mergepath_partition_config_static_selectorELNS0_4arch9wavefront6targetE1EEEvSL_.uses_vcc, 0
	.set _ZN7rocprim17ROCPRIM_400000_NS6detail17trampoline_kernelINS0_14default_configENS1_38merge_sort_block_merge_config_selectorIiNS0_10empty_typeEEEZZNS1_27merge_sort_block_merge_implIS3_N6thrust23THRUST_200600_302600_NS6detail15normal_iteratorINS9_10device_ptrIiEEEEPS5_jNS1_19radix_merge_compareILb1ELb1EiNS0_19identity_decomposerEEEEE10hipError_tT0_T1_T2_jT3_P12ihipStream_tbPNSt15iterator_traitsISK_E10value_typeEPNSQ_ISL_E10value_typeEPSM_NS1_7vsmem_tEENKUlT_SK_SL_SM_E_clISE_PiSF_SF_EESJ_SZ_SK_SL_SM_EUlSZ_E_NS1_11comp_targetILNS1_3genE2ELNS1_11target_archE906ELNS1_3gpuE6ELNS1_3repE0EEENS1_48merge_mergepath_partition_config_static_selectorELNS0_4arch9wavefront6targetE1EEEvSL_.uses_flat_scratch, 0
	.set _ZN7rocprim17ROCPRIM_400000_NS6detail17trampoline_kernelINS0_14default_configENS1_38merge_sort_block_merge_config_selectorIiNS0_10empty_typeEEEZZNS1_27merge_sort_block_merge_implIS3_N6thrust23THRUST_200600_302600_NS6detail15normal_iteratorINS9_10device_ptrIiEEEEPS5_jNS1_19radix_merge_compareILb1ELb1EiNS0_19identity_decomposerEEEEE10hipError_tT0_T1_T2_jT3_P12ihipStream_tbPNSt15iterator_traitsISK_E10value_typeEPNSQ_ISL_E10value_typeEPSM_NS1_7vsmem_tEENKUlT_SK_SL_SM_E_clISE_PiSF_SF_EESJ_SZ_SK_SL_SM_EUlSZ_E_NS1_11comp_targetILNS1_3genE2ELNS1_11target_archE906ELNS1_3gpuE6ELNS1_3repE0EEENS1_48merge_mergepath_partition_config_static_selectorELNS0_4arch9wavefront6targetE1EEEvSL_.has_dyn_sized_stack, 0
	.set _ZN7rocprim17ROCPRIM_400000_NS6detail17trampoline_kernelINS0_14default_configENS1_38merge_sort_block_merge_config_selectorIiNS0_10empty_typeEEEZZNS1_27merge_sort_block_merge_implIS3_N6thrust23THRUST_200600_302600_NS6detail15normal_iteratorINS9_10device_ptrIiEEEEPS5_jNS1_19radix_merge_compareILb1ELb1EiNS0_19identity_decomposerEEEEE10hipError_tT0_T1_T2_jT3_P12ihipStream_tbPNSt15iterator_traitsISK_E10value_typeEPNSQ_ISL_E10value_typeEPSM_NS1_7vsmem_tEENKUlT_SK_SL_SM_E_clISE_PiSF_SF_EESJ_SZ_SK_SL_SM_EUlSZ_E_NS1_11comp_targetILNS1_3genE2ELNS1_11target_archE906ELNS1_3gpuE6ELNS1_3repE0EEENS1_48merge_mergepath_partition_config_static_selectorELNS0_4arch9wavefront6targetE1EEEvSL_.has_recursion, 0
	.set _ZN7rocprim17ROCPRIM_400000_NS6detail17trampoline_kernelINS0_14default_configENS1_38merge_sort_block_merge_config_selectorIiNS0_10empty_typeEEEZZNS1_27merge_sort_block_merge_implIS3_N6thrust23THRUST_200600_302600_NS6detail15normal_iteratorINS9_10device_ptrIiEEEEPS5_jNS1_19radix_merge_compareILb1ELb1EiNS0_19identity_decomposerEEEEE10hipError_tT0_T1_T2_jT3_P12ihipStream_tbPNSt15iterator_traitsISK_E10value_typeEPNSQ_ISL_E10value_typeEPSM_NS1_7vsmem_tEENKUlT_SK_SL_SM_E_clISE_PiSF_SF_EESJ_SZ_SK_SL_SM_EUlSZ_E_NS1_11comp_targetILNS1_3genE2ELNS1_11target_archE906ELNS1_3gpuE6ELNS1_3repE0EEENS1_48merge_mergepath_partition_config_static_selectorELNS0_4arch9wavefront6targetE1EEEvSL_.has_indirect_call, 0
	.section	.AMDGPU.csdata,"",@progbits
; Kernel info:
; codeLenInByte = 0
; TotalNumSgprs: 6
; NumVgprs: 0
; NumAgprs: 0
; TotalNumVgprs: 0
; ScratchSize: 0
; MemoryBound: 0
; FloatMode: 240
; IeeeMode: 1
; LDSByteSize: 0 bytes/workgroup (compile time only)
; SGPRBlocks: 0
; VGPRBlocks: 0
; NumSGPRsForWavesPerEU: 6
; NumVGPRsForWavesPerEU: 1
; AccumOffset: 4
; Occupancy: 8
; WaveLimiterHint : 0
; COMPUTE_PGM_RSRC2:SCRATCH_EN: 0
; COMPUTE_PGM_RSRC2:USER_SGPR: 2
; COMPUTE_PGM_RSRC2:TRAP_HANDLER: 0
; COMPUTE_PGM_RSRC2:TGID_X_EN: 1
; COMPUTE_PGM_RSRC2:TGID_Y_EN: 0
; COMPUTE_PGM_RSRC2:TGID_Z_EN: 0
; COMPUTE_PGM_RSRC2:TIDIG_COMP_CNT: 0
; COMPUTE_PGM_RSRC3_GFX90A:ACCUM_OFFSET: 0
; COMPUTE_PGM_RSRC3_GFX90A:TG_SPLIT: 0
	.section	.text._ZN7rocprim17ROCPRIM_400000_NS6detail17trampoline_kernelINS0_14default_configENS1_38merge_sort_block_merge_config_selectorIiNS0_10empty_typeEEEZZNS1_27merge_sort_block_merge_implIS3_N6thrust23THRUST_200600_302600_NS6detail15normal_iteratorINS9_10device_ptrIiEEEEPS5_jNS1_19radix_merge_compareILb1ELb1EiNS0_19identity_decomposerEEEEE10hipError_tT0_T1_T2_jT3_P12ihipStream_tbPNSt15iterator_traitsISK_E10value_typeEPNSQ_ISL_E10value_typeEPSM_NS1_7vsmem_tEENKUlT_SK_SL_SM_E_clISE_PiSF_SF_EESJ_SZ_SK_SL_SM_EUlSZ_E_NS1_11comp_targetILNS1_3genE9ELNS1_11target_archE1100ELNS1_3gpuE3ELNS1_3repE0EEENS1_48merge_mergepath_partition_config_static_selectorELNS0_4arch9wavefront6targetE1EEEvSL_,"axG",@progbits,_ZN7rocprim17ROCPRIM_400000_NS6detail17trampoline_kernelINS0_14default_configENS1_38merge_sort_block_merge_config_selectorIiNS0_10empty_typeEEEZZNS1_27merge_sort_block_merge_implIS3_N6thrust23THRUST_200600_302600_NS6detail15normal_iteratorINS9_10device_ptrIiEEEEPS5_jNS1_19radix_merge_compareILb1ELb1EiNS0_19identity_decomposerEEEEE10hipError_tT0_T1_T2_jT3_P12ihipStream_tbPNSt15iterator_traitsISK_E10value_typeEPNSQ_ISL_E10value_typeEPSM_NS1_7vsmem_tEENKUlT_SK_SL_SM_E_clISE_PiSF_SF_EESJ_SZ_SK_SL_SM_EUlSZ_E_NS1_11comp_targetILNS1_3genE9ELNS1_11target_archE1100ELNS1_3gpuE3ELNS1_3repE0EEENS1_48merge_mergepath_partition_config_static_selectorELNS0_4arch9wavefront6targetE1EEEvSL_,comdat
	.protected	_ZN7rocprim17ROCPRIM_400000_NS6detail17trampoline_kernelINS0_14default_configENS1_38merge_sort_block_merge_config_selectorIiNS0_10empty_typeEEEZZNS1_27merge_sort_block_merge_implIS3_N6thrust23THRUST_200600_302600_NS6detail15normal_iteratorINS9_10device_ptrIiEEEEPS5_jNS1_19radix_merge_compareILb1ELb1EiNS0_19identity_decomposerEEEEE10hipError_tT0_T1_T2_jT3_P12ihipStream_tbPNSt15iterator_traitsISK_E10value_typeEPNSQ_ISL_E10value_typeEPSM_NS1_7vsmem_tEENKUlT_SK_SL_SM_E_clISE_PiSF_SF_EESJ_SZ_SK_SL_SM_EUlSZ_E_NS1_11comp_targetILNS1_3genE9ELNS1_11target_archE1100ELNS1_3gpuE3ELNS1_3repE0EEENS1_48merge_mergepath_partition_config_static_selectorELNS0_4arch9wavefront6targetE1EEEvSL_ ; -- Begin function _ZN7rocprim17ROCPRIM_400000_NS6detail17trampoline_kernelINS0_14default_configENS1_38merge_sort_block_merge_config_selectorIiNS0_10empty_typeEEEZZNS1_27merge_sort_block_merge_implIS3_N6thrust23THRUST_200600_302600_NS6detail15normal_iteratorINS9_10device_ptrIiEEEEPS5_jNS1_19radix_merge_compareILb1ELb1EiNS0_19identity_decomposerEEEEE10hipError_tT0_T1_T2_jT3_P12ihipStream_tbPNSt15iterator_traitsISK_E10value_typeEPNSQ_ISL_E10value_typeEPSM_NS1_7vsmem_tEENKUlT_SK_SL_SM_E_clISE_PiSF_SF_EESJ_SZ_SK_SL_SM_EUlSZ_E_NS1_11comp_targetILNS1_3genE9ELNS1_11target_archE1100ELNS1_3gpuE3ELNS1_3repE0EEENS1_48merge_mergepath_partition_config_static_selectorELNS0_4arch9wavefront6targetE1EEEvSL_
	.globl	_ZN7rocprim17ROCPRIM_400000_NS6detail17trampoline_kernelINS0_14default_configENS1_38merge_sort_block_merge_config_selectorIiNS0_10empty_typeEEEZZNS1_27merge_sort_block_merge_implIS3_N6thrust23THRUST_200600_302600_NS6detail15normal_iteratorINS9_10device_ptrIiEEEEPS5_jNS1_19radix_merge_compareILb1ELb1EiNS0_19identity_decomposerEEEEE10hipError_tT0_T1_T2_jT3_P12ihipStream_tbPNSt15iterator_traitsISK_E10value_typeEPNSQ_ISL_E10value_typeEPSM_NS1_7vsmem_tEENKUlT_SK_SL_SM_E_clISE_PiSF_SF_EESJ_SZ_SK_SL_SM_EUlSZ_E_NS1_11comp_targetILNS1_3genE9ELNS1_11target_archE1100ELNS1_3gpuE3ELNS1_3repE0EEENS1_48merge_mergepath_partition_config_static_selectorELNS0_4arch9wavefront6targetE1EEEvSL_
	.p2align	8
	.type	_ZN7rocprim17ROCPRIM_400000_NS6detail17trampoline_kernelINS0_14default_configENS1_38merge_sort_block_merge_config_selectorIiNS0_10empty_typeEEEZZNS1_27merge_sort_block_merge_implIS3_N6thrust23THRUST_200600_302600_NS6detail15normal_iteratorINS9_10device_ptrIiEEEEPS5_jNS1_19radix_merge_compareILb1ELb1EiNS0_19identity_decomposerEEEEE10hipError_tT0_T1_T2_jT3_P12ihipStream_tbPNSt15iterator_traitsISK_E10value_typeEPNSQ_ISL_E10value_typeEPSM_NS1_7vsmem_tEENKUlT_SK_SL_SM_E_clISE_PiSF_SF_EESJ_SZ_SK_SL_SM_EUlSZ_E_NS1_11comp_targetILNS1_3genE9ELNS1_11target_archE1100ELNS1_3gpuE3ELNS1_3repE0EEENS1_48merge_mergepath_partition_config_static_selectorELNS0_4arch9wavefront6targetE1EEEvSL_,@function
_ZN7rocprim17ROCPRIM_400000_NS6detail17trampoline_kernelINS0_14default_configENS1_38merge_sort_block_merge_config_selectorIiNS0_10empty_typeEEEZZNS1_27merge_sort_block_merge_implIS3_N6thrust23THRUST_200600_302600_NS6detail15normal_iteratorINS9_10device_ptrIiEEEEPS5_jNS1_19radix_merge_compareILb1ELb1EiNS0_19identity_decomposerEEEEE10hipError_tT0_T1_T2_jT3_P12ihipStream_tbPNSt15iterator_traitsISK_E10value_typeEPNSQ_ISL_E10value_typeEPSM_NS1_7vsmem_tEENKUlT_SK_SL_SM_E_clISE_PiSF_SF_EESJ_SZ_SK_SL_SM_EUlSZ_E_NS1_11comp_targetILNS1_3genE9ELNS1_11target_archE1100ELNS1_3gpuE3ELNS1_3repE0EEENS1_48merge_mergepath_partition_config_static_selectorELNS0_4arch9wavefront6targetE1EEEvSL_: ; @_ZN7rocprim17ROCPRIM_400000_NS6detail17trampoline_kernelINS0_14default_configENS1_38merge_sort_block_merge_config_selectorIiNS0_10empty_typeEEEZZNS1_27merge_sort_block_merge_implIS3_N6thrust23THRUST_200600_302600_NS6detail15normal_iteratorINS9_10device_ptrIiEEEEPS5_jNS1_19radix_merge_compareILb1ELb1EiNS0_19identity_decomposerEEEEE10hipError_tT0_T1_T2_jT3_P12ihipStream_tbPNSt15iterator_traitsISK_E10value_typeEPNSQ_ISL_E10value_typeEPSM_NS1_7vsmem_tEENKUlT_SK_SL_SM_E_clISE_PiSF_SF_EESJ_SZ_SK_SL_SM_EUlSZ_E_NS1_11comp_targetILNS1_3genE9ELNS1_11target_archE1100ELNS1_3gpuE3ELNS1_3repE0EEENS1_48merge_mergepath_partition_config_static_selectorELNS0_4arch9wavefront6targetE1EEEvSL_
; %bb.0:
	.section	.rodata,"a",@progbits
	.p2align	6, 0x0
	.amdhsa_kernel _ZN7rocprim17ROCPRIM_400000_NS6detail17trampoline_kernelINS0_14default_configENS1_38merge_sort_block_merge_config_selectorIiNS0_10empty_typeEEEZZNS1_27merge_sort_block_merge_implIS3_N6thrust23THRUST_200600_302600_NS6detail15normal_iteratorINS9_10device_ptrIiEEEEPS5_jNS1_19radix_merge_compareILb1ELb1EiNS0_19identity_decomposerEEEEE10hipError_tT0_T1_T2_jT3_P12ihipStream_tbPNSt15iterator_traitsISK_E10value_typeEPNSQ_ISL_E10value_typeEPSM_NS1_7vsmem_tEENKUlT_SK_SL_SM_E_clISE_PiSF_SF_EESJ_SZ_SK_SL_SM_EUlSZ_E_NS1_11comp_targetILNS1_3genE9ELNS1_11target_archE1100ELNS1_3gpuE3ELNS1_3repE0EEENS1_48merge_mergepath_partition_config_static_selectorELNS0_4arch9wavefront6targetE1EEEvSL_
		.amdhsa_group_segment_fixed_size 0
		.amdhsa_private_segment_fixed_size 0
		.amdhsa_kernarg_size 40
		.amdhsa_user_sgpr_count 2
		.amdhsa_user_sgpr_dispatch_ptr 0
		.amdhsa_user_sgpr_queue_ptr 0
		.amdhsa_user_sgpr_kernarg_segment_ptr 1
		.amdhsa_user_sgpr_dispatch_id 0
		.amdhsa_user_sgpr_kernarg_preload_length 0
		.amdhsa_user_sgpr_kernarg_preload_offset 0
		.amdhsa_user_sgpr_private_segment_size 0
		.amdhsa_uses_dynamic_stack 0
		.amdhsa_enable_private_segment 0
		.amdhsa_system_sgpr_workgroup_id_x 1
		.amdhsa_system_sgpr_workgroup_id_y 0
		.amdhsa_system_sgpr_workgroup_id_z 0
		.amdhsa_system_sgpr_workgroup_info 0
		.amdhsa_system_vgpr_workitem_id 0
		.amdhsa_next_free_vgpr 1
		.amdhsa_next_free_sgpr 0
		.amdhsa_accum_offset 4
		.amdhsa_reserve_vcc 0
		.amdhsa_float_round_mode_32 0
		.amdhsa_float_round_mode_16_64 0
		.amdhsa_float_denorm_mode_32 3
		.amdhsa_float_denorm_mode_16_64 3
		.amdhsa_dx10_clamp 1
		.amdhsa_ieee_mode 1
		.amdhsa_fp16_overflow 0
		.amdhsa_tg_split 0
		.amdhsa_exception_fp_ieee_invalid_op 0
		.amdhsa_exception_fp_denorm_src 0
		.amdhsa_exception_fp_ieee_div_zero 0
		.amdhsa_exception_fp_ieee_overflow 0
		.amdhsa_exception_fp_ieee_underflow 0
		.amdhsa_exception_fp_ieee_inexact 0
		.amdhsa_exception_int_div_zero 0
	.end_amdhsa_kernel
	.section	.text._ZN7rocprim17ROCPRIM_400000_NS6detail17trampoline_kernelINS0_14default_configENS1_38merge_sort_block_merge_config_selectorIiNS0_10empty_typeEEEZZNS1_27merge_sort_block_merge_implIS3_N6thrust23THRUST_200600_302600_NS6detail15normal_iteratorINS9_10device_ptrIiEEEEPS5_jNS1_19radix_merge_compareILb1ELb1EiNS0_19identity_decomposerEEEEE10hipError_tT0_T1_T2_jT3_P12ihipStream_tbPNSt15iterator_traitsISK_E10value_typeEPNSQ_ISL_E10value_typeEPSM_NS1_7vsmem_tEENKUlT_SK_SL_SM_E_clISE_PiSF_SF_EESJ_SZ_SK_SL_SM_EUlSZ_E_NS1_11comp_targetILNS1_3genE9ELNS1_11target_archE1100ELNS1_3gpuE3ELNS1_3repE0EEENS1_48merge_mergepath_partition_config_static_selectorELNS0_4arch9wavefront6targetE1EEEvSL_,"axG",@progbits,_ZN7rocprim17ROCPRIM_400000_NS6detail17trampoline_kernelINS0_14default_configENS1_38merge_sort_block_merge_config_selectorIiNS0_10empty_typeEEEZZNS1_27merge_sort_block_merge_implIS3_N6thrust23THRUST_200600_302600_NS6detail15normal_iteratorINS9_10device_ptrIiEEEEPS5_jNS1_19radix_merge_compareILb1ELb1EiNS0_19identity_decomposerEEEEE10hipError_tT0_T1_T2_jT3_P12ihipStream_tbPNSt15iterator_traitsISK_E10value_typeEPNSQ_ISL_E10value_typeEPSM_NS1_7vsmem_tEENKUlT_SK_SL_SM_E_clISE_PiSF_SF_EESJ_SZ_SK_SL_SM_EUlSZ_E_NS1_11comp_targetILNS1_3genE9ELNS1_11target_archE1100ELNS1_3gpuE3ELNS1_3repE0EEENS1_48merge_mergepath_partition_config_static_selectorELNS0_4arch9wavefront6targetE1EEEvSL_,comdat
.Lfunc_end300:
	.size	_ZN7rocprim17ROCPRIM_400000_NS6detail17trampoline_kernelINS0_14default_configENS1_38merge_sort_block_merge_config_selectorIiNS0_10empty_typeEEEZZNS1_27merge_sort_block_merge_implIS3_N6thrust23THRUST_200600_302600_NS6detail15normal_iteratorINS9_10device_ptrIiEEEEPS5_jNS1_19radix_merge_compareILb1ELb1EiNS0_19identity_decomposerEEEEE10hipError_tT0_T1_T2_jT3_P12ihipStream_tbPNSt15iterator_traitsISK_E10value_typeEPNSQ_ISL_E10value_typeEPSM_NS1_7vsmem_tEENKUlT_SK_SL_SM_E_clISE_PiSF_SF_EESJ_SZ_SK_SL_SM_EUlSZ_E_NS1_11comp_targetILNS1_3genE9ELNS1_11target_archE1100ELNS1_3gpuE3ELNS1_3repE0EEENS1_48merge_mergepath_partition_config_static_selectorELNS0_4arch9wavefront6targetE1EEEvSL_, .Lfunc_end300-_ZN7rocprim17ROCPRIM_400000_NS6detail17trampoline_kernelINS0_14default_configENS1_38merge_sort_block_merge_config_selectorIiNS0_10empty_typeEEEZZNS1_27merge_sort_block_merge_implIS3_N6thrust23THRUST_200600_302600_NS6detail15normal_iteratorINS9_10device_ptrIiEEEEPS5_jNS1_19radix_merge_compareILb1ELb1EiNS0_19identity_decomposerEEEEE10hipError_tT0_T1_T2_jT3_P12ihipStream_tbPNSt15iterator_traitsISK_E10value_typeEPNSQ_ISL_E10value_typeEPSM_NS1_7vsmem_tEENKUlT_SK_SL_SM_E_clISE_PiSF_SF_EESJ_SZ_SK_SL_SM_EUlSZ_E_NS1_11comp_targetILNS1_3genE9ELNS1_11target_archE1100ELNS1_3gpuE3ELNS1_3repE0EEENS1_48merge_mergepath_partition_config_static_selectorELNS0_4arch9wavefront6targetE1EEEvSL_
                                        ; -- End function
	.set _ZN7rocprim17ROCPRIM_400000_NS6detail17trampoline_kernelINS0_14default_configENS1_38merge_sort_block_merge_config_selectorIiNS0_10empty_typeEEEZZNS1_27merge_sort_block_merge_implIS3_N6thrust23THRUST_200600_302600_NS6detail15normal_iteratorINS9_10device_ptrIiEEEEPS5_jNS1_19radix_merge_compareILb1ELb1EiNS0_19identity_decomposerEEEEE10hipError_tT0_T1_T2_jT3_P12ihipStream_tbPNSt15iterator_traitsISK_E10value_typeEPNSQ_ISL_E10value_typeEPSM_NS1_7vsmem_tEENKUlT_SK_SL_SM_E_clISE_PiSF_SF_EESJ_SZ_SK_SL_SM_EUlSZ_E_NS1_11comp_targetILNS1_3genE9ELNS1_11target_archE1100ELNS1_3gpuE3ELNS1_3repE0EEENS1_48merge_mergepath_partition_config_static_selectorELNS0_4arch9wavefront6targetE1EEEvSL_.num_vgpr, 0
	.set _ZN7rocprim17ROCPRIM_400000_NS6detail17trampoline_kernelINS0_14default_configENS1_38merge_sort_block_merge_config_selectorIiNS0_10empty_typeEEEZZNS1_27merge_sort_block_merge_implIS3_N6thrust23THRUST_200600_302600_NS6detail15normal_iteratorINS9_10device_ptrIiEEEEPS5_jNS1_19radix_merge_compareILb1ELb1EiNS0_19identity_decomposerEEEEE10hipError_tT0_T1_T2_jT3_P12ihipStream_tbPNSt15iterator_traitsISK_E10value_typeEPNSQ_ISL_E10value_typeEPSM_NS1_7vsmem_tEENKUlT_SK_SL_SM_E_clISE_PiSF_SF_EESJ_SZ_SK_SL_SM_EUlSZ_E_NS1_11comp_targetILNS1_3genE9ELNS1_11target_archE1100ELNS1_3gpuE3ELNS1_3repE0EEENS1_48merge_mergepath_partition_config_static_selectorELNS0_4arch9wavefront6targetE1EEEvSL_.num_agpr, 0
	.set _ZN7rocprim17ROCPRIM_400000_NS6detail17trampoline_kernelINS0_14default_configENS1_38merge_sort_block_merge_config_selectorIiNS0_10empty_typeEEEZZNS1_27merge_sort_block_merge_implIS3_N6thrust23THRUST_200600_302600_NS6detail15normal_iteratorINS9_10device_ptrIiEEEEPS5_jNS1_19radix_merge_compareILb1ELb1EiNS0_19identity_decomposerEEEEE10hipError_tT0_T1_T2_jT3_P12ihipStream_tbPNSt15iterator_traitsISK_E10value_typeEPNSQ_ISL_E10value_typeEPSM_NS1_7vsmem_tEENKUlT_SK_SL_SM_E_clISE_PiSF_SF_EESJ_SZ_SK_SL_SM_EUlSZ_E_NS1_11comp_targetILNS1_3genE9ELNS1_11target_archE1100ELNS1_3gpuE3ELNS1_3repE0EEENS1_48merge_mergepath_partition_config_static_selectorELNS0_4arch9wavefront6targetE1EEEvSL_.numbered_sgpr, 0
	.set _ZN7rocprim17ROCPRIM_400000_NS6detail17trampoline_kernelINS0_14default_configENS1_38merge_sort_block_merge_config_selectorIiNS0_10empty_typeEEEZZNS1_27merge_sort_block_merge_implIS3_N6thrust23THRUST_200600_302600_NS6detail15normal_iteratorINS9_10device_ptrIiEEEEPS5_jNS1_19radix_merge_compareILb1ELb1EiNS0_19identity_decomposerEEEEE10hipError_tT0_T1_T2_jT3_P12ihipStream_tbPNSt15iterator_traitsISK_E10value_typeEPNSQ_ISL_E10value_typeEPSM_NS1_7vsmem_tEENKUlT_SK_SL_SM_E_clISE_PiSF_SF_EESJ_SZ_SK_SL_SM_EUlSZ_E_NS1_11comp_targetILNS1_3genE9ELNS1_11target_archE1100ELNS1_3gpuE3ELNS1_3repE0EEENS1_48merge_mergepath_partition_config_static_selectorELNS0_4arch9wavefront6targetE1EEEvSL_.num_named_barrier, 0
	.set _ZN7rocprim17ROCPRIM_400000_NS6detail17trampoline_kernelINS0_14default_configENS1_38merge_sort_block_merge_config_selectorIiNS0_10empty_typeEEEZZNS1_27merge_sort_block_merge_implIS3_N6thrust23THRUST_200600_302600_NS6detail15normal_iteratorINS9_10device_ptrIiEEEEPS5_jNS1_19radix_merge_compareILb1ELb1EiNS0_19identity_decomposerEEEEE10hipError_tT0_T1_T2_jT3_P12ihipStream_tbPNSt15iterator_traitsISK_E10value_typeEPNSQ_ISL_E10value_typeEPSM_NS1_7vsmem_tEENKUlT_SK_SL_SM_E_clISE_PiSF_SF_EESJ_SZ_SK_SL_SM_EUlSZ_E_NS1_11comp_targetILNS1_3genE9ELNS1_11target_archE1100ELNS1_3gpuE3ELNS1_3repE0EEENS1_48merge_mergepath_partition_config_static_selectorELNS0_4arch9wavefront6targetE1EEEvSL_.private_seg_size, 0
	.set _ZN7rocprim17ROCPRIM_400000_NS6detail17trampoline_kernelINS0_14default_configENS1_38merge_sort_block_merge_config_selectorIiNS0_10empty_typeEEEZZNS1_27merge_sort_block_merge_implIS3_N6thrust23THRUST_200600_302600_NS6detail15normal_iteratorINS9_10device_ptrIiEEEEPS5_jNS1_19radix_merge_compareILb1ELb1EiNS0_19identity_decomposerEEEEE10hipError_tT0_T1_T2_jT3_P12ihipStream_tbPNSt15iterator_traitsISK_E10value_typeEPNSQ_ISL_E10value_typeEPSM_NS1_7vsmem_tEENKUlT_SK_SL_SM_E_clISE_PiSF_SF_EESJ_SZ_SK_SL_SM_EUlSZ_E_NS1_11comp_targetILNS1_3genE9ELNS1_11target_archE1100ELNS1_3gpuE3ELNS1_3repE0EEENS1_48merge_mergepath_partition_config_static_selectorELNS0_4arch9wavefront6targetE1EEEvSL_.uses_vcc, 0
	.set _ZN7rocprim17ROCPRIM_400000_NS6detail17trampoline_kernelINS0_14default_configENS1_38merge_sort_block_merge_config_selectorIiNS0_10empty_typeEEEZZNS1_27merge_sort_block_merge_implIS3_N6thrust23THRUST_200600_302600_NS6detail15normal_iteratorINS9_10device_ptrIiEEEEPS5_jNS1_19radix_merge_compareILb1ELb1EiNS0_19identity_decomposerEEEEE10hipError_tT0_T1_T2_jT3_P12ihipStream_tbPNSt15iterator_traitsISK_E10value_typeEPNSQ_ISL_E10value_typeEPSM_NS1_7vsmem_tEENKUlT_SK_SL_SM_E_clISE_PiSF_SF_EESJ_SZ_SK_SL_SM_EUlSZ_E_NS1_11comp_targetILNS1_3genE9ELNS1_11target_archE1100ELNS1_3gpuE3ELNS1_3repE0EEENS1_48merge_mergepath_partition_config_static_selectorELNS0_4arch9wavefront6targetE1EEEvSL_.uses_flat_scratch, 0
	.set _ZN7rocprim17ROCPRIM_400000_NS6detail17trampoline_kernelINS0_14default_configENS1_38merge_sort_block_merge_config_selectorIiNS0_10empty_typeEEEZZNS1_27merge_sort_block_merge_implIS3_N6thrust23THRUST_200600_302600_NS6detail15normal_iteratorINS9_10device_ptrIiEEEEPS5_jNS1_19radix_merge_compareILb1ELb1EiNS0_19identity_decomposerEEEEE10hipError_tT0_T1_T2_jT3_P12ihipStream_tbPNSt15iterator_traitsISK_E10value_typeEPNSQ_ISL_E10value_typeEPSM_NS1_7vsmem_tEENKUlT_SK_SL_SM_E_clISE_PiSF_SF_EESJ_SZ_SK_SL_SM_EUlSZ_E_NS1_11comp_targetILNS1_3genE9ELNS1_11target_archE1100ELNS1_3gpuE3ELNS1_3repE0EEENS1_48merge_mergepath_partition_config_static_selectorELNS0_4arch9wavefront6targetE1EEEvSL_.has_dyn_sized_stack, 0
	.set _ZN7rocprim17ROCPRIM_400000_NS6detail17trampoline_kernelINS0_14default_configENS1_38merge_sort_block_merge_config_selectorIiNS0_10empty_typeEEEZZNS1_27merge_sort_block_merge_implIS3_N6thrust23THRUST_200600_302600_NS6detail15normal_iteratorINS9_10device_ptrIiEEEEPS5_jNS1_19radix_merge_compareILb1ELb1EiNS0_19identity_decomposerEEEEE10hipError_tT0_T1_T2_jT3_P12ihipStream_tbPNSt15iterator_traitsISK_E10value_typeEPNSQ_ISL_E10value_typeEPSM_NS1_7vsmem_tEENKUlT_SK_SL_SM_E_clISE_PiSF_SF_EESJ_SZ_SK_SL_SM_EUlSZ_E_NS1_11comp_targetILNS1_3genE9ELNS1_11target_archE1100ELNS1_3gpuE3ELNS1_3repE0EEENS1_48merge_mergepath_partition_config_static_selectorELNS0_4arch9wavefront6targetE1EEEvSL_.has_recursion, 0
	.set _ZN7rocprim17ROCPRIM_400000_NS6detail17trampoline_kernelINS0_14default_configENS1_38merge_sort_block_merge_config_selectorIiNS0_10empty_typeEEEZZNS1_27merge_sort_block_merge_implIS3_N6thrust23THRUST_200600_302600_NS6detail15normal_iteratorINS9_10device_ptrIiEEEEPS5_jNS1_19radix_merge_compareILb1ELb1EiNS0_19identity_decomposerEEEEE10hipError_tT0_T1_T2_jT3_P12ihipStream_tbPNSt15iterator_traitsISK_E10value_typeEPNSQ_ISL_E10value_typeEPSM_NS1_7vsmem_tEENKUlT_SK_SL_SM_E_clISE_PiSF_SF_EESJ_SZ_SK_SL_SM_EUlSZ_E_NS1_11comp_targetILNS1_3genE9ELNS1_11target_archE1100ELNS1_3gpuE3ELNS1_3repE0EEENS1_48merge_mergepath_partition_config_static_selectorELNS0_4arch9wavefront6targetE1EEEvSL_.has_indirect_call, 0
	.section	.AMDGPU.csdata,"",@progbits
; Kernel info:
; codeLenInByte = 0
; TotalNumSgprs: 6
; NumVgprs: 0
; NumAgprs: 0
; TotalNumVgprs: 0
; ScratchSize: 0
; MemoryBound: 0
; FloatMode: 240
; IeeeMode: 1
; LDSByteSize: 0 bytes/workgroup (compile time only)
; SGPRBlocks: 0
; VGPRBlocks: 0
; NumSGPRsForWavesPerEU: 6
; NumVGPRsForWavesPerEU: 1
; AccumOffset: 4
; Occupancy: 8
; WaveLimiterHint : 0
; COMPUTE_PGM_RSRC2:SCRATCH_EN: 0
; COMPUTE_PGM_RSRC2:USER_SGPR: 2
; COMPUTE_PGM_RSRC2:TRAP_HANDLER: 0
; COMPUTE_PGM_RSRC2:TGID_X_EN: 1
; COMPUTE_PGM_RSRC2:TGID_Y_EN: 0
; COMPUTE_PGM_RSRC2:TGID_Z_EN: 0
; COMPUTE_PGM_RSRC2:TIDIG_COMP_CNT: 0
; COMPUTE_PGM_RSRC3_GFX90A:ACCUM_OFFSET: 0
; COMPUTE_PGM_RSRC3_GFX90A:TG_SPLIT: 0
	.section	.text._ZN7rocprim17ROCPRIM_400000_NS6detail17trampoline_kernelINS0_14default_configENS1_38merge_sort_block_merge_config_selectorIiNS0_10empty_typeEEEZZNS1_27merge_sort_block_merge_implIS3_N6thrust23THRUST_200600_302600_NS6detail15normal_iteratorINS9_10device_ptrIiEEEEPS5_jNS1_19radix_merge_compareILb1ELb1EiNS0_19identity_decomposerEEEEE10hipError_tT0_T1_T2_jT3_P12ihipStream_tbPNSt15iterator_traitsISK_E10value_typeEPNSQ_ISL_E10value_typeEPSM_NS1_7vsmem_tEENKUlT_SK_SL_SM_E_clISE_PiSF_SF_EESJ_SZ_SK_SL_SM_EUlSZ_E_NS1_11comp_targetILNS1_3genE8ELNS1_11target_archE1030ELNS1_3gpuE2ELNS1_3repE0EEENS1_48merge_mergepath_partition_config_static_selectorELNS0_4arch9wavefront6targetE1EEEvSL_,"axG",@progbits,_ZN7rocprim17ROCPRIM_400000_NS6detail17trampoline_kernelINS0_14default_configENS1_38merge_sort_block_merge_config_selectorIiNS0_10empty_typeEEEZZNS1_27merge_sort_block_merge_implIS3_N6thrust23THRUST_200600_302600_NS6detail15normal_iteratorINS9_10device_ptrIiEEEEPS5_jNS1_19radix_merge_compareILb1ELb1EiNS0_19identity_decomposerEEEEE10hipError_tT0_T1_T2_jT3_P12ihipStream_tbPNSt15iterator_traitsISK_E10value_typeEPNSQ_ISL_E10value_typeEPSM_NS1_7vsmem_tEENKUlT_SK_SL_SM_E_clISE_PiSF_SF_EESJ_SZ_SK_SL_SM_EUlSZ_E_NS1_11comp_targetILNS1_3genE8ELNS1_11target_archE1030ELNS1_3gpuE2ELNS1_3repE0EEENS1_48merge_mergepath_partition_config_static_selectorELNS0_4arch9wavefront6targetE1EEEvSL_,comdat
	.protected	_ZN7rocprim17ROCPRIM_400000_NS6detail17trampoline_kernelINS0_14default_configENS1_38merge_sort_block_merge_config_selectorIiNS0_10empty_typeEEEZZNS1_27merge_sort_block_merge_implIS3_N6thrust23THRUST_200600_302600_NS6detail15normal_iteratorINS9_10device_ptrIiEEEEPS5_jNS1_19radix_merge_compareILb1ELb1EiNS0_19identity_decomposerEEEEE10hipError_tT0_T1_T2_jT3_P12ihipStream_tbPNSt15iterator_traitsISK_E10value_typeEPNSQ_ISL_E10value_typeEPSM_NS1_7vsmem_tEENKUlT_SK_SL_SM_E_clISE_PiSF_SF_EESJ_SZ_SK_SL_SM_EUlSZ_E_NS1_11comp_targetILNS1_3genE8ELNS1_11target_archE1030ELNS1_3gpuE2ELNS1_3repE0EEENS1_48merge_mergepath_partition_config_static_selectorELNS0_4arch9wavefront6targetE1EEEvSL_ ; -- Begin function _ZN7rocprim17ROCPRIM_400000_NS6detail17trampoline_kernelINS0_14default_configENS1_38merge_sort_block_merge_config_selectorIiNS0_10empty_typeEEEZZNS1_27merge_sort_block_merge_implIS3_N6thrust23THRUST_200600_302600_NS6detail15normal_iteratorINS9_10device_ptrIiEEEEPS5_jNS1_19radix_merge_compareILb1ELb1EiNS0_19identity_decomposerEEEEE10hipError_tT0_T1_T2_jT3_P12ihipStream_tbPNSt15iterator_traitsISK_E10value_typeEPNSQ_ISL_E10value_typeEPSM_NS1_7vsmem_tEENKUlT_SK_SL_SM_E_clISE_PiSF_SF_EESJ_SZ_SK_SL_SM_EUlSZ_E_NS1_11comp_targetILNS1_3genE8ELNS1_11target_archE1030ELNS1_3gpuE2ELNS1_3repE0EEENS1_48merge_mergepath_partition_config_static_selectorELNS0_4arch9wavefront6targetE1EEEvSL_
	.globl	_ZN7rocprim17ROCPRIM_400000_NS6detail17trampoline_kernelINS0_14default_configENS1_38merge_sort_block_merge_config_selectorIiNS0_10empty_typeEEEZZNS1_27merge_sort_block_merge_implIS3_N6thrust23THRUST_200600_302600_NS6detail15normal_iteratorINS9_10device_ptrIiEEEEPS5_jNS1_19radix_merge_compareILb1ELb1EiNS0_19identity_decomposerEEEEE10hipError_tT0_T1_T2_jT3_P12ihipStream_tbPNSt15iterator_traitsISK_E10value_typeEPNSQ_ISL_E10value_typeEPSM_NS1_7vsmem_tEENKUlT_SK_SL_SM_E_clISE_PiSF_SF_EESJ_SZ_SK_SL_SM_EUlSZ_E_NS1_11comp_targetILNS1_3genE8ELNS1_11target_archE1030ELNS1_3gpuE2ELNS1_3repE0EEENS1_48merge_mergepath_partition_config_static_selectorELNS0_4arch9wavefront6targetE1EEEvSL_
	.p2align	8
	.type	_ZN7rocprim17ROCPRIM_400000_NS6detail17trampoline_kernelINS0_14default_configENS1_38merge_sort_block_merge_config_selectorIiNS0_10empty_typeEEEZZNS1_27merge_sort_block_merge_implIS3_N6thrust23THRUST_200600_302600_NS6detail15normal_iteratorINS9_10device_ptrIiEEEEPS5_jNS1_19radix_merge_compareILb1ELb1EiNS0_19identity_decomposerEEEEE10hipError_tT0_T1_T2_jT3_P12ihipStream_tbPNSt15iterator_traitsISK_E10value_typeEPNSQ_ISL_E10value_typeEPSM_NS1_7vsmem_tEENKUlT_SK_SL_SM_E_clISE_PiSF_SF_EESJ_SZ_SK_SL_SM_EUlSZ_E_NS1_11comp_targetILNS1_3genE8ELNS1_11target_archE1030ELNS1_3gpuE2ELNS1_3repE0EEENS1_48merge_mergepath_partition_config_static_selectorELNS0_4arch9wavefront6targetE1EEEvSL_,@function
_ZN7rocprim17ROCPRIM_400000_NS6detail17trampoline_kernelINS0_14default_configENS1_38merge_sort_block_merge_config_selectorIiNS0_10empty_typeEEEZZNS1_27merge_sort_block_merge_implIS3_N6thrust23THRUST_200600_302600_NS6detail15normal_iteratorINS9_10device_ptrIiEEEEPS5_jNS1_19radix_merge_compareILb1ELb1EiNS0_19identity_decomposerEEEEE10hipError_tT0_T1_T2_jT3_P12ihipStream_tbPNSt15iterator_traitsISK_E10value_typeEPNSQ_ISL_E10value_typeEPSM_NS1_7vsmem_tEENKUlT_SK_SL_SM_E_clISE_PiSF_SF_EESJ_SZ_SK_SL_SM_EUlSZ_E_NS1_11comp_targetILNS1_3genE8ELNS1_11target_archE1030ELNS1_3gpuE2ELNS1_3repE0EEENS1_48merge_mergepath_partition_config_static_selectorELNS0_4arch9wavefront6targetE1EEEvSL_: ; @_ZN7rocprim17ROCPRIM_400000_NS6detail17trampoline_kernelINS0_14default_configENS1_38merge_sort_block_merge_config_selectorIiNS0_10empty_typeEEEZZNS1_27merge_sort_block_merge_implIS3_N6thrust23THRUST_200600_302600_NS6detail15normal_iteratorINS9_10device_ptrIiEEEEPS5_jNS1_19radix_merge_compareILb1ELb1EiNS0_19identity_decomposerEEEEE10hipError_tT0_T1_T2_jT3_P12ihipStream_tbPNSt15iterator_traitsISK_E10value_typeEPNSQ_ISL_E10value_typeEPSM_NS1_7vsmem_tEENKUlT_SK_SL_SM_E_clISE_PiSF_SF_EESJ_SZ_SK_SL_SM_EUlSZ_E_NS1_11comp_targetILNS1_3genE8ELNS1_11target_archE1030ELNS1_3gpuE2ELNS1_3repE0EEENS1_48merge_mergepath_partition_config_static_selectorELNS0_4arch9wavefront6targetE1EEEvSL_
; %bb.0:
	.section	.rodata,"a",@progbits
	.p2align	6, 0x0
	.amdhsa_kernel _ZN7rocprim17ROCPRIM_400000_NS6detail17trampoline_kernelINS0_14default_configENS1_38merge_sort_block_merge_config_selectorIiNS0_10empty_typeEEEZZNS1_27merge_sort_block_merge_implIS3_N6thrust23THRUST_200600_302600_NS6detail15normal_iteratorINS9_10device_ptrIiEEEEPS5_jNS1_19radix_merge_compareILb1ELb1EiNS0_19identity_decomposerEEEEE10hipError_tT0_T1_T2_jT3_P12ihipStream_tbPNSt15iterator_traitsISK_E10value_typeEPNSQ_ISL_E10value_typeEPSM_NS1_7vsmem_tEENKUlT_SK_SL_SM_E_clISE_PiSF_SF_EESJ_SZ_SK_SL_SM_EUlSZ_E_NS1_11comp_targetILNS1_3genE8ELNS1_11target_archE1030ELNS1_3gpuE2ELNS1_3repE0EEENS1_48merge_mergepath_partition_config_static_selectorELNS0_4arch9wavefront6targetE1EEEvSL_
		.amdhsa_group_segment_fixed_size 0
		.amdhsa_private_segment_fixed_size 0
		.amdhsa_kernarg_size 40
		.amdhsa_user_sgpr_count 2
		.amdhsa_user_sgpr_dispatch_ptr 0
		.amdhsa_user_sgpr_queue_ptr 0
		.amdhsa_user_sgpr_kernarg_segment_ptr 1
		.amdhsa_user_sgpr_dispatch_id 0
		.amdhsa_user_sgpr_kernarg_preload_length 0
		.amdhsa_user_sgpr_kernarg_preload_offset 0
		.amdhsa_user_sgpr_private_segment_size 0
		.amdhsa_uses_dynamic_stack 0
		.amdhsa_enable_private_segment 0
		.amdhsa_system_sgpr_workgroup_id_x 1
		.amdhsa_system_sgpr_workgroup_id_y 0
		.amdhsa_system_sgpr_workgroup_id_z 0
		.amdhsa_system_sgpr_workgroup_info 0
		.amdhsa_system_vgpr_workitem_id 0
		.amdhsa_next_free_vgpr 1
		.amdhsa_next_free_sgpr 0
		.amdhsa_accum_offset 4
		.amdhsa_reserve_vcc 0
		.amdhsa_float_round_mode_32 0
		.amdhsa_float_round_mode_16_64 0
		.amdhsa_float_denorm_mode_32 3
		.amdhsa_float_denorm_mode_16_64 3
		.amdhsa_dx10_clamp 1
		.amdhsa_ieee_mode 1
		.amdhsa_fp16_overflow 0
		.amdhsa_tg_split 0
		.amdhsa_exception_fp_ieee_invalid_op 0
		.amdhsa_exception_fp_denorm_src 0
		.amdhsa_exception_fp_ieee_div_zero 0
		.amdhsa_exception_fp_ieee_overflow 0
		.amdhsa_exception_fp_ieee_underflow 0
		.amdhsa_exception_fp_ieee_inexact 0
		.amdhsa_exception_int_div_zero 0
	.end_amdhsa_kernel
	.section	.text._ZN7rocprim17ROCPRIM_400000_NS6detail17trampoline_kernelINS0_14default_configENS1_38merge_sort_block_merge_config_selectorIiNS0_10empty_typeEEEZZNS1_27merge_sort_block_merge_implIS3_N6thrust23THRUST_200600_302600_NS6detail15normal_iteratorINS9_10device_ptrIiEEEEPS5_jNS1_19radix_merge_compareILb1ELb1EiNS0_19identity_decomposerEEEEE10hipError_tT0_T1_T2_jT3_P12ihipStream_tbPNSt15iterator_traitsISK_E10value_typeEPNSQ_ISL_E10value_typeEPSM_NS1_7vsmem_tEENKUlT_SK_SL_SM_E_clISE_PiSF_SF_EESJ_SZ_SK_SL_SM_EUlSZ_E_NS1_11comp_targetILNS1_3genE8ELNS1_11target_archE1030ELNS1_3gpuE2ELNS1_3repE0EEENS1_48merge_mergepath_partition_config_static_selectorELNS0_4arch9wavefront6targetE1EEEvSL_,"axG",@progbits,_ZN7rocprim17ROCPRIM_400000_NS6detail17trampoline_kernelINS0_14default_configENS1_38merge_sort_block_merge_config_selectorIiNS0_10empty_typeEEEZZNS1_27merge_sort_block_merge_implIS3_N6thrust23THRUST_200600_302600_NS6detail15normal_iteratorINS9_10device_ptrIiEEEEPS5_jNS1_19radix_merge_compareILb1ELb1EiNS0_19identity_decomposerEEEEE10hipError_tT0_T1_T2_jT3_P12ihipStream_tbPNSt15iterator_traitsISK_E10value_typeEPNSQ_ISL_E10value_typeEPSM_NS1_7vsmem_tEENKUlT_SK_SL_SM_E_clISE_PiSF_SF_EESJ_SZ_SK_SL_SM_EUlSZ_E_NS1_11comp_targetILNS1_3genE8ELNS1_11target_archE1030ELNS1_3gpuE2ELNS1_3repE0EEENS1_48merge_mergepath_partition_config_static_selectorELNS0_4arch9wavefront6targetE1EEEvSL_,comdat
.Lfunc_end301:
	.size	_ZN7rocprim17ROCPRIM_400000_NS6detail17trampoline_kernelINS0_14default_configENS1_38merge_sort_block_merge_config_selectorIiNS0_10empty_typeEEEZZNS1_27merge_sort_block_merge_implIS3_N6thrust23THRUST_200600_302600_NS6detail15normal_iteratorINS9_10device_ptrIiEEEEPS5_jNS1_19radix_merge_compareILb1ELb1EiNS0_19identity_decomposerEEEEE10hipError_tT0_T1_T2_jT3_P12ihipStream_tbPNSt15iterator_traitsISK_E10value_typeEPNSQ_ISL_E10value_typeEPSM_NS1_7vsmem_tEENKUlT_SK_SL_SM_E_clISE_PiSF_SF_EESJ_SZ_SK_SL_SM_EUlSZ_E_NS1_11comp_targetILNS1_3genE8ELNS1_11target_archE1030ELNS1_3gpuE2ELNS1_3repE0EEENS1_48merge_mergepath_partition_config_static_selectorELNS0_4arch9wavefront6targetE1EEEvSL_, .Lfunc_end301-_ZN7rocprim17ROCPRIM_400000_NS6detail17trampoline_kernelINS0_14default_configENS1_38merge_sort_block_merge_config_selectorIiNS0_10empty_typeEEEZZNS1_27merge_sort_block_merge_implIS3_N6thrust23THRUST_200600_302600_NS6detail15normal_iteratorINS9_10device_ptrIiEEEEPS5_jNS1_19radix_merge_compareILb1ELb1EiNS0_19identity_decomposerEEEEE10hipError_tT0_T1_T2_jT3_P12ihipStream_tbPNSt15iterator_traitsISK_E10value_typeEPNSQ_ISL_E10value_typeEPSM_NS1_7vsmem_tEENKUlT_SK_SL_SM_E_clISE_PiSF_SF_EESJ_SZ_SK_SL_SM_EUlSZ_E_NS1_11comp_targetILNS1_3genE8ELNS1_11target_archE1030ELNS1_3gpuE2ELNS1_3repE0EEENS1_48merge_mergepath_partition_config_static_selectorELNS0_4arch9wavefront6targetE1EEEvSL_
                                        ; -- End function
	.set _ZN7rocprim17ROCPRIM_400000_NS6detail17trampoline_kernelINS0_14default_configENS1_38merge_sort_block_merge_config_selectorIiNS0_10empty_typeEEEZZNS1_27merge_sort_block_merge_implIS3_N6thrust23THRUST_200600_302600_NS6detail15normal_iteratorINS9_10device_ptrIiEEEEPS5_jNS1_19radix_merge_compareILb1ELb1EiNS0_19identity_decomposerEEEEE10hipError_tT0_T1_T2_jT3_P12ihipStream_tbPNSt15iterator_traitsISK_E10value_typeEPNSQ_ISL_E10value_typeEPSM_NS1_7vsmem_tEENKUlT_SK_SL_SM_E_clISE_PiSF_SF_EESJ_SZ_SK_SL_SM_EUlSZ_E_NS1_11comp_targetILNS1_3genE8ELNS1_11target_archE1030ELNS1_3gpuE2ELNS1_3repE0EEENS1_48merge_mergepath_partition_config_static_selectorELNS0_4arch9wavefront6targetE1EEEvSL_.num_vgpr, 0
	.set _ZN7rocprim17ROCPRIM_400000_NS6detail17trampoline_kernelINS0_14default_configENS1_38merge_sort_block_merge_config_selectorIiNS0_10empty_typeEEEZZNS1_27merge_sort_block_merge_implIS3_N6thrust23THRUST_200600_302600_NS6detail15normal_iteratorINS9_10device_ptrIiEEEEPS5_jNS1_19radix_merge_compareILb1ELb1EiNS0_19identity_decomposerEEEEE10hipError_tT0_T1_T2_jT3_P12ihipStream_tbPNSt15iterator_traitsISK_E10value_typeEPNSQ_ISL_E10value_typeEPSM_NS1_7vsmem_tEENKUlT_SK_SL_SM_E_clISE_PiSF_SF_EESJ_SZ_SK_SL_SM_EUlSZ_E_NS1_11comp_targetILNS1_3genE8ELNS1_11target_archE1030ELNS1_3gpuE2ELNS1_3repE0EEENS1_48merge_mergepath_partition_config_static_selectorELNS0_4arch9wavefront6targetE1EEEvSL_.num_agpr, 0
	.set _ZN7rocprim17ROCPRIM_400000_NS6detail17trampoline_kernelINS0_14default_configENS1_38merge_sort_block_merge_config_selectorIiNS0_10empty_typeEEEZZNS1_27merge_sort_block_merge_implIS3_N6thrust23THRUST_200600_302600_NS6detail15normal_iteratorINS9_10device_ptrIiEEEEPS5_jNS1_19radix_merge_compareILb1ELb1EiNS0_19identity_decomposerEEEEE10hipError_tT0_T1_T2_jT3_P12ihipStream_tbPNSt15iterator_traitsISK_E10value_typeEPNSQ_ISL_E10value_typeEPSM_NS1_7vsmem_tEENKUlT_SK_SL_SM_E_clISE_PiSF_SF_EESJ_SZ_SK_SL_SM_EUlSZ_E_NS1_11comp_targetILNS1_3genE8ELNS1_11target_archE1030ELNS1_3gpuE2ELNS1_3repE0EEENS1_48merge_mergepath_partition_config_static_selectorELNS0_4arch9wavefront6targetE1EEEvSL_.numbered_sgpr, 0
	.set _ZN7rocprim17ROCPRIM_400000_NS6detail17trampoline_kernelINS0_14default_configENS1_38merge_sort_block_merge_config_selectorIiNS0_10empty_typeEEEZZNS1_27merge_sort_block_merge_implIS3_N6thrust23THRUST_200600_302600_NS6detail15normal_iteratorINS9_10device_ptrIiEEEEPS5_jNS1_19radix_merge_compareILb1ELb1EiNS0_19identity_decomposerEEEEE10hipError_tT0_T1_T2_jT3_P12ihipStream_tbPNSt15iterator_traitsISK_E10value_typeEPNSQ_ISL_E10value_typeEPSM_NS1_7vsmem_tEENKUlT_SK_SL_SM_E_clISE_PiSF_SF_EESJ_SZ_SK_SL_SM_EUlSZ_E_NS1_11comp_targetILNS1_3genE8ELNS1_11target_archE1030ELNS1_3gpuE2ELNS1_3repE0EEENS1_48merge_mergepath_partition_config_static_selectorELNS0_4arch9wavefront6targetE1EEEvSL_.num_named_barrier, 0
	.set _ZN7rocprim17ROCPRIM_400000_NS6detail17trampoline_kernelINS0_14default_configENS1_38merge_sort_block_merge_config_selectorIiNS0_10empty_typeEEEZZNS1_27merge_sort_block_merge_implIS3_N6thrust23THRUST_200600_302600_NS6detail15normal_iteratorINS9_10device_ptrIiEEEEPS5_jNS1_19radix_merge_compareILb1ELb1EiNS0_19identity_decomposerEEEEE10hipError_tT0_T1_T2_jT3_P12ihipStream_tbPNSt15iterator_traitsISK_E10value_typeEPNSQ_ISL_E10value_typeEPSM_NS1_7vsmem_tEENKUlT_SK_SL_SM_E_clISE_PiSF_SF_EESJ_SZ_SK_SL_SM_EUlSZ_E_NS1_11comp_targetILNS1_3genE8ELNS1_11target_archE1030ELNS1_3gpuE2ELNS1_3repE0EEENS1_48merge_mergepath_partition_config_static_selectorELNS0_4arch9wavefront6targetE1EEEvSL_.private_seg_size, 0
	.set _ZN7rocprim17ROCPRIM_400000_NS6detail17trampoline_kernelINS0_14default_configENS1_38merge_sort_block_merge_config_selectorIiNS0_10empty_typeEEEZZNS1_27merge_sort_block_merge_implIS3_N6thrust23THRUST_200600_302600_NS6detail15normal_iteratorINS9_10device_ptrIiEEEEPS5_jNS1_19radix_merge_compareILb1ELb1EiNS0_19identity_decomposerEEEEE10hipError_tT0_T1_T2_jT3_P12ihipStream_tbPNSt15iterator_traitsISK_E10value_typeEPNSQ_ISL_E10value_typeEPSM_NS1_7vsmem_tEENKUlT_SK_SL_SM_E_clISE_PiSF_SF_EESJ_SZ_SK_SL_SM_EUlSZ_E_NS1_11comp_targetILNS1_3genE8ELNS1_11target_archE1030ELNS1_3gpuE2ELNS1_3repE0EEENS1_48merge_mergepath_partition_config_static_selectorELNS0_4arch9wavefront6targetE1EEEvSL_.uses_vcc, 0
	.set _ZN7rocprim17ROCPRIM_400000_NS6detail17trampoline_kernelINS0_14default_configENS1_38merge_sort_block_merge_config_selectorIiNS0_10empty_typeEEEZZNS1_27merge_sort_block_merge_implIS3_N6thrust23THRUST_200600_302600_NS6detail15normal_iteratorINS9_10device_ptrIiEEEEPS5_jNS1_19radix_merge_compareILb1ELb1EiNS0_19identity_decomposerEEEEE10hipError_tT0_T1_T2_jT3_P12ihipStream_tbPNSt15iterator_traitsISK_E10value_typeEPNSQ_ISL_E10value_typeEPSM_NS1_7vsmem_tEENKUlT_SK_SL_SM_E_clISE_PiSF_SF_EESJ_SZ_SK_SL_SM_EUlSZ_E_NS1_11comp_targetILNS1_3genE8ELNS1_11target_archE1030ELNS1_3gpuE2ELNS1_3repE0EEENS1_48merge_mergepath_partition_config_static_selectorELNS0_4arch9wavefront6targetE1EEEvSL_.uses_flat_scratch, 0
	.set _ZN7rocprim17ROCPRIM_400000_NS6detail17trampoline_kernelINS0_14default_configENS1_38merge_sort_block_merge_config_selectorIiNS0_10empty_typeEEEZZNS1_27merge_sort_block_merge_implIS3_N6thrust23THRUST_200600_302600_NS6detail15normal_iteratorINS9_10device_ptrIiEEEEPS5_jNS1_19radix_merge_compareILb1ELb1EiNS0_19identity_decomposerEEEEE10hipError_tT0_T1_T2_jT3_P12ihipStream_tbPNSt15iterator_traitsISK_E10value_typeEPNSQ_ISL_E10value_typeEPSM_NS1_7vsmem_tEENKUlT_SK_SL_SM_E_clISE_PiSF_SF_EESJ_SZ_SK_SL_SM_EUlSZ_E_NS1_11comp_targetILNS1_3genE8ELNS1_11target_archE1030ELNS1_3gpuE2ELNS1_3repE0EEENS1_48merge_mergepath_partition_config_static_selectorELNS0_4arch9wavefront6targetE1EEEvSL_.has_dyn_sized_stack, 0
	.set _ZN7rocprim17ROCPRIM_400000_NS6detail17trampoline_kernelINS0_14default_configENS1_38merge_sort_block_merge_config_selectorIiNS0_10empty_typeEEEZZNS1_27merge_sort_block_merge_implIS3_N6thrust23THRUST_200600_302600_NS6detail15normal_iteratorINS9_10device_ptrIiEEEEPS5_jNS1_19radix_merge_compareILb1ELb1EiNS0_19identity_decomposerEEEEE10hipError_tT0_T1_T2_jT3_P12ihipStream_tbPNSt15iterator_traitsISK_E10value_typeEPNSQ_ISL_E10value_typeEPSM_NS1_7vsmem_tEENKUlT_SK_SL_SM_E_clISE_PiSF_SF_EESJ_SZ_SK_SL_SM_EUlSZ_E_NS1_11comp_targetILNS1_3genE8ELNS1_11target_archE1030ELNS1_3gpuE2ELNS1_3repE0EEENS1_48merge_mergepath_partition_config_static_selectorELNS0_4arch9wavefront6targetE1EEEvSL_.has_recursion, 0
	.set _ZN7rocprim17ROCPRIM_400000_NS6detail17trampoline_kernelINS0_14default_configENS1_38merge_sort_block_merge_config_selectorIiNS0_10empty_typeEEEZZNS1_27merge_sort_block_merge_implIS3_N6thrust23THRUST_200600_302600_NS6detail15normal_iteratorINS9_10device_ptrIiEEEEPS5_jNS1_19radix_merge_compareILb1ELb1EiNS0_19identity_decomposerEEEEE10hipError_tT0_T1_T2_jT3_P12ihipStream_tbPNSt15iterator_traitsISK_E10value_typeEPNSQ_ISL_E10value_typeEPSM_NS1_7vsmem_tEENKUlT_SK_SL_SM_E_clISE_PiSF_SF_EESJ_SZ_SK_SL_SM_EUlSZ_E_NS1_11comp_targetILNS1_3genE8ELNS1_11target_archE1030ELNS1_3gpuE2ELNS1_3repE0EEENS1_48merge_mergepath_partition_config_static_selectorELNS0_4arch9wavefront6targetE1EEEvSL_.has_indirect_call, 0
	.section	.AMDGPU.csdata,"",@progbits
; Kernel info:
; codeLenInByte = 0
; TotalNumSgprs: 6
; NumVgprs: 0
; NumAgprs: 0
; TotalNumVgprs: 0
; ScratchSize: 0
; MemoryBound: 0
; FloatMode: 240
; IeeeMode: 1
; LDSByteSize: 0 bytes/workgroup (compile time only)
; SGPRBlocks: 0
; VGPRBlocks: 0
; NumSGPRsForWavesPerEU: 6
; NumVGPRsForWavesPerEU: 1
; AccumOffset: 4
; Occupancy: 8
; WaveLimiterHint : 0
; COMPUTE_PGM_RSRC2:SCRATCH_EN: 0
; COMPUTE_PGM_RSRC2:USER_SGPR: 2
; COMPUTE_PGM_RSRC2:TRAP_HANDLER: 0
; COMPUTE_PGM_RSRC2:TGID_X_EN: 1
; COMPUTE_PGM_RSRC2:TGID_Y_EN: 0
; COMPUTE_PGM_RSRC2:TGID_Z_EN: 0
; COMPUTE_PGM_RSRC2:TIDIG_COMP_CNT: 0
; COMPUTE_PGM_RSRC3_GFX90A:ACCUM_OFFSET: 0
; COMPUTE_PGM_RSRC3_GFX90A:TG_SPLIT: 0
	.section	.text._ZN7rocprim17ROCPRIM_400000_NS6detail17trampoline_kernelINS0_14default_configENS1_38merge_sort_block_merge_config_selectorIiNS0_10empty_typeEEEZZNS1_27merge_sort_block_merge_implIS3_N6thrust23THRUST_200600_302600_NS6detail15normal_iteratorINS9_10device_ptrIiEEEEPS5_jNS1_19radix_merge_compareILb1ELb1EiNS0_19identity_decomposerEEEEE10hipError_tT0_T1_T2_jT3_P12ihipStream_tbPNSt15iterator_traitsISK_E10value_typeEPNSQ_ISL_E10value_typeEPSM_NS1_7vsmem_tEENKUlT_SK_SL_SM_E_clISE_PiSF_SF_EESJ_SZ_SK_SL_SM_EUlSZ_E0_NS1_11comp_targetILNS1_3genE0ELNS1_11target_archE4294967295ELNS1_3gpuE0ELNS1_3repE0EEENS1_38merge_mergepath_config_static_selectorELNS0_4arch9wavefront6targetE1EEEvSL_,"axG",@progbits,_ZN7rocprim17ROCPRIM_400000_NS6detail17trampoline_kernelINS0_14default_configENS1_38merge_sort_block_merge_config_selectorIiNS0_10empty_typeEEEZZNS1_27merge_sort_block_merge_implIS3_N6thrust23THRUST_200600_302600_NS6detail15normal_iteratorINS9_10device_ptrIiEEEEPS5_jNS1_19radix_merge_compareILb1ELb1EiNS0_19identity_decomposerEEEEE10hipError_tT0_T1_T2_jT3_P12ihipStream_tbPNSt15iterator_traitsISK_E10value_typeEPNSQ_ISL_E10value_typeEPSM_NS1_7vsmem_tEENKUlT_SK_SL_SM_E_clISE_PiSF_SF_EESJ_SZ_SK_SL_SM_EUlSZ_E0_NS1_11comp_targetILNS1_3genE0ELNS1_11target_archE4294967295ELNS1_3gpuE0ELNS1_3repE0EEENS1_38merge_mergepath_config_static_selectorELNS0_4arch9wavefront6targetE1EEEvSL_,comdat
	.protected	_ZN7rocprim17ROCPRIM_400000_NS6detail17trampoline_kernelINS0_14default_configENS1_38merge_sort_block_merge_config_selectorIiNS0_10empty_typeEEEZZNS1_27merge_sort_block_merge_implIS3_N6thrust23THRUST_200600_302600_NS6detail15normal_iteratorINS9_10device_ptrIiEEEEPS5_jNS1_19radix_merge_compareILb1ELb1EiNS0_19identity_decomposerEEEEE10hipError_tT0_T1_T2_jT3_P12ihipStream_tbPNSt15iterator_traitsISK_E10value_typeEPNSQ_ISL_E10value_typeEPSM_NS1_7vsmem_tEENKUlT_SK_SL_SM_E_clISE_PiSF_SF_EESJ_SZ_SK_SL_SM_EUlSZ_E0_NS1_11comp_targetILNS1_3genE0ELNS1_11target_archE4294967295ELNS1_3gpuE0ELNS1_3repE0EEENS1_38merge_mergepath_config_static_selectorELNS0_4arch9wavefront6targetE1EEEvSL_ ; -- Begin function _ZN7rocprim17ROCPRIM_400000_NS6detail17trampoline_kernelINS0_14default_configENS1_38merge_sort_block_merge_config_selectorIiNS0_10empty_typeEEEZZNS1_27merge_sort_block_merge_implIS3_N6thrust23THRUST_200600_302600_NS6detail15normal_iteratorINS9_10device_ptrIiEEEEPS5_jNS1_19radix_merge_compareILb1ELb1EiNS0_19identity_decomposerEEEEE10hipError_tT0_T1_T2_jT3_P12ihipStream_tbPNSt15iterator_traitsISK_E10value_typeEPNSQ_ISL_E10value_typeEPSM_NS1_7vsmem_tEENKUlT_SK_SL_SM_E_clISE_PiSF_SF_EESJ_SZ_SK_SL_SM_EUlSZ_E0_NS1_11comp_targetILNS1_3genE0ELNS1_11target_archE4294967295ELNS1_3gpuE0ELNS1_3repE0EEENS1_38merge_mergepath_config_static_selectorELNS0_4arch9wavefront6targetE1EEEvSL_
	.globl	_ZN7rocprim17ROCPRIM_400000_NS6detail17trampoline_kernelINS0_14default_configENS1_38merge_sort_block_merge_config_selectorIiNS0_10empty_typeEEEZZNS1_27merge_sort_block_merge_implIS3_N6thrust23THRUST_200600_302600_NS6detail15normal_iteratorINS9_10device_ptrIiEEEEPS5_jNS1_19radix_merge_compareILb1ELb1EiNS0_19identity_decomposerEEEEE10hipError_tT0_T1_T2_jT3_P12ihipStream_tbPNSt15iterator_traitsISK_E10value_typeEPNSQ_ISL_E10value_typeEPSM_NS1_7vsmem_tEENKUlT_SK_SL_SM_E_clISE_PiSF_SF_EESJ_SZ_SK_SL_SM_EUlSZ_E0_NS1_11comp_targetILNS1_3genE0ELNS1_11target_archE4294967295ELNS1_3gpuE0ELNS1_3repE0EEENS1_38merge_mergepath_config_static_selectorELNS0_4arch9wavefront6targetE1EEEvSL_
	.p2align	8
	.type	_ZN7rocprim17ROCPRIM_400000_NS6detail17trampoline_kernelINS0_14default_configENS1_38merge_sort_block_merge_config_selectorIiNS0_10empty_typeEEEZZNS1_27merge_sort_block_merge_implIS3_N6thrust23THRUST_200600_302600_NS6detail15normal_iteratorINS9_10device_ptrIiEEEEPS5_jNS1_19radix_merge_compareILb1ELb1EiNS0_19identity_decomposerEEEEE10hipError_tT0_T1_T2_jT3_P12ihipStream_tbPNSt15iterator_traitsISK_E10value_typeEPNSQ_ISL_E10value_typeEPSM_NS1_7vsmem_tEENKUlT_SK_SL_SM_E_clISE_PiSF_SF_EESJ_SZ_SK_SL_SM_EUlSZ_E0_NS1_11comp_targetILNS1_3genE0ELNS1_11target_archE4294967295ELNS1_3gpuE0ELNS1_3repE0EEENS1_38merge_mergepath_config_static_selectorELNS0_4arch9wavefront6targetE1EEEvSL_,@function
_ZN7rocprim17ROCPRIM_400000_NS6detail17trampoline_kernelINS0_14default_configENS1_38merge_sort_block_merge_config_selectorIiNS0_10empty_typeEEEZZNS1_27merge_sort_block_merge_implIS3_N6thrust23THRUST_200600_302600_NS6detail15normal_iteratorINS9_10device_ptrIiEEEEPS5_jNS1_19radix_merge_compareILb1ELb1EiNS0_19identity_decomposerEEEEE10hipError_tT0_T1_T2_jT3_P12ihipStream_tbPNSt15iterator_traitsISK_E10value_typeEPNSQ_ISL_E10value_typeEPSM_NS1_7vsmem_tEENKUlT_SK_SL_SM_E_clISE_PiSF_SF_EESJ_SZ_SK_SL_SM_EUlSZ_E0_NS1_11comp_targetILNS1_3genE0ELNS1_11target_archE4294967295ELNS1_3gpuE0ELNS1_3repE0EEENS1_38merge_mergepath_config_static_selectorELNS0_4arch9wavefront6targetE1EEEvSL_: ; @_ZN7rocprim17ROCPRIM_400000_NS6detail17trampoline_kernelINS0_14default_configENS1_38merge_sort_block_merge_config_selectorIiNS0_10empty_typeEEEZZNS1_27merge_sort_block_merge_implIS3_N6thrust23THRUST_200600_302600_NS6detail15normal_iteratorINS9_10device_ptrIiEEEEPS5_jNS1_19radix_merge_compareILb1ELb1EiNS0_19identity_decomposerEEEEE10hipError_tT0_T1_T2_jT3_P12ihipStream_tbPNSt15iterator_traitsISK_E10value_typeEPNSQ_ISL_E10value_typeEPSM_NS1_7vsmem_tEENKUlT_SK_SL_SM_E_clISE_PiSF_SF_EESJ_SZ_SK_SL_SM_EUlSZ_E0_NS1_11comp_targetILNS1_3genE0ELNS1_11target_archE4294967295ELNS1_3gpuE0ELNS1_3repE0EEENS1_38merge_mergepath_config_static_selectorELNS0_4arch9wavefront6targetE1EEEvSL_
; %bb.0:
	s_load_dwordx2 s[12:13], s[0:1], 0x40
	s_load_dwordx2 s[16:17], s[0:1], 0x30
	s_add_u32 s8, s0, 64
	s_addc_u32 s9, s1, 0
	s_waitcnt lgkmcnt(0)
	s_mul_i32 s4, s13, s4
	s_add_i32 s3, s4, s3
	s_mul_i32 s3, s3, s12
	s_add_i32 s10, s3, s2
	s_cmp_ge_u32 s10, s16
	s_cbranch_scc1 .LBB302_43
; %bb.1:
	s_load_dwordx2 s[14:15], s[0:1], 0x28
	s_load_dwordx2 s[4:5], s[0:1], 0x38
	;; [unrolled: 1-line block ×3, first 2 shown]
	s_mov_b32 s11, 0
	s_mov_b32 s23, s11
	s_waitcnt lgkmcnt(0)
	s_lshr_b32 s24, s14, 10
	s_cmp_lg_u32 s10, s24
	s_cselect_b64 s[18:19], -1, 0
	s_lshl_b64 s[20:21], s[10:11], 2
	s_add_u32 s4, s4, s20
	s_addc_u32 s5, s5, s21
	s_lshr_b32 s3, s15, 9
	s_and_b32 s3, s3, 0x7ffffe
	s_load_dwordx2 s[20:21], s[4:5], 0x0
	s_sub_i32 s3, 0, s3
	s_and_b32 s4, s10, s3
	s_lshl_b32 s5, s4, 10
	s_lshl_b32 s16, s10, 10
	;; [unrolled: 1-line block ×3, first 2 shown]
	s_sub_i32 s13, s16, s5
	s_add_i32 s4, s4, s15
	s_add_i32 s13, s4, s13
	s_waitcnt lgkmcnt(0)
	s_sub_i32 s22, s13, s20
	s_sub_i32 s13, s13, s21
	;; [unrolled: 1-line block ×3, first 2 shown]
	s_min_u32 s22, s14, s22
	s_addk_i32 s13, 0x400
	s_or_b32 s3, s10, s3
	s_min_u32 s5, s14, s4
	s_add_i32 s4, s4, s15
	s_cmp_eq_u32 s3, -1
	s_cselect_b32 s3, s4, s13
	s_cselect_b32 s4, s5, s21
	s_min_u32 s3, s3, s14
	s_mov_b32 s21, s11
	s_sub_i32 s15, s4, s20
	s_sub_i32 s13, s3, s22
	s_lshl_b64 s[4:5], s[20:21], 2
	s_add_u32 s4, s6, s4
	s_addc_u32 s5, s7, s5
	s_lshl_b64 s[20:21], s[22:23], 2
	s_add_u32 s6, s6, s20
	s_addc_u32 s7, s7, s21
	s_cmp_lt_u32 s2, s12
	v_mov_b32_e32 v9, 0
	s_cselect_b32 s2, 12, 18
	global_load_dword v1, v9, s[8:9] offset:14
	s_add_u32 s2, s8, s2
	s_addc_u32 s3, s9, 0
	global_load_ushort v2, v9, s[2:3]
	s_cmp_eq_u32 s10, s24
	v_lshlrev_b32_e32 v10, 2, v0
	s_waitcnt vmcnt(1)
	v_lshrrev_b32_e32 v3, 16, v1
	v_and_b32_e32 v1, 0xffff, v1
	v_mul_lo_u32 v1, v1, v3
	s_waitcnt vmcnt(0)
	v_mul_lo_u32 v1, v1, v2
	v_add_u32_e32 v14, v1, v0
	v_add_u32_e32 v12, v14, v1
	s_cbranch_scc1 .LBB302_3
; %bb.2:
	v_mov_b32_e32 v11, v9
	v_subrev_co_u32_e32 v8, vcc, s15, v0
	v_lshl_add_u64 v[2:3], s[4:5], 0, v[10:11]
	v_lshl_add_u64 v[4:5], v[8:9], 2, s[6:7]
	v_cndmask_b32_e32 v3, v5, v3, vcc
	v_cndmask_b32_e32 v2, v4, v2, vcc
	v_mov_b32_e32 v15, v9
	v_subrev_co_u32_e32 v8, vcc, s15, v14
	v_lshl_add_u64 v[4:5], v[14:15], 2, s[4:5]
	v_lshl_add_u64 v[6:7], v[8:9], 2, s[6:7]
	v_cndmask_b32_e32 v5, v7, v5, vcc
	v_cndmask_b32_e32 v4, v6, v4, vcc
	v_mov_b32_e32 v13, v9
	v_subrev_co_u32_e32 v8, vcc, s15, v12
	global_load_dword v2, v[2:3], off
	v_lshl_add_u64 v[6:7], v[8:9], 2, s[6:7]
	global_load_dword v3, v[4:5], off
	v_lshl_add_u64 v[4:5], v[12:13], 2, s[4:5]
	v_cndmask_b32_e32 v4, v6, v4, vcc
	v_add_u32_e32 v6, v12, v1
	v_cndmask_b32_e32 v5, v7, v5, vcc
	v_mov_b32_e32 v7, v9
	v_subrev_co_u32_e32 v8, vcc, s15, v6
	v_lshl_add_u64 v[16:17], v[6:7], 2, s[4:5]
	v_lshl_add_u64 v[18:19], v[8:9], 2, s[6:7]
	v_cndmask_b32_e32 v17, v19, v17, vcc
	v_cndmask_b32_e32 v16, v18, v16, vcc
	global_load_dword v4, v[4:5], off
	s_add_i32 s10, s13, s15
	global_load_dword v5, v[16:17], off
	v_add_u32_e32 v16, v6, v1
	v_mov_b32_e32 v17, v9
	v_subrev_co_u32_e32 v8, vcc, s15, v16
	v_lshl_add_u64 v[6:7], v[16:17], 2, s[4:5]
	v_lshl_add_u64 v[18:19], v[8:9], 2, s[6:7]
	v_add_u32_e32 v16, v16, v1
	v_cndmask_b32_e32 v7, v19, v7, vcc
	v_cndmask_b32_e32 v6, v18, v6, vcc
	v_subrev_co_u32_e32 v8, vcc, s15, v16
	v_lshl_add_u64 v[18:19], v[16:17], 2, s[4:5]
	v_lshl_add_u64 v[20:21], v[8:9], 2, s[6:7]
	v_add_u32_e32 v16, v16, v1
	v_cndmask_b32_e32 v19, v21, v19, vcc
	v_cndmask_b32_e32 v18, v20, v18, vcc
	v_subrev_co_u32_e32 v8, vcc, s15, v16
	global_load_dword v6, v[6:7], off
	v_lshl_add_u64 v[20:21], v[8:9], 2, s[6:7]
	global_load_dword v7, v[18:19], off
	v_lshl_add_u64 v[18:19], v[16:17], 2, s[4:5]
	v_cndmask_b32_e32 v19, v21, v19, vcc
	v_cndmask_b32_e32 v18, v20, v18, vcc
	global_load_dword v8, v[18:19], off
	v_add_u32_e32 v16, v16, v1
	s_mov_b64 s[2:3], -1
	v_mov_b32_e32 v11, s10
	s_cbranch_execz .LBB302_4
	s_branch .LBB302_17
.LBB302_3:
	s_mov_b64 s[2:3], 0
                                        ; implicit-def: $vgpr16
                                        ; implicit-def: $vgpr2_vgpr3_vgpr4_vgpr5_vgpr6_vgpr7_vgpr8_vgpr9
                                        ; implicit-def: $vgpr11
.LBB302_4:
	s_add_i32 s8, s13, s15
	s_waitcnt vmcnt(6)
	v_mov_b32_e32 v2, 0
	v_cmp_gt_u32_e32 vcc, s8, v0
	s_waitcnt vmcnt(5)
	v_mov_b32_e32 v3, v2
	s_waitcnt vmcnt(4)
	v_mov_b32_e32 v4, v2
	;; [unrolled: 2-line block ×6, first 2 shown]
	v_mov_b32_e32 v9, v2
	s_and_saveexec_b64 s[2:3], vcc
	s_cbranch_execnz .LBB302_44
; %bb.5:
	s_or_b64 exec, exec, s[2:3]
	v_cmp_gt_u32_e32 vcc, s8, v14
	s_and_saveexec_b64 s[2:3], vcc
	s_cbranch_execnz .LBB302_45
.LBB302_6:
	s_or_b64 exec, exec, s[2:3]
	v_cmp_gt_u32_e32 vcc, s8, v12
	s_and_saveexec_b64 s[2:3], vcc
	s_cbranch_execz .LBB302_8
.LBB302_7:
	v_mov_b32_e32 v13, 0
	v_subrev_co_u32_e32 v16, vcc, s15, v12
	v_mov_b32_e32 v17, v13
	v_lshl_add_u64 v[14:15], v[12:13], 2, s[4:5]
	v_lshl_add_u64 v[16:17], v[16:17], 2, s[6:7]
	v_cndmask_b32_e32 v15, v17, v15, vcc
	v_cndmask_b32_e32 v14, v16, v14, vcc
	global_load_dword v4, v[14:15], off
.LBB302_8:
	s_or_b64 exec, exec, s[2:3]
	v_add_u32_e32 v12, v12, v1
	v_cmp_gt_u32_e32 vcc, s8, v12
	s_and_saveexec_b64 s[2:3], vcc
	s_cbranch_execz .LBB302_10
; %bb.9:
	v_mov_b32_e32 v13, 0
	v_subrev_co_u32_e32 v16, vcc, s15, v12
	v_mov_b32_e32 v17, v13
	v_lshl_add_u64 v[14:15], v[12:13], 2, s[4:5]
	v_lshl_add_u64 v[16:17], v[16:17], 2, s[6:7]
	v_cndmask_b32_e32 v15, v17, v15, vcc
	v_cndmask_b32_e32 v14, v16, v14, vcc
	global_load_dword v5, v[14:15], off
.LBB302_10:
	s_or_b64 exec, exec, s[2:3]
	v_add_u32_e32 v12, v12, v1
	v_cmp_gt_u32_e32 vcc, s8, v12
	s_and_saveexec_b64 s[2:3], vcc
	s_cbranch_execz .LBB302_12
; %bb.11:
	v_mov_b32_e32 v13, 0
	v_subrev_co_u32_e32 v16, vcc, s15, v12
	v_mov_b32_e32 v17, v13
	v_lshl_add_u64 v[14:15], v[12:13], 2, s[4:5]
	v_lshl_add_u64 v[16:17], v[16:17], 2, s[6:7]
	v_cndmask_b32_e32 v15, v17, v15, vcc
	v_cndmask_b32_e32 v14, v16, v14, vcc
	global_load_dword v6, v[14:15], off
.LBB302_12:
	;; [unrolled: 15-line block ×4, first 2 shown]
	s_or_b64 exec, exec, s[2:3]
	v_add_u32_e32 v16, v12, v1
	v_cmp_gt_u32_e64 s[2:3], s8, v16
	v_mov_b32_e32 v11, s8
.LBB302_17:
	s_and_saveexec_b64 s[8:9], s[2:3]
	s_cbranch_execz .LBB302_19
; %bb.18:
	v_mov_b32_e32 v13, 0
	v_mov_b32_e32 v17, v13
	v_subrev_co_u32_e32 v12, vcc, s15, v16
	v_lshl_add_u64 v[14:15], v[16:17], 2, s[4:5]
	v_lshl_add_u64 v[12:13], v[12:13], 2, s[6:7]
	v_cndmask_b32_e32 v13, v13, v15, vcc
	v_cndmask_b32_e32 v12, v12, v14, vcc
	global_load_dword v9, v[12:13], off
.LBB302_19:
	s_or_b64 exec, exec, s[8:9]
	s_load_dwordx2 s[20:21], s[0:1], 0x10
	v_lshlrev_b32_e32 v1, 3, v0
	v_min_u32_e32 v13, v11, v1
	v_sub_u32_e64 v12, v13, s13 clamp
	v_min_u32_e32 v14, s15, v13
	v_cmp_lt_u32_e32 vcc, v12, v14
	s_waitcnt vmcnt(0)
	ds_write2st64_b32 v10, v2, v3 offset1:2
	ds_write2st64_b32 v10, v4, v5 offset0:4 offset1:6
	ds_write2st64_b32 v10, v6, v7 offset0:8 offset1:10
	;; [unrolled: 1-line block ×3, first 2 shown]
	s_waitcnt lgkmcnt(0)
	s_barrier
	s_and_saveexec_b64 s[0:1], vcc
	s_cbranch_execz .LBB302_23
; %bb.20:
	v_lshlrev_b32_e32 v15, 2, v13
	v_lshl_add_u32 v15, s15, 2, v15
	s_mov_b64 s[2:3], 0
.LBB302_21:                             ; =>This Inner Loop Header: Depth=1
	v_add_u32_e32 v16, v14, v12
	v_lshrrev_b32_e32 v16, 1, v16
	v_not_b32_e32 v17, v16
	v_lshlrev_b32_e32 v18, 2, v16
	v_lshl_add_u32 v17, v17, 2, v15
	ds_read_b32 v18, v18
	ds_read_b32 v17, v17
	v_add_u32_e32 v19, 1, v16
	s_waitcnt lgkmcnt(1)
	v_and_b32_e32 v18, s17, v18
	s_waitcnt lgkmcnt(0)
	v_and_b32_e32 v17, s17, v17
	v_cmp_gt_i32_e32 vcc, v17, v18
	s_nop 1
	v_cndmask_b32_e32 v14, v14, v16, vcc
	v_cndmask_b32_e32 v12, v19, v12, vcc
	v_cmp_ge_u32_e32 vcc, v12, v14
	s_or_b64 s[2:3], vcc, s[2:3]
	s_andn2_b64 exec, exec, s[2:3]
	s_cbranch_execnz .LBB302_21
; %bb.22:
	s_or_b64 exec, exec, s[2:3]
.LBB302_23:
	s_or_b64 exec, exec, s[0:1]
	v_sub_u32_e32 v13, v13, v12
	v_add_u32_e32 v13, s15, v13
	v_cmp_ge_u32_e32 vcc, s15, v12
	v_cmp_le_u32_e64 s[0:1], v13, v11
	s_or_b64 s[0:1], vcc, s[0:1]
	s_and_saveexec_b64 s[22:23], s[0:1]
	s_cbranch_execz .LBB302_29
; %bb.24:
	v_cmp_gt_u32_e32 vcc, s15, v12
                                        ; implicit-def: $vgpr2
	s_and_saveexec_b64 s[0:1], vcc
; %bb.25:
	v_lshlrev_b32_e32 v2, 2, v12
	ds_read_b32 v2, v2
; %bb.26:
	s_or_b64 exec, exec, s[0:1]
	v_cmp_ge_u32_e64 s[0:1], v13, v11
	v_cmp_lt_u32_e64 s[2:3], v13, v11
                                        ; implicit-def: $vgpr3
	s_and_saveexec_b64 s[4:5], s[2:3]
; %bb.27:
	v_lshlrev_b32_e32 v3, 2, v13
	ds_read_b32 v3, v3
; %bb.28:
	s_or_b64 exec, exec, s[4:5]
	s_waitcnt lgkmcnt(0)
	v_and_b32_e32 v4, s17, v3
	v_and_b32_e32 v5, s17, v2
	v_cmp_le_i32_e64 s[2:3], v4, v5
	s_and_b64 s[2:3], vcc, s[2:3]
	s_or_b64 vcc, s[0:1], s[2:3]
	v_mov_b32_e32 v5, s15
	v_cndmask_b32_e32 v4, v13, v12, vcc
	v_cndmask_b32_e32 v6, v11, v5, vcc
	v_add_u32_e32 v4, 1, v4
	v_add_u32_e32 v6, -1, v6
	v_min_u32_e32 v6, v4, v6
	v_lshlrev_b32_e32 v6, 2, v6
	ds_read_b32 v6, v6
	v_cndmask_b32_e32 v8, v4, v13, vcc
	v_cndmask_b32_e32 v4, v12, v4, vcc
	v_cmp_gt_u32_e64 s[2:3], s15, v4
	v_cmp_ge_u32_e64 s[0:1], v8, v11
	s_waitcnt lgkmcnt(0)
	v_cndmask_b32_e32 v7, v6, v3, vcc
	v_cndmask_b32_e32 v6, v2, v6, vcc
	v_and_b32_e32 v9, s17, v7
	v_and_b32_e32 v12, s17, v6
	v_cmp_le_i32_e64 s[4:5], v9, v12
	s_and_b64 s[2:3], s[2:3], s[4:5]
	s_or_b64 s[0:1], s[0:1], s[2:3]
	v_cndmask_b32_e64 v9, v8, v4, s[0:1]
	v_cndmask_b32_e64 v12, v11, v5, s[0:1]
	v_add_u32_e32 v9, 1, v9
	v_add_u32_e32 v12, -1, v12
	v_min_u32_e32 v12, v9, v12
	v_lshlrev_b32_e32 v12, 2, v12
	ds_read_b32 v12, v12
	v_cndmask_b32_e64 v8, v9, v8, s[0:1]
	v_cndmask_b32_e64 v4, v4, v9, s[0:1]
	v_cmp_gt_u32_e64 s[4:5], s15, v4
	v_cmp_ge_u32_e64 s[2:3], v8, v11
	s_waitcnt lgkmcnt(0)
	v_cndmask_b32_e64 v13, v12, v7, s[0:1]
	v_cndmask_b32_e64 v12, v6, v12, s[0:1]
	v_and_b32_e32 v9, s17, v13
	v_and_b32_e32 v14, s17, v12
	v_cmp_le_i32_e64 s[6:7], v9, v14
	s_and_b64 s[4:5], s[4:5], s[6:7]
	s_or_b64 s[2:3], s[2:3], s[4:5]
	v_cndmask_b32_e64 v9, v8, v4, s[2:3]
	v_cndmask_b32_e64 v14, v11, v5, s[2:3]
	v_add_u32_e32 v9, 1, v9
	v_add_u32_e32 v14, -1, v14
	v_min_u32_e32 v14, v9, v14
	v_lshlrev_b32_e32 v14, 2, v14
	ds_read_b32 v14, v14
	v_cndmask_b32_e64 v8, v9, v8, s[2:3]
	v_cndmask_b32_e64 v4, v4, v9, s[2:3]
	v_cmp_gt_u32_e64 s[6:7], s15, v4
	v_cmp_ge_u32_e64 s[4:5], v8, v11
	s_waitcnt lgkmcnt(0)
	v_cndmask_b32_e64 v15, v14, v13, s[2:3]
	v_cndmask_b32_e64 v14, v12, v14, s[2:3]
	;; [unrolled: 19-line block ×4, first 2 shown]
	v_and_b32_e32 v4, s17, v19
	v_and_b32_e32 v20, s17, v18
	v_cmp_le_i32_e64 s[12:13], v4, v20
	s_and_b64 s[10:11], s[10:11], s[12:13]
	s_or_b64 s[8:9], s[8:9], s[10:11]
	v_cndmask_b32_e64 v4, v8, v9, s[8:9]
	v_cndmask_b32_e64 v20, v11, v5, s[8:9]
	v_add_u32_e32 v21, 1, v4
	v_add_u32_e32 v4, -1, v20
	v_min_u32_e32 v4, v21, v4
	v_lshlrev_b32_e32 v4, 2, v4
	ds_read_b32 v20, v4
	v_cndmask_b32_e64 v4, v13, v12, s[2:3]
	v_cndmask_b32_e32 v2, v3, v2, vcc
	v_cndmask_b32_e64 v3, v7, v6, s[0:1]
	v_cndmask_b32_e64 v9, v9, v21, s[8:9]
	s_waitcnt lgkmcnt(0)
	v_cndmask_b32_e64 v12, v20, v19, s[8:9]
	v_cndmask_b32_e64 v13, v18, v20, s[8:9]
	v_and_b32_e32 v6, s17, v12
	v_and_b32_e32 v7, s17, v13
	v_cndmask_b32_e64 v20, v21, v8, s[8:9]
	v_cmp_gt_u32_e64 s[0:1], s15, v9
	v_cmp_le_i32_e64 s[2:3], v6, v7
	v_cmp_ge_u32_e32 vcc, v20, v11
	s_and_b64 s[0:1], s[0:1], s[2:3]
	s_or_b64 vcc, vcc, s[0:1]
	v_cndmask_b32_e32 v6, v20, v9, vcc
	v_cndmask_b32_e32 v5, v11, v5, vcc
	v_add_u32_e32 v21, 1, v6
	v_add_u32_e32 v5, -1, v5
	v_min_u32_e32 v5, v21, v5
	v_lshlrev_b32_e32 v5, 2, v5
	ds_read_b32 v22, v5
	v_cndmask_b32_e64 v5, v15, v14, s[4:5]
	v_cndmask_b32_e32 v8, v12, v13, vcc
	v_cndmask_b32_e32 v14, v21, v20, vcc
	;; [unrolled: 1-line block ×3, first 2 shown]
	s_waitcnt lgkmcnt(0)
	v_cndmask_b32_e32 v12, v22, v12, vcc
	v_cndmask_b32_e32 v13, v13, v22, vcc
	v_cmp_ge_u32_e32 vcc, v14, v11
	v_cmp_gt_u32_e64 s[0:1], s15, v9
	v_and_b32_e32 v9, s17, v12
	v_and_b32_e32 v11, s17, v13
	v_cmp_le_i32_e64 s[2:3], v9, v11
	s_and_b64 s[0:1], s[0:1], s[2:3]
	s_or_b64 vcc, vcc, s[0:1]
	v_cndmask_b32_e64 v6, v17, v16, s[6:7]
	v_cndmask_b32_e64 v7, v19, v18, s[8:9]
	v_cndmask_b32_e32 v9, v12, v13, vcc
.LBB302_29:
	s_or_b64 exec, exec, s[22:23]
	v_and_b32_e32 v11, 0x7c, v0
	v_lshl_add_u32 v1, v1, 2, v11
	s_barrier
	s_barrier
	ds_write2_b32 v1, v2, v3 offset1:1
	ds_write2_b32 v1, v4, v5 offset0:2 offset1:3
	ds_write2_b32 v1, v6, v7 offset0:4 offset1:5
	;; [unrolled: 1-line block ×3, first 2 shown]
	v_lshrrev_b32_e32 v1, 3, v0
	v_and_b32_e32 v1, 12, v1
	v_or_b32_e32 v9, 0x80, v0
	v_add_u32_e32 v12, v1, v10
	v_lshrrev_b32_e32 v1, 3, v9
	v_and_b32_e32 v1, 28, v1
	v_or_b32_e32 v8, 0x100, v0
	v_add_u32_e32 v13, v1, v10
	v_lshrrev_b32_e32 v1, 3, v8
	v_and_b32_e32 v1, 44, v1
	v_or_b32_e32 v7, 0x180, v0
	v_add_u32_e32 v14, v1, v10
	v_lshrrev_b32_e32 v1, 3, v7
	v_and_b32_e32 v1, 60, v1
	v_or_b32_e32 v6, 0x200, v0
	v_add_u32_e32 v15, v1, v10
	v_lshrrev_b32_e32 v1, 3, v6
	v_and_b32_e32 v1, 0x4c, v1
	v_or_b32_e32 v5, 0x280, v0
	v_add_u32_e32 v16, v1, v10
	v_lshrrev_b32_e32 v1, 3, v5
	v_and_b32_e32 v1, 0x5c, v1
	v_or_b32_e32 v4, 0x300, v0
	v_add_u32_e32 v17, v1, v10
	v_lshrrev_b32_e32 v1, 3, v4
	s_mov_b32 s17, 0
	v_and_b32_e32 v1, 0x6c, v1
	s_lshl_b64 s[0:1], s[16:17], 2
	v_add_u32_e32 v18, v1, v10
	v_or_b32_e32 v1, 0x380, v0
	s_add_u32 s0, s20, s0
	v_lshrrev_b32_e32 v2, 3, v1
	s_addc_u32 s1, s21, s1
	v_and_b32_e32 v2, 0x7c, v2
	v_mov_b32_e32 v11, 0
	v_add_u32_e32 v19, v2, v10
	v_lshl_add_u64 v[2:3], s[0:1], 0, v[10:11]
	s_and_b64 vcc, exec, s[18:19]
	s_waitcnt lgkmcnt(0)
	s_cbranch_vccz .LBB302_31
; %bb.30:
	s_barrier
	ds_read_b32 v10, v12
	ds_read_b32 v11, v13 offset:512
	ds_read_b32 v20, v14 offset:1024
	;; [unrolled: 1-line block ×7, first 2 shown]
	s_waitcnt lgkmcnt(7)
	global_store_dword v[2:3], v10, off
	s_waitcnt lgkmcnt(6)
	global_store_dword v[2:3], v11, off offset:512
	s_waitcnt lgkmcnt(5)
	global_store_dword v[2:3], v20, off offset:1024
	;; [unrolled: 2-line block ×6, first 2 shown]
	s_mov_b64 s[0:1], -1
	s_cbranch_execz .LBB302_32
	s_branch .LBB302_41
.LBB302_31:
	s_mov_b64 s[0:1], 0
                                        ; implicit-def: $vgpr22
.LBB302_32:
	s_barrier
	s_waitcnt lgkmcnt(0)
	ds_read_b32 v21, v13 offset:512
	ds_read_b32 v20, v14 offset:1024
	;; [unrolled: 1-line block ×7, first 2 shown]
	s_sub_i32 s2, s14, s16
	v_cmp_gt_u32_e32 vcc, s2, v0
	s_and_saveexec_b64 s[0:1], vcc
	s_cbranch_execnz .LBB302_46
; %bb.33:
	s_or_b64 exec, exec, s[0:1]
	v_cmp_gt_u32_e32 vcc, s2, v9
	s_and_saveexec_b64 s[0:1], vcc
	s_cbranch_execnz .LBB302_47
.LBB302_34:
	s_or_b64 exec, exec, s[0:1]
	v_cmp_gt_u32_e32 vcc, s2, v8
	s_and_saveexec_b64 s[0:1], vcc
	s_cbranch_execnz .LBB302_48
.LBB302_35:
	s_or_b64 exec, exec, s[0:1]
	v_cmp_gt_u32_e32 vcc, s2, v7
	s_and_saveexec_b64 s[0:1], vcc
	s_cbranch_execnz .LBB302_49
.LBB302_36:
	s_or_b64 exec, exec, s[0:1]
	v_cmp_gt_u32_e32 vcc, s2, v6
	s_and_saveexec_b64 s[0:1], vcc
	s_cbranch_execnz .LBB302_50
.LBB302_37:
	s_or_b64 exec, exec, s[0:1]
	v_cmp_gt_u32_e32 vcc, s2, v5
	s_and_saveexec_b64 s[0:1], vcc
	s_cbranch_execnz .LBB302_51
.LBB302_38:
	s_or_b64 exec, exec, s[0:1]
	v_cmp_gt_u32_e32 vcc, s2, v4
	s_and_saveexec_b64 s[0:1], vcc
	s_cbranch_execz .LBB302_40
.LBB302_39:
	s_waitcnt lgkmcnt(1)
	global_store_dword v[2:3], v10, off offset:3072
.LBB302_40:
	s_or_b64 exec, exec, s[0:1]
	v_cmp_gt_u32_e64 s[0:1], s2, v1
.LBB302_41:
	s_and_saveexec_b64 s[2:3], s[0:1]
	s_cbranch_execz .LBB302_43
; %bb.42:
	s_waitcnt lgkmcnt(0)
	global_store_dword v[2:3], v22, off offset:3584
.LBB302_43:
	s_endpgm
.LBB302_44:
	v_mov_b32_e32 v11, v2
	v_subrev_co_u32_e32 v6, vcc, s15, v0
	v_mov_b32_e32 v7, v2
	v_lshl_add_u64 v[4:5], s[4:5], 0, v[10:11]
	v_lshl_add_u64 v[6:7], v[6:7], 2, s[6:7]
	v_cndmask_b32_e32 v5, v7, v5, vcc
	v_cndmask_b32_e32 v4, v6, v4, vcc
	global_load_dword v16, v[4:5], off
	v_mov_b32_e32 v17, v2
	v_mov_b32_e32 v18, v2
	;; [unrolled: 1-line block ×7, first 2 shown]
	s_waitcnt vmcnt(0)
	v_mov_b64_e32 v[2:3], v[16:17]
	v_mov_b64_e32 v[4:5], v[18:19]
	;; [unrolled: 1-line block ×4, first 2 shown]
	s_or_b64 exec, exec, s[2:3]
	v_cmp_gt_u32_e32 vcc, s8, v14
	s_and_saveexec_b64 s[2:3], vcc
	s_cbranch_execz .LBB302_6
.LBB302_45:
	v_mov_b32_e32 v15, 0
	v_lshl_add_u64 v[16:17], v[14:15], 2, s[4:5]
	v_subrev_co_u32_e32 v14, vcc, s15, v14
	v_lshl_add_u64 v[14:15], v[14:15], 2, s[6:7]
	s_nop 0
	v_cndmask_b32_e32 v15, v15, v17, vcc
	v_cndmask_b32_e32 v14, v14, v16, vcc
	global_load_dword v3, v[14:15], off
	s_or_b64 exec, exec, s[2:3]
	v_cmp_gt_u32_e32 vcc, s8, v12
	s_and_saveexec_b64 s[2:3], vcc
	s_cbranch_execnz .LBB302_7
	s_branch .LBB302_8
.LBB302_46:
	ds_read_b32 v0, v12
	s_waitcnt lgkmcnt(0)
	global_store_dword v[2:3], v0, off
	s_or_b64 exec, exec, s[0:1]
	v_cmp_gt_u32_e32 vcc, s2, v9
	s_and_saveexec_b64 s[0:1], vcc
	s_cbranch_execz .LBB302_34
.LBB302_47:
	s_waitcnt lgkmcnt(6)
	global_store_dword v[2:3], v21, off offset:512
	s_or_b64 exec, exec, s[0:1]
	v_cmp_gt_u32_e32 vcc, s2, v8
	s_and_saveexec_b64 s[0:1], vcc
	s_cbranch_execz .LBB302_35
.LBB302_48:
	s_waitcnt lgkmcnt(5)
	global_store_dword v[2:3], v20, off offset:1024
	s_or_b64 exec, exec, s[0:1]
	v_cmp_gt_u32_e32 vcc, s2, v7
	s_and_saveexec_b64 s[0:1], vcc
	s_cbranch_execz .LBB302_36
.LBB302_49:
	s_waitcnt lgkmcnt(4)
	global_store_dword v[2:3], v14, off offset:1536
	s_or_b64 exec, exec, s[0:1]
	v_cmp_gt_u32_e32 vcc, s2, v6
	s_and_saveexec_b64 s[0:1], vcc
	s_cbranch_execz .LBB302_37
.LBB302_50:
	s_waitcnt lgkmcnt(3)
	global_store_dword v[2:3], v13, off offset:2048
	s_or_b64 exec, exec, s[0:1]
	v_cmp_gt_u32_e32 vcc, s2, v5
	s_and_saveexec_b64 s[0:1], vcc
	s_cbranch_execz .LBB302_38
.LBB302_51:
	s_waitcnt lgkmcnt(2)
	global_store_dword v[2:3], v11, off offset:2560
	s_or_b64 exec, exec, s[0:1]
	v_cmp_gt_u32_e32 vcc, s2, v4
	s_and_saveexec_b64 s[0:1], vcc
	s_cbranch_execnz .LBB302_39
	s_branch .LBB302_40
	.section	.rodata,"a",@progbits
	.p2align	6, 0x0
	.amdhsa_kernel _ZN7rocprim17ROCPRIM_400000_NS6detail17trampoline_kernelINS0_14default_configENS1_38merge_sort_block_merge_config_selectorIiNS0_10empty_typeEEEZZNS1_27merge_sort_block_merge_implIS3_N6thrust23THRUST_200600_302600_NS6detail15normal_iteratorINS9_10device_ptrIiEEEEPS5_jNS1_19radix_merge_compareILb1ELb1EiNS0_19identity_decomposerEEEEE10hipError_tT0_T1_T2_jT3_P12ihipStream_tbPNSt15iterator_traitsISK_E10value_typeEPNSQ_ISL_E10value_typeEPSM_NS1_7vsmem_tEENKUlT_SK_SL_SM_E_clISE_PiSF_SF_EESJ_SZ_SK_SL_SM_EUlSZ_E0_NS1_11comp_targetILNS1_3genE0ELNS1_11target_archE4294967295ELNS1_3gpuE0ELNS1_3repE0EEENS1_38merge_mergepath_config_static_selectorELNS0_4arch9wavefront6targetE1EEEvSL_
		.amdhsa_group_segment_fixed_size 4224
		.amdhsa_private_segment_fixed_size 0
		.amdhsa_kernarg_size 320
		.amdhsa_user_sgpr_count 2
		.amdhsa_user_sgpr_dispatch_ptr 0
		.amdhsa_user_sgpr_queue_ptr 0
		.amdhsa_user_sgpr_kernarg_segment_ptr 1
		.amdhsa_user_sgpr_dispatch_id 0
		.amdhsa_user_sgpr_kernarg_preload_length 0
		.amdhsa_user_sgpr_kernarg_preload_offset 0
		.amdhsa_user_sgpr_private_segment_size 0
		.amdhsa_uses_dynamic_stack 0
		.amdhsa_enable_private_segment 0
		.amdhsa_system_sgpr_workgroup_id_x 1
		.amdhsa_system_sgpr_workgroup_id_y 1
		.amdhsa_system_sgpr_workgroup_id_z 1
		.amdhsa_system_sgpr_workgroup_info 0
		.amdhsa_system_vgpr_workitem_id 0
		.amdhsa_next_free_vgpr 26
		.amdhsa_next_free_sgpr 25
		.amdhsa_accum_offset 28
		.amdhsa_reserve_vcc 1
		.amdhsa_float_round_mode_32 0
		.amdhsa_float_round_mode_16_64 0
		.amdhsa_float_denorm_mode_32 3
		.amdhsa_float_denorm_mode_16_64 3
		.amdhsa_dx10_clamp 1
		.amdhsa_ieee_mode 1
		.amdhsa_fp16_overflow 0
		.amdhsa_tg_split 0
		.amdhsa_exception_fp_ieee_invalid_op 0
		.amdhsa_exception_fp_denorm_src 0
		.amdhsa_exception_fp_ieee_div_zero 0
		.amdhsa_exception_fp_ieee_overflow 0
		.amdhsa_exception_fp_ieee_underflow 0
		.amdhsa_exception_fp_ieee_inexact 0
		.amdhsa_exception_int_div_zero 0
	.end_amdhsa_kernel
	.section	.text._ZN7rocprim17ROCPRIM_400000_NS6detail17trampoline_kernelINS0_14default_configENS1_38merge_sort_block_merge_config_selectorIiNS0_10empty_typeEEEZZNS1_27merge_sort_block_merge_implIS3_N6thrust23THRUST_200600_302600_NS6detail15normal_iteratorINS9_10device_ptrIiEEEEPS5_jNS1_19radix_merge_compareILb1ELb1EiNS0_19identity_decomposerEEEEE10hipError_tT0_T1_T2_jT3_P12ihipStream_tbPNSt15iterator_traitsISK_E10value_typeEPNSQ_ISL_E10value_typeEPSM_NS1_7vsmem_tEENKUlT_SK_SL_SM_E_clISE_PiSF_SF_EESJ_SZ_SK_SL_SM_EUlSZ_E0_NS1_11comp_targetILNS1_3genE0ELNS1_11target_archE4294967295ELNS1_3gpuE0ELNS1_3repE0EEENS1_38merge_mergepath_config_static_selectorELNS0_4arch9wavefront6targetE1EEEvSL_,"axG",@progbits,_ZN7rocprim17ROCPRIM_400000_NS6detail17trampoline_kernelINS0_14default_configENS1_38merge_sort_block_merge_config_selectorIiNS0_10empty_typeEEEZZNS1_27merge_sort_block_merge_implIS3_N6thrust23THRUST_200600_302600_NS6detail15normal_iteratorINS9_10device_ptrIiEEEEPS5_jNS1_19radix_merge_compareILb1ELb1EiNS0_19identity_decomposerEEEEE10hipError_tT0_T1_T2_jT3_P12ihipStream_tbPNSt15iterator_traitsISK_E10value_typeEPNSQ_ISL_E10value_typeEPSM_NS1_7vsmem_tEENKUlT_SK_SL_SM_E_clISE_PiSF_SF_EESJ_SZ_SK_SL_SM_EUlSZ_E0_NS1_11comp_targetILNS1_3genE0ELNS1_11target_archE4294967295ELNS1_3gpuE0ELNS1_3repE0EEENS1_38merge_mergepath_config_static_selectorELNS0_4arch9wavefront6targetE1EEEvSL_,comdat
.Lfunc_end302:
	.size	_ZN7rocprim17ROCPRIM_400000_NS6detail17trampoline_kernelINS0_14default_configENS1_38merge_sort_block_merge_config_selectorIiNS0_10empty_typeEEEZZNS1_27merge_sort_block_merge_implIS3_N6thrust23THRUST_200600_302600_NS6detail15normal_iteratorINS9_10device_ptrIiEEEEPS5_jNS1_19radix_merge_compareILb1ELb1EiNS0_19identity_decomposerEEEEE10hipError_tT0_T1_T2_jT3_P12ihipStream_tbPNSt15iterator_traitsISK_E10value_typeEPNSQ_ISL_E10value_typeEPSM_NS1_7vsmem_tEENKUlT_SK_SL_SM_E_clISE_PiSF_SF_EESJ_SZ_SK_SL_SM_EUlSZ_E0_NS1_11comp_targetILNS1_3genE0ELNS1_11target_archE4294967295ELNS1_3gpuE0ELNS1_3repE0EEENS1_38merge_mergepath_config_static_selectorELNS0_4arch9wavefront6targetE1EEEvSL_, .Lfunc_end302-_ZN7rocprim17ROCPRIM_400000_NS6detail17trampoline_kernelINS0_14default_configENS1_38merge_sort_block_merge_config_selectorIiNS0_10empty_typeEEEZZNS1_27merge_sort_block_merge_implIS3_N6thrust23THRUST_200600_302600_NS6detail15normal_iteratorINS9_10device_ptrIiEEEEPS5_jNS1_19radix_merge_compareILb1ELb1EiNS0_19identity_decomposerEEEEE10hipError_tT0_T1_T2_jT3_P12ihipStream_tbPNSt15iterator_traitsISK_E10value_typeEPNSQ_ISL_E10value_typeEPSM_NS1_7vsmem_tEENKUlT_SK_SL_SM_E_clISE_PiSF_SF_EESJ_SZ_SK_SL_SM_EUlSZ_E0_NS1_11comp_targetILNS1_3genE0ELNS1_11target_archE4294967295ELNS1_3gpuE0ELNS1_3repE0EEENS1_38merge_mergepath_config_static_selectorELNS0_4arch9wavefront6targetE1EEEvSL_
                                        ; -- End function
	.set _ZN7rocprim17ROCPRIM_400000_NS6detail17trampoline_kernelINS0_14default_configENS1_38merge_sort_block_merge_config_selectorIiNS0_10empty_typeEEEZZNS1_27merge_sort_block_merge_implIS3_N6thrust23THRUST_200600_302600_NS6detail15normal_iteratorINS9_10device_ptrIiEEEEPS5_jNS1_19radix_merge_compareILb1ELb1EiNS0_19identity_decomposerEEEEE10hipError_tT0_T1_T2_jT3_P12ihipStream_tbPNSt15iterator_traitsISK_E10value_typeEPNSQ_ISL_E10value_typeEPSM_NS1_7vsmem_tEENKUlT_SK_SL_SM_E_clISE_PiSF_SF_EESJ_SZ_SK_SL_SM_EUlSZ_E0_NS1_11comp_targetILNS1_3genE0ELNS1_11target_archE4294967295ELNS1_3gpuE0ELNS1_3repE0EEENS1_38merge_mergepath_config_static_selectorELNS0_4arch9wavefront6targetE1EEEvSL_.num_vgpr, 26
	.set _ZN7rocprim17ROCPRIM_400000_NS6detail17trampoline_kernelINS0_14default_configENS1_38merge_sort_block_merge_config_selectorIiNS0_10empty_typeEEEZZNS1_27merge_sort_block_merge_implIS3_N6thrust23THRUST_200600_302600_NS6detail15normal_iteratorINS9_10device_ptrIiEEEEPS5_jNS1_19radix_merge_compareILb1ELb1EiNS0_19identity_decomposerEEEEE10hipError_tT0_T1_T2_jT3_P12ihipStream_tbPNSt15iterator_traitsISK_E10value_typeEPNSQ_ISL_E10value_typeEPSM_NS1_7vsmem_tEENKUlT_SK_SL_SM_E_clISE_PiSF_SF_EESJ_SZ_SK_SL_SM_EUlSZ_E0_NS1_11comp_targetILNS1_3genE0ELNS1_11target_archE4294967295ELNS1_3gpuE0ELNS1_3repE0EEENS1_38merge_mergepath_config_static_selectorELNS0_4arch9wavefront6targetE1EEEvSL_.num_agpr, 0
	.set _ZN7rocprim17ROCPRIM_400000_NS6detail17trampoline_kernelINS0_14default_configENS1_38merge_sort_block_merge_config_selectorIiNS0_10empty_typeEEEZZNS1_27merge_sort_block_merge_implIS3_N6thrust23THRUST_200600_302600_NS6detail15normal_iteratorINS9_10device_ptrIiEEEEPS5_jNS1_19radix_merge_compareILb1ELb1EiNS0_19identity_decomposerEEEEE10hipError_tT0_T1_T2_jT3_P12ihipStream_tbPNSt15iterator_traitsISK_E10value_typeEPNSQ_ISL_E10value_typeEPSM_NS1_7vsmem_tEENKUlT_SK_SL_SM_E_clISE_PiSF_SF_EESJ_SZ_SK_SL_SM_EUlSZ_E0_NS1_11comp_targetILNS1_3genE0ELNS1_11target_archE4294967295ELNS1_3gpuE0ELNS1_3repE0EEENS1_38merge_mergepath_config_static_selectorELNS0_4arch9wavefront6targetE1EEEvSL_.numbered_sgpr, 25
	.set _ZN7rocprim17ROCPRIM_400000_NS6detail17trampoline_kernelINS0_14default_configENS1_38merge_sort_block_merge_config_selectorIiNS0_10empty_typeEEEZZNS1_27merge_sort_block_merge_implIS3_N6thrust23THRUST_200600_302600_NS6detail15normal_iteratorINS9_10device_ptrIiEEEEPS5_jNS1_19radix_merge_compareILb1ELb1EiNS0_19identity_decomposerEEEEE10hipError_tT0_T1_T2_jT3_P12ihipStream_tbPNSt15iterator_traitsISK_E10value_typeEPNSQ_ISL_E10value_typeEPSM_NS1_7vsmem_tEENKUlT_SK_SL_SM_E_clISE_PiSF_SF_EESJ_SZ_SK_SL_SM_EUlSZ_E0_NS1_11comp_targetILNS1_3genE0ELNS1_11target_archE4294967295ELNS1_3gpuE0ELNS1_3repE0EEENS1_38merge_mergepath_config_static_selectorELNS0_4arch9wavefront6targetE1EEEvSL_.num_named_barrier, 0
	.set _ZN7rocprim17ROCPRIM_400000_NS6detail17trampoline_kernelINS0_14default_configENS1_38merge_sort_block_merge_config_selectorIiNS0_10empty_typeEEEZZNS1_27merge_sort_block_merge_implIS3_N6thrust23THRUST_200600_302600_NS6detail15normal_iteratorINS9_10device_ptrIiEEEEPS5_jNS1_19radix_merge_compareILb1ELb1EiNS0_19identity_decomposerEEEEE10hipError_tT0_T1_T2_jT3_P12ihipStream_tbPNSt15iterator_traitsISK_E10value_typeEPNSQ_ISL_E10value_typeEPSM_NS1_7vsmem_tEENKUlT_SK_SL_SM_E_clISE_PiSF_SF_EESJ_SZ_SK_SL_SM_EUlSZ_E0_NS1_11comp_targetILNS1_3genE0ELNS1_11target_archE4294967295ELNS1_3gpuE0ELNS1_3repE0EEENS1_38merge_mergepath_config_static_selectorELNS0_4arch9wavefront6targetE1EEEvSL_.private_seg_size, 0
	.set _ZN7rocprim17ROCPRIM_400000_NS6detail17trampoline_kernelINS0_14default_configENS1_38merge_sort_block_merge_config_selectorIiNS0_10empty_typeEEEZZNS1_27merge_sort_block_merge_implIS3_N6thrust23THRUST_200600_302600_NS6detail15normal_iteratorINS9_10device_ptrIiEEEEPS5_jNS1_19radix_merge_compareILb1ELb1EiNS0_19identity_decomposerEEEEE10hipError_tT0_T1_T2_jT3_P12ihipStream_tbPNSt15iterator_traitsISK_E10value_typeEPNSQ_ISL_E10value_typeEPSM_NS1_7vsmem_tEENKUlT_SK_SL_SM_E_clISE_PiSF_SF_EESJ_SZ_SK_SL_SM_EUlSZ_E0_NS1_11comp_targetILNS1_3genE0ELNS1_11target_archE4294967295ELNS1_3gpuE0ELNS1_3repE0EEENS1_38merge_mergepath_config_static_selectorELNS0_4arch9wavefront6targetE1EEEvSL_.uses_vcc, 1
	.set _ZN7rocprim17ROCPRIM_400000_NS6detail17trampoline_kernelINS0_14default_configENS1_38merge_sort_block_merge_config_selectorIiNS0_10empty_typeEEEZZNS1_27merge_sort_block_merge_implIS3_N6thrust23THRUST_200600_302600_NS6detail15normal_iteratorINS9_10device_ptrIiEEEEPS5_jNS1_19radix_merge_compareILb1ELb1EiNS0_19identity_decomposerEEEEE10hipError_tT0_T1_T2_jT3_P12ihipStream_tbPNSt15iterator_traitsISK_E10value_typeEPNSQ_ISL_E10value_typeEPSM_NS1_7vsmem_tEENKUlT_SK_SL_SM_E_clISE_PiSF_SF_EESJ_SZ_SK_SL_SM_EUlSZ_E0_NS1_11comp_targetILNS1_3genE0ELNS1_11target_archE4294967295ELNS1_3gpuE0ELNS1_3repE0EEENS1_38merge_mergepath_config_static_selectorELNS0_4arch9wavefront6targetE1EEEvSL_.uses_flat_scratch, 0
	.set _ZN7rocprim17ROCPRIM_400000_NS6detail17trampoline_kernelINS0_14default_configENS1_38merge_sort_block_merge_config_selectorIiNS0_10empty_typeEEEZZNS1_27merge_sort_block_merge_implIS3_N6thrust23THRUST_200600_302600_NS6detail15normal_iteratorINS9_10device_ptrIiEEEEPS5_jNS1_19radix_merge_compareILb1ELb1EiNS0_19identity_decomposerEEEEE10hipError_tT0_T1_T2_jT3_P12ihipStream_tbPNSt15iterator_traitsISK_E10value_typeEPNSQ_ISL_E10value_typeEPSM_NS1_7vsmem_tEENKUlT_SK_SL_SM_E_clISE_PiSF_SF_EESJ_SZ_SK_SL_SM_EUlSZ_E0_NS1_11comp_targetILNS1_3genE0ELNS1_11target_archE4294967295ELNS1_3gpuE0ELNS1_3repE0EEENS1_38merge_mergepath_config_static_selectorELNS0_4arch9wavefront6targetE1EEEvSL_.has_dyn_sized_stack, 0
	.set _ZN7rocprim17ROCPRIM_400000_NS6detail17trampoline_kernelINS0_14default_configENS1_38merge_sort_block_merge_config_selectorIiNS0_10empty_typeEEEZZNS1_27merge_sort_block_merge_implIS3_N6thrust23THRUST_200600_302600_NS6detail15normal_iteratorINS9_10device_ptrIiEEEEPS5_jNS1_19radix_merge_compareILb1ELb1EiNS0_19identity_decomposerEEEEE10hipError_tT0_T1_T2_jT3_P12ihipStream_tbPNSt15iterator_traitsISK_E10value_typeEPNSQ_ISL_E10value_typeEPSM_NS1_7vsmem_tEENKUlT_SK_SL_SM_E_clISE_PiSF_SF_EESJ_SZ_SK_SL_SM_EUlSZ_E0_NS1_11comp_targetILNS1_3genE0ELNS1_11target_archE4294967295ELNS1_3gpuE0ELNS1_3repE0EEENS1_38merge_mergepath_config_static_selectorELNS0_4arch9wavefront6targetE1EEEvSL_.has_recursion, 0
	.set _ZN7rocprim17ROCPRIM_400000_NS6detail17trampoline_kernelINS0_14default_configENS1_38merge_sort_block_merge_config_selectorIiNS0_10empty_typeEEEZZNS1_27merge_sort_block_merge_implIS3_N6thrust23THRUST_200600_302600_NS6detail15normal_iteratorINS9_10device_ptrIiEEEEPS5_jNS1_19radix_merge_compareILb1ELb1EiNS0_19identity_decomposerEEEEE10hipError_tT0_T1_T2_jT3_P12ihipStream_tbPNSt15iterator_traitsISK_E10value_typeEPNSQ_ISL_E10value_typeEPSM_NS1_7vsmem_tEENKUlT_SK_SL_SM_E_clISE_PiSF_SF_EESJ_SZ_SK_SL_SM_EUlSZ_E0_NS1_11comp_targetILNS1_3genE0ELNS1_11target_archE4294967295ELNS1_3gpuE0ELNS1_3repE0EEENS1_38merge_mergepath_config_static_selectorELNS0_4arch9wavefront6targetE1EEEvSL_.has_indirect_call, 0
	.section	.AMDGPU.csdata,"",@progbits
; Kernel info:
; codeLenInByte = 3288
; TotalNumSgprs: 31
; NumVgprs: 26
; NumAgprs: 0
; TotalNumVgprs: 26
; ScratchSize: 0
; MemoryBound: 0
; FloatMode: 240
; IeeeMode: 1
; LDSByteSize: 4224 bytes/workgroup (compile time only)
; SGPRBlocks: 3
; VGPRBlocks: 3
; NumSGPRsForWavesPerEU: 31
; NumVGPRsForWavesPerEU: 26
; AccumOffset: 28
; Occupancy: 8
; WaveLimiterHint : 1
; COMPUTE_PGM_RSRC2:SCRATCH_EN: 0
; COMPUTE_PGM_RSRC2:USER_SGPR: 2
; COMPUTE_PGM_RSRC2:TRAP_HANDLER: 0
; COMPUTE_PGM_RSRC2:TGID_X_EN: 1
; COMPUTE_PGM_RSRC2:TGID_Y_EN: 1
; COMPUTE_PGM_RSRC2:TGID_Z_EN: 1
; COMPUTE_PGM_RSRC2:TIDIG_COMP_CNT: 0
; COMPUTE_PGM_RSRC3_GFX90A:ACCUM_OFFSET: 6
; COMPUTE_PGM_RSRC3_GFX90A:TG_SPLIT: 0
	.section	.text._ZN7rocprim17ROCPRIM_400000_NS6detail17trampoline_kernelINS0_14default_configENS1_38merge_sort_block_merge_config_selectorIiNS0_10empty_typeEEEZZNS1_27merge_sort_block_merge_implIS3_N6thrust23THRUST_200600_302600_NS6detail15normal_iteratorINS9_10device_ptrIiEEEEPS5_jNS1_19radix_merge_compareILb1ELb1EiNS0_19identity_decomposerEEEEE10hipError_tT0_T1_T2_jT3_P12ihipStream_tbPNSt15iterator_traitsISK_E10value_typeEPNSQ_ISL_E10value_typeEPSM_NS1_7vsmem_tEENKUlT_SK_SL_SM_E_clISE_PiSF_SF_EESJ_SZ_SK_SL_SM_EUlSZ_E0_NS1_11comp_targetILNS1_3genE10ELNS1_11target_archE1201ELNS1_3gpuE5ELNS1_3repE0EEENS1_38merge_mergepath_config_static_selectorELNS0_4arch9wavefront6targetE1EEEvSL_,"axG",@progbits,_ZN7rocprim17ROCPRIM_400000_NS6detail17trampoline_kernelINS0_14default_configENS1_38merge_sort_block_merge_config_selectorIiNS0_10empty_typeEEEZZNS1_27merge_sort_block_merge_implIS3_N6thrust23THRUST_200600_302600_NS6detail15normal_iteratorINS9_10device_ptrIiEEEEPS5_jNS1_19radix_merge_compareILb1ELb1EiNS0_19identity_decomposerEEEEE10hipError_tT0_T1_T2_jT3_P12ihipStream_tbPNSt15iterator_traitsISK_E10value_typeEPNSQ_ISL_E10value_typeEPSM_NS1_7vsmem_tEENKUlT_SK_SL_SM_E_clISE_PiSF_SF_EESJ_SZ_SK_SL_SM_EUlSZ_E0_NS1_11comp_targetILNS1_3genE10ELNS1_11target_archE1201ELNS1_3gpuE5ELNS1_3repE0EEENS1_38merge_mergepath_config_static_selectorELNS0_4arch9wavefront6targetE1EEEvSL_,comdat
	.protected	_ZN7rocprim17ROCPRIM_400000_NS6detail17trampoline_kernelINS0_14default_configENS1_38merge_sort_block_merge_config_selectorIiNS0_10empty_typeEEEZZNS1_27merge_sort_block_merge_implIS3_N6thrust23THRUST_200600_302600_NS6detail15normal_iteratorINS9_10device_ptrIiEEEEPS5_jNS1_19radix_merge_compareILb1ELb1EiNS0_19identity_decomposerEEEEE10hipError_tT0_T1_T2_jT3_P12ihipStream_tbPNSt15iterator_traitsISK_E10value_typeEPNSQ_ISL_E10value_typeEPSM_NS1_7vsmem_tEENKUlT_SK_SL_SM_E_clISE_PiSF_SF_EESJ_SZ_SK_SL_SM_EUlSZ_E0_NS1_11comp_targetILNS1_3genE10ELNS1_11target_archE1201ELNS1_3gpuE5ELNS1_3repE0EEENS1_38merge_mergepath_config_static_selectorELNS0_4arch9wavefront6targetE1EEEvSL_ ; -- Begin function _ZN7rocprim17ROCPRIM_400000_NS6detail17trampoline_kernelINS0_14default_configENS1_38merge_sort_block_merge_config_selectorIiNS0_10empty_typeEEEZZNS1_27merge_sort_block_merge_implIS3_N6thrust23THRUST_200600_302600_NS6detail15normal_iteratorINS9_10device_ptrIiEEEEPS5_jNS1_19radix_merge_compareILb1ELb1EiNS0_19identity_decomposerEEEEE10hipError_tT0_T1_T2_jT3_P12ihipStream_tbPNSt15iterator_traitsISK_E10value_typeEPNSQ_ISL_E10value_typeEPSM_NS1_7vsmem_tEENKUlT_SK_SL_SM_E_clISE_PiSF_SF_EESJ_SZ_SK_SL_SM_EUlSZ_E0_NS1_11comp_targetILNS1_3genE10ELNS1_11target_archE1201ELNS1_3gpuE5ELNS1_3repE0EEENS1_38merge_mergepath_config_static_selectorELNS0_4arch9wavefront6targetE1EEEvSL_
	.globl	_ZN7rocprim17ROCPRIM_400000_NS6detail17trampoline_kernelINS0_14default_configENS1_38merge_sort_block_merge_config_selectorIiNS0_10empty_typeEEEZZNS1_27merge_sort_block_merge_implIS3_N6thrust23THRUST_200600_302600_NS6detail15normal_iteratorINS9_10device_ptrIiEEEEPS5_jNS1_19radix_merge_compareILb1ELb1EiNS0_19identity_decomposerEEEEE10hipError_tT0_T1_T2_jT3_P12ihipStream_tbPNSt15iterator_traitsISK_E10value_typeEPNSQ_ISL_E10value_typeEPSM_NS1_7vsmem_tEENKUlT_SK_SL_SM_E_clISE_PiSF_SF_EESJ_SZ_SK_SL_SM_EUlSZ_E0_NS1_11comp_targetILNS1_3genE10ELNS1_11target_archE1201ELNS1_3gpuE5ELNS1_3repE0EEENS1_38merge_mergepath_config_static_selectorELNS0_4arch9wavefront6targetE1EEEvSL_
	.p2align	8
	.type	_ZN7rocprim17ROCPRIM_400000_NS6detail17trampoline_kernelINS0_14default_configENS1_38merge_sort_block_merge_config_selectorIiNS0_10empty_typeEEEZZNS1_27merge_sort_block_merge_implIS3_N6thrust23THRUST_200600_302600_NS6detail15normal_iteratorINS9_10device_ptrIiEEEEPS5_jNS1_19radix_merge_compareILb1ELb1EiNS0_19identity_decomposerEEEEE10hipError_tT0_T1_T2_jT3_P12ihipStream_tbPNSt15iterator_traitsISK_E10value_typeEPNSQ_ISL_E10value_typeEPSM_NS1_7vsmem_tEENKUlT_SK_SL_SM_E_clISE_PiSF_SF_EESJ_SZ_SK_SL_SM_EUlSZ_E0_NS1_11comp_targetILNS1_3genE10ELNS1_11target_archE1201ELNS1_3gpuE5ELNS1_3repE0EEENS1_38merge_mergepath_config_static_selectorELNS0_4arch9wavefront6targetE1EEEvSL_,@function
_ZN7rocprim17ROCPRIM_400000_NS6detail17trampoline_kernelINS0_14default_configENS1_38merge_sort_block_merge_config_selectorIiNS0_10empty_typeEEEZZNS1_27merge_sort_block_merge_implIS3_N6thrust23THRUST_200600_302600_NS6detail15normal_iteratorINS9_10device_ptrIiEEEEPS5_jNS1_19radix_merge_compareILb1ELb1EiNS0_19identity_decomposerEEEEE10hipError_tT0_T1_T2_jT3_P12ihipStream_tbPNSt15iterator_traitsISK_E10value_typeEPNSQ_ISL_E10value_typeEPSM_NS1_7vsmem_tEENKUlT_SK_SL_SM_E_clISE_PiSF_SF_EESJ_SZ_SK_SL_SM_EUlSZ_E0_NS1_11comp_targetILNS1_3genE10ELNS1_11target_archE1201ELNS1_3gpuE5ELNS1_3repE0EEENS1_38merge_mergepath_config_static_selectorELNS0_4arch9wavefront6targetE1EEEvSL_: ; @_ZN7rocprim17ROCPRIM_400000_NS6detail17trampoline_kernelINS0_14default_configENS1_38merge_sort_block_merge_config_selectorIiNS0_10empty_typeEEEZZNS1_27merge_sort_block_merge_implIS3_N6thrust23THRUST_200600_302600_NS6detail15normal_iteratorINS9_10device_ptrIiEEEEPS5_jNS1_19radix_merge_compareILb1ELb1EiNS0_19identity_decomposerEEEEE10hipError_tT0_T1_T2_jT3_P12ihipStream_tbPNSt15iterator_traitsISK_E10value_typeEPNSQ_ISL_E10value_typeEPSM_NS1_7vsmem_tEENKUlT_SK_SL_SM_E_clISE_PiSF_SF_EESJ_SZ_SK_SL_SM_EUlSZ_E0_NS1_11comp_targetILNS1_3genE10ELNS1_11target_archE1201ELNS1_3gpuE5ELNS1_3repE0EEENS1_38merge_mergepath_config_static_selectorELNS0_4arch9wavefront6targetE1EEEvSL_
; %bb.0:
	.section	.rodata,"a",@progbits
	.p2align	6, 0x0
	.amdhsa_kernel _ZN7rocprim17ROCPRIM_400000_NS6detail17trampoline_kernelINS0_14default_configENS1_38merge_sort_block_merge_config_selectorIiNS0_10empty_typeEEEZZNS1_27merge_sort_block_merge_implIS3_N6thrust23THRUST_200600_302600_NS6detail15normal_iteratorINS9_10device_ptrIiEEEEPS5_jNS1_19radix_merge_compareILb1ELb1EiNS0_19identity_decomposerEEEEE10hipError_tT0_T1_T2_jT3_P12ihipStream_tbPNSt15iterator_traitsISK_E10value_typeEPNSQ_ISL_E10value_typeEPSM_NS1_7vsmem_tEENKUlT_SK_SL_SM_E_clISE_PiSF_SF_EESJ_SZ_SK_SL_SM_EUlSZ_E0_NS1_11comp_targetILNS1_3genE10ELNS1_11target_archE1201ELNS1_3gpuE5ELNS1_3repE0EEENS1_38merge_mergepath_config_static_selectorELNS0_4arch9wavefront6targetE1EEEvSL_
		.amdhsa_group_segment_fixed_size 0
		.amdhsa_private_segment_fixed_size 0
		.amdhsa_kernarg_size 64
		.amdhsa_user_sgpr_count 2
		.amdhsa_user_sgpr_dispatch_ptr 0
		.amdhsa_user_sgpr_queue_ptr 0
		.amdhsa_user_sgpr_kernarg_segment_ptr 1
		.amdhsa_user_sgpr_dispatch_id 0
		.amdhsa_user_sgpr_kernarg_preload_length 0
		.amdhsa_user_sgpr_kernarg_preload_offset 0
		.amdhsa_user_sgpr_private_segment_size 0
		.amdhsa_uses_dynamic_stack 0
		.amdhsa_enable_private_segment 0
		.amdhsa_system_sgpr_workgroup_id_x 1
		.amdhsa_system_sgpr_workgroup_id_y 0
		.amdhsa_system_sgpr_workgroup_id_z 0
		.amdhsa_system_sgpr_workgroup_info 0
		.amdhsa_system_vgpr_workitem_id 0
		.amdhsa_next_free_vgpr 1
		.amdhsa_next_free_sgpr 0
		.amdhsa_accum_offset 4
		.amdhsa_reserve_vcc 0
		.amdhsa_float_round_mode_32 0
		.amdhsa_float_round_mode_16_64 0
		.amdhsa_float_denorm_mode_32 3
		.amdhsa_float_denorm_mode_16_64 3
		.amdhsa_dx10_clamp 1
		.amdhsa_ieee_mode 1
		.amdhsa_fp16_overflow 0
		.amdhsa_tg_split 0
		.amdhsa_exception_fp_ieee_invalid_op 0
		.amdhsa_exception_fp_denorm_src 0
		.amdhsa_exception_fp_ieee_div_zero 0
		.amdhsa_exception_fp_ieee_overflow 0
		.amdhsa_exception_fp_ieee_underflow 0
		.amdhsa_exception_fp_ieee_inexact 0
		.amdhsa_exception_int_div_zero 0
	.end_amdhsa_kernel
	.section	.text._ZN7rocprim17ROCPRIM_400000_NS6detail17trampoline_kernelINS0_14default_configENS1_38merge_sort_block_merge_config_selectorIiNS0_10empty_typeEEEZZNS1_27merge_sort_block_merge_implIS3_N6thrust23THRUST_200600_302600_NS6detail15normal_iteratorINS9_10device_ptrIiEEEEPS5_jNS1_19radix_merge_compareILb1ELb1EiNS0_19identity_decomposerEEEEE10hipError_tT0_T1_T2_jT3_P12ihipStream_tbPNSt15iterator_traitsISK_E10value_typeEPNSQ_ISL_E10value_typeEPSM_NS1_7vsmem_tEENKUlT_SK_SL_SM_E_clISE_PiSF_SF_EESJ_SZ_SK_SL_SM_EUlSZ_E0_NS1_11comp_targetILNS1_3genE10ELNS1_11target_archE1201ELNS1_3gpuE5ELNS1_3repE0EEENS1_38merge_mergepath_config_static_selectorELNS0_4arch9wavefront6targetE1EEEvSL_,"axG",@progbits,_ZN7rocprim17ROCPRIM_400000_NS6detail17trampoline_kernelINS0_14default_configENS1_38merge_sort_block_merge_config_selectorIiNS0_10empty_typeEEEZZNS1_27merge_sort_block_merge_implIS3_N6thrust23THRUST_200600_302600_NS6detail15normal_iteratorINS9_10device_ptrIiEEEEPS5_jNS1_19radix_merge_compareILb1ELb1EiNS0_19identity_decomposerEEEEE10hipError_tT0_T1_T2_jT3_P12ihipStream_tbPNSt15iterator_traitsISK_E10value_typeEPNSQ_ISL_E10value_typeEPSM_NS1_7vsmem_tEENKUlT_SK_SL_SM_E_clISE_PiSF_SF_EESJ_SZ_SK_SL_SM_EUlSZ_E0_NS1_11comp_targetILNS1_3genE10ELNS1_11target_archE1201ELNS1_3gpuE5ELNS1_3repE0EEENS1_38merge_mergepath_config_static_selectorELNS0_4arch9wavefront6targetE1EEEvSL_,comdat
.Lfunc_end303:
	.size	_ZN7rocprim17ROCPRIM_400000_NS6detail17trampoline_kernelINS0_14default_configENS1_38merge_sort_block_merge_config_selectorIiNS0_10empty_typeEEEZZNS1_27merge_sort_block_merge_implIS3_N6thrust23THRUST_200600_302600_NS6detail15normal_iteratorINS9_10device_ptrIiEEEEPS5_jNS1_19radix_merge_compareILb1ELb1EiNS0_19identity_decomposerEEEEE10hipError_tT0_T1_T2_jT3_P12ihipStream_tbPNSt15iterator_traitsISK_E10value_typeEPNSQ_ISL_E10value_typeEPSM_NS1_7vsmem_tEENKUlT_SK_SL_SM_E_clISE_PiSF_SF_EESJ_SZ_SK_SL_SM_EUlSZ_E0_NS1_11comp_targetILNS1_3genE10ELNS1_11target_archE1201ELNS1_3gpuE5ELNS1_3repE0EEENS1_38merge_mergepath_config_static_selectorELNS0_4arch9wavefront6targetE1EEEvSL_, .Lfunc_end303-_ZN7rocprim17ROCPRIM_400000_NS6detail17trampoline_kernelINS0_14default_configENS1_38merge_sort_block_merge_config_selectorIiNS0_10empty_typeEEEZZNS1_27merge_sort_block_merge_implIS3_N6thrust23THRUST_200600_302600_NS6detail15normal_iteratorINS9_10device_ptrIiEEEEPS5_jNS1_19radix_merge_compareILb1ELb1EiNS0_19identity_decomposerEEEEE10hipError_tT0_T1_T2_jT3_P12ihipStream_tbPNSt15iterator_traitsISK_E10value_typeEPNSQ_ISL_E10value_typeEPSM_NS1_7vsmem_tEENKUlT_SK_SL_SM_E_clISE_PiSF_SF_EESJ_SZ_SK_SL_SM_EUlSZ_E0_NS1_11comp_targetILNS1_3genE10ELNS1_11target_archE1201ELNS1_3gpuE5ELNS1_3repE0EEENS1_38merge_mergepath_config_static_selectorELNS0_4arch9wavefront6targetE1EEEvSL_
                                        ; -- End function
	.set _ZN7rocprim17ROCPRIM_400000_NS6detail17trampoline_kernelINS0_14default_configENS1_38merge_sort_block_merge_config_selectorIiNS0_10empty_typeEEEZZNS1_27merge_sort_block_merge_implIS3_N6thrust23THRUST_200600_302600_NS6detail15normal_iteratorINS9_10device_ptrIiEEEEPS5_jNS1_19radix_merge_compareILb1ELb1EiNS0_19identity_decomposerEEEEE10hipError_tT0_T1_T2_jT3_P12ihipStream_tbPNSt15iterator_traitsISK_E10value_typeEPNSQ_ISL_E10value_typeEPSM_NS1_7vsmem_tEENKUlT_SK_SL_SM_E_clISE_PiSF_SF_EESJ_SZ_SK_SL_SM_EUlSZ_E0_NS1_11comp_targetILNS1_3genE10ELNS1_11target_archE1201ELNS1_3gpuE5ELNS1_3repE0EEENS1_38merge_mergepath_config_static_selectorELNS0_4arch9wavefront6targetE1EEEvSL_.num_vgpr, 0
	.set _ZN7rocprim17ROCPRIM_400000_NS6detail17trampoline_kernelINS0_14default_configENS1_38merge_sort_block_merge_config_selectorIiNS0_10empty_typeEEEZZNS1_27merge_sort_block_merge_implIS3_N6thrust23THRUST_200600_302600_NS6detail15normal_iteratorINS9_10device_ptrIiEEEEPS5_jNS1_19radix_merge_compareILb1ELb1EiNS0_19identity_decomposerEEEEE10hipError_tT0_T1_T2_jT3_P12ihipStream_tbPNSt15iterator_traitsISK_E10value_typeEPNSQ_ISL_E10value_typeEPSM_NS1_7vsmem_tEENKUlT_SK_SL_SM_E_clISE_PiSF_SF_EESJ_SZ_SK_SL_SM_EUlSZ_E0_NS1_11comp_targetILNS1_3genE10ELNS1_11target_archE1201ELNS1_3gpuE5ELNS1_3repE0EEENS1_38merge_mergepath_config_static_selectorELNS0_4arch9wavefront6targetE1EEEvSL_.num_agpr, 0
	.set _ZN7rocprim17ROCPRIM_400000_NS6detail17trampoline_kernelINS0_14default_configENS1_38merge_sort_block_merge_config_selectorIiNS0_10empty_typeEEEZZNS1_27merge_sort_block_merge_implIS3_N6thrust23THRUST_200600_302600_NS6detail15normal_iteratorINS9_10device_ptrIiEEEEPS5_jNS1_19radix_merge_compareILb1ELb1EiNS0_19identity_decomposerEEEEE10hipError_tT0_T1_T2_jT3_P12ihipStream_tbPNSt15iterator_traitsISK_E10value_typeEPNSQ_ISL_E10value_typeEPSM_NS1_7vsmem_tEENKUlT_SK_SL_SM_E_clISE_PiSF_SF_EESJ_SZ_SK_SL_SM_EUlSZ_E0_NS1_11comp_targetILNS1_3genE10ELNS1_11target_archE1201ELNS1_3gpuE5ELNS1_3repE0EEENS1_38merge_mergepath_config_static_selectorELNS0_4arch9wavefront6targetE1EEEvSL_.numbered_sgpr, 0
	.set _ZN7rocprim17ROCPRIM_400000_NS6detail17trampoline_kernelINS0_14default_configENS1_38merge_sort_block_merge_config_selectorIiNS0_10empty_typeEEEZZNS1_27merge_sort_block_merge_implIS3_N6thrust23THRUST_200600_302600_NS6detail15normal_iteratorINS9_10device_ptrIiEEEEPS5_jNS1_19radix_merge_compareILb1ELb1EiNS0_19identity_decomposerEEEEE10hipError_tT0_T1_T2_jT3_P12ihipStream_tbPNSt15iterator_traitsISK_E10value_typeEPNSQ_ISL_E10value_typeEPSM_NS1_7vsmem_tEENKUlT_SK_SL_SM_E_clISE_PiSF_SF_EESJ_SZ_SK_SL_SM_EUlSZ_E0_NS1_11comp_targetILNS1_3genE10ELNS1_11target_archE1201ELNS1_3gpuE5ELNS1_3repE0EEENS1_38merge_mergepath_config_static_selectorELNS0_4arch9wavefront6targetE1EEEvSL_.num_named_barrier, 0
	.set _ZN7rocprim17ROCPRIM_400000_NS6detail17trampoline_kernelINS0_14default_configENS1_38merge_sort_block_merge_config_selectorIiNS0_10empty_typeEEEZZNS1_27merge_sort_block_merge_implIS3_N6thrust23THRUST_200600_302600_NS6detail15normal_iteratorINS9_10device_ptrIiEEEEPS5_jNS1_19radix_merge_compareILb1ELb1EiNS0_19identity_decomposerEEEEE10hipError_tT0_T1_T2_jT3_P12ihipStream_tbPNSt15iterator_traitsISK_E10value_typeEPNSQ_ISL_E10value_typeEPSM_NS1_7vsmem_tEENKUlT_SK_SL_SM_E_clISE_PiSF_SF_EESJ_SZ_SK_SL_SM_EUlSZ_E0_NS1_11comp_targetILNS1_3genE10ELNS1_11target_archE1201ELNS1_3gpuE5ELNS1_3repE0EEENS1_38merge_mergepath_config_static_selectorELNS0_4arch9wavefront6targetE1EEEvSL_.private_seg_size, 0
	.set _ZN7rocprim17ROCPRIM_400000_NS6detail17trampoline_kernelINS0_14default_configENS1_38merge_sort_block_merge_config_selectorIiNS0_10empty_typeEEEZZNS1_27merge_sort_block_merge_implIS3_N6thrust23THRUST_200600_302600_NS6detail15normal_iteratorINS9_10device_ptrIiEEEEPS5_jNS1_19radix_merge_compareILb1ELb1EiNS0_19identity_decomposerEEEEE10hipError_tT0_T1_T2_jT3_P12ihipStream_tbPNSt15iterator_traitsISK_E10value_typeEPNSQ_ISL_E10value_typeEPSM_NS1_7vsmem_tEENKUlT_SK_SL_SM_E_clISE_PiSF_SF_EESJ_SZ_SK_SL_SM_EUlSZ_E0_NS1_11comp_targetILNS1_3genE10ELNS1_11target_archE1201ELNS1_3gpuE5ELNS1_3repE0EEENS1_38merge_mergepath_config_static_selectorELNS0_4arch9wavefront6targetE1EEEvSL_.uses_vcc, 0
	.set _ZN7rocprim17ROCPRIM_400000_NS6detail17trampoline_kernelINS0_14default_configENS1_38merge_sort_block_merge_config_selectorIiNS0_10empty_typeEEEZZNS1_27merge_sort_block_merge_implIS3_N6thrust23THRUST_200600_302600_NS6detail15normal_iteratorINS9_10device_ptrIiEEEEPS5_jNS1_19radix_merge_compareILb1ELb1EiNS0_19identity_decomposerEEEEE10hipError_tT0_T1_T2_jT3_P12ihipStream_tbPNSt15iterator_traitsISK_E10value_typeEPNSQ_ISL_E10value_typeEPSM_NS1_7vsmem_tEENKUlT_SK_SL_SM_E_clISE_PiSF_SF_EESJ_SZ_SK_SL_SM_EUlSZ_E0_NS1_11comp_targetILNS1_3genE10ELNS1_11target_archE1201ELNS1_3gpuE5ELNS1_3repE0EEENS1_38merge_mergepath_config_static_selectorELNS0_4arch9wavefront6targetE1EEEvSL_.uses_flat_scratch, 0
	.set _ZN7rocprim17ROCPRIM_400000_NS6detail17trampoline_kernelINS0_14default_configENS1_38merge_sort_block_merge_config_selectorIiNS0_10empty_typeEEEZZNS1_27merge_sort_block_merge_implIS3_N6thrust23THRUST_200600_302600_NS6detail15normal_iteratorINS9_10device_ptrIiEEEEPS5_jNS1_19radix_merge_compareILb1ELb1EiNS0_19identity_decomposerEEEEE10hipError_tT0_T1_T2_jT3_P12ihipStream_tbPNSt15iterator_traitsISK_E10value_typeEPNSQ_ISL_E10value_typeEPSM_NS1_7vsmem_tEENKUlT_SK_SL_SM_E_clISE_PiSF_SF_EESJ_SZ_SK_SL_SM_EUlSZ_E0_NS1_11comp_targetILNS1_3genE10ELNS1_11target_archE1201ELNS1_3gpuE5ELNS1_3repE0EEENS1_38merge_mergepath_config_static_selectorELNS0_4arch9wavefront6targetE1EEEvSL_.has_dyn_sized_stack, 0
	.set _ZN7rocprim17ROCPRIM_400000_NS6detail17trampoline_kernelINS0_14default_configENS1_38merge_sort_block_merge_config_selectorIiNS0_10empty_typeEEEZZNS1_27merge_sort_block_merge_implIS3_N6thrust23THRUST_200600_302600_NS6detail15normal_iteratorINS9_10device_ptrIiEEEEPS5_jNS1_19radix_merge_compareILb1ELb1EiNS0_19identity_decomposerEEEEE10hipError_tT0_T1_T2_jT3_P12ihipStream_tbPNSt15iterator_traitsISK_E10value_typeEPNSQ_ISL_E10value_typeEPSM_NS1_7vsmem_tEENKUlT_SK_SL_SM_E_clISE_PiSF_SF_EESJ_SZ_SK_SL_SM_EUlSZ_E0_NS1_11comp_targetILNS1_3genE10ELNS1_11target_archE1201ELNS1_3gpuE5ELNS1_3repE0EEENS1_38merge_mergepath_config_static_selectorELNS0_4arch9wavefront6targetE1EEEvSL_.has_recursion, 0
	.set _ZN7rocprim17ROCPRIM_400000_NS6detail17trampoline_kernelINS0_14default_configENS1_38merge_sort_block_merge_config_selectorIiNS0_10empty_typeEEEZZNS1_27merge_sort_block_merge_implIS3_N6thrust23THRUST_200600_302600_NS6detail15normal_iteratorINS9_10device_ptrIiEEEEPS5_jNS1_19radix_merge_compareILb1ELb1EiNS0_19identity_decomposerEEEEE10hipError_tT0_T1_T2_jT3_P12ihipStream_tbPNSt15iterator_traitsISK_E10value_typeEPNSQ_ISL_E10value_typeEPSM_NS1_7vsmem_tEENKUlT_SK_SL_SM_E_clISE_PiSF_SF_EESJ_SZ_SK_SL_SM_EUlSZ_E0_NS1_11comp_targetILNS1_3genE10ELNS1_11target_archE1201ELNS1_3gpuE5ELNS1_3repE0EEENS1_38merge_mergepath_config_static_selectorELNS0_4arch9wavefront6targetE1EEEvSL_.has_indirect_call, 0
	.section	.AMDGPU.csdata,"",@progbits
; Kernel info:
; codeLenInByte = 0
; TotalNumSgprs: 6
; NumVgprs: 0
; NumAgprs: 0
; TotalNumVgprs: 0
; ScratchSize: 0
; MemoryBound: 0
; FloatMode: 240
; IeeeMode: 1
; LDSByteSize: 0 bytes/workgroup (compile time only)
; SGPRBlocks: 0
; VGPRBlocks: 0
; NumSGPRsForWavesPerEU: 6
; NumVGPRsForWavesPerEU: 1
; AccumOffset: 4
; Occupancy: 8
; WaveLimiterHint : 0
; COMPUTE_PGM_RSRC2:SCRATCH_EN: 0
; COMPUTE_PGM_RSRC2:USER_SGPR: 2
; COMPUTE_PGM_RSRC2:TRAP_HANDLER: 0
; COMPUTE_PGM_RSRC2:TGID_X_EN: 1
; COMPUTE_PGM_RSRC2:TGID_Y_EN: 0
; COMPUTE_PGM_RSRC2:TGID_Z_EN: 0
; COMPUTE_PGM_RSRC2:TIDIG_COMP_CNT: 0
; COMPUTE_PGM_RSRC3_GFX90A:ACCUM_OFFSET: 0
; COMPUTE_PGM_RSRC3_GFX90A:TG_SPLIT: 0
	.section	.text._ZN7rocprim17ROCPRIM_400000_NS6detail17trampoline_kernelINS0_14default_configENS1_38merge_sort_block_merge_config_selectorIiNS0_10empty_typeEEEZZNS1_27merge_sort_block_merge_implIS3_N6thrust23THRUST_200600_302600_NS6detail15normal_iteratorINS9_10device_ptrIiEEEEPS5_jNS1_19radix_merge_compareILb1ELb1EiNS0_19identity_decomposerEEEEE10hipError_tT0_T1_T2_jT3_P12ihipStream_tbPNSt15iterator_traitsISK_E10value_typeEPNSQ_ISL_E10value_typeEPSM_NS1_7vsmem_tEENKUlT_SK_SL_SM_E_clISE_PiSF_SF_EESJ_SZ_SK_SL_SM_EUlSZ_E0_NS1_11comp_targetILNS1_3genE5ELNS1_11target_archE942ELNS1_3gpuE9ELNS1_3repE0EEENS1_38merge_mergepath_config_static_selectorELNS0_4arch9wavefront6targetE1EEEvSL_,"axG",@progbits,_ZN7rocprim17ROCPRIM_400000_NS6detail17trampoline_kernelINS0_14default_configENS1_38merge_sort_block_merge_config_selectorIiNS0_10empty_typeEEEZZNS1_27merge_sort_block_merge_implIS3_N6thrust23THRUST_200600_302600_NS6detail15normal_iteratorINS9_10device_ptrIiEEEEPS5_jNS1_19radix_merge_compareILb1ELb1EiNS0_19identity_decomposerEEEEE10hipError_tT0_T1_T2_jT3_P12ihipStream_tbPNSt15iterator_traitsISK_E10value_typeEPNSQ_ISL_E10value_typeEPSM_NS1_7vsmem_tEENKUlT_SK_SL_SM_E_clISE_PiSF_SF_EESJ_SZ_SK_SL_SM_EUlSZ_E0_NS1_11comp_targetILNS1_3genE5ELNS1_11target_archE942ELNS1_3gpuE9ELNS1_3repE0EEENS1_38merge_mergepath_config_static_selectorELNS0_4arch9wavefront6targetE1EEEvSL_,comdat
	.protected	_ZN7rocprim17ROCPRIM_400000_NS6detail17trampoline_kernelINS0_14default_configENS1_38merge_sort_block_merge_config_selectorIiNS0_10empty_typeEEEZZNS1_27merge_sort_block_merge_implIS3_N6thrust23THRUST_200600_302600_NS6detail15normal_iteratorINS9_10device_ptrIiEEEEPS5_jNS1_19radix_merge_compareILb1ELb1EiNS0_19identity_decomposerEEEEE10hipError_tT0_T1_T2_jT3_P12ihipStream_tbPNSt15iterator_traitsISK_E10value_typeEPNSQ_ISL_E10value_typeEPSM_NS1_7vsmem_tEENKUlT_SK_SL_SM_E_clISE_PiSF_SF_EESJ_SZ_SK_SL_SM_EUlSZ_E0_NS1_11comp_targetILNS1_3genE5ELNS1_11target_archE942ELNS1_3gpuE9ELNS1_3repE0EEENS1_38merge_mergepath_config_static_selectorELNS0_4arch9wavefront6targetE1EEEvSL_ ; -- Begin function _ZN7rocprim17ROCPRIM_400000_NS6detail17trampoline_kernelINS0_14default_configENS1_38merge_sort_block_merge_config_selectorIiNS0_10empty_typeEEEZZNS1_27merge_sort_block_merge_implIS3_N6thrust23THRUST_200600_302600_NS6detail15normal_iteratorINS9_10device_ptrIiEEEEPS5_jNS1_19radix_merge_compareILb1ELb1EiNS0_19identity_decomposerEEEEE10hipError_tT0_T1_T2_jT3_P12ihipStream_tbPNSt15iterator_traitsISK_E10value_typeEPNSQ_ISL_E10value_typeEPSM_NS1_7vsmem_tEENKUlT_SK_SL_SM_E_clISE_PiSF_SF_EESJ_SZ_SK_SL_SM_EUlSZ_E0_NS1_11comp_targetILNS1_3genE5ELNS1_11target_archE942ELNS1_3gpuE9ELNS1_3repE0EEENS1_38merge_mergepath_config_static_selectorELNS0_4arch9wavefront6targetE1EEEvSL_
	.globl	_ZN7rocprim17ROCPRIM_400000_NS6detail17trampoline_kernelINS0_14default_configENS1_38merge_sort_block_merge_config_selectorIiNS0_10empty_typeEEEZZNS1_27merge_sort_block_merge_implIS3_N6thrust23THRUST_200600_302600_NS6detail15normal_iteratorINS9_10device_ptrIiEEEEPS5_jNS1_19radix_merge_compareILb1ELb1EiNS0_19identity_decomposerEEEEE10hipError_tT0_T1_T2_jT3_P12ihipStream_tbPNSt15iterator_traitsISK_E10value_typeEPNSQ_ISL_E10value_typeEPSM_NS1_7vsmem_tEENKUlT_SK_SL_SM_E_clISE_PiSF_SF_EESJ_SZ_SK_SL_SM_EUlSZ_E0_NS1_11comp_targetILNS1_3genE5ELNS1_11target_archE942ELNS1_3gpuE9ELNS1_3repE0EEENS1_38merge_mergepath_config_static_selectorELNS0_4arch9wavefront6targetE1EEEvSL_
	.p2align	8
	.type	_ZN7rocprim17ROCPRIM_400000_NS6detail17trampoline_kernelINS0_14default_configENS1_38merge_sort_block_merge_config_selectorIiNS0_10empty_typeEEEZZNS1_27merge_sort_block_merge_implIS3_N6thrust23THRUST_200600_302600_NS6detail15normal_iteratorINS9_10device_ptrIiEEEEPS5_jNS1_19radix_merge_compareILb1ELb1EiNS0_19identity_decomposerEEEEE10hipError_tT0_T1_T2_jT3_P12ihipStream_tbPNSt15iterator_traitsISK_E10value_typeEPNSQ_ISL_E10value_typeEPSM_NS1_7vsmem_tEENKUlT_SK_SL_SM_E_clISE_PiSF_SF_EESJ_SZ_SK_SL_SM_EUlSZ_E0_NS1_11comp_targetILNS1_3genE5ELNS1_11target_archE942ELNS1_3gpuE9ELNS1_3repE0EEENS1_38merge_mergepath_config_static_selectorELNS0_4arch9wavefront6targetE1EEEvSL_,@function
_ZN7rocprim17ROCPRIM_400000_NS6detail17trampoline_kernelINS0_14default_configENS1_38merge_sort_block_merge_config_selectorIiNS0_10empty_typeEEEZZNS1_27merge_sort_block_merge_implIS3_N6thrust23THRUST_200600_302600_NS6detail15normal_iteratorINS9_10device_ptrIiEEEEPS5_jNS1_19radix_merge_compareILb1ELb1EiNS0_19identity_decomposerEEEEE10hipError_tT0_T1_T2_jT3_P12ihipStream_tbPNSt15iterator_traitsISK_E10value_typeEPNSQ_ISL_E10value_typeEPSM_NS1_7vsmem_tEENKUlT_SK_SL_SM_E_clISE_PiSF_SF_EESJ_SZ_SK_SL_SM_EUlSZ_E0_NS1_11comp_targetILNS1_3genE5ELNS1_11target_archE942ELNS1_3gpuE9ELNS1_3repE0EEENS1_38merge_mergepath_config_static_selectorELNS0_4arch9wavefront6targetE1EEEvSL_: ; @_ZN7rocprim17ROCPRIM_400000_NS6detail17trampoline_kernelINS0_14default_configENS1_38merge_sort_block_merge_config_selectorIiNS0_10empty_typeEEEZZNS1_27merge_sort_block_merge_implIS3_N6thrust23THRUST_200600_302600_NS6detail15normal_iteratorINS9_10device_ptrIiEEEEPS5_jNS1_19radix_merge_compareILb1ELb1EiNS0_19identity_decomposerEEEEE10hipError_tT0_T1_T2_jT3_P12ihipStream_tbPNSt15iterator_traitsISK_E10value_typeEPNSQ_ISL_E10value_typeEPSM_NS1_7vsmem_tEENKUlT_SK_SL_SM_E_clISE_PiSF_SF_EESJ_SZ_SK_SL_SM_EUlSZ_E0_NS1_11comp_targetILNS1_3genE5ELNS1_11target_archE942ELNS1_3gpuE9ELNS1_3repE0EEENS1_38merge_mergepath_config_static_selectorELNS0_4arch9wavefront6targetE1EEEvSL_
; %bb.0:
	.section	.rodata,"a",@progbits
	.p2align	6, 0x0
	.amdhsa_kernel _ZN7rocprim17ROCPRIM_400000_NS6detail17trampoline_kernelINS0_14default_configENS1_38merge_sort_block_merge_config_selectorIiNS0_10empty_typeEEEZZNS1_27merge_sort_block_merge_implIS3_N6thrust23THRUST_200600_302600_NS6detail15normal_iteratorINS9_10device_ptrIiEEEEPS5_jNS1_19radix_merge_compareILb1ELb1EiNS0_19identity_decomposerEEEEE10hipError_tT0_T1_T2_jT3_P12ihipStream_tbPNSt15iterator_traitsISK_E10value_typeEPNSQ_ISL_E10value_typeEPSM_NS1_7vsmem_tEENKUlT_SK_SL_SM_E_clISE_PiSF_SF_EESJ_SZ_SK_SL_SM_EUlSZ_E0_NS1_11comp_targetILNS1_3genE5ELNS1_11target_archE942ELNS1_3gpuE9ELNS1_3repE0EEENS1_38merge_mergepath_config_static_selectorELNS0_4arch9wavefront6targetE1EEEvSL_
		.amdhsa_group_segment_fixed_size 0
		.amdhsa_private_segment_fixed_size 0
		.amdhsa_kernarg_size 64
		.amdhsa_user_sgpr_count 2
		.amdhsa_user_sgpr_dispatch_ptr 0
		.amdhsa_user_sgpr_queue_ptr 0
		.amdhsa_user_sgpr_kernarg_segment_ptr 1
		.amdhsa_user_sgpr_dispatch_id 0
		.amdhsa_user_sgpr_kernarg_preload_length 0
		.amdhsa_user_sgpr_kernarg_preload_offset 0
		.amdhsa_user_sgpr_private_segment_size 0
		.amdhsa_uses_dynamic_stack 0
		.amdhsa_enable_private_segment 0
		.amdhsa_system_sgpr_workgroup_id_x 1
		.amdhsa_system_sgpr_workgroup_id_y 0
		.amdhsa_system_sgpr_workgroup_id_z 0
		.amdhsa_system_sgpr_workgroup_info 0
		.amdhsa_system_vgpr_workitem_id 0
		.amdhsa_next_free_vgpr 1
		.amdhsa_next_free_sgpr 0
		.amdhsa_accum_offset 4
		.amdhsa_reserve_vcc 0
		.amdhsa_float_round_mode_32 0
		.amdhsa_float_round_mode_16_64 0
		.amdhsa_float_denorm_mode_32 3
		.amdhsa_float_denorm_mode_16_64 3
		.amdhsa_dx10_clamp 1
		.amdhsa_ieee_mode 1
		.amdhsa_fp16_overflow 0
		.amdhsa_tg_split 0
		.amdhsa_exception_fp_ieee_invalid_op 0
		.amdhsa_exception_fp_denorm_src 0
		.amdhsa_exception_fp_ieee_div_zero 0
		.amdhsa_exception_fp_ieee_overflow 0
		.amdhsa_exception_fp_ieee_underflow 0
		.amdhsa_exception_fp_ieee_inexact 0
		.amdhsa_exception_int_div_zero 0
	.end_amdhsa_kernel
	.section	.text._ZN7rocprim17ROCPRIM_400000_NS6detail17trampoline_kernelINS0_14default_configENS1_38merge_sort_block_merge_config_selectorIiNS0_10empty_typeEEEZZNS1_27merge_sort_block_merge_implIS3_N6thrust23THRUST_200600_302600_NS6detail15normal_iteratorINS9_10device_ptrIiEEEEPS5_jNS1_19radix_merge_compareILb1ELb1EiNS0_19identity_decomposerEEEEE10hipError_tT0_T1_T2_jT3_P12ihipStream_tbPNSt15iterator_traitsISK_E10value_typeEPNSQ_ISL_E10value_typeEPSM_NS1_7vsmem_tEENKUlT_SK_SL_SM_E_clISE_PiSF_SF_EESJ_SZ_SK_SL_SM_EUlSZ_E0_NS1_11comp_targetILNS1_3genE5ELNS1_11target_archE942ELNS1_3gpuE9ELNS1_3repE0EEENS1_38merge_mergepath_config_static_selectorELNS0_4arch9wavefront6targetE1EEEvSL_,"axG",@progbits,_ZN7rocprim17ROCPRIM_400000_NS6detail17trampoline_kernelINS0_14default_configENS1_38merge_sort_block_merge_config_selectorIiNS0_10empty_typeEEEZZNS1_27merge_sort_block_merge_implIS3_N6thrust23THRUST_200600_302600_NS6detail15normal_iteratorINS9_10device_ptrIiEEEEPS5_jNS1_19radix_merge_compareILb1ELb1EiNS0_19identity_decomposerEEEEE10hipError_tT0_T1_T2_jT3_P12ihipStream_tbPNSt15iterator_traitsISK_E10value_typeEPNSQ_ISL_E10value_typeEPSM_NS1_7vsmem_tEENKUlT_SK_SL_SM_E_clISE_PiSF_SF_EESJ_SZ_SK_SL_SM_EUlSZ_E0_NS1_11comp_targetILNS1_3genE5ELNS1_11target_archE942ELNS1_3gpuE9ELNS1_3repE0EEENS1_38merge_mergepath_config_static_selectorELNS0_4arch9wavefront6targetE1EEEvSL_,comdat
.Lfunc_end304:
	.size	_ZN7rocprim17ROCPRIM_400000_NS6detail17trampoline_kernelINS0_14default_configENS1_38merge_sort_block_merge_config_selectorIiNS0_10empty_typeEEEZZNS1_27merge_sort_block_merge_implIS3_N6thrust23THRUST_200600_302600_NS6detail15normal_iteratorINS9_10device_ptrIiEEEEPS5_jNS1_19radix_merge_compareILb1ELb1EiNS0_19identity_decomposerEEEEE10hipError_tT0_T1_T2_jT3_P12ihipStream_tbPNSt15iterator_traitsISK_E10value_typeEPNSQ_ISL_E10value_typeEPSM_NS1_7vsmem_tEENKUlT_SK_SL_SM_E_clISE_PiSF_SF_EESJ_SZ_SK_SL_SM_EUlSZ_E0_NS1_11comp_targetILNS1_3genE5ELNS1_11target_archE942ELNS1_3gpuE9ELNS1_3repE0EEENS1_38merge_mergepath_config_static_selectorELNS0_4arch9wavefront6targetE1EEEvSL_, .Lfunc_end304-_ZN7rocprim17ROCPRIM_400000_NS6detail17trampoline_kernelINS0_14default_configENS1_38merge_sort_block_merge_config_selectorIiNS0_10empty_typeEEEZZNS1_27merge_sort_block_merge_implIS3_N6thrust23THRUST_200600_302600_NS6detail15normal_iteratorINS9_10device_ptrIiEEEEPS5_jNS1_19radix_merge_compareILb1ELb1EiNS0_19identity_decomposerEEEEE10hipError_tT0_T1_T2_jT3_P12ihipStream_tbPNSt15iterator_traitsISK_E10value_typeEPNSQ_ISL_E10value_typeEPSM_NS1_7vsmem_tEENKUlT_SK_SL_SM_E_clISE_PiSF_SF_EESJ_SZ_SK_SL_SM_EUlSZ_E0_NS1_11comp_targetILNS1_3genE5ELNS1_11target_archE942ELNS1_3gpuE9ELNS1_3repE0EEENS1_38merge_mergepath_config_static_selectorELNS0_4arch9wavefront6targetE1EEEvSL_
                                        ; -- End function
	.set _ZN7rocprim17ROCPRIM_400000_NS6detail17trampoline_kernelINS0_14default_configENS1_38merge_sort_block_merge_config_selectorIiNS0_10empty_typeEEEZZNS1_27merge_sort_block_merge_implIS3_N6thrust23THRUST_200600_302600_NS6detail15normal_iteratorINS9_10device_ptrIiEEEEPS5_jNS1_19radix_merge_compareILb1ELb1EiNS0_19identity_decomposerEEEEE10hipError_tT0_T1_T2_jT3_P12ihipStream_tbPNSt15iterator_traitsISK_E10value_typeEPNSQ_ISL_E10value_typeEPSM_NS1_7vsmem_tEENKUlT_SK_SL_SM_E_clISE_PiSF_SF_EESJ_SZ_SK_SL_SM_EUlSZ_E0_NS1_11comp_targetILNS1_3genE5ELNS1_11target_archE942ELNS1_3gpuE9ELNS1_3repE0EEENS1_38merge_mergepath_config_static_selectorELNS0_4arch9wavefront6targetE1EEEvSL_.num_vgpr, 0
	.set _ZN7rocprim17ROCPRIM_400000_NS6detail17trampoline_kernelINS0_14default_configENS1_38merge_sort_block_merge_config_selectorIiNS0_10empty_typeEEEZZNS1_27merge_sort_block_merge_implIS3_N6thrust23THRUST_200600_302600_NS6detail15normal_iteratorINS9_10device_ptrIiEEEEPS5_jNS1_19radix_merge_compareILb1ELb1EiNS0_19identity_decomposerEEEEE10hipError_tT0_T1_T2_jT3_P12ihipStream_tbPNSt15iterator_traitsISK_E10value_typeEPNSQ_ISL_E10value_typeEPSM_NS1_7vsmem_tEENKUlT_SK_SL_SM_E_clISE_PiSF_SF_EESJ_SZ_SK_SL_SM_EUlSZ_E0_NS1_11comp_targetILNS1_3genE5ELNS1_11target_archE942ELNS1_3gpuE9ELNS1_3repE0EEENS1_38merge_mergepath_config_static_selectorELNS0_4arch9wavefront6targetE1EEEvSL_.num_agpr, 0
	.set _ZN7rocprim17ROCPRIM_400000_NS6detail17trampoline_kernelINS0_14default_configENS1_38merge_sort_block_merge_config_selectorIiNS0_10empty_typeEEEZZNS1_27merge_sort_block_merge_implIS3_N6thrust23THRUST_200600_302600_NS6detail15normal_iteratorINS9_10device_ptrIiEEEEPS5_jNS1_19radix_merge_compareILb1ELb1EiNS0_19identity_decomposerEEEEE10hipError_tT0_T1_T2_jT3_P12ihipStream_tbPNSt15iterator_traitsISK_E10value_typeEPNSQ_ISL_E10value_typeEPSM_NS1_7vsmem_tEENKUlT_SK_SL_SM_E_clISE_PiSF_SF_EESJ_SZ_SK_SL_SM_EUlSZ_E0_NS1_11comp_targetILNS1_3genE5ELNS1_11target_archE942ELNS1_3gpuE9ELNS1_3repE0EEENS1_38merge_mergepath_config_static_selectorELNS0_4arch9wavefront6targetE1EEEvSL_.numbered_sgpr, 0
	.set _ZN7rocprim17ROCPRIM_400000_NS6detail17trampoline_kernelINS0_14default_configENS1_38merge_sort_block_merge_config_selectorIiNS0_10empty_typeEEEZZNS1_27merge_sort_block_merge_implIS3_N6thrust23THRUST_200600_302600_NS6detail15normal_iteratorINS9_10device_ptrIiEEEEPS5_jNS1_19radix_merge_compareILb1ELb1EiNS0_19identity_decomposerEEEEE10hipError_tT0_T1_T2_jT3_P12ihipStream_tbPNSt15iterator_traitsISK_E10value_typeEPNSQ_ISL_E10value_typeEPSM_NS1_7vsmem_tEENKUlT_SK_SL_SM_E_clISE_PiSF_SF_EESJ_SZ_SK_SL_SM_EUlSZ_E0_NS1_11comp_targetILNS1_3genE5ELNS1_11target_archE942ELNS1_3gpuE9ELNS1_3repE0EEENS1_38merge_mergepath_config_static_selectorELNS0_4arch9wavefront6targetE1EEEvSL_.num_named_barrier, 0
	.set _ZN7rocprim17ROCPRIM_400000_NS6detail17trampoline_kernelINS0_14default_configENS1_38merge_sort_block_merge_config_selectorIiNS0_10empty_typeEEEZZNS1_27merge_sort_block_merge_implIS3_N6thrust23THRUST_200600_302600_NS6detail15normal_iteratorINS9_10device_ptrIiEEEEPS5_jNS1_19radix_merge_compareILb1ELb1EiNS0_19identity_decomposerEEEEE10hipError_tT0_T1_T2_jT3_P12ihipStream_tbPNSt15iterator_traitsISK_E10value_typeEPNSQ_ISL_E10value_typeEPSM_NS1_7vsmem_tEENKUlT_SK_SL_SM_E_clISE_PiSF_SF_EESJ_SZ_SK_SL_SM_EUlSZ_E0_NS1_11comp_targetILNS1_3genE5ELNS1_11target_archE942ELNS1_3gpuE9ELNS1_3repE0EEENS1_38merge_mergepath_config_static_selectorELNS0_4arch9wavefront6targetE1EEEvSL_.private_seg_size, 0
	.set _ZN7rocprim17ROCPRIM_400000_NS6detail17trampoline_kernelINS0_14default_configENS1_38merge_sort_block_merge_config_selectorIiNS0_10empty_typeEEEZZNS1_27merge_sort_block_merge_implIS3_N6thrust23THRUST_200600_302600_NS6detail15normal_iteratorINS9_10device_ptrIiEEEEPS5_jNS1_19radix_merge_compareILb1ELb1EiNS0_19identity_decomposerEEEEE10hipError_tT0_T1_T2_jT3_P12ihipStream_tbPNSt15iterator_traitsISK_E10value_typeEPNSQ_ISL_E10value_typeEPSM_NS1_7vsmem_tEENKUlT_SK_SL_SM_E_clISE_PiSF_SF_EESJ_SZ_SK_SL_SM_EUlSZ_E0_NS1_11comp_targetILNS1_3genE5ELNS1_11target_archE942ELNS1_3gpuE9ELNS1_3repE0EEENS1_38merge_mergepath_config_static_selectorELNS0_4arch9wavefront6targetE1EEEvSL_.uses_vcc, 0
	.set _ZN7rocprim17ROCPRIM_400000_NS6detail17trampoline_kernelINS0_14default_configENS1_38merge_sort_block_merge_config_selectorIiNS0_10empty_typeEEEZZNS1_27merge_sort_block_merge_implIS3_N6thrust23THRUST_200600_302600_NS6detail15normal_iteratorINS9_10device_ptrIiEEEEPS5_jNS1_19radix_merge_compareILb1ELb1EiNS0_19identity_decomposerEEEEE10hipError_tT0_T1_T2_jT3_P12ihipStream_tbPNSt15iterator_traitsISK_E10value_typeEPNSQ_ISL_E10value_typeEPSM_NS1_7vsmem_tEENKUlT_SK_SL_SM_E_clISE_PiSF_SF_EESJ_SZ_SK_SL_SM_EUlSZ_E0_NS1_11comp_targetILNS1_3genE5ELNS1_11target_archE942ELNS1_3gpuE9ELNS1_3repE0EEENS1_38merge_mergepath_config_static_selectorELNS0_4arch9wavefront6targetE1EEEvSL_.uses_flat_scratch, 0
	.set _ZN7rocprim17ROCPRIM_400000_NS6detail17trampoline_kernelINS0_14default_configENS1_38merge_sort_block_merge_config_selectorIiNS0_10empty_typeEEEZZNS1_27merge_sort_block_merge_implIS3_N6thrust23THRUST_200600_302600_NS6detail15normal_iteratorINS9_10device_ptrIiEEEEPS5_jNS1_19radix_merge_compareILb1ELb1EiNS0_19identity_decomposerEEEEE10hipError_tT0_T1_T2_jT3_P12ihipStream_tbPNSt15iterator_traitsISK_E10value_typeEPNSQ_ISL_E10value_typeEPSM_NS1_7vsmem_tEENKUlT_SK_SL_SM_E_clISE_PiSF_SF_EESJ_SZ_SK_SL_SM_EUlSZ_E0_NS1_11comp_targetILNS1_3genE5ELNS1_11target_archE942ELNS1_3gpuE9ELNS1_3repE0EEENS1_38merge_mergepath_config_static_selectorELNS0_4arch9wavefront6targetE1EEEvSL_.has_dyn_sized_stack, 0
	.set _ZN7rocprim17ROCPRIM_400000_NS6detail17trampoline_kernelINS0_14default_configENS1_38merge_sort_block_merge_config_selectorIiNS0_10empty_typeEEEZZNS1_27merge_sort_block_merge_implIS3_N6thrust23THRUST_200600_302600_NS6detail15normal_iteratorINS9_10device_ptrIiEEEEPS5_jNS1_19radix_merge_compareILb1ELb1EiNS0_19identity_decomposerEEEEE10hipError_tT0_T1_T2_jT3_P12ihipStream_tbPNSt15iterator_traitsISK_E10value_typeEPNSQ_ISL_E10value_typeEPSM_NS1_7vsmem_tEENKUlT_SK_SL_SM_E_clISE_PiSF_SF_EESJ_SZ_SK_SL_SM_EUlSZ_E0_NS1_11comp_targetILNS1_3genE5ELNS1_11target_archE942ELNS1_3gpuE9ELNS1_3repE0EEENS1_38merge_mergepath_config_static_selectorELNS0_4arch9wavefront6targetE1EEEvSL_.has_recursion, 0
	.set _ZN7rocprim17ROCPRIM_400000_NS6detail17trampoline_kernelINS0_14default_configENS1_38merge_sort_block_merge_config_selectorIiNS0_10empty_typeEEEZZNS1_27merge_sort_block_merge_implIS3_N6thrust23THRUST_200600_302600_NS6detail15normal_iteratorINS9_10device_ptrIiEEEEPS5_jNS1_19radix_merge_compareILb1ELb1EiNS0_19identity_decomposerEEEEE10hipError_tT0_T1_T2_jT3_P12ihipStream_tbPNSt15iterator_traitsISK_E10value_typeEPNSQ_ISL_E10value_typeEPSM_NS1_7vsmem_tEENKUlT_SK_SL_SM_E_clISE_PiSF_SF_EESJ_SZ_SK_SL_SM_EUlSZ_E0_NS1_11comp_targetILNS1_3genE5ELNS1_11target_archE942ELNS1_3gpuE9ELNS1_3repE0EEENS1_38merge_mergepath_config_static_selectorELNS0_4arch9wavefront6targetE1EEEvSL_.has_indirect_call, 0
	.section	.AMDGPU.csdata,"",@progbits
; Kernel info:
; codeLenInByte = 0
; TotalNumSgprs: 6
; NumVgprs: 0
; NumAgprs: 0
; TotalNumVgprs: 0
; ScratchSize: 0
; MemoryBound: 0
; FloatMode: 240
; IeeeMode: 1
; LDSByteSize: 0 bytes/workgroup (compile time only)
; SGPRBlocks: 0
; VGPRBlocks: 0
; NumSGPRsForWavesPerEU: 6
; NumVGPRsForWavesPerEU: 1
; AccumOffset: 4
; Occupancy: 8
; WaveLimiterHint : 0
; COMPUTE_PGM_RSRC2:SCRATCH_EN: 0
; COMPUTE_PGM_RSRC2:USER_SGPR: 2
; COMPUTE_PGM_RSRC2:TRAP_HANDLER: 0
; COMPUTE_PGM_RSRC2:TGID_X_EN: 1
; COMPUTE_PGM_RSRC2:TGID_Y_EN: 0
; COMPUTE_PGM_RSRC2:TGID_Z_EN: 0
; COMPUTE_PGM_RSRC2:TIDIG_COMP_CNT: 0
; COMPUTE_PGM_RSRC3_GFX90A:ACCUM_OFFSET: 0
; COMPUTE_PGM_RSRC3_GFX90A:TG_SPLIT: 0
	.section	.text._ZN7rocprim17ROCPRIM_400000_NS6detail17trampoline_kernelINS0_14default_configENS1_38merge_sort_block_merge_config_selectorIiNS0_10empty_typeEEEZZNS1_27merge_sort_block_merge_implIS3_N6thrust23THRUST_200600_302600_NS6detail15normal_iteratorINS9_10device_ptrIiEEEEPS5_jNS1_19radix_merge_compareILb1ELb1EiNS0_19identity_decomposerEEEEE10hipError_tT0_T1_T2_jT3_P12ihipStream_tbPNSt15iterator_traitsISK_E10value_typeEPNSQ_ISL_E10value_typeEPSM_NS1_7vsmem_tEENKUlT_SK_SL_SM_E_clISE_PiSF_SF_EESJ_SZ_SK_SL_SM_EUlSZ_E0_NS1_11comp_targetILNS1_3genE4ELNS1_11target_archE910ELNS1_3gpuE8ELNS1_3repE0EEENS1_38merge_mergepath_config_static_selectorELNS0_4arch9wavefront6targetE1EEEvSL_,"axG",@progbits,_ZN7rocprim17ROCPRIM_400000_NS6detail17trampoline_kernelINS0_14default_configENS1_38merge_sort_block_merge_config_selectorIiNS0_10empty_typeEEEZZNS1_27merge_sort_block_merge_implIS3_N6thrust23THRUST_200600_302600_NS6detail15normal_iteratorINS9_10device_ptrIiEEEEPS5_jNS1_19radix_merge_compareILb1ELb1EiNS0_19identity_decomposerEEEEE10hipError_tT0_T1_T2_jT3_P12ihipStream_tbPNSt15iterator_traitsISK_E10value_typeEPNSQ_ISL_E10value_typeEPSM_NS1_7vsmem_tEENKUlT_SK_SL_SM_E_clISE_PiSF_SF_EESJ_SZ_SK_SL_SM_EUlSZ_E0_NS1_11comp_targetILNS1_3genE4ELNS1_11target_archE910ELNS1_3gpuE8ELNS1_3repE0EEENS1_38merge_mergepath_config_static_selectorELNS0_4arch9wavefront6targetE1EEEvSL_,comdat
	.protected	_ZN7rocprim17ROCPRIM_400000_NS6detail17trampoline_kernelINS0_14default_configENS1_38merge_sort_block_merge_config_selectorIiNS0_10empty_typeEEEZZNS1_27merge_sort_block_merge_implIS3_N6thrust23THRUST_200600_302600_NS6detail15normal_iteratorINS9_10device_ptrIiEEEEPS5_jNS1_19radix_merge_compareILb1ELb1EiNS0_19identity_decomposerEEEEE10hipError_tT0_T1_T2_jT3_P12ihipStream_tbPNSt15iterator_traitsISK_E10value_typeEPNSQ_ISL_E10value_typeEPSM_NS1_7vsmem_tEENKUlT_SK_SL_SM_E_clISE_PiSF_SF_EESJ_SZ_SK_SL_SM_EUlSZ_E0_NS1_11comp_targetILNS1_3genE4ELNS1_11target_archE910ELNS1_3gpuE8ELNS1_3repE0EEENS1_38merge_mergepath_config_static_selectorELNS0_4arch9wavefront6targetE1EEEvSL_ ; -- Begin function _ZN7rocprim17ROCPRIM_400000_NS6detail17trampoline_kernelINS0_14default_configENS1_38merge_sort_block_merge_config_selectorIiNS0_10empty_typeEEEZZNS1_27merge_sort_block_merge_implIS3_N6thrust23THRUST_200600_302600_NS6detail15normal_iteratorINS9_10device_ptrIiEEEEPS5_jNS1_19radix_merge_compareILb1ELb1EiNS0_19identity_decomposerEEEEE10hipError_tT0_T1_T2_jT3_P12ihipStream_tbPNSt15iterator_traitsISK_E10value_typeEPNSQ_ISL_E10value_typeEPSM_NS1_7vsmem_tEENKUlT_SK_SL_SM_E_clISE_PiSF_SF_EESJ_SZ_SK_SL_SM_EUlSZ_E0_NS1_11comp_targetILNS1_3genE4ELNS1_11target_archE910ELNS1_3gpuE8ELNS1_3repE0EEENS1_38merge_mergepath_config_static_selectorELNS0_4arch9wavefront6targetE1EEEvSL_
	.globl	_ZN7rocprim17ROCPRIM_400000_NS6detail17trampoline_kernelINS0_14default_configENS1_38merge_sort_block_merge_config_selectorIiNS0_10empty_typeEEEZZNS1_27merge_sort_block_merge_implIS3_N6thrust23THRUST_200600_302600_NS6detail15normal_iteratorINS9_10device_ptrIiEEEEPS5_jNS1_19radix_merge_compareILb1ELb1EiNS0_19identity_decomposerEEEEE10hipError_tT0_T1_T2_jT3_P12ihipStream_tbPNSt15iterator_traitsISK_E10value_typeEPNSQ_ISL_E10value_typeEPSM_NS1_7vsmem_tEENKUlT_SK_SL_SM_E_clISE_PiSF_SF_EESJ_SZ_SK_SL_SM_EUlSZ_E0_NS1_11comp_targetILNS1_3genE4ELNS1_11target_archE910ELNS1_3gpuE8ELNS1_3repE0EEENS1_38merge_mergepath_config_static_selectorELNS0_4arch9wavefront6targetE1EEEvSL_
	.p2align	8
	.type	_ZN7rocprim17ROCPRIM_400000_NS6detail17trampoline_kernelINS0_14default_configENS1_38merge_sort_block_merge_config_selectorIiNS0_10empty_typeEEEZZNS1_27merge_sort_block_merge_implIS3_N6thrust23THRUST_200600_302600_NS6detail15normal_iteratorINS9_10device_ptrIiEEEEPS5_jNS1_19radix_merge_compareILb1ELb1EiNS0_19identity_decomposerEEEEE10hipError_tT0_T1_T2_jT3_P12ihipStream_tbPNSt15iterator_traitsISK_E10value_typeEPNSQ_ISL_E10value_typeEPSM_NS1_7vsmem_tEENKUlT_SK_SL_SM_E_clISE_PiSF_SF_EESJ_SZ_SK_SL_SM_EUlSZ_E0_NS1_11comp_targetILNS1_3genE4ELNS1_11target_archE910ELNS1_3gpuE8ELNS1_3repE0EEENS1_38merge_mergepath_config_static_selectorELNS0_4arch9wavefront6targetE1EEEvSL_,@function
_ZN7rocprim17ROCPRIM_400000_NS6detail17trampoline_kernelINS0_14default_configENS1_38merge_sort_block_merge_config_selectorIiNS0_10empty_typeEEEZZNS1_27merge_sort_block_merge_implIS3_N6thrust23THRUST_200600_302600_NS6detail15normal_iteratorINS9_10device_ptrIiEEEEPS5_jNS1_19radix_merge_compareILb1ELb1EiNS0_19identity_decomposerEEEEE10hipError_tT0_T1_T2_jT3_P12ihipStream_tbPNSt15iterator_traitsISK_E10value_typeEPNSQ_ISL_E10value_typeEPSM_NS1_7vsmem_tEENKUlT_SK_SL_SM_E_clISE_PiSF_SF_EESJ_SZ_SK_SL_SM_EUlSZ_E0_NS1_11comp_targetILNS1_3genE4ELNS1_11target_archE910ELNS1_3gpuE8ELNS1_3repE0EEENS1_38merge_mergepath_config_static_selectorELNS0_4arch9wavefront6targetE1EEEvSL_: ; @_ZN7rocprim17ROCPRIM_400000_NS6detail17trampoline_kernelINS0_14default_configENS1_38merge_sort_block_merge_config_selectorIiNS0_10empty_typeEEEZZNS1_27merge_sort_block_merge_implIS3_N6thrust23THRUST_200600_302600_NS6detail15normal_iteratorINS9_10device_ptrIiEEEEPS5_jNS1_19radix_merge_compareILb1ELb1EiNS0_19identity_decomposerEEEEE10hipError_tT0_T1_T2_jT3_P12ihipStream_tbPNSt15iterator_traitsISK_E10value_typeEPNSQ_ISL_E10value_typeEPSM_NS1_7vsmem_tEENKUlT_SK_SL_SM_E_clISE_PiSF_SF_EESJ_SZ_SK_SL_SM_EUlSZ_E0_NS1_11comp_targetILNS1_3genE4ELNS1_11target_archE910ELNS1_3gpuE8ELNS1_3repE0EEENS1_38merge_mergepath_config_static_selectorELNS0_4arch9wavefront6targetE1EEEvSL_
; %bb.0:
	.section	.rodata,"a",@progbits
	.p2align	6, 0x0
	.amdhsa_kernel _ZN7rocprim17ROCPRIM_400000_NS6detail17trampoline_kernelINS0_14default_configENS1_38merge_sort_block_merge_config_selectorIiNS0_10empty_typeEEEZZNS1_27merge_sort_block_merge_implIS3_N6thrust23THRUST_200600_302600_NS6detail15normal_iteratorINS9_10device_ptrIiEEEEPS5_jNS1_19radix_merge_compareILb1ELb1EiNS0_19identity_decomposerEEEEE10hipError_tT0_T1_T2_jT3_P12ihipStream_tbPNSt15iterator_traitsISK_E10value_typeEPNSQ_ISL_E10value_typeEPSM_NS1_7vsmem_tEENKUlT_SK_SL_SM_E_clISE_PiSF_SF_EESJ_SZ_SK_SL_SM_EUlSZ_E0_NS1_11comp_targetILNS1_3genE4ELNS1_11target_archE910ELNS1_3gpuE8ELNS1_3repE0EEENS1_38merge_mergepath_config_static_selectorELNS0_4arch9wavefront6targetE1EEEvSL_
		.amdhsa_group_segment_fixed_size 0
		.amdhsa_private_segment_fixed_size 0
		.amdhsa_kernarg_size 64
		.amdhsa_user_sgpr_count 2
		.amdhsa_user_sgpr_dispatch_ptr 0
		.amdhsa_user_sgpr_queue_ptr 0
		.amdhsa_user_sgpr_kernarg_segment_ptr 1
		.amdhsa_user_sgpr_dispatch_id 0
		.amdhsa_user_sgpr_kernarg_preload_length 0
		.amdhsa_user_sgpr_kernarg_preload_offset 0
		.amdhsa_user_sgpr_private_segment_size 0
		.amdhsa_uses_dynamic_stack 0
		.amdhsa_enable_private_segment 0
		.amdhsa_system_sgpr_workgroup_id_x 1
		.amdhsa_system_sgpr_workgroup_id_y 0
		.amdhsa_system_sgpr_workgroup_id_z 0
		.amdhsa_system_sgpr_workgroup_info 0
		.amdhsa_system_vgpr_workitem_id 0
		.amdhsa_next_free_vgpr 1
		.amdhsa_next_free_sgpr 0
		.amdhsa_accum_offset 4
		.amdhsa_reserve_vcc 0
		.amdhsa_float_round_mode_32 0
		.amdhsa_float_round_mode_16_64 0
		.amdhsa_float_denorm_mode_32 3
		.amdhsa_float_denorm_mode_16_64 3
		.amdhsa_dx10_clamp 1
		.amdhsa_ieee_mode 1
		.amdhsa_fp16_overflow 0
		.amdhsa_tg_split 0
		.amdhsa_exception_fp_ieee_invalid_op 0
		.amdhsa_exception_fp_denorm_src 0
		.amdhsa_exception_fp_ieee_div_zero 0
		.amdhsa_exception_fp_ieee_overflow 0
		.amdhsa_exception_fp_ieee_underflow 0
		.amdhsa_exception_fp_ieee_inexact 0
		.amdhsa_exception_int_div_zero 0
	.end_amdhsa_kernel
	.section	.text._ZN7rocprim17ROCPRIM_400000_NS6detail17trampoline_kernelINS0_14default_configENS1_38merge_sort_block_merge_config_selectorIiNS0_10empty_typeEEEZZNS1_27merge_sort_block_merge_implIS3_N6thrust23THRUST_200600_302600_NS6detail15normal_iteratorINS9_10device_ptrIiEEEEPS5_jNS1_19radix_merge_compareILb1ELb1EiNS0_19identity_decomposerEEEEE10hipError_tT0_T1_T2_jT3_P12ihipStream_tbPNSt15iterator_traitsISK_E10value_typeEPNSQ_ISL_E10value_typeEPSM_NS1_7vsmem_tEENKUlT_SK_SL_SM_E_clISE_PiSF_SF_EESJ_SZ_SK_SL_SM_EUlSZ_E0_NS1_11comp_targetILNS1_3genE4ELNS1_11target_archE910ELNS1_3gpuE8ELNS1_3repE0EEENS1_38merge_mergepath_config_static_selectorELNS0_4arch9wavefront6targetE1EEEvSL_,"axG",@progbits,_ZN7rocprim17ROCPRIM_400000_NS6detail17trampoline_kernelINS0_14default_configENS1_38merge_sort_block_merge_config_selectorIiNS0_10empty_typeEEEZZNS1_27merge_sort_block_merge_implIS3_N6thrust23THRUST_200600_302600_NS6detail15normal_iteratorINS9_10device_ptrIiEEEEPS5_jNS1_19radix_merge_compareILb1ELb1EiNS0_19identity_decomposerEEEEE10hipError_tT0_T1_T2_jT3_P12ihipStream_tbPNSt15iterator_traitsISK_E10value_typeEPNSQ_ISL_E10value_typeEPSM_NS1_7vsmem_tEENKUlT_SK_SL_SM_E_clISE_PiSF_SF_EESJ_SZ_SK_SL_SM_EUlSZ_E0_NS1_11comp_targetILNS1_3genE4ELNS1_11target_archE910ELNS1_3gpuE8ELNS1_3repE0EEENS1_38merge_mergepath_config_static_selectorELNS0_4arch9wavefront6targetE1EEEvSL_,comdat
.Lfunc_end305:
	.size	_ZN7rocprim17ROCPRIM_400000_NS6detail17trampoline_kernelINS0_14default_configENS1_38merge_sort_block_merge_config_selectorIiNS0_10empty_typeEEEZZNS1_27merge_sort_block_merge_implIS3_N6thrust23THRUST_200600_302600_NS6detail15normal_iteratorINS9_10device_ptrIiEEEEPS5_jNS1_19radix_merge_compareILb1ELb1EiNS0_19identity_decomposerEEEEE10hipError_tT0_T1_T2_jT3_P12ihipStream_tbPNSt15iterator_traitsISK_E10value_typeEPNSQ_ISL_E10value_typeEPSM_NS1_7vsmem_tEENKUlT_SK_SL_SM_E_clISE_PiSF_SF_EESJ_SZ_SK_SL_SM_EUlSZ_E0_NS1_11comp_targetILNS1_3genE4ELNS1_11target_archE910ELNS1_3gpuE8ELNS1_3repE0EEENS1_38merge_mergepath_config_static_selectorELNS0_4arch9wavefront6targetE1EEEvSL_, .Lfunc_end305-_ZN7rocprim17ROCPRIM_400000_NS6detail17trampoline_kernelINS0_14default_configENS1_38merge_sort_block_merge_config_selectorIiNS0_10empty_typeEEEZZNS1_27merge_sort_block_merge_implIS3_N6thrust23THRUST_200600_302600_NS6detail15normal_iteratorINS9_10device_ptrIiEEEEPS5_jNS1_19radix_merge_compareILb1ELb1EiNS0_19identity_decomposerEEEEE10hipError_tT0_T1_T2_jT3_P12ihipStream_tbPNSt15iterator_traitsISK_E10value_typeEPNSQ_ISL_E10value_typeEPSM_NS1_7vsmem_tEENKUlT_SK_SL_SM_E_clISE_PiSF_SF_EESJ_SZ_SK_SL_SM_EUlSZ_E0_NS1_11comp_targetILNS1_3genE4ELNS1_11target_archE910ELNS1_3gpuE8ELNS1_3repE0EEENS1_38merge_mergepath_config_static_selectorELNS0_4arch9wavefront6targetE1EEEvSL_
                                        ; -- End function
	.set _ZN7rocprim17ROCPRIM_400000_NS6detail17trampoline_kernelINS0_14default_configENS1_38merge_sort_block_merge_config_selectorIiNS0_10empty_typeEEEZZNS1_27merge_sort_block_merge_implIS3_N6thrust23THRUST_200600_302600_NS6detail15normal_iteratorINS9_10device_ptrIiEEEEPS5_jNS1_19radix_merge_compareILb1ELb1EiNS0_19identity_decomposerEEEEE10hipError_tT0_T1_T2_jT3_P12ihipStream_tbPNSt15iterator_traitsISK_E10value_typeEPNSQ_ISL_E10value_typeEPSM_NS1_7vsmem_tEENKUlT_SK_SL_SM_E_clISE_PiSF_SF_EESJ_SZ_SK_SL_SM_EUlSZ_E0_NS1_11comp_targetILNS1_3genE4ELNS1_11target_archE910ELNS1_3gpuE8ELNS1_3repE0EEENS1_38merge_mergepath_config_static_selectorELNS0_4arch9wavefront6targetE1EEEvSL_.num_vgpr, 0
	.set _ZN7rocprim17ROCPRIM_400000_NS6detail17trampoline_kernelINS0_14default_configENS1_38merge_sort_block_merge_config_selectorIiNS0_10empty_typeEEEZZNS1_27merge_sort_block_merge_implIS3_N6thrust23THRUST_200600_302600_NS6detail15normal_iteratorINS9_10device_ptrIiEEEEPS5_jNS1_19radix_merge_compareILb1ELb1EiNS0_19identity_decomposerEEEEE10hipError_tT0_T1_T2_jT3_P12ihipStream_tbPNSt15iterator_traitsISK_E10value_typeEPNSQ_ISL_E10value_typeEPSM_NS1_7vsmem_tEENKUlT_SK_SL_SM_E_clISE_PiSF_SF_EESJ_SZ_SK_SL_SM_EUlSZ_E0_NS1_11comp_targetILNS1_3genE4ELNS1_11target_archE910ELNS1_3gpuE8ELNS1_3repE0EEENS1_38merge_mergepath_config_static_selectorELNS0_4arch9wavefront6targetE1EEEvSL_.num_agpr, 0
	.set _ZN7rocprim17ROCPRIM_400000_NS6detail17trampoline_kernelINS0_14default_configENS1_38merge_sort_block_merge_config_selectorIiNS0_10empty_typeEEEZZNS1_27merge_sort_block_merge_implIS3_N6thrust23THRUST_200600_302600_NS6detail15normal_iteratorINS9_10device_ptrIiEEEEPS5_jNS1_19radix_merge_compareILb1ELb1EiNS0_19identity_decomposerEEEEE10hipError_tT0_T1_T2_jT3_P12ihipStream_tbPNSt15iterator_traitsISK_E10value_typeEPNSQ_ISL_E10value_typeEPSM_NS1_7vsmem_tEENKUlT_SK_SL_SM_E_clISE_PiSF_SF_EESJ_SZ_SK_SL_SM_EUlSZ_E0_NS1_11comp_targetILNS1_3genE4ELNS1_11target_archE910ELNS1_3gpuE8ELNS1_3repE0EEENS1_38merge_mergepath_config_static_selectorELNS0_4arch9wavefront6targetE1EEEvSL_.numbered_sgpr, 0
	.set _ZN7rocprim17ROCPRIM_400000_NS6detail17trampoline_kernelINS0_14default_configENS1_38merge_sort_block_merge_config_selectorIiNS0_10empty_typeEEEZZNS1_27merge_sort_block_merge_implIS3_N6thrust23THRUST_200600_302600_NS6detail15normal_iteratorINS9_10device_ptrIiEEEEPS5_jNS1_19radix_merge_compareILb1ELb1EiNS0_19identity_decomposerEEEEE10hipError_tT0_T1_T2_jT3_P12ihipStream_tbPNSt15iterator_traitsISK_E10value_typeEPNSQ_ISL_E10value_typeEPSM_NS1_7vsmem_tEENKUlT_SK_SL_SM_E_clISE_PiSF_SF_EESJ_SZ_SK_SL_SM_EUlSZ_E0_NS1_11comp_targetILNS1_3genE4ELNS1_11target_archE910ELNS1_3gpuE8ELNS1_3repE0EEENS1_38merge_mergepath_config_static_selectorELNS0_4arch9wavefront6targetE1EEEvSL_.num_named_barrier, 0
	.set _ZN7rocprim17ROCPRIM_400000_NS6detail17trampoline_kernelINS0_14default_configENS1_38merge_sort_block_merge_config_selectorIiNS0_10empty_typeEEEZZNS1_27merge_sort_block_merge_implIS3_N6thrust23THRUST_200600_302600_NS6detail15normal_iteratorINS9_10device_ptrIiEEEEPS5_jNS1_19radix_merge_compareILb1ELb1EiNS0_19identity_decomposerEEEEE10hipError_tT0_T1_T2_jT3_P12ihipStream_tbPNSt15iterator_traitsISK_E10value_typeEPNSQ_ISL_E10value_typeEPSM_NS1_7vsmem_tEENKUlT_SK_SL_SM_E_clISE_PiSF_SF_EESJ_SZ_SK_SL_SM_EUlSZ_E0_NS1_11comp_targetILNS1_3genE4ELNS1_11target_archE910ELNS1_3gpuE8ELNS1_3repE0EEENS1_38merge_mergepath_config_static_selectorELNS0_4arch9wavefront6targetE1EEEvSL_.private_seg_size, 0
	.set _ZN7rocprim17ROCPRIM_400000_NS6detail17trampoline_kernelINS0_14default_configENS1_38merge_sort_block_merge_config_selectorIiNS0_10empty_typeEEEZZNS1_27merge_sort_block_merge_implIS3_N6thrust23THRUST_200600_302600_NS6detail15normal_iteratorINS9_10device_ptrIiEEEEPS5_jNS1_19radix_merge_compareILb1ELb1EiNS0_19identity_decomposerEEEEE10hipError_tT0_T1_T2_jT3_P12ihipStream_tbPNSt15iterator_traitsISK_E10value_typeEPNSQ_ISL_E10value_typeEPSM_NS1_7vsmem_tEENKUlT_SK_SL_SM_E_clISE_PiSF_SF_EESJ_SZ_SK_SL_SM_EUlSZ_E0_NS1_11comp_targetILNS1_3genE4ELNS1_11target_archE910ELNS1_3gpuE8ELNS1_3repE0EEENS1_38merge_mergepath_config_static_selectorELNS0_4arch9wavefront6targetE1EEEvSL_.uses_vcc, 0
	.set _ZN7rocprim17ROCPRIM_400000_NS6detail17trampoline_kernelINS0_14default_configENS1_38merge_sort_block_merge_config_selectorIiNS0_10empty_typeEEEZZNS1_27merge_sort_block_merge_implIS3_N6thrust23THRUST_200600_302600_NS6detail15normal_iteratorINS9_10device_ptrIiEEEEPS5_jNS1_19radix_merge_compareILb1ELb1EiNS0_19identity_decomposerEEEEE10hipError_tT0_T1_T2_jT3_P12ihipStream_tbPNSt15iterator_traitsISK_E10value_typeEPNSQ_ISL_E10value_typeEPSM_NS1_7vsmem_tEENKUlT_SK_SL_SM_E_clISE_PiSF_SF_EESJ_SZ_SK_SL_SM_EUlSZ_E0_NS1_11comp_targetILNS1_3genE4ELNS1_11target_archE910ELNS1_3gpuE8ELNS1_3repE0EEENS1_38merge_mergepath_config_static_selectorELNS0_4arch9wavefront6targetE1EEEvSL_.uses_flat_scratch, 0
	.set _ZN7rocprim17ROCPRIM_400000_NS6detail17trampoline_kernelINS0_14default_configENS1_38merge_sort_block_merge_config_selectorIiNS0_10empty_typeEEEZZNS1_27merge_sort_block_merge_implIS3_N6thrust23THRUST_200600_302600_NS6detail15normal_iteratorINS9_10device_ptrIiEEEEPS5_jNS1_19radix_merge_compareILb1ELb1EiNS0_19identity_decomposerEEEEE10hipError_tT0_T1_T2_jT3_P12ihipStream_tbPNSt15iterator_traitsISK_E10value_typeEPNSQ_ISL_E10value_typeEPSM_NS1_7vsmem_tEENKUlT_SK_SL_SM_E_clISE_PiSF_SF_EESJ_SZ_SK_SL_SM_EUlSZ_E0_NS1_11comp_targetILNS1_3genE4ELNS1_11target_archE910ELNS1_3gpuE8ELNS1_3repE0EEENS1_38merge_mergepath_config_static_selectorELNS0_4arch9wavefront6targetE1EEEvSL_.has_dyn_sized_stack, 0
	.set _ZN7rocprim17ROCPRIM_400000_NS6detail17trampoline_kernelINS0_14default_configENS1_38merge_sort_block_merge_config_selectorIiNS0_10empty_typeEEEZZNS1_27merge_sort_block_merge_implIS3_N6thrust23THRUST_200600_302600_NS6detail15normal_iteratorINS9_10device_ptrIiEEEEPS5_jNS1_19radix_merge_compareILb1ELb1EiNS0_19identity_decomposerEEEEE10hipError_tT0_T1_T2_jT3_P12ihipStream_tbPNSt15iterator_traitsISK_E10value_typeEPNSQ_ISL_E10value_typeEPSM_NS1_7vsmem_tEENKUlT_SK_SL_SM_E_clISE_PiSF_SF_EESJ_SZ_SK_SL_SM_EUlSZ_E0_NS1_11comp_targetILNS1_3genE4ELNS1_11target_archE910ELNS1_3gpuE8ELNS1_3repE0EEENS1_38merge_mergepath_config_static_selectorELNS0_4arch9wavefront6targetE1EEEvSL_.has_recursion, 0
	.set _ZN7rocprim17ROCPRIM_400000_NS6detail17trampoline_kernelINS0_14default_configENS1_38merge_sort_block_merge_config_selectorIiNS0_10empty_typeEEEZZNS1_27merge_sort_block_merge_implIS3_N6thrust23THRUST_200600_302600_NS6detail15normal_iteratorINS9_10device_ptrIiEEEEPS5_jNS1_19radix_merge_compareILb1ELb1EiNS0_19identity_decomposerEEEEE10hipError_tT0_T1_T2_jT3_P12ihipStream_tbPNSt15iterator_traitsISK_E10value_typeEPNSQ_ISL_E10value_typeEPSM_NS1_7vsmem_tEENKUlT_SK_SL_SM_E_clISE_PiSF_SF_EESJ_SZ_SK_SL_SM_EUlSZ_E0_NS1_11comp_targetILNS1_3genE4ELNS1_11target_archE910ELNS1_3gpuE8ELNS1_3repE0EEENS1_38merge_mergepath_config_static_selectorELNS0_4arch9wavefront6targetE1EEEvSL_.has_indirect_call, 0
	.section	.AMDGPU.csdata,"",@progbits
; Kernel info:
; codeLenInByte = 0
; TotalNumSgprs: 6
; NumVgprs: 0
; NumAgprs: 0
; TotalNumVgprs: 0
; ScratchSize: 0
; MemoryBound: 0
; FloatMode: 240
; IeeeMode: 1
; LDSByteSize: 0 bytes/workgroup (compile time only)
; SGPRBlocks: 0
; VGPRBlocks: 0
; NumSGPRsForWavesPerEU: 6
; NumVGPRsForWavesPerEU: 1
; AccumOffset: 4
; Occupancy: 8
; WaveLimiterHint : 0
; COMPUTE_PGM_RSRC2:SCRATCH_EN: 0
; COMPUTE_PGM_RSRC2:USER_SGPR: 2
; COMPUTE_PGM_RSRC2:TRAP_HANDLER: 0
; COMPUTE_PGM_RSRC2:TGID_X_EN: 1
; COMPUTE_PGM_RSRC2:TGID_Y_EN: 0
; COMPUTE_PGM_RSRC2:TGID_Z_EN: 0
; COMPUTE_PGM_RSRC2:TIDIG_COMP_CNT: 0
; COMPUTE_PGM_RSRC3_GFX90A:ACCUM_OFFSET: 0
; COMPUTE_PGM_RSRC3_GFX90A:TG_SPLIT: 0
	.section	.text._ZN7rocprim17ROCPRIM_400000_NS6detail17trampoline_kernelINS0_14default_configENS1_38merge_sort_block_merge_config_selectorIiNS0_10empty_typeEEEZZNS1_27merge_sort_block_merge_implIS3_N6thrust23THRUST_200600_302600_NS6detail15normal_iteratorINS9_10device_ptrIiEEEEPS5_jNS1_19radix_merge_compareILb1ELb1EiNS0_19identity_decomposerEEEEE10hipError_tT0_T1_T2_jT3_P12ihipStream_tbPNSt15iterator_traitsISK_E10value_typeEPNSQ_ISL_E10value_typeEPSM_NS1_7vsmem_tEENKUlT_SK_SL_SM_E_clISE_PiSF_SF_EESJ_SZ_SK_SL_SM_EUlSZ_E0_NS1_11comp_targetILNS1_3genE3ELNS1_11target_archE908ELNS1_3gpuE7ELNS1_3repE0EEENS1_38merge_mergepath_config_static_selectorELNS0_4arch9wavefront6targetE1EEEvSL_,"axG",@progbits,_ZN7rocprim17ROCPRIM_400000_NS6detail17trampoline_kernelINS0_14default_configENS1_38merge_sort_block_merge_config_selectorIiNS0_10empty_typeEEEZZNS1_27merge_sort_block_merge_implIS3_N6thrust23THRUST_200600_302600_NS6detail15normal_iteratorINS9_10device_ptrIiEEEEPS5_jNS1_19radix_merge_compareILb1ELb1EiNS0_19identity_decomposerEEEEE10hipError_tT0_T1_T2_jT3_P12ihipStream_tbPNSt15iterator_traitsISK_E10value_typeEPNSQ_ISL_E10value_typeEPSM_NS1_7vsmem_tEENKUlT_SK_SL_SM_E_clISE_PiSF_SF_EESJ_SZ_SK_SL_SM_EUlSZ_E0_NS1_11comp_targetILNS1_3genE3ELNS1_11target_archE908ELNS1_3gpuE7ELNS1_3repE0EEENS1_38merge_mergepath_config_static_selectorELNS0_4arch9wavefront6targetE1EEEvSL_,comdat
	.protected	_ZN7rocprim17ROCPRIM_400000_NS6detail17trampoline_kernelINS0_14default_configENS1_38merge_sort_block_merge_config_selectorIiNS0_10empty_typeEEEZZNS1_27merge_sort_block_merge_implIS3_N6thrust23THRUST_200600_302600_NS6detail15normal_iteratorINS9_10device_ptrIiEEEEPS5_jNS1_19radix_merge_compareILb1ELb1EiNS0_19identity_decomposerEEEEE10hipError_tT0_T1_T2_jT3_P12ihipStream_tbPNSt15iterator_traitsISK_E10value_typeEPNSQ_ISL_E10value_typeEPSM_NS1_7vsmem_tEENKUlT_SK_SL_SM_E_clISE_PiSF_SF_EESJ_SZ_SK_SL_SM_EUlSZ_E0_NS1_11comp_targetILNS1_3genE3ELNS1_11target_archE908ELNS1_3gpuE7ELNS1_3repE0EEENS1_38merge_mergepath_config_static_selectorELNS0_4arch9wavefront6targetE1EEEvSL_ ; -- Begin function _ZN7rocprim17ROCPRIM_400000_NS6detail17trampoline_kernelINS0_14default_configENS1_38merge_sort_block_merge_config_selectorIiNS0_10empty_typeEEEZZNS1_27merge_sort_block_merge_implIS3_N6thrust23THRUST_200600_302600_NS6detail15normal_iteratorINS9_10device_ptrIiEEEEPS5_jNS1_19radix_merge_compareILb1ELb1EiNS0_19identity_decomposerEEEEE10hipError_tT0_T1_T2_jT3_P12ihipStream_tbPNSt15iterator_traitsISK_E10value_typeEPNSQ_ISL_E10value_typeEPSM_NS1_7vsmem_tEENKUlT_SK_SL_SM_E_clISE_PiSF_SF_EESJ_SZ_SK_SL_SM_EUlSZ_E0_NS1_11comp_targetILNS1_3genE3ELNS1_11target_archE908ELNS1_3gpuE7ELNS1_3repE0EEENS1_38merge_mergepath_config_static_selectorELNS0_4arch9wavefront6targetE1EEEvSL_
	.globl	_ZN7rocprim17ROCPRIM_400000_NS6detail17trampoline_kernelINS0_14default_configENS1_38merge_sort_block_merge_config_selectorIiNS0_10empty_typeEEEZZNS1_27merge_sort_block_merge_implIS3_N6thrust23THRUST_200600_302600_NS6detail15normal_iteratorINS9_10device_ptrIiEEEEPS5_jNS1_19radix_merge_compareILb1ELb1EiNS0_19identity_decomposerEEEEE10hipError_tT0_T1_T2_jT3_P12ihipStream_tbPNSt15iterator_traitsISK_E10value_typeEPNSQ_ISL_E10value_typeEPSM_NS1_7vsmem_tEENKUlT_SK_SL_SM_E_clISE_PiSF_SF_EESJ_SZ_SK_SL_SM_EUlSZ_E0_NS1_11comp_targetILNS1_3genE3ELNS1_11target_archE908ELNS1_3gpuE7ELNS1_3repE0EEENS1_38merge_mergepath_config_static_selectorELNS0_4arch9wavefront6targetE1EEEvSL_
	.p2align	8
	.type	_ZN7rocprim17ROCPRIM_400000_NS6detail17trampoline_kernelINS0_14default_configENS1_38merge_sort_block_merge_config_selectorIiNS0_10empty_typeEEEZZNS1_27merge_sort_block_merge_implIS3_N6thrust23THRUST_200600_302600_NS6detail15normal_iteratorINS9_10device_ptrIiEEEEPS5_jNS1_19radix_merge_compareILb1ELb1EiNS0_19identity_decomposerEEEEE10hipError_tT0_T1_T2_jT3_P12ihipStream_tbPNSt15iterator_traitsISK_E10value_typeEPNSQ_ISL_E10value_typeEPSM_NS1_7vsmem_tEENKUlT_SK_SL_SM_E_clISE_PiSF_SF_EESJ_SZ_SK_SL_SM_EUlSZ_E0_NS1_11comp_targetILNS1_3genE3ELNS1_11target_archE908ELNS1_3gpuE7ELNS1_3repE0EEENS1_38merge_mergepath_config_static_selectorELNS0_4arch9wavefront6targetE1EEEvSL_,@function
_ZN7rocprim17ROCPRIM_400000_NS6detail17trampoline_kernelINS0_14default_configENS1_38merge_sort_block_merge_config_selectorIiNS0_10empty_typeEEEZZNS1_27merge_sort_block_merge_implIS3_N6thrust23THRUST_200600_302600_NS6detail15normal_iteratorINS9_10device_ptrIiEEEEPS5_jNS1_19radix_merge_compareILb1ELb1EiNS0_19identity_decomposerEEEEE10hipError_tT0_T1_T2_jT3_P12ihipStream_tbPNSt15iterator_traitsISK_E10value_typeEPNSQ_ISL_E10value_typeEPSM_NS1_7vsmem_tEENKUlT_SK_SL_SM_E_clISE_PiSF_SF_EESJ_SZ_SK_SL_SM_EUlSZ_E0_NS1_11comp_targetILNS1_3genE3ELNS1_11target_archE908ELNS1_3gpuE7ELNS1_3repE0EEENS1_38merge_mergepath_config_static_selectorELNS0_4arch9wavefront6targetE1EEEvSL_: ; @_ZN7rocprim17ROCPRIM_400000_NS6detail17trampoline_kernelINS0_14default_configENS1_38merge_sort_block_merge_config_selectorIiNS0_10empty_typeEEEZZNS1_27merge_sort_block_merge_implIS3_N6thrust23THRUST_200600_302600_NS6detail15normal_iteratorINS9_10device_ptrIiEEEEPS5_jNS1_19radix_merge_compareILb1ELb1EiNS0_19identity_decomposerEEEEE10hipError_tT0_T1_T2_jT3_P12ihipStream_tbPNSt15iterator_traitsISK_E10value_typeEPNSQ_ISL_E10value_typeEPSM_NS1_7vsmem_tEENKUlT_SK_SL_SM_E_clISE_PiSF_SF_EESJ_SZ_SK_SL_SM_EUlSZ_E0_NS1_11comp_targetILNS1_3genE3ELNS1_11target_archE908ELNS1_3gpuE7ELNS1_3repE0EEENS1_38merge_mergepath_config_static_selectorELNS0_4arch9wavefront6targetE1EEEvSL_
; %bb.0:
	.section	.rodata,"a",@progbits
	.p2align	6, 0x0
	.amdhsa_kernel _ZN7rocprim17ROCPRIM_400000_NS6detail17trampoline_kernelINS0_14default_configENS1_38merge_sort_block_merge_config_selectorIiNS0_10empty_typeEEEZZNS1_27merge_sort_block_merge_implIS3_N6thrust23THRUST_200600_302600_NS6detail15normal_iteratorINS9_10device_ptrIiEEEEPS5_jNS1_19radix_merge_compareILb1ELb1EiNS0_19identity_decomposerEEEEE10hipError_tT0_T1_T2_jT3_P12ihipStream_tbPNSt15iterator_traitsISK_E10value_typeEPNSQ_ISL_E10value_typeEPSM_NS1_7vsmem_tEENKUlT_SK_SL_SM_E_clISE_PiSF_SF_EESJ_SZ_SK_SL_SM_EUlSZ_E0_NS1_11comp_targetILNS1_3genE3ELNS1_11target_archE908ELNS1_3gpuE7ELNS1_3repE0EEENS1_38merge_mergepath_config_static_selectorELNS0_4arch9wavefront6targetE1EEEvSL_
		.amdhsa_group_segment_fixed_size 0
		.amdhsa_private_segment_fixed_size 0
		.amdhsa_kernarg_size 64
		.amdhsa_user_sgpr_count 2
		.amdhsa_user_sgpr_dispatch_ptr 0
		.amdhsa_user_sgpr_queue_ptr 0
		.amdhsa_user_sgpr_kernarg_segment_ptr 1
		.amdhsa_user_sgpr_dispatch_id 0
		.amdhsa_user_sgpr_kernarg_preload_length 0
		.amdhsa_user_sgpr_kernarg_preload_offset 0
		.amdhsa_user_sgpr_private_segment_size 0
		.amdhsa_uses_dynamic_stack 0
		.amdhsa_enable_private_segment 0
		.amdhsa_system_sgpr_workgroup_id_x 1
		.amdhsa_system_sgpr_workgroup_id_y 0
		.amdhsa_system_sgpr_workgroup_id_z 0
		.amdhsa_system_sgpr_workgroup_info 0
		.amdhsa_system_vgpr_workitem_id 0
		.amdhsa_next_free_vgpr 1
		.amdhsa_next_free_sgpr 0
		.amdhsa_accum_offset 4
		.amdhsa_reserve_vcc 0
		.amdhsa_float_round_mode_32 0
		.amdhsa_float_round_mode_16_64 0
		.amdhsa_float_denorm_mode_32 3
		.amdhsa_float_denorm_mode_16_64 3
		.amdhsa_dx10_clamp 1
		.amdhsa_ieee_mode 1
		.amdhsa_fp16_overflow 0
		.amdhsa_tg_split 0
		.amdhsa_exception_fp_ieee_invalid_op 0
		.amdhsa_exception_fp_denorm_src 0
		.amdhsa_exception_fp_ieee_div_zero 0
		.amdhsa_exception_fp_ieee_overflow 0
		.amdhsa_exception_fp_ieee_underflow 0
		.amdhsa_exception_fp_ieee_inexact 0
		.amdhsa_exception_int_div_zero 0
	.end_amdhsa_kernel
	.section	.text._ZN7rocprim17ROCPRIM_400000_NS6detail17trampoline_kernelINS0_14default_configENS1_38merge_sort_block_merge_config_selectorIiNS0_10empty_typeEEEZZNS1_27merge_sort_block_merge_implIS3_N6thrust23THRUST_200600_302600_NS6detail15normal_iteratorINS9_10device_ptrIiEEEEPS5_jNS1_19radix_merge_compareILb1ELb1EiNS0_19identity_decomposerEEEEE10hipError_tT0_T1_T2_jT3_P12ihipStream_tbPNSt15iterator_traitsISK_E10value_typeEPNSQ_ISL_E10value_typeEPSM_NS1_7vsmem_tEENKUlT_SK_SL_SM_E_clISE_PiSF_SF_EESJ_SZ_SK_SL_SM_EUlSZ_E0_NS1_11comp_targetILNS1_3genE3ELNS1_11target_archE908ELNS1_3gpuE7ELNS1_3repE0EEENS1_38merge_mergepath_config_static_selectorELNS0_4arch9wavefront6targetE1EEEvSL_,"axG",@progbits,_ZN7rocprim17ROCPRIM_400000_NS6detail17trampoline_kernelINS0_14default_configENS1_38merge_sort_block_merge_config_selectorIiNS0_10empty_typeEEEZZNS1_27merge_sort_block_merge_implIS3_N6thrust23THRUST_200600_302600_NS6detail15normal_iteratorINS9_10device_ptrIiEEEEPS5_jNS1_19radix_merge_compareILb1ELb1EiNS0_19identity_decomposerEEEEE10hipError_tT0_T1_T2_jT3_P12ihipStream_tbPNSt15iterator_traitsISK_E10value_typeEPNSQ_ISL_E10value_typeEPSM_NS1_7vsmem_tEENKUlT_SK_SL_SM_E_clISE_PiSF_SF_EESJ_SZ_SK_SL_SM_EUlSZ_E0_NS1_11comp_targetILNS1_3genE3ELNS1_11target_archE908ELNS1_3gpuE7ELNS1_3repE0EEENS1_38merge_mergepath_config_static_selectorELNS0_4arch9wavefront6targetE1EEEvSL_,comdat
.Lfunc_end306:
	.size	_ZN7rocprim17ROCPRIM_400000_NS6detail17trampoline_kernelINS0_14default_configENS1_38merge_sort_block_merge_config_selectorIiNS0_10empty_typeEEEZZNS1_27merge_sort_block_merge_implIS3_N6thrust23THRUST_200600_302600_NS6detail15normal_iteratorINS9_10device_ptrIiEEEEPS5_jNS1_19radix_merge_compareILb1ELb1EiNS0_19identity_decomposerEEEEE10hipError_tT0_T1_T2_jT3_P12ihipStream_tbPNSt15iterator_traitsISK_E10value_typeEPNSQ_ISL_E10value_typeEPSM_NS1_7vsmem_tEENKUlT_SK_SL_SM_E_clISE_PiSF_SF_EESJ_SZ_SK_SL_SM_EUlSZ_E0_NS1_11comp_targetILNS1_3genE3ELNS1_11target_archE908ELNS1_3gpuE7ELNS1_3repE0EEENS1_38merge_mergepath_config_static_selectorELNS0_4arch9wavefront6targetE1EEEvSL_, .Lfunc_end306-_ZN7rocprim17ROCPRIM_400000_NS6detail17trampoline_kernelINS0_14default_configENS1_38merge_sort_block_merge_config_selectorIiNS0_10empty_typeEEEZZNS1_27merge_sort_block_merge_implIS3_N6thrust23THRUST_200600_302600_NS6detail15normal_iteratorINS9_10device_ptrIiEEEEPS5_jNS1_19radix_merge_compareILb1ELb1EiNS0_19identity_decomposerEEEEE10hipError_tT0_T1_T2_jT3_P12ihipStream_tbPNSt15iterator_traitsISK_E10value_typeEPNSQ_ISL_E10value_typeEPSM_NS1_7vsmem_tEENKUlT_SK_SL_SM_E_clISE_PiSF_SF_EESJ_SZ_SK_SL_SM_EUlSZ_E0_NS1_11comp_targetILNS1_3genE3ELNS1_11target_archE908ELNS1_3gpuE7ELNS1_3repE0EEENS1_38merge_mergepath_config_static_selectorELNS0_4arch9wavefront6targetE1EEEvSL_
                                        ; -- End function
	.set _ZN7rocprim17ROCPRIM_400000_NS6detail17trampoline_kernelINS0_14default_configENS1_38merge_sort_block_merge_config_selectorIiNS0_10empty_typeEEEZZNS1_27merge_sort_block_merge_implIS3_N6thrust23THRUST_200600_302600_NS6detail15normal_iteratorINS9_10device_ptrIiEEEEPS5_jNS1_19radix_merge_compareILb1ELb1EiNS0_19identity_decomposerEEEEE10hipError_tT0_T1_T2_jT3_P12ihipStream_tbPNSt15iterator_traitsISK_E10value_typeEPNSQ_ISL_E10value_typeEPSM_NS1_7vsmem_tEENKUlT_SK_SL_SM_E_clISE_PiSF_SF_EESJ_SZ_SK_SL_SM_EUlSZ_E0_NS1_11comp_targetILNS1_3genE3ELNS1_11target_archE908ELNS1_3gpuE7ELNS1_3repE0EEENS1_38merge_mergepath_config_static_selectorELNS0_4arch9wavefront6targetE1EEEvSL_.num_vgpr, 0
	.set _ZN7rocprim17ROCPRIM_400000_NS6detail17trampoline_kernelINS0_14default_configENS1_38merge_sort_block_merge_config_selectorIiNS0_10empty_typeEEEZZNS1_27merge_sort_block_merge_implIS3_N6thrust23THRUST_200600_302600_NS6detail15normal_iteratorINS9_10device_ptrIiEEEEPS5_jNS1_19radix_merge_compareILb1ELb1EiNS0_19identity_decomposerEEEEE10hipError_tT0_T1_T2_jT3_P12ihipStream_tbPNSt15iterator_traitsISK_E10value_typeEPNSQ_ISL_E10value_typeEPSM_NS1_7vsmem_tEENKUlT_SK_SL_SM_E_clISE_PiSF_SF_EESJ_SZ_SK_SL_SM_EUlSZ_E0_NS1_11comp_targetILNS1_3genE3ELNS1_11target_archE908ELNS1_3gpuE7ELNS1_3repE0EEENS1_38merge_mergepath_config_static_selectorELNS0_4arch9wavefront6targetE1EEEvSL_.num_agpr, 0
	.set _ZN7rocprim17ROCPRIM_400000_NS6detail17trampoline_kernelINS0_14default_configENS1_38merge_sort_block_merge_config_selectorIiNS0_10empty_typeEEEZZNS1_27merge_sort_block_merge_implIS3_N6thrust23THRUST_200600_302600_NS6detail15normal_iteratorINS9_10device_ptrIiEEEEPS5_jNS1_19radix_merge_compareILb1ELb1EiNS0_19identity_decomposerEEEEE10hipError_tT0_T1_T2_jT3_P12ihipStream_tbPNSt15iterator_traitsISK_E10value_typeEPNSQ_ISL_E10value_typeEPSM_NS1_7vsmem_tEENKUlT_SK_SL_SM_E_clISE_PiSF_SF_EESJ_SZ_SK_SL_SM_EUlSZ_E0_NS1_11comp_targetILNS1_3genE3ELNS1_11target_archE908ELNS1_3gpuE7ELNS1_3repE0EEENS1_38merge_mergepath_config_static_selectorELNS0_4arch9wavefront6targetE1EEEvSL_.numbered_sgpr, 0
	.set _ZN7rocprim17ROCPRIM_400000_NS6detail17trampoline_kernelINS0_14default_configENS1_38merge_sort_block_merge_config_selectorIiNS0_10empty_typeEEEZZNS1_27merge_sort_block_merge_implIS3_N6thrust23THRUST_200600_302600_NS6detail15normal_iteratorINS9_10device_ptrIiEEEEPS5_jNS1_19radix_merge_compareILb1ELb1EiNS0_19identity_decomposerEEEEE10hipError_tT0_T1_T2_jT3_P12ihipStream_tbPNSt15iterator_traitsISK_E10value_typeEPNSQ_ISL_E10value_typeEPSM_NS1_7vsmem_tEENKUlT_SK_SL_SM_E_clISE_PiSF_SF_EESJ_SZ_SK_SL_SM_EUlSZ_E0_NS1_11comp_targetILNS1_3genE3ELNS1_11target_archE908ELNS1_3gpuE7ELNS1_3repE0EEENS1_38merge_mergepath_config_static_selectorELNS0_4arch9wavefront6targetE1EEEvSL_.num_named_barrier, 0
	.set _ZN7rocprim17ROCPRIM_400000_NS6detail17trampoline_kernelINS0_14default_configENS1_38merge_sort_block_merge_config_selectorIiNS0_10empty_typeEEEZZNS1_27merge_sort_block_merge_implIS3_N6thrust23THRUST_200600_302600_NS6detail15normal_iteratorINS9_10device_ptrIiEEEEPS5_jNS1_19radix_merge_compareILb1ELb1EiNS0_19identity_decomposerEEEEE10hipError_tT0_T1_T2_jT3_P12ihipStream_tbPNSt15iterator_traitsISK_E10value_typeEPNSQ_ISL_E10value_typeEPSM_NS1_7vsmem_tEENKUlT_SK_SL_SM_E_clISE_PiSF_SF_EESJ_SZ_SK_SL_SM_EUlSZ_E0_NS1_11comp_targetILNS1_3genE3ELNS1_11target_archE908ELNS1_3gpuE7ELNS1_3repE0EEENS1_38merge_mergepath_config_static_selectorELNS0_4arch9wavefront6targetE1EEEvSL_.private_seg_size, 0
	.set _ZN7rocprim17ROCPRIM_400000_NS6detail17trampoline_kernelINS0_14default_configENS1_38merge_sort_block_merge_config_selectorIiNS0_10empty_typeEEEZZNS1_27merge_sort_block_merge_implIS3_N6thrust23THRUST_200600_302600_NS6detail15normal_iteratorINS9_10device_ptrIiEEEEPS5_jNS1_19radix_merge_compareILb1ELb1EiNS0_19identity_decomposerEEEEE10hipError_tT0_T1_T2_jT3_P12ihipStream_tbPNSt15iterator_traitsISK_E10value_typeEPNSQ_ISL_E10value_typeEPSM_NS1_7vsmem_tEENKUlT_SK_SL_SM_E_clISE_PiSF_SF_EESJ_SZ_SK_SL_SM_EUlSZ_E0_NS1_11comp_targetILNS1_3genE3ELNS1_11target_archE908ELNS1_3gpuE7ELNS1_3repE0EEENS1_38merge_mergepath_config_static_selectorELNS0_4arch9wavefront6targetE1EEEvSL_.uses_vcc, 0
	.set _ZN7rocprim17ROCPRIM_400000_NS6detail17trampoline_kernelINS0_14default_configENS1_38merge_sort_block_merge_config_selectorIiNS0_10empty_typeEEEZZNS1_27merge_sort_block_merge_implIS3_N6thrust23THRUST_200600_302600_NS6detail15normal_iteratorINS9_10device_ptrIiEEEEPS5_jNS1_19radix_merge_compareILb1ELb1EiNS0_19identity_decomposerEEEEE10hipError_tT0_T1_T2_jT3_P12ihipStream_tbPNSt15iterator_traitsISK_E10value_typeEPNSQ_ISL_E10value_typeEPSM_NS1_7vsmem_tEENKUlT_SK_SL_SM_E_clISE_PiSF_SF_EESJ_SZ_SK_SL_SM_EUlSZ_E0_NS1_11comp_targetILNS1_3genE3ELNS1_11target_archE908ELNS1_3gpuE7ELNS1_3repE0EEENS1_38merge_mergepath_config_static_selectorELNS0_4arch9wavefront6targetE1EEEvSL_.uses_flat_scratch, 0
	.set _ZN7rocprim17ROCPRIM_400000_NS6detail17trampoline_kernelINS0_14default_configENS1_38merge_sort_block_merge_config_selectorIiNS0_10empty_typeEEEZZNS1_27merge_sort_block_merge_implIS3_N6thrust23THRUST_200600_302600_NS6detail15normal_iteratorINS9_10device_ptrIiEEEEPS5_jNS1_19radix_merge_compareILb1ELb1EiNS0_19identity_decomposerEEEEE10hipError_tT0_T1_T2_jT3_P12ihipStream_tbPNSt15iterator_traitsISK_E10value_typeEPNSQ_ISL_E10value_typeEPSM_NS1_7vsmem_tEENKUlT_SK_SL_SM_E_clISE_PiSF_SF_EESJ_SZ_SK_SL_SM_EUlSZ_E0_NS1_11comp_targetILNS1_3genE3ELNS1_11target_archE908ELNS1_3gpuE7ELNS1_3repE0EEENS1_38merge_mergepath_config_static_selectorELNS0_4arch9wavefront6targetE1EEEvSL_.has_dyn_sized_stack, 0
	.set _ZN7rocprim17ROCPRIM_400000_NS6detail17trampoline_kernelINS0_14default_configENS1_38merge_sort_block_merge_config_selectorIiNS0_10empty_typeEEEZZNS1_27merge_sort_block_merge_implIS3_N6thrust23THRUST_200600_302600_NS6detail15normal_iteratorINS9_10device_ptrIiEEEEPS5_jNS1_19radix_merge_compareILb1ELb1EiNS0_19identity_decomposerEEEEE10hipError_tT0_T1_T2_jT3_P12ihipStream_tbPNSt15iterator_traitsISK_E10value_typeEPNSQ_ISL_E10value_typeEPSM_NS1_7vsmem_tEENKUlT_SK_SL_SM_E_clISE_PiSF_SF_EESJ_SZ_SK_SL_SM_EUlSZ_E0_NS1_11comp_targetILNS1_3genE3ELNS1_11target_archE908ELNS1_3gpuE7ELNS1_3repE0EEENS1_38merge_mergepath_config_static_selectorELNS0_4arch9wavefront6targetE1EEEvSL_.has_recursion, 0
	.set _ZN7rocprim17ROCPRIM_400000_NS6detail17trampoline_kernelINS0_14default_configENS1_38merge_sort_block_merge_config_selectorIiNS0_10empty_typeEEEZZNS1_27merge_sort_block_merge_implIS3_N6thrust23THRUST_200600_302600_NS6detail15normal_iteratorINS9_10device_ptrIiEEEEPS5_jNS1_19radix_merge_compareILb1ELb1EiNS0_19identity_decomposerEEEEE10hipError_tT0_T1_T2_jT3_P12ihipStream_tbPNSt15iterator_traitsISK_E10value_typeEPNSQ_ISL_E10value_typeEPSM_NS1_7vsmem_tEENKUlT_SK_SL_SM_E_clISE_PiSF_SF_EESJ_SZ_SK_SL_SM_EUlSZ_E0_NS1_11comp_targetILNS1_3genE3ELNS1_11target_archE908ELNS1_3gpuE7ELNS1_3repE0EEENS1_38merge_mergepath_config_static_selectorELNS0_4arch9wavefront6targetE1EEEvSL_.has_indirect_call, 0
	.section	.AMDGPU.csdata,"",@progbits
; Kernel info:
; codeLenInByte = 0
; TotalNumSgprs: 6
; NumVgprs: 0
; NumAgprs: 0
; TotalNumVgprs: 0
; ScratchSize: 0
; MemoryBound: 0
; FloatMode: 240
; IeeeMode: 1
; LDSByteSize: 0 bytes/workgroup (compile time only)
; SGPRBlocks: 0
; VGPRBlocks: 0
; NumSGPRsForWavesPerEU: 6
; NumVGPRsForWavesPerEU: 1
; AccumOffset: 4
; Occupancy: 8
; WaveLimiterHint : 0
; COMPUTE_PGM_RSRC2:SCRATCH_EN: 0
; COMPUTE_PGM_RSRC2:USER_SGPR: 2
; COMPUTE_PGM_RSRC2:TRAP_HANDLER: 0
; COMPUTE_PGM_RSRC2:TGID_X_EN: 1
; COMPUTE_PGM_RSRC2:TGID_Y_EN: 0
; COMPUTE_PGM_RSRC2:TGID_Z_EN: 0
; COMPUTE_PGM_RSRC2:TIDIG_COMP_CNT: 0
; COMPUTE_PGM_RSRC3_GFX90A:ACCUM_OFFSET: 0
; COMPUTE_PGM_RSRC3_GFX90A:TG_SPLIT: 0
	.section	.text._ZN7rocprim17ROCPRIM_400000_NS6detail17trampoline_kernelINS0_14default_configENS1_38merge_sort_block_merge_config_selectorIiNS0_10empty_typeEEEZZNS1_27merge_sort_block_merge_implIS3_N6thrust23THRUST_200600_302600_NS6detail15normal_iteratorINS9_10device_ptrIiEEEEPS5_jNS1_19radix_merge_compareILb1ELb1EiNS0_19identity_decomposerEEEEE10hipError_tT0_T1_T2_jT3_P12ihipStream_tbPNSt15iterator_traitsISK_E10value_typeEPNSQ_ISL_E10value_typeEPSM_NS1_7vsmem_tEENKUlT_SK_SL_SM_E_clISE_PiSF_SF_EESJ_SZ_SK_SL_SM_EUlSZ_E0_NS1_11comp_targetILNS1_3genE2ELNS1_11target_archE906ELNS1_3gpuE6ELNS1_3repE0EEENS1_38merge_mergepath_config_static_selectorELNS0_4arch9wavefront6targetE1EEEvSL_,"axG",@progbits,_ZN7rocprim17ROCPRIM_400000_NS6detail17trampoline_kernelINS0_14default_configENS1_38merge_sort_block_merge_config_selectorIiNS0_10empty_typeEEEZZNS1_27merge_sort_block_merge_implIS3_N6thrust23THRUST_200600_302600_NS6detail15normal_iteratorINS9_10device_ptrIiEEEEPS5_jNS1_19radix_merge_compareILb1ELb1EiNS0_19identity_decomposerEEEEE10hipError_tT0_T1_T2_jT3_P12ihipStream_tbPNSt15iterator_traitsISK_E10value_typeEPNSQ_ISL_E10value_typeEPSM_NS1_7vsmem_tEENKUlT_SK_SL_SM_E_clISE_PiSF_SF_EESJ_SZ_SK_SL_SM_EUlSZ_E0_NS1_11comp_targetILNS1_3genE2ELNS1_11target_archE906ELNS1_3gpuE6ELNS1_3repE0EEENS1_38merge_mergepath_config_static_selectorELNS0_4arch9wavefront6targetE1EEEvSL_,comdat
	.protected	_ZN7rocprim17ROCPRIM_400000_NS6detail17trampoline_kernelINS0_14default_configENS1_38merge_sort_block_merge_config_selectorIiNS0_10empty_typeEEEZZNS1_27merge_sort_block_merge_implIS3_N6thrust23THRUST_200600_302600_NS6detail15normal_iteratorINS9_10device_ptrIiEEEEPS5_jNS1_19radix_merge_compareILb1ELb1EiNS0_19identity_decomposerEEEEE10hipError_tT0_T1_T2_jT3_P12ihipStream_tbPNSt15iterator_traitsISK_E10value_typeEPNSQ_ISL_E10value_typeEPSM_NS1_7vsmem_tEENKUlT_SK_SL_SM_E_clISE_PiSF_SF_EESJ_SZ_SK_SL_SM_EUlSZ_E0_NS1_11comp_targetILNS1_3genE2ELNS1_11target_archE906ELNS1_3gpuE6ELNS1_3repE0EEENS1_38merge_mergepath_config_static_selectorELNS0_4arch9wavefront6targetE1EEEvSL_ ; -- Begin function _ZN7rocprim17ROCPRIM_400000_NS6detail17trampoline_kernelINS0_14default_configENS1_38merge_sort_block_merge_config_selectorIiNS0_10empty_typeEEEZZNS1_27merge_sort_block_merge_implIS3_N6thrust23THRUST_200600_302600_NS6detail15normal_iteratorINS9_10device_ptrIiEEEEPS5_jNS1_19radix_merge_compareILb1ELb1EiNS0_19identity_decomposerEEEEE10hipError_tT0_T1_T2_jT3_P12ihipStream_tbPNSt15iterator_traitsISK_E10value_typeEPNSQ_ISL_E10value_typeEPSM_NS1_7vsmem_tEENKUlT_SK_SL_SM_E_clISE_PiSF_SF_EESJ_SZ_SK_SL_SM_EUlSZ_E0_NS1_11comp_targetILNS1_3genE2ELNS1_11target_archE906ELNS1_3gpuE6ELNS1_3repE0EEENS1_38merge_mergepath_config_static_selectorELNS0_4arch9wavefront6targetE1EEEvSL_
	.globl	_ZN7rocprim17ROCPRIM_400000_NS6detail17trampoline_kernelINS0_14default_configENS1_38merge_sort_block_merge_config_selectorIiNS0_10empty_typeEEEZZNS1_27merge_sort_block_merge_implIS3_N6thrust23THRUST_200600_302600_NS6detail15normal_iteratorINS9_10device_ptrIiEEEEPS5_jNS1_19radix_merge_compareILb1ELb1EiNS0_19identity_decomposerEEEEE10hipError_tT0_T1_T2_jT3_P12ihipStream_tbPNSt15iterator_traitsISK_E10value_typeEPNSQ_ISL_E10value_typeEPSM_NS1_7vsmem_tEENKUlT_SK_SL_SM_E_clISE_PiSF_SF_EESJ_SZ_SK_SL_SM_EUlSZ_E0_NS1_11comp_targetILNS1_3genE2ELNS1_11target_archE906ELNS1_3gpuE6ELNS1_3repE0EEENS1_38merge_mergepath_config_static_selectorELNS0_4arch9wavefront6targetE1EEEvSL_
	.p2align	8
	.type	_ZN7rocprim17ROCPRIM_400000_NS6detail17trampoline_kernelINS0_14default_configENS1_38merge_sort_block_merge_config_selectorIiNS0_10empty_typeEEEZZNS1_27merge_sort_block_merge_implIS3_N6thrust23THRUST_200600_302600_NS6detail15normal_iteratorINS9_10device_ptrIiEEEEPS5_jNS1_19radix_merge_compareILb1ELb1EiNS0_19identity_decomposerEEEEE10hipError_tT0_T1_T2_jT3_P12ihipStream_tbPNSt15iterator_traitsISK_E10value_typeEPNSQ_ISL_E10value_typeEPSM_NS1_7vsmem_tEENKUlT_SK_SL_SM_E_clISE_PiSF_SF_EESJ_SZ_SK_SL_SM_EUlSZ_E0_NS1_11comp_targetILNS1_3genE2ELNS1_11target_archE906ELNS1_3gpuE6ELNS1_3repE0EEENS1_38merge_mergepath_config_static_selectorELNS0_4arch9wavefront6targetE1EEEvSL_,@function
_ZN7rocprim17ROCPRIM_400000_NS6detail17trampoline_kernelINS0_14default_configENS1_38merge_sort_block_merge_config_selectorIiNS0_10empty_typeEEEZZNS1_27merge_sort_block_merge_implIS3_N6thrust23THRUST_200600_302600_NS6detail15normal_iteratorINS9_10device_ptrIiEEEEPS5_jNS1_19radix_merge_compareILb1ELb1EiNS0_19identity_decomposerEEEEE10hipError_tT0_T1_T2_jT3_P12ihipStream_tbPNSt15iterator_traitsISK_E10value_typeEPNSQ_ISL_E10value_typeEPSM_NS1_7vsmem_tEENKUlT_SK_SL_SM_E_clISE_PiSF_SF_EESJ_SZ_SK_SL_SM_EUlSZ_E0_NS1_11comp_targetILNS1_3genE2ELNS1_11target_archE906ELNS1_3gpuE6ELNS1_3repE0EEENS1_38merge_mergepath_config_static_selectorELNS0_4arch9wavefront6targetE1EEEvSL_: ; @_ZN7rocprim17ROCPRIM_400000_NS6detail17trampoline_kernelINS0_14default_configENS1_38merge_sort_block_merge_config_selectorIiNS0_10empty_typeEEEZZNS1_27merge_sort_block_merge_implIS3_N6thrust23THRUST_200600_302600_NS6detail15normal_iteratorINS9_10device_ptrIiEEEEPS5_jNS1_19radix_merge_compareILb1ELb1EiNS0_19identity_decomposerEEEEE10hipError_tT0_T1_T2_jT3_P12ihipStream_tbPNSt15iterator_traitsISK_E10value_typeEPNSQ_ISL_E10value_typeEPSM_NS1_7vsmem_tEENKUlT_SK_SL_SM_E_clISE_PiSF_SF_EESJ_SZ_SK_SL_SM_EUlSZ_E0_NS1_11comp_targetILNS1_3genE2ELNS1_11target_archE906ELNS1_3gpuE6ELNS1_3repE0EEENS1_38merge_mergepath_config_static_selectorELNS0_4arch9wavefront6targetE1EEEvSL_
; %bb.0:
	.section	.rodata,"a",@progbits
	.p2align	6, 0x0
	.amdhsa_kernel _ZN7rocprim17ROCPRIM_400000_NS6detail17trampoline_kernelINS0_14default_configENS1_38merge_sort_block_merge_config_selectorIiNS0_10empty_typeEEEZZNS1_27merge_sort_block_merge_implIS3_N6thrust23THRUST_200600_302600_NS6detail15normal_iteratorINS9_10device_ptrIiEEEEPS5_jNS1_19radix_merge_compareILb1ELb1EiNS0_19identity_decomposerEEEEE10hipError_tT0_T1_T2_jT3_P12ihipStream_tbPNSt15iterator_traitsISK_E10value_typeEPNSQ_ISL_E10value_typeEPSM_NS1_7vsmem_tEENKUlT_SK_SL_SM_E_clISE_PiSF_SF_EESJ_SZ_SK_SL_SM_EUlSZ_E0_NS1_11comp_targetILNS1_3genE2ELNS1_11target_archE906ELNS1_3gpuE6ELNS1_3repE0EEENS1_38merge_mergepath_config_static_selectorELNS0_4arch9wavefront6targetE1EEEvSL_
		.amdhsa_group_segment_fixed_size 0
		.amdhsa_private_segment_fixed_size 0
		.amdhsa_kernarg_size 64
		.amdhsa_user_sgpr_count 2
		.amdhsa_user_sgpr_dispatch_ptr 0
		.amdhsa_user_sgpr_queue_ptr 0
		.amdhsa_user_sgpr_kernarg_segment_ptr 1
		.amdhsa_user_sgpr_dispatch_id 0
		.amdhsa_user_sgpr_kernarg_preload_length 0
		.amdhsa_user_sgpr_kernarg_preload_offset 0
		.amdhsa_user_sgpr_private_segment_size 0
		.amdhsa_uses_dynamic_stack 0
		.amdhsa_enable_private_segment 0
		.amdhsa_system_sgpr_workgroup_id_x 1
		.amdhsa_system_sgpr_workgroup_id_y 0
		.amdhsa_system_sgpr_workgroup_id_z 0
		.amdhsa_system_sgpr_workgroup_info 0
		.amdhsa_system_vgpr_workitem_id 0
		.amdhsa_next_free_vgpr 1
		.amdhsa_next_free_sgpr 0
		.amdhsa_accum_offset 4
		.amdhsa_reserve_vcc 0
		.amdhsa_float_round_mode_32 0
		.amdhsa_float_round_mode_16_64 0
		.amdhsa_float_denorm_mode_32 3
		.amdhsa_float_denorm_mode_16_64 3
		.amdhsa_dx10_clamp 1
		.amdhsa_ieee_mode 1
		.amdhsa_fp16_overflow 0
		.amdhsa_tg_split 0
		.amdhsa_exception_fp_ieee_invalid_op 0
		.amdhsa_exception_fp_denorm_src 0
		.amdhsa_exception_fp_ieee_div_zero 0
		.amdhsa_exception_fp_ieee_overflow 0
		.amdhsa_exception_fp_ieee_underflow 0
		.amdhsa_exception_fp_ieee_inexact 0
		.amdhsa_exception_int_div_zero 0
	.end_amdhsa_kernel
	.section	.text._ZN7rocprim17ROCPRIM_400000_NS6detail17trampoline_kernelINS0_14default_configENS1_38merge_sort_block_merge_config_selectorIiNS0_10empty_typeEEEZZNS1_27merge_sort_block_merge_implIS3_N6thrust23THRUST_200600_302600_NS6detail15normal_iteratorINS9_10device_ptrIiEEEEPS5_jNS1_19radix_merge_compareILb1ELb1EiNS0_19identity_decomposerEEEEE10hipError_tT0_T1_T2_jT3_P12ihipStream_tbPNSt15iterator_traitsISK_E10value_typeEPNSQ_ISL_E10value_typeEPSM_NS1_7vsmem_tEENKUlT_SK_SL_SM_E_clISE_PiSF_SF_EESJ_SZ_SK_SL_SM_EUlSZ_E0_NS1_11comp_targetILNS1_3genE2ELNS1_11target_archE906ELNS1_3gpuE6ELNS1_3repE0EEENS1_38merge_mergepath_config_static_selectorELNS0_4arch9wavefront6targetE1EEEvSL_,"axG",@progbits,_ZN7rocprim17ROCPRIM_400000_NS6detail17trampoline_kernelINS0_14default_configENS1_38merge_sort_block_merge_config_selectorIiNS0_10empty_typeEEEZZNS1_27merge_sort_block_merge_implIS3_N6thrust23THRUST_200600_302600_NS6detail15normal_iteratorINS9_10device_ptrIiEEEEPS5_jNS1_19radix_merge_compareILb1ELb1EiNS0_19identity_decomposerEEEEE10hipError_tT0_T1_T2_jT3_P12ihipStream_tbPNSt15iterator_traitsISK_E10value_typeEPNSQ_ISL_E10value_typeEPSM_NS1_7vsmem_tEENKUlT_SK_SL_SM_E_clISE_PiSF_SF_EESJ_SZ_SK_SL_SM_EUlSZ_E0_NS1_11comp_targetILNS1_3genE2ELNS1_11target_archE906ELNS1_3gpuE6ELNS1_3repE0EEENS1_38merge_mergepath_config_static_selectorELNS0_4arch9wavefront6targetE1EEEvSL_,comdat
.Lfunc_end307:
	.size	_ZN7rocprim17ROCPRIM_400000_NS6detail17trampoline_kernelINS0_14default_configENS1_38merge_sort_block_merge_config_selectorIiNS0_10empty_typeEEEZZNS1_27merge_sort_block_merge_implIS3_N6thrust23THRUST_200600_302600_NS6detail15normal_iteratorINS9_10device_ptrIiEEEEPS5_jNS1_19radix_merge_compareILb1ELb1EiNS0_19identity_decomposerEEEEE10hipError_tT0_T1_T2_jT3_P12ihipStream_tbPNSt15iterator_traitsISK_E10value_typeEPNSQ_ISL_E10value_typeEPSM_NS1_7vsmem_tEENKUlT_SK_SL_SM_E_clISE_PiSF_SF_EESJ_SZ_SK_SL_SM_EUlSZ_E0_NS1_11comp_targetILNS1_3genE2ELNS1_11target_archE906ELNS1_3gpuE6ELNS1_3repE0EEENS1_38merge_mergepath_config_static_selectorELNS0_4arch9wavefront6targetE1EEEvSL_, .Lfunc_end307-_ZN7rocprim17ROCPRIM_400000_NS6detail17trampoline_kernelINS0_14default_configENS1_38merge_sort_block_merge_config_selectorIiNS0_10empty_typeEEEZZNS1_27merge_sort_block_merge_implIS3_N6thrust23THRUST_200600_302600_NS6detail15normal_iteratorINS9_10device_ptrIiEEEEPS5_jNS1_19radix_merge_compareILb1ELb1EiNS0_19identity_decomposerEEEEE10hipError_tT0_T1_T2_jT3_P12ihipStream_tbPNSt15iterator_traitsISK_E10value_typeEPNSQ_ISL_E10value_typeEPSM_NS1_7vsmem_tEENKUlT_SK_SL_SM_E_clISE_PiSF_SF_EESJ_SZ_SK_SL_SM_EUlSZ_E0_NS1_11comp_targetILNS1_3genE2ELNS1_11target_archE906ELNS1_3gpuE6ELNS1_3repE0EEENS1_38merge_mergepath_config_static_selectorELNS0_4arch9wavefront6targetE1EEEvSL_
                                        ; -- End function
	.set _ZN7rocprim17ROCPRIM_400000_NS6detail17trampoline_kernelINS0_14default_configENS1_38merge_sort_block_merge_config_selectorIiNS0_10empty_typeEEEZZNS1_27merge_sort_block_merge_implIS3_N6thrust23THRUST_200600_302600_NS6detail15normal_iteratorINS9_10device_ptrIiEEEEPS5_jNS1_19radix_merge_compareILb1ELb1EiNS0_19identity_decomposerEEEEE10hipError_tT0_T1_T2_jT3_P12ihipStream_tbPNSt15iterator_traitsISK_E10value_typeEPNSQ_ISL_E10value_typeEPSM_NS1_7vsmem_tEENKUlT_SK_SL_SM_E_clISE_PiSF_SF_EESJ_SZ_SK_SL_SM_EUlSZ_E0_NS1_11comp_targetILNS1_3genE2ELNS1_11target_archE906ELNS1_3gpuE6ELNS1_3repE0EEENS1_38merge_mergepath_config_static_selectorELNS0_4arch9wavefront6targetE1EEEvSL_.num_vgpr, 0
	.set _ZN7rocprim17ROCPRIM_400000_NS6detail17trampoline_kernelINS0_14default_configENS1_38merge_sort_block_merge_config_selectorIiNS0_10empty_typeEEEZZNS1_27merge_sort_block_merge_implIS3_N6thrust23THRUST_200600_302600_NS6detail15normal_iteratorINS9_10device_ptrIiEEEEPS5_jNS1_19radix_merge_compareILb1ELb1EiNS0_19identity_decomposerEEEEE10hipError_tT0_T1_T2_jT3_P12ihipStream_tbPNSt15iterator_traitsISK_E10value_typeEPNSQ_ISL_E10value_typeEPSM_NS1_7vsmem_tEENKUlT_SK_SL_SM_E_clISE_PiSF_SF_EESJ_SZ_SK_SL_SM_EUlSZ_E0_NS1_11comp_targetILNS1_3genE2ELNS1_11target_archE906ELNS1_3gpuE6ELNS1_3repE0EEENS1_38merge_mergepath_config_static_selectorELNS0_4arch9wavefront6targetE1EEEvSL_.num_agpr, 0
	.set _ZN7rocprim17ROCPRIM_400000_NS6detail17trampoline_kernelINS0_14default_configENS1_38merge_sort_block_merge_config_selectorIiNS0_10empty_typeEEEZZNS1_27merge_sort_block_merge_implIS3_N6thrust23THRUST_200600_302600_NS6detail15normal_iteratorINS9_10device_ptrIiEEEEPS5_jNS1_19radix_merge_compareILb1ELb1EiNS0_19identity_decomposerEEEEE10hipError_tT0_T1_T2_jT3_P12ihipStream_tbPNSt15iterator_traitsISK_E10value_typeEPNSQ_ISL_E10value_typeEPSM_NS1_7vsmem_tEENKUlT_SK_SL_SM_E_clISE_PiSF_SF_EESJ_SZ_SK_SL_SM_EUlSZ_E0_NS1_11comp_targetILNS1_3genE2ELNS1_11target_archE906ELNS1_3gpuE6ELNS1_3repE0EEENS1_38merge_mergepath_config_static_selectorELNS0_4arch9wavefront6targetE1EEEvSL_.numbered_sgpr, 0
	.set _ZN7rocprim17ROCPRIM_400000_NS6detail17trampoline_kernelINS0_14default_configENS1_38merge_sort_block_merge_config_selectorIiNS0_10empty_typeEEEZZNS1_27merge_sort_block_merge_implIS3_N6thrust23THRUST_200600_302600_NS6detail15normal_iteratorINS9_10device_ptrIiEEEEPS5_jNS1_19radix_merge_compareILb1ELb1EiNS0_19identity_decomposerEEEEE10hipError_tT0_T1_T2_jT3_P12ihipStream_tbPNSt15iterator_traitsISK_E10value_typeEPNSQ_ISL_E10value_typeEPSM_NS1_7vsmem_tEENKUlT_SK_SL_SM_E_clISE_PiSF_SF_EESJ_SZ_SK_SL_SM_EUlSZ_E0_NS1_11comp_targetILNS1_3genE2ELNS1_11target_archE906ELNS1_3gpuE6ELNS1_3repE0EEENS1_38merge_mergepath_config_static_selectorELNS0_4arch9wavefront6targetE1EEEvSL_.num_named_barrier, 0
	.set _ZN7rocprim17ROCPRIM_400000_NS6detail17trampoline_kernelINS0_14default_configENS1_38merge_sort_block_merge_config_selectorIiNS0_10empty_typeEEEZZNS1_27merge_sort_block_merge_implIS3_N6thrust23THRUST_200600_302600_NS6detail15normal_iteratorINS9_10device_ptrIiEEEEPS5_jNS1_19radix_merge_compareILb1ELb1EiNS0_19identity_decomposerEEEEE10hipError_tT0_T1_T2_jT3_P12ihipStream_tbPNSt15iterator_traitsISK_E10value_typeEPNSQ_ISL_E10value_typeEPSM_NS1_7vsmem_tEENKUlT_SK_SL_SM_E_clISE_PiSF_SF_EESJ_SZ_SK_SL_SM_EUlSZ_E0_NS1_11comp_targetILNS1_3genE2ELNS1_11target_archE906ELNS1_3gpuE6ELNS1_3repE0EEENS1_38merge_mergepath_config_static_selectorELNS0_4arch9wavefront6targetE1EEEvSL_.private_seg_size, 0
	.set _ZN7rocprim17ROCPRIM_400000_NS6detail17trampoline_kernelINS0_14default_configENS1_38merge_sort_block_merge_config_selectorIiNS0_10empty_typeEEEZZNS1_27merge_sort_block_merge_implIS3_N6thrust23THRUST_200600_302600_NS6detail15normal_iteratorINS9_10device_ptrIiEEEEPS5_jNS1_19radix_merge_compareILb1ELb1EiNS0_19identity_decomposerEEEEE10hipError_tT0_T1_T2_jT3_P12ihipStream_tbPNSt15iterator_traitsISK_E10value_typeEPNSQ_ISL_E10value_typeEPSM_NS1_7vsmem_tEENKUlT_SK_SL_SM_E_clISE_PiSF_SF_EESJ_SZ_SK_SL_SM_EUlSZ_E0_NS1_11comp_targetILNS1_3genE2ELNS1_11target_archE906ELNS1_3gpuE6ELNS1_3repE0EEENS1_38merge_mergepath_config_static_selectorELNS0_4arch9wavefront6targetE1EEEvSL_.uses_vcc, 0
	.set _ZN7rocprim17ROCPRIM_400000_NS6detail17trampoline_kernelINS0_14default_configENS1_38merge_sort_block_merge_config_selectorIiNS0_10empty_typeEEEZZNS1_27merge_sort_block_merge_implIS3_N6thrust23THRUST_200600_302600_NS6detail15normal_iteratorINS9_10device_ptrIiEEEEPS5_jNS1_19radix_merge_compareILb1ELb1EiNS0_19identity_decomposerEEEEE10hipError_tT0_T1_T2_jT3_P12ihipStream_tbPNSt15iterator_traitsISK_E10value_typeEPNSQ_ISL_E10value_typeEPSM_NS1_7vsmem_tEENKUlT_SK_SL_SM_E_clISE_PiSF_SF_EESJ_SZ_SK_SL_SM_EUlSZ_E0_NS1_11comp_targetILNS1_3genE2ELNS1_11target_archE906ELNS1_3gpuE6ELNS1_3repE0EEENS1_38merge_mergepath_config_static_selectorELNS0_4arch9wavefront6targetE1EEEvSL_.uses_flat_scratch, 0
	.set _ZN7rocprim17ROCPRIM_400000_NS6detail17trampoline_kernelINS0_14default_configENS1_38merge_sort_block_merge_config_selectorIiNS0_10empty_typeEEEZZNS1_27merge_sort_block_merge_implIS3_N6thrust23THRUST_200600_302600_NS6detail15normal_iteratorINS9_10device_ptrIiEEEEPS5_jNS1_19radix_merge_compareILb1ELb1EiNS0_19identity_decomposerEEEEE10hipError_tT0_T1_T2_jT3_P12ihipStream_tbPNSt15iterator_traitsISK_E10value_typeEPNSQ_ISL_E10value_typeEPSM_NS1_7vsmem_tEENKUlT_SK_SL_SM_E_clISE_PiSF_SF_EESJ_SZ_SK_SL_SM_EUlSZ_E0_NS1_11comp_targetILNS1_3genE2ELNS1_11target_archE906ELNS1_3gpuE6ELNS1_3repE0EEENS1_38merge_mergepath_config_static_selectorELNS0_4arch9wavefront6targetE1EEEvSL_.has_dyn_sized_stack, 0
	.set _ZN7rocprim17ROCPRIM_400000_NS6detail17trampoline_kernelINS0_14default_configENS1_38merge_sort_block_merge_config_selectorIiNS0_10empty_typeEEEZZNS1_27merge_sort_block_merge_implIS3_N6thrust23THRUST_200600_302600_NS6detail15normal_iteratorINS9_10device_ptrIiEEEEPS5_jNS1_19radix_merge_compareILb1ELb1EiNS0_19identity_decomposerEEEEE10hipError_tT0_T1_T2_jT3_P12ihipStream_tbPNSt15iterator_traitsISK_E10value_typeEPNSQ_ISL_E10value_typeEPSM_NS1_7vsmem_tEENKUlT_SK_SL_SM_E_clISE_PiSF_SF_EESJ_SZ_SK_SL_SM_EUlSZ_E0_NS1_11comp_targetILNS1_3genE2ELNS1_11target_archE906ELNS1_3gpuE6ELNS1_3repE0EEENS1_38merge_mergepath_config_static_selectorELNS0_4arch9wavefront6targetE1EEEvSL_.has_recursion, 0
	.set _ZN7rocprim17ROCPRIM_400000_NS6detail17trampoline_kernelINS0_14default_configENS1_38merge_sort_block_merge_config_selectorIiNS0_10empty_typeEEEZZNS1_27merge_sort_block_merge_implIS3_N6thrust23THRUST_200600_302600_NS6detail15normal_iteratorINS9_10device_ptrIiEEEEPS5_jNS1_19radix_merge_compareILb1ELb1EiNS0_19identity_decomposerEEEEE10hipError_tT0_T1_T2_jT3_P12ihipStream_tbPNSt15iterator_traitsISK_E10value_typeEPNSQ_ISL_E10value_typeEPSM_NS1_7vsmem_tEENKUlT_SK_SL_SM_E_clISE_PiSF_SF_EESJ_SZ_SK_SL_SM_EUlSZ_E0_NS1_11comp_targetILNS1_3genE2ELNS1_11target_archE906ELNS1_3gpuE6ELNS1_3repE0EEENS1_38merge_mergepath_config_static_selectorELNS0_4arch9wavefront6targetE1EEEvSL_.has_indirect_call, 0
	.section	.AMDGPU.csdata,"",@progbits
; Kernel info:
; codeLenInByte = 0
; TotalNumSgprs: 6
; NumVgprs: 0
; NumAgprs: 0
; TotalNumVgprs: 0
; ScratchSize: 0
; MemoryBound: 0
; FloatMode: 240
; IeeeMode: 1
; LDSByteSize: 0 bytes/workgroup (compile time only)
; SGPRBlocks: 0
; VGPRBlocks: 0
; NumSGPRsForWavesPerEU: 6
; NumVGPRsForWavesPerEU: 1
; AccumOffset: 4
; Occupancy: 8
; WaveLimiterHint : 0
; COMPUTE_PGM_RSRC2:SCRATCH_EN: 0
; COMPUTE_PGM_RSRC2:USER_SGPR: 2
; COMPUTE_PGM_RSRC2:TRAP_HANDLER: 0
; COMPUTE_PGM_RSRC2:TGID_X_EN: 1
; COMPUTE_PGM_RSRC2:TGID_Y_EN: 0
; COMPUTE_PGM_RSRC2:TGID_Z_EN: 0
; COMPUTE_PGM_RSRC2:TIDIG_COMP_CNT: 0
; COMPUTE_PGM_RSRC3_GFX90A:ACCUM_OFFSET: 0
; COMPUTE_PGM_RSRC3_GFX90A:TG_SPLIT: 0
	.section	.text._ZN7rocprim17ROCPRIM_400000_NS6detail17trampoline_kernelINS0_14default_configENS1_38merge_sort_block_merge_config_selectorIiNS0_10empty_typeEEEZZNS1_27merge_sort_block_merge_implIS3_N6thrust23THRUST_200600_302600_NS6detail15normal_iteratorINS9_10device_ptrIiEEEEPS5_jNS1_19radix_merge_compareILb1ELb1EiNS0_19identity_decomposerEEEEE10hipError_tT0_T1_T2_jT3_P12ihipStream_tbPNSt15iterator_traitsISK_E10value_typeEPNSQ_ISL_E10value_typeEPSM_NS1_7vsmem_tEENKUlT_SK_SL_SM_E_clISE_PiSF_SF_EESJ_SZ_SK_SL_SM_EUlSZ_E0_NS1_11comp_targetILNS1_3genE9ELNS1_11target_archE1100ELNS1_3gpuE3ELNS1_3repE0EEENS1_38merge_mergepath_config_static_selectorELNS0_4arch9wavefront6targetE1EEEvSL_,"axG",@progbits,_ZN7rocprim17ROCPRIM_400000_NS6detail17trampoline_kernelINS0_14default_configENS1_38merge_sort_block_merge_config_selectorIiNS0_10empty_typeEEEZZNS1_27merge_sort_block_merge_implIS3_N6thrust23THRUST_200600_302600_NS6detail15normal_iteratorINS9_10device_ptrIiEEEEPS5_jNS1_19radix_merge_compareILb1ELb1EiNS0_19identity_decomposerEEEEE10hipError_tT0_T1_T2_jT3_P12ihipStream_tbPNSt15iterator_traitsISK_E10value_typeEPNSQ_ISL_E10value_typeEPSM_NS1_7vsmem_tEENKUlT_SK_SL_SM_E_clISE_PiSF_SF_EESJ_SZ_SK_SL_SM_EUlSZ_E0_NS1_11comp_targetILNS1_3genE9ELNS1_11target_archE1100ELNS1_3gpuE3ELNS1_3repE0EEENS1_38merge_mergepath_config_static_selectorELNS0_4arch9wavefront6targetE1EEEvSL_,comdat
	.protected	_ZN7rocprim17ROCPRIM_400000_NS6detail17trampoline_kernelINS0_14default_configENS1_38merge_sort_block_merge_config_selectorIiNS0_10empty_typeEEEZZNS1_27merge_sort_block_merge_implIS3_N6thrust23THRUST_200600_302600_NS6detail15normal_iteratorINS9_10device_ptrIiEEEEPS5_jNS1_19radix_merge_compareILb1ELb1EiNS0_19identity_decomposerEEEEE10hipError_tT0_T1_T2_jT3_P12ihipStream_tbPNSt15iterator_traitsISK_E10value_typeEPNSQ_ISL_E10value_typeEPSM_NS1_7vsmem_tEENKUlT_SK_SL_SM_E_clISE_PiSF_SF_EESJ_SZ_SK_SL_SM_EUlSZ_E0_NS1_11comp_targetILNS1_3genE9ELNS1_11target_archE1100ELNS1_3gpuE3ELNS1_3repE0EEENS1_38merge_mergepath_config_static_selectorELNS0_4arch9wavefront6targetE1EEEvSL_ ; -- Begin function _ZN7rocprim17ROCPRIM_400000_NS6detail17trampoline_kernelINS0_14default_configENS1_38merge_sort_block_merge_config_selectorIiNS0_10empty_typeEEEZZNS1_27merge_sort_block_merge_implIS3_N6thrust23THRUST_200600_302600_NS6detail15normal_iteratorINS9_10device_ptrIiEEEEPS5_jNS1_19radix_merge_compareILb1ELb1EiNS0_19identity_decomposerEEEEE10hipError_tT0_T1_T2_jT3_P12ihipStream_tbPNSt15iterator_traitsISK_E10value_typeEPNSQ_ISL_E10value_typeEPSM_NS1_7vsmem_tEENKUlT_SK_SL_SM_E_clISE_PiSF_SF_EESJ_SZ_SK_SL_SM_EUlSZ_E0_NS1_11comp_targetILNS1_3genE9ELNS1_11target_archE1100ELNS1_3gpuE3ELNS1_3repE0EEENS1_38merge_mergepath_config_static_selectorELNS0_4arch9wavefront6targetE1EEEvSL_
	.globl	_ZN7rocprim17ROCPRIM_400000_NS6detail17trampoline_kernelINS0_14default_configENS1_38merge_sort_block_merge_config_selectorIiNS0_10empty_typeEEEZZNS1_27merge_sort_block_merge_implIS3_N6thrust23THRUST_200600_302600_NS6detail15normal_iteratorINS9_10device_ptrIiEEEEPS5_jNS1_19radix_merge_compareILb1ELb1EiNS0_19identity_decomposerEEEEE10hipError_tT0_T1_T2_jT3_P12ihipStream_tbPNSt15iterator_traitsISK_E10value_typeEPNSQ_ISL_E10value_typeEPSM_NS1_7vsmem_tEENKUlT_SK_SL_SM_E_clISE_PiSF_SF_EESJ_SZ_SK_SL_SM_EUlSZ_E0_NS1_11comp_targetILNS1_3genE9ELNS1_11target_archE1100ELNS1_3gpuE3ELNS1_3repE0EEENS1_38merge_mergepath_config_static_selectorELNS0_4arch9wavefront6targetE1EEEvSL_
	.p2align	8
	.type	_ZN7rocprim17ROCPRIM_400000_NS6detail17trampoline_kernelINS0_14default_configENS1_38merge_sort_block_merge_config_selectorIiNS0_10empty_typeEEEZZNS1_27merge_sort_block_merge_implIS3_N6thrust23THRUST_200600_302600_NS6detail15normal_iteratorINS9_10device_ptrIiEEEEPS5_jNS1_19radix_merge_compareILb1ELb1EiNS0_19identity_decomposerEEEEE10hipError_tT0_T1_T2_jT3_P12ihipStream_tbPNSt15iterator_traitsISK_E10value_typeEPNSQ_ISL_E10value_typeEPSM_NS1_7vsmem_tEENKUlT_SK_SL_SM_E_clISE_PiSF_SF_EESJ_SZ_SK_SL_SM_EUlSZ_E0_NS1_11comp_targetILNS1_3genE9ELNS1_11target_archE1100ELNS1_3gpuE3ELNS1_3repE0EEENS1_38merge_mergepath_config_static_selectorELNS0_4arch9wavefront6targetE1EEEvSL_,@function
_ZN7rocprim17ROCPRIM_400000_NS6detail17trampoline_kernelINS0_14default_configENS1_38merge_sort_block_merge_config_selectorIiNS0_10empty_typeEEEZZNS1_27merge_sort_block_merge_implIS3_N6thrust23THRUST_200600_302600_NS6detail15normal_iteratorINS9_10device_ptrIiEEEEPS5_jNS1_19radix_merge_compareILb1ELb1EiNS0_19identity_decomposerEEEEE10hipError_tT0_T1_T2_jT3_P12ihipStream_tbPNSt15iterator_traitsISK_E10value_typeEPNSQ_ISL_E10value_typeEPSM_NS1_7vsmem_tEENKUlT_SK_SL_SM_E_clISE_PiSF_SF_EESJ_SZ_SK_SL_SM_EUlSZ_E0_NS1_11comp_targetILNS1_3genE9ELNS1_11target_archE1100ELNS1_3gpuE3ELNS1_3repE0EEENS1_38merge_mergepath_config_static_selectorELNS0_4arch9wavefront6targetE1EEEvSL_: ; @_ZN7rocprim17ROCPRIM_400000_NS6detail17trampoline_kernelINS0_14default_configENS1_38merge_sort_block_merge_config_selectorIiNS0_10empty_typeEEEZZNS1_27merge_sort_block_merge_implIS3_N6thrust23THRUST_200600_302600_NS6detail15normal_iteratorINS9_10device_ptrIiEEEEPS5_jNS1_19radix_merge_compareILb1ELb1EiNS0_19identity_decomposerEEEEE10hipError_tT0_T1_T2_jT3_P12ihipStream_tbPNSt15iterator_traitsISK_E10value_typeEPNSQ_ISL_E10value_typeEPSM_NS1_7vsmem_tEENKUlT_SK_SL_SM_E_clISE_PiSF_SF_EESJ_SZ_SK_SL_SM_EUlSZ_E0_NS1_11comp_targetILNS1_3genE9ELNS1_11target_archE1100ELNS1_3gpuE3ELNS1_3repE0EEENS1_38merge_mergepath_config_static_selectorELNS0_4arch9wavefront6targetE1EEEvSL_
; %bb.0:
	.section	.rodata,"a",@progbits
	.p2align	6, 0x0
	.amdhsa_kernel _ZN7rocprim17ROCPRIM_400000_NS6detail17trampoline_kernelINS0_14default_configENS1_38merge_sort_block_merge_config_selectorIiNS0_10empty_typeEEEZZNS1_27merge_sort_block_merge_implIS3_N6thrust23THRUST_200600_302600_NS6detail15normal_iteratorINS9_10device_ptrIiEEEEPS5_jNS1_19radix_merge_compareILb1ELb1EiNS0_19identity_decomposerEEEEE10hipError_tT0_T1_T2_jT3_P12ihipStream_tbPNSt15iterator_traitsISK_E10value_typeEPNSQ_ISL_E10value_typeEPSM_NS1_7vsmem_tEENKUlT_SK_SL_SM_E_clISE_PiSF_SF_EESJ_SZ_SK_SL_SM_EUlSZ_E0_NS1_11comp_targetILNS1_3genE9ELNS1_11target_archE1100ELNS1_3gpuE3ELNS1_3repE0EEENS1_38merge_mergepath_config_static_selectorELNS0_4arch9wavefront6targetE1EEEvSL_
		.amdhsa_group_segment_fixed_size 0
		.amdhsa_private_segment_fixed_size 0
		.amdhsa_kernarg_size 64
		.amdhsa_user_sgpr_count 2
		.amdhsa_user_sgpr_dispatch_ptr 0
		.amdhsa_user_sgpr_queue_ptr 0
		.amdhsa_user_sgpr_kernarg_segment_ptr 1
		.amdhsa_user_sgpr_dispatch_id 0
		.amdhsa_user_sgpr_kernarg_preload_length 0
		.amdhsa_user_sgpr_kernarg_preload_offset 0
		.amdhsa_user_sgpr_private_segment_size 0
		.amdhsa_uses_dynamic_stack 0
		.amdhsa_enable_private_segment 0
		.amdhsa_system_sgpr_workgroup_id_x 1
		.amdhsa_system_sgpr_workgroup_id_y 0
		.amdhsa_system_sgpr_workgroup_id_z 0
		.amdhsa_system_sgpr_workgroup_info 0
		.amdhsa_system_vgpr_workitem_id 0
		.amdhsa_next_free_vgpr 1
		.amdhsa_next_free_sgpr 0
		.amdhsa_accum_offset 4
		.amdhsa_reserve_vcc 0
		.amdhsa_float_round_mode_32 0
		.amdhsa_float_round_mode_16_64 0
		.amdhsa_float_denorm_mode_32 3
		.amdhsa_float_denorm_mode_16_64 3
		.amdhsa_dx10_clamp 1
		.amdhsa_ieee_mode 1
		.amdhsa_fp16_overflow 0
		.amdhsa_tg_split 0
		.amdhsa_exception_fp_ieee_invalid_op 0
		.amdhsa_exception_fp_denorm_src 0
		.amdhsa_exception_fp_ieee_div_zero 0
		.amdhsa_exception_fp_ieee_overflow 0
		.amdhsa_exception_fp_ieee_underflow 0
		.amdhsa_exception_fp_ieee_inexact 0
		.amdhsa_exception_int_div_zero 0
	.end_amdhsa_kernel
	.section	.text._ZN7rocprim17ROCPRIM_400000_NS6detail17trampoline_kernelINS0_14default_configENS1_38merge_sort_block_merge_config_selectorIiNS0_10empty_typeEEEZZNS1_27merge_sort_block_merge_implIS3_N6thrust23THRUST_200600_302600_NS6detail15normal_iteratorINS9_10device_ptrIiEEEEPS5_jNS1_19radix_merge_compareILb1ELb1EiNS0_19identity_decomposerEEEEE10hipError_tT0_T1_T2_jT3_P12ihipStream_tbPNSt15iterator_traitsISK_E10value_typeEPNSQ_ISL_E10value_typeEPSM_NS1_7vsmem_tEENKUlT_SK_SL_SM_E_clISE_PiSF_SF_EESJ_SZ_SK_SL_SM_EUlSZ_E0_NS1_11comp_targetILNS1_3genE9ELNS1_11target_archE1100ELNS1_3gpuE3ELNS1_3repE0EEENS1_38merge_mergepath_config_static_selectorELNS0_4arch9wavefront6targetE1EEEvSL_,"axG",@progbits,_ZN7rocprim17ROCPRIM_400000_NS6detail17trampoline_kernelINS0_14default_configENS1_38merge_sort_block_merge_config_selectorIiNS0_10empty_typeEEEZZNS1_27merge_sort_block_merge_implIS3_N6thrust23THRUST_200600_302600_NS6detail15normal_iteratorINS9_10device_ptrIiEEEEPS5_jNS1_19radix_merge_compareILb1ELb1EiNS0_19identity_decomposerEEEEE10hipError_tT0_T1_T2_jT3_P12ihipStream_tbPNSt15iterator_traitsISK_E10value_typeEPNSQ_ISL_E10value_typeEPSM_NS1_7vsmem_tEENKUlT_SK_SL_SM_E_clISE_PiSF_SF_EESJ_SZ_SK_SL_SM_EUlSZ_E0_NS1_11comp_targetILNS1_3genE9ELNS1_11target_archE1100ELNS1_3gpuE3ELNS1_3repE0EEENS1_38merge_mergepath_config_static_selectorELNS0_4arch9wavefront6targetE1EEEvSL_,comdat
.Lfunc_end308:
	.size	_ZN7rocprim17ROCPRIM_400000_NS6detail17trampoline_kernelINS0_14default_configENS1_38merge_sort_block_merge_config_selectorIiNS0_10empty_typeEEEZZNS1_27merge_sort_block_merge_implIS3_N6thrust23THRUST_200600_302600_NS6detail15normal_iteratorINS9_10device_ptrIiEEEEPS5_jNS1_19radix_merge_compareILb1ELb1EiNS0_19identity_decomposerEEEEE10hipError_tT0_T1_T2_jT3_P12ihipStream_tbPNSt15iterator_traitsISK_E10value_typeEPNSQ_ISL_E10value_typeEPSM_NS1_7vsmem_tEENKUlT_SK_SL_SM_E_clISE_PiSF_SF_EESJ_SZ_SK_SL_SM_EUlSZ_E0_NS1_11comp_targetILNS1_3genE9ELNS1_11target_archE1100ELNS1_3gpuE3ELNS1_3repE0EEENS1_38merge_mergepath_config_static_selectorELNS0_4arch9wavefront6targetE1EEEvSL_, .Lfunc_end308-_ZN7rocprim17ROCPRIM_400000_NS6detail17trampoline_kernelINS0_14default_configENS1_38merge_sort_block_merge_config_selectorIiNS0_10empty_typeEEEZZNS1_27merge_sort_block_merge_implIS3_N6thrust23THRUST_200600_302600_NS6detail15normal_iteratorINS9_10device_ptrIiEEEEPS5_jNS1_19radix_merge_compareILb1ELb1EiNS0_19identity_decomposerEEEEE10hipError_tT0_T1_T2_jT3_P12ihipStream_tbPNSt15iterator_traitsISK_E10value_typeEPNSQ_ISL_E10value_typeEPSM_NS1_7vsmem_tEENKUlT_SK_SL_SM_E_clISE_PiSF_SF_EESJ_SZ_SK_SL_SM_EUlSZ_E0_NS1_11comp_targetILNS1_3genE9ELNS1_11target_archE1100ELNS1_3gpuE3ELNS1_3repE0EEENS1_38merge_mergepath_config_static_selectorELNS0_4arch9wavefront6targetE1EEEvSL_
                                        ; -- End function
	.set _ZN7rocprim17ROCPRIM_400000_NS6detail17trampoline_kernelINS0_14default_configENS1_38merge_sort_block_merge_config_selectorIiNS0_10empty_typeEEEZZNS1_27merge_sort_block_merge_implIS3_N6thrust23THRUST_200600_302600_NS6detail15normal_iteratorINS9_10device_ptrIiEEEEPS5_jNS1_19radix_merge_compareILb1ELb1EiNS0_19identity_decomposerEEEEE10hipError_tT0_T1_T2_jT3_P12ihipStream_tbPNSt15iterator_traitsISK_E10value_typeEPNSQ_ISL_E10value_typeEPSM_NS1_7vsmem_tEENKUlT_SK_SL_SM_E_clISE_PiSF_SF_EESJ_SZ_SK_SL_SM_EUlSZ_E0_NS1_11comp_targetILNS1_3genE9ELNS1_11target_archE1100ELNS1_3gpuE3ELNS1_3repE0EEENS1_38merge_mergepath_config_static_selectorELNS0_4arch9wavefront6targetE1EEEvSL_.num_vgpr, 0
	.set _ZN7rocprim17ROCPRIM_400000_NS6detail17trampoline_kernelINS0_14default_configENS1_38merge_sort_block_merge_config_selectorIiNS0_10empty_typeEEEZZNS1_27merge_sort_block_merge_implIS3_N6thrust23THRUST_200600_302600_NS6detail15normal_iteratorINS9_10device_ptrIiEEEEPS5_jNS1_19radix_merge_compareILb1ELb1EiNS0_19identity_decomposerEEEEE10hipError_tT0_T1_T2_jT3_P12ihipStream_tbPNSt15iterator_traitsISK_E10value_typeEPNSQ_ISL_E10value_typeEPSM_NS1_7vsmem_tEENKUlT_SK_SL_SM_E_clISE_PiSF_SF_EESJ_SZ_SK_SL_SM_EUlSZ_E0_NS1_11comp_targetILNS1_3genE9ELNS1_11target_archE1100ELNS1_3gpuE3ELNS1_3repE0EEENS1_38merge_mergepath_config_static_selectorELNS0_4arch9wavefront6targetE1EEEvSL_.num_agpr, 0
	.set _ZN7rocprim17ROCPRIM_400000_NS6detail17trampoline_kernelINS0_14default_configENS1_38merge_sort_block_merge_config_selectorIiNS0_10empty_typeEEEZZNS1_27merge_sort_block_merge_implIS3_N6thrust23THRUST_200600_302600_NS6detail15normal_iteratorINS9_10device_ptrIiEEEEPS5_jNS1_19radix_merge_compareILb1ELb1EiNS0_19identity_decomposerEEEEE10hipError_tT0_T1_T2_jT3_P12ihipStream_tbPNSt15iterator_traitsISK_E10value_typeEPNSQ_ISL_E10value_typeEPSM_NS1_7vsmem_tEENKUlT_SK_SL_SM_E_clISE_PiSF_SF_EESJ_SZ_SK_SL_SM_EUlSZ_E0_NS1_11comp_targetILNS1_3genE9ELNS1_11target_archE1100ELNS1_3gpuE3ELNS1_3repE0EEENS1_38merge_mergepath_config_static_selectorELNS0_4arch9wavefront6targetE1EEEvSL_.numbered_sgpr, 0
	.set _ZN7rocprim17ROCPRIM_400000_NS6detail17trampoline_kernelINS0_14default_configENS1_38merge_sort_block_merge_config_selectorIiNS0_10empty_typeEEEZZNS1_27merge_sort_block_merge_implIS3_N6thrust23THRUST_200600_302600_NS6detail15normal_iteratorINS9_10device_ptrIiEEEEPS5_jNS1_19radix_merge_compareILb1ELb1EiNS0_19identity_decomposerEEEEE10hipError_tT0_T1_T2_jT3_P12ihipStream_tbPNSt15iterator_traitsISK_E10value_typeEPNSQ_ISL_E10value_typeEPSM_NS1_7vsmem_tEENKUlT_SK_SL_SM_E_clISE_PiSF_SF_EESJ_SZ_SK_SL_SM_EUlSZ_E0_NS1_11comp_targetILNS1_3genE9ELNS1_11target_archE1100ELNS1_3gpuE3ELNS1_3repE0EEENS1_38merge_mergepath_config_static_selectorELNS0_4arch9wavefront6targetE1EEEvSL_.num_named_barrier, 0
	.set _ZN7rocprim17ROCPRIM_400000_NS6detail17trampoline_kernelINS0_14default_configENS1_38merge_sort_block_merge_config_selectorIiNS0_10empty_typeEEEZZNS1_27merge_sort_block_merge_implIS3_N6thrust23THRUST_200600_302600_NS6detail15normal_iteratorINS9_10device_ptrIiEEEEPS5_jNS1_19radix_merge_compareILb1ELb1EiNS0_19identity_decomposerEEEEE10hipError_tT0_T1_T2_jT3_P12ihipStream_tbPNSt15iterator_traitsISK_E10value_typeEPNSQ_ISL_E10value_typeEPSM_NS1_7vsmem_tEENKUlT_SK_SL_SM_E_clISE_PiSF_SF_EESJ_SZ_SK_SL_SM_EUlSZ_E0_NS1_11comp_targetILNS1_3genE9ELNS1_11target_archE1100ELNS1_3gpuE3ELNS1_3repE0EEENS1_38merge_mergepath_config_static_selectorELNS0_4arch9wavefront6targetE1EEEvSL_.private_seg_size, 0
	.set _ZN7rocprim17ROCPRIM_400000_NS6detail17trampoline_kernelINS0_14default_configENS1_38merge_sort_block_merge_config_selectorIiNS0_10empty_typeEEEZZNS1_27merge_sort_block_merge_implIS3_N6thrust23THRUST_200600_302600_NS6detail15normal_iteratorINS9_10device_ptrIiEEEEPS5_jNS1_19radix_merge_compareILb1ELb1EiNS0_19identity_decomposerEEEEE10hipError_tT0_T1_T2_jT3_P12ihipStream_tbPNSt15iterator_traitsISK_E10value_typeEPNSQ_ISL_E10value_typeEPSM_NS1_7vsmem_tEENKUlT_SK_SL_SM_E_clISE_PiSF_SF_EESJ_SZ_SK_SL_SM_EUlSZ_E0_NS1_11comp_targetILNS1_3genE9ELNS1_11target_archE1100ELNS1_3gpuE3ELNS1_3repE0EEENS1_38merge_mergepath_config_static_selectorELNS0_4arch9wavefront6targetE1EEEvSL_.uses_vcc, 0
	.set _ZN7rocprim17ROCPRIM_400000_NS6detail17trampoline_kernelINS0_14default_configENS1_38merge_sort_block_merge_config_selectorIiNS0_10empty_typeEEEZZNS1_27merge_sort_block_merge_implIS3_N6thrust23THRUST_200600_302600_NS6detail15normal_iteratorINS9_10device_ptrIiEEEEPS5_jNS1_19radix_merge_compareILb1ELb1EiNS0_19identity_decomposerEEEEE10hipError_tT0_T1_T2_jT3_P12ihipStream_tbPNSt15iterator_traitsISK_E10value_typeEPNSQ_ISL_E10value_typeEPSM_NS1_7vsmem_tEENKUlT_SK_SL_SM_E_clISE_PiSF_SF_EESJ_SZ_SK_SL_SM_EUlSZ_E0_NS1_11comp_targetILNS1_3genE9ELNS1_11target_archE1100ELNS1_3gpuE3ELNS1_3repE0EEENS1_38merge_mergepath_config_static_selectorELNS0_4arch9wavefront6targetE1EEEvSL_.uses_flat_scratch, 0
	.set _ZN7rocprim17ROCPRIM_400000_NS6detail17trampoline_kernelINS0_14default_configENS1_38merge_sort_block_merge_config_selectorIiNS0_10empty_typeEEEZZNS1_27merge_sort_block_merge_implIS3_N6thrust23THRUST_200600_302600_NS6detail15normal_iteratorINS9_10device_ptrIiEEEEPS5_jNS1_19radix_merge_compareILb1ELb1EiNS0_19identity_decomposerEEEEE10hipError_tT0_T1_T2_jT3_P12ihipStream_tbPNSt15iterator_traitsISK_E10value_typeEPNSQ_ISL_E10value_typeEPSM_NS1_7vsmem_tEENKUlT_SK_SL_SM_E_clISE_PiSF_SF_EESJ_SZ_SK_SL_SM_EUlSZ_E0_NS1_11comp_targetILNS1_3genE9ELNS1_11target_archE1100ELNS1_3gpuE3ELNS1_3repE0EEENS1_38merge_mergepath_config_static_selectorELNS0_4arch9wavefront6targetE1EEEvSL_.has_dyn_sized_stack, 0
	.set _ZN7rocprim17ROCPRIM_400000_NS6detail17trampoline_kernelINS0_14default_configENS1_38merge_sort_block_merge_config_selectorIiNS0_10empty_typeEEEZZNS1_27merge_sort_block_merge_implIS3_N6thrust23THRUST_200600_302600_NS6detail15normal_iteratorINS9_10device_ptrIiEEEEPS5_jNS1_19radix_merge_compareILb1ELb1EiNS0_19identity_decomposerEEEEE10hipError_tT0_T1_T2_jT3_P12ihipStream_tbPNSt15iterator_traitsISK_E10value_typeEPNSQ_ISL_E10value_typeEPSM_NS1_7vsmem_tEENKUlT_SK_SL_SM_E_clISE_PiSF_SF_EESJ_SZ_SK_SL_SM_EUlSZ_E0_NS1_11comp_targetILNS1_3genE9ELNS1_11target_archE1100ELNS1_3gpuE3ELNS1_3repE0EEENS1_38merge_mergepath_config_static_selectorELNS0_4arch9wavefront6targetE1EEEvSL_.has_recursion, 0
	.set _ZN7rocprim17ROCPRIM_400000_NS6detail17trampoline_kernelINS0_14default_configENS1_38merge_sort_block_merge_config_selectorIiNS0_10empty_typeEEEZZNS1_27merge_sort_block_merge_implIS3_N6thrust23THRUST_200600_302600_NS6detail15normal_iteratorINS9_10device_ptrIiEEEEPS5_jNS1_19radix_merge_compareILb1ELb1EiNS0_19identity_decomposerEEEEE10hipError_tT0_T1_T2_jT3_P12ihipStream_tbPNSt15iterator_traitsISK_E10value_typeEPNSQ_ISL_E10value_typeEPSM_NS1_7vsmem_tEENKUlT_SK_SL_SM_E_clISE_PiSF_SF_EESJ_SZ_SK_SL_SM_EUlSZ_E0_NS1_11comp_targetILNS1_3genE9ELNS1_11target_archE1100ELNS1_3gpuE3ELNS1_3repE0EEENS1_38merge_mergepath_config_static_selectorELNS0_4arch9wavefront6targetE1EEEvSL_.has_indirect_call, 0
	.section	.AMDGPU.csdata,"",@progbits
; Kernel info:
; codeLenInByte = 0
; TotalNumSgprs: 6
; NumVgprs: 0
; NumAgprs: 0
; TotalNumVgprs: 0
; ScratchSize: 0
; MemoryBound: 0
; FloatMode: 240
; IeeeMode: 1
; LDSByteSize: 0 bytes/workgroup (compile time only)
; SGPRBlocks: 0
; VGPRBlocks: 0
; NumSGPRsForWavesPerEU: 6
; NumVGPRsForWavesPerEU: 1
; AccumOffset: 4
; Occupancy: 8
; WaveLimiterHint : 0
; COMPUTE_PGM_RSRC2:SCRATCH_EN: 0
; COMPUTE_PGM_RSRC2:USER_SGPR: 2
; COMPUTE_PGM_RSRC2:TRAP_HANDLER: 0
; COMPUTE_PGM_RSRC2:TGID_X_EN: 1
; COMPUTE_PGM_RSRC2:TGID_Y_EN: 0
; COMPUTE_PGM_RSRC2:TGID_Z_EN: 0
; COMPUTE_PGM_RSRC2:TIDIG_COMP_CNT: 0
; COMPUTE_PGM_RSRC3_GFX90A:ACCUM_OFFSET: 0
; COMPUTE_PGM_RSRC3_GFX90A:TG_SPLIT: 0
	.section	.text._ZN7rocprim17ROCPRIM_400000_NS6detail17trampoline_kernelINS0_14default_configENS1_38merge_sort_block_merge_config_selectorIiNS0_10empty_typeEEEZZNS1_27merge_sort_block_merge_implIS3_N6thrust23THRUST_200600_302600_NS6detail15normal_iteratorINS9_10device_ptrIiEEEEPS5_jNS1_19radix_merge_compareILb1ELb1EiNS0_19identity_decomposerEEEEE10hipError_tT0_T1_T2_jT3_P12ihipStream_tbPNSt15iterator_traitsISK_E10value_typeEPNSQ_ISL_E10value_typeEPSM_NS1_7vsmem_tEENKUlT_SK_SL_SM_E_clISE_PiSF_SF_EESJ_SZ_SK_SL_SM_EUlSZ_E0_NS1_11comp_targetILNS1_3genE8ELNS1_11target_archE1030ELNS1_3gpuE2ELNS1_3repE0EEENS1_38merge_mergepath_config_static_selectorELNS0_4arch9wavefront6targetE1EEEvSL_,"axG",@progbits,_ZN7rocprim17ROCPRIM_400000_NS6detail17trampoline_kernelINS0_14default_configENS1_38merge_sort_block_merge_config_selectorIiNS0_10empty_typeEEEZZNS1_27merge_sort_block_merge_implIS3_N6thrust23THRUST_200600_302600_NS6detail15normal_iteratorINS9_10device_ptrIiEEEEPS5_jNS1_19radix_merge_compareILb1ELb1EiNS0_19identity_decomposerEEEEE10hipError_tT0_T1_T2_jT3_P12ihipStream_tbPNSt15iterator_traitsISK_E10value_typeEPNSQ_ISL_E10value_typeEPSM_NS1_7vsmem_tEENKUlT_SK_SL_SM_E_clISE_PiSF_SF_EESJ_SZ_SK_SL_SM_EUlSZ_E0_NS1_11comp_targetILNS1_3genE8ELNS1_11target_archE1030ELNS1_3gpuE2ELNS1_3repE0EEENS1_38merge_mergepath_config_static_selectorELNS0_4arch9wavefront6targetE1EEEvSL_,comdat
	.protected	_ZN7rocprim17ROCPRIM_400000_NS6detail17trampoline_kernelINS0_14default_configENS1_38merge_sort_block_merge_config_selectorIiNS0_10empty_typeEEEZZNS1_27merge_sort_block_merge_implIS3_N6thrust23THRUST_200600_302600_NS6detail15normal_iteratorINS9_10device_ptrIiEEEEPS5_jNS1_19radix_merge_compareILb1ELb1EiNS0_19identity_decomposerEEEEE10hipError_tT0_T1_T2_jT3_P12ihipStream_tbPNSt15iterator_traitsISK_E10value_typeEPNSQ_ISL_E10value_typeEPSM_NS1_7vsmem_tEENKUlT_SK_SL_SM_E_clISE_PiSF_SF_EESJ_SZ_SK_SL_SM_EUlSZ_E0_NS1_11comp_targetILNS1_3genE8ELNS1_11target_archE1030ELNS1_3gpuE2ELNS1_3repE0EEENS1_38merge_mergepath_config_static_selectorELNS0_4arch9wavefront6targetE1EEEvSL_ ; -- Begin function _ZN7rocprim17ROCPRIM_400000_NS6detail17trampoline_kernelINS0_14default_configENS1_38merge_sort_block_merge_config_selectorIiNS0_10empty_typeEEEZZNS1_27merge_sort_block_merge_implIS3_N6thrust23THRUST_200600_302600_NS6detail15normal_iteratorINS9_10device_ptrIiEEEEPS5_jNS1_19radix_merge_compareILb1ELb1EiNS0_19identity_decomposerEEEEE10hipError_tT0_T1_T2_jT3_P12ihipStream_tbPNSt15iterator_traitsISK_E10value_typeEPNSQ_ISL_E10value_typeEPSM_NS1_7vsmem_tEENKUlT_SK_SL_SM_E_clISE_PiSF_SF_EESJ_SZ_SK_SL_SM_EUlSZ_E0_NS1_11comp_targetILNS1_3genE8ELNS1_11target_archE1030ELNS1_3gpuE2ELNS1_3repE0EEENS1_38merge_mergepath_config_static_selectorELNS0_4arch9wavefront6targetE1EEEvSL_
	.globl	_ZN7rocprim17ROCPRIM_400000_NS6detail17trampoline_kernelINS0_14default_configENS1_38merge_sort_block_merge_config_selectorIiNS0_10empty_typeEEEZZNS1_27merge_sort_block_merge_implIS3_N6thrust23THRUST_200600_302600_NS6detail15normal_iteratorINS9_10device_ptrIiEEEEPS5_jNS1_19radix_merge_compareILb1ELb1EiNS0_19identity_decomposerEEEEE10hipError_tT0_T1_T2_jT3_P12ihipStream_tbPNSt15iterator_traitsISK_E10value_typeEPNSQ_ISL_E10value_typeEPSM_NS1_7vsmem_tEENKUlT_SK_SL_SM_E_clISE_PiSF_SF_EESJ_SZ_SK_SL_SM_EUlSZ_E0_NS1_11comp_targetILNS1_3genE8ELNS1_11target_archE1030ELNS1_3gpuE2ELNS1_3repE0EEENS1_38merge_mergepath_config_static_selectorELNS0_4arch9wavefront6targetE1EEEvSL_
	.p2align	8
	.type	_ZN7rocprim17ROCPRIM_400000_NS6detail17trampoline_kernelINS0_14default_configENS1_38merge_sort_block_merge_config_selectorIiNS0_10empty_typeEEEZZNS1_27merge_sort_block_merge_implIS3_N6thrust23THRUST_200600_302600_NS6detail15normal_iteratorINS9_10device_ptrIiEEEEPS5_jNS1_19radix_merge_compareILb1ELb1EiNS0_19identity_decomposerEEEEE10hipError_tT0_T1_T2_jT3_P12ihipStream_tbPNSt15iterator_traitsISK_E10value_typeEPNSQ_ISL_E10value_typeEPSM_NS1_7vsmem_tEENKUlT_SK_SL_SM_E_clISE_PiSF_SF_EESJ_SZ_SK_SL_SM_EUlSZ_E0_NS1_11comp_targetILNS1_3genE8ELNS1_11target_archE1030ELNS1_3gpuE2ELNS1_3repE0EEENS1_38merge_mergepath_config_static_selectorELNS0_4arch9wavefront6targetE1EEEvSL_,@function
_ZN7rocprim17ROCPRIM_400000_NS6detail17trampoline_kernelINS0_14default_configENS1_38merge_sort_block_merge_config_selectorIiNS0_10empty_typeEEEZZNS1_27merge_sort_block_merge_implIS3_N6thrust23THRUST_200600_302600_NS6detail15normal_iteratorINS9_10device_ptrIiEEEEPS5_jNS1_19radix_merge_compareILb1ELb1EiNS0_19identity_decomposerEEEEE10hipError_tT0_T1_T2_jT3_P12ihipStream_tbPNSt15iterator_traitsISK_E10value_typeEPNSQ_ISL_E10value_typeEPSM_NS1_7vsmem_tEENKUlT_SK_SL_SM_E_clISE_PiSF_SF_EESJ_SZ_SK_SL_SM_EUlSZ_E0_NS1_11comp_targetILNS1_3genE8ELNS1_11target_archE1030ELNS1_3gpuE2ELNS1_3repE0EEENS1_38merge_mergepath_config_static_selectorELNS0_4arch9wavefront6targetE1EEEvSL_: ; @_ZN7rocprim17ROCPRIM_400000_NS6detail17trampoline_kernelINS0_14default_configENS1_38merge_sort_block_merge_config_selectorIiNS0_10empty_typeEEEZZNS1_27merge_sort_block_merge_implIS3_N6thrust23THRUST_200600_302600_NS6detail15normal_iteratorINS9_10device_ptrIiEEEEPS5_jNS1_19radix_merge_compareILb1ELb1EiNS0_19identity_decomposerEEEEE10hipError_tT0_T1_T2_jT3_P12ihipStream_tbPNSt15iterator_traitsISK_E10value_typeEPNSQ_ISL_E10value_typeEPSM_NS1_7vsmem_tEENKUlT_SK_SL_SM_E_clISE_PiSF_SF_EESJ_SZ_SK_SL_SM_EUlSZ_E0_NS1_11comp_targetILNS1_3genE8ELNS1_11target_archE1030ELNS1_3gpuE2ELNS1_3repE0EEENS1_38merge_mergepath_config_static_selectorELNS0_4arch9wavefront6targetE1EEEvSL_
; %bb.0:
	.section	.rodata,"a",@progbits
	.p2align	6, 0x0
	.amdhsa_kernel _ZN7rocprim17ROCPRIM_400000_NS6detail17trampoline_kernelINS0_14default_configENS1_38merge_sort_block_merge_config_selectorIiNS0_10empty_typeEEEZZNS1_27merge_sort_block_merge_implIS3_N6thrust23THRUST_200600_302600_NS6detail15normal_iteratorINS9_10device_ptrIiEEEEPS5_jNS1_19radix_merge_compareILb1ELb1EiNS0_19identity_decomposerEEEEE10hipError_tT0_T1_T2_jT3_P12ihipStream_tbPNSt15iterator_traitsISK_E10value_typeEPNSQ_ISL_E10value_typeEPSM_NS1_7vsmem_tEENKUlT_SK_SL_SM_E_clISE_PiSF_SF_EESJ_SZ_SK_SL_SM_EUlSZ_E0_NS1_11comp_targetILNS1_3genE8ELNS1_11target_archE1030ELNS1_3gpuE2ELNS1_3repE0EEENS1_38merge_mergepath_config_static_selectorELNS0_4arch9wavefront6targetE1EEEvSL_
		.amdhsa_group_segment_fixed_size 0
		.amdhsa_private_segment_fixed_size 0
		.amdhsa_kernarg_size 64
		.amdhsa_user_sgpr_count 2
		.amdhsa_user_sgpr_dispatch_ptr 0
		.amdhsa_user_sgpr_queue_ptr 0
		.amdhsa_user_sgpr_kernarg_segment_ptr 1
		.amdhsa_user_sgpr_dispatch_id 0
		.amdhsa_user_sgpr_kernarg_preload_length 0
		.amdhsa_user_sgpr_kernarg_preload_offset 0
		.amdhsa_user_sgpr_private_segment_size 0
		.amdhsa_uses_dynamic_stack 0
		.amdhsa_enable_private_segment 0
		.amdhsa_system_sgpr_workgroup_id_x 1
		.amdhsa_system_sgpr_workgroup_id_y 0
		.amdhsa_system_sgpr_workgroup_id_z 0
		.amdhsa_system_sgpr_workgroup_info 0
		.amdhsa_system_vgpr_workitem_id 0
		.amdhsa_next_free_vgpr 1
		.amdhsa_next_free_sgpr 0
		.amdhsa_accum_offset 4
		.amdhsa_reserve_vcc 0
		.amdhsa_float_round_mode_32 0
		.amdhsa_float_round_mode_16_64 0
		.amdhsa_float_denorm_mode_32 3
		.amdhsa_float_denorm_mode_16_64 3
		.amdhsa_dx10_clamp 1
		.amdhsa_ieee_mode 1
		.amdhsa_fp16_overflow 0
		.amdhsa_tg_split 0
		.amdhsa_exception_fp_ieee_invalid_op 0
		.amdhsa_exception_fp_denorm_src 0
		.amdhsa_exception_fp_ieee_div_zero 0
		.amdhsa_exception_fp_ieee_overflow 0
		.amdhsa_exception_fp_ieee_underflow 0
		.amdhsa_exception_fp_ieee_inexact 0
		.amdhsa_exception_int_div_zero 0
	.end_amdhsa_kernel
	.section	.text._ZN7rocprim17ROCPRIM_400000_NS6detail17trampoline_kernelINS0_14default_configENS1_38merge_sort_block_merge_config_selectorIiNS0_10empty_typeEEEZZNS1_27merge_sort_block_merge_implIS3_N6thrust23THRUST_200600_302600_NS6detail15normal_iteratorINS9_10device_ptrIiEEEEPS5_jNS1_19radix_merge_compareILb1ELb1EiNS0_19identity_decomposerEEEEE10hipError_tT0_T1_T2_jT3_P12ihipStream_tbPNSt15iterator_traitsISK_E10value_typeEPNSQ_ISL_E10value_typeEPSM_NS1_7vsmem_tEENKUlT_SK_SL_SM_E_clISE_PiSF_SF_EESJ_SZ_SK_SL_SM_EUlSZ_E0_NS1_11comp_targetILNS1_3genE8ELNS1_11target_archE1030ELNS1_3gpuE2ELNS1_3repE0EEENS1_38merge_mergepath_config_static_selectorELNS0_4arch9wavefront6targetE1EEEvSL_,"axG",@progbits,_ZN7rocprim17ROCPRIM_400000_NS6detail17trampoline_kernelINS0_14default_configENS1_38merge_sort_block_merge_config_selectorIiNS0_10empty_typeEEEZZNS1_27merge_sort_block_merge_implIS3_N6thrust23THRUST_200600_302600_NS6detail15normal_iteratorINS9_10device_ptrIiEEEEPS5_jNS1_19radix_merge_compareILb1ELb1EiNS0_19identity_decomposerEEEEE10hipError_tT0_T1_T2_jT3_P12ihipStream_tbPNSt15iterator_traitsISK_E10value_typeEPNSQ_ISL_E10value_typeEPSM_NS1_7vsmem_tEENKUlT_SK_SL_SM_E_clISE_PiSF_SF_EESJ_SZ_SK_SL_SM_EUlSZ_E0_NS1_11comp_targetILNS1_3genE8ELNS1_11target_archE1030ELNS1_3gpuE2ELNS1_3repE0EEENS1_38merge_mergepath_config_static_selectorELNS0_4arch9wavefront6targetE1EEEvSL_,comdat
.Lfunc_end309:
	.size	_ZN7rocprim17ROCPRIM_400000_NS6detail17trampoline_kernelINS0_14default_configENS1_38merge_sort_block_merge_config_selectorIiNS0_10empty_typeEEEZZNS1_27merge_sort_block_merge_implIS3_N6thrust23THRUST_200600_302600_NS6detail15normal_iteratorINS9_10device_ptrIiEEEEPS5_jNS1_19radix_merge_compareILb1ELb1EiNS0_19identity_decomposerEEEEE10hipError_tT0_T1_T2_jT3_P12ihipStream_tbPNSt15iterator_traitsISK_E10value_typeEPNSQ_ISL_E10value_typeEPSM_NS1_7vsmem_tEENKUlT_SK_SL_SM_E_clISE_PiSF_SF_EESJ_SZ_SK_SL_SM_EUlSZ_E0_NS1_11comp_targetILNS1_3genE8ELNS1_11target_archE1030ELNS1_3gpuE2ELNS1_3repE0EEENS1_38merge_mergepath_config_static_selectorELNS0_4arch9wavefront6targetE1EEEvSL_, .Lfunc_end309-_ZN7rocprim17ROCPRIM_400000_NS6detail17trampoline_kernelINS0_14default_configENS1_38merge_sort_block_merge_config_selectorIiNS0_10empty_typeEEEZZNS1_27merge_sort_block_merge_implIS3_N6thrust23THRUST_200600_302600_NS6detail15normal_iteratorINS9_10device_ptrIiEEEEPS5_jNS1_19radix_merge_compareILb1ELb1EiNS0_19identity_decomposerEEEEE10hipError_tT0_T1_T2_jT3_P12ihipStream_tbPNSt15iterator_traitsISK_E10value_typeEPNSQ_ISL_E10value_typeEPSM_NS1_7vsmem_tEENKUlT_SK_SL_SM_E_clISE_PiSF_SF_EESJ_SZ_SK_SL_SM_EUlSZ_E0_NS1_11comp_targetILNS1_3genE8ELNS1_11target_archE1030ELNS1_3gpuE2ELNS1_3repE0EEENS1_38merge_mergepath_config_static_selectorELNS0_4arch9wavefront6targetE1EEEvSL_
                                        ; -- End function
	.set _ZN7rocprim17ROCPRIM_400000_NS6detail17trampoline_kernelINS0_14default_configENS1_38merge_sort_block_merge_config_selectorIiNS0_10empty_typeEEEZZNS1_27merge_sort_block_merge_implIS3_N6thrust23THRUST_200600_302600_NS6detail15normal_iteratorINS9_10device_ptrIiEEEEPS5_jNS1_19radix_merge_compareILb1ELb1EiNS0_19identity_decomposerEEEEE10hipError_tT0_T1_T2_jT3_P12ihipStream_tbPNSt15iterator_traitsISK_E10value_typeEPNSQ_ISL_E10value_typeEPSM_NS1_7vsmem_tEENKUlT_SK_SL_SM_E_clISE_PiSF_SF_EESJ_SZ_SK_SL_SM_EUlSZ_E0_NS1_11comp_targetILNS1_3genE8ELNS1_11target_archE1030ELNS1_3gpuE2ELNS1_3repE0EEENS1_38merge_mergepath_config_static_selectorELNS0_4arch9wavefront6targetE1EEEvSL_.num_vgpr, 0
	.set _ZN7rocprim17ROCPRIM_400000_NS6detail17trampoline_kernelINS0_14default_configENS1_38merge_sort_block_merge_config_selectorIiNS0_10empty_typeEEEZZNS1_27merge_sort_block_merge_implIS3_N6thrust23THRUST_200600_302600_NS6detail15normal_iteratorINS9_10device_ptrIiEEEEPS5_jNS1_19radix_merge_compareILb1ELb1EiNS0_19identity_decomposerEEEEE10hipError_tT0_T1_T2_jT3_P12ihipStream_tbPNSt15iterator_traitsISK_E10value_typeEPNSQ_ISL_E10value_typeEPSM_NS1_7vsmem_tEENKUlT_SK_SL_SM_E_clISE_PiSF_SF_EESJ_SZ_SK_SL_SM_EUlSZ_E0_NS1_11comp_targetILNS1_3genE8ELNS1_11target_archE1030ELNS1_3gpuE2ELNS1_3repE0EEENS1_38merge_mergepath_config_static_selectorELNS0_4arch9wavefront6targetE1EEEvSL_.num_agpr, 0
	.set _ZN7rocprim17ROCPRIM_400000_NS6detail17trampoline_kernelINS0_14default_configENS1_38merge_sort_block_merge_config_selectorIiNS0_10empty_typeEEEZZNS1_27merge_sort_block_merge_implIS3_N6thrust23THRUST_200600_302600_NS6detail15normal_iteratorINS9_10device_ptrIiEEEEPS5_jNS1_19radix_merge_compareILb1ELb1EiNS0_19identity_decomposerEEEEE10hipError_tT0_T1_T2_jT3_P12ihipStream_tbPNSt15iterator_traitsISK_E10value_typeEPNSQ_ISL_E10value_typeEPSM_NS1_7vsmem_tEENKUlT_SK_SL_SM_E_clISE_PiSF_SF_EESJ_SZ_SK_SL_SM_EUlSZ_E0_NS1_11comp_targetILNS1_3genE8ELNS1_11target_archE1030ELNS1_3gpuE2ELNS1_3repE0EEENS1_38merge_mergepath_config_static_selectorELNS0_4arch9wavefront6targetE1EEEvSL_.numbered_sgpr, 0
	.set _ZN7rocprim17ROCPRIM_400000_NS6detail17trampoline_kernelINS0_14default_configENS1_38merge_sort_block_merge_config_selectorIiNS0_10empty_typeEEEZZNS1_27merge_sort_block_merge_implIS3_N6thrust23THRUST_200600_302600_NS6detail15normal_iteratorINS9_10device_ptrIiEEEEPS5_jNS1_19radix_merge_compareILb1ELb1EiNS0_19identity_decomposerEEEEE10hipError_tT0_T1_T2_jT3_P12ihipStream_tbPNSt15iterator_traitsISK_E10value_typeEPNSQ_ISL_E10value_typeEPSM_NS1_7vsmem_tEENKUlT_SK_SL_SM_E_clISE_PiSF_SF_EESJ_SZ_SK_SL_SM_EUlSZ_E0_NS1_11comp_targetILNS1_3genE8ELNS1_11target_archE1030ELNS1_3gpuE2ELNS1_3repE0EEENS1_38merge_mergepath_config_static_selectorELNS0_4arch9wavefront6targetE1EEEvSL_.num_named_barrier, 0
	.set _ZN7rocprim17ROCPRIM_400000_NS6detail17trampoline_kernelINS0_14default_configENS1_38merge_sort_block_merge_config_selectorIiNS0_10empty_typeEEEZZNS1_27merge_sort_block_merge_implIS3_N6thrust23THRUST_200600_302600_NS6detail15normal_iteratorINS9_10device_ptrIiEEEEPS5_jNS1_19radix_merge_compareILb1ELb1EiNS0_19identity_decomposerEEEEE10hipError_tT0_T1_T2_jT3_P12ihipStream_tbPNSt15iterator_traitsISK_E10value_typeEPNSQ_ISL_E10value_typeEPSM_NS1_7vsmem_tEENKUlT_SK_SL_SM_E_clISE_PiSF_SF_EESJ_SZ_SK_SL_SM_EUlSZ_E0_NS1_11comp_targetILNS1_3genE8ELNS1_11target_archE1030ELNS1_3gpuE2ELNS1_3repE0EEENS1_38merge_mergepath_config_static_selectorELNS0_4arch9wavefront6targetE1EEEvSL_.private_seg_size, 0
	.set _ZN7rocprim17ROCPRIM_400000_NS6detail17trampoline_kernelINS0_14default_configENS1_38merge_sort_block_merge_config_selectorIiNS0_10empty_typeEEEZZNS1_27merge_sort_block_merge_implIS3_N6thrust23THRUST_200600_302600_NS6detail15normal_iteratorINS9_10device_ptrIiEEEEPS5_jNS1_19radix_merge_compareILb1ELb1EiNS0_19identity_decomposerEEEEE10hipError_tT0_T1_T2_jT3_P12ihipStream_tbPNSt15iterator_traitsISK_E10value_typeEPNSQ_ISL_E10value_typeEPSM_NS1_7vsmem_tEENKUlT_SK_SL_SM_E_clISE_PiSF_SF_EESJ_SZ_SK_SL_SM_EUlSZ_E0_NS1_11comp_targetILNS1_3genE8ELNS1_11target_archE1030ELNS1_3gpuE2ELNS1_3repE0EEENS1_38merge_mergepath_config_static_selectorELNS0_4arch9wavefront6targetE1EEEvSL_.uses_vcc, 0
	.set _ZN7rocprim17ROCPRIM_400000_NS6detail17trampoline_kernelINS0_14default_configENS1_38merge_sort_block_merge_config_selectorIiNS0_10empty_typeEEEZZNS1_27merge_sort_block_merge_implIS3_N6thrust23THRUST_200600_302600_NS6detail15normal_iteratorINS9_10device_ptrIiEEEEPS5_jNS1_19radix_merge_compareILb1ELb1EiNS0_19identity_decomposerEEEEE10hipError_tT0_T1_T2_jT3_P12ihipStream_tbPNSt15iterator_traitsISK_E10value_typeEPNSQ_ISL_E10value_typeEPSM_NS1_7vsmem_tEENKUlT_SK_SL_SM_E_clISE_PiSF_SF_EESJ_SZ_SK_SL_SM_EUlSZ_E0_NS1_11comp_targetILNS1_3genE8ELNS1_11target_archE1030ELNS1_3gpuE2ELNS1_3repE0EEENS1_38merge_mergepath_config_static_selectorELNS0_4arch9wavefront6targetE1EEEvSL_.uses_flat_scratch, 0
	.set _ZN7rocprim17ROCPRIM_400000_NS6detail17trampoline_kernelINS0_14default_configENS1_38merge_sort_block_merge_config_selectorIiNS0_10empty_typeEEEZZNS1_27merge_sort_block_merge_implIS3_N6thrust23THRUST_200600_302600_NS6detail15normal_iteratorINS9_10device_ptrIiEEEEPS5_jNS1_19radix_merge_compareILb1ELb1EiNS0_19identity_decomposerEEEEE10hipError_tT0_T1_T2_jT3_P12ihipStream_tbPNSt15iterator_traitsISK_E10value_typeEPNSQ_ISL_E10value_typeEPSM_NS1_7vsmem_tEENKUlT_SK_SL_SM_E_clISE_PiSF_SF_EESJ_SZ_SK_SL_SM_EUlSZ_E0_NS1_11comp_targetILNS1_3genE8ELNS1_11target_archE1030ELNS1_3gpuE2ELNS1_3repE0EEENS1_38merge_mergepath_config_static_selectorELNS0_4arch9wavefront6targetE1EEEvSL_.has_dyn_sized_stack, 0
	.set _ZN7rocprim17ROCPRIM_400000_NS6detail17trampoline_kernelINS0_14default_configENS1_38merge_sort_block_merge_config_selectorIiNS0_10empty_typeEEEZZNS1_27merge_sort_block_merge_implIS3_N6thrust23THRUST_200600_302600_NS6detail15normal_iteratorINS9_10device_ptrIiEEEEPS5_jNS1_19radix_merge_compareILb1ELb1EiNS0_19identity_decomposerEEEEE10hipError_tT0_T1_T2_jT3_P12ihipStream_tbPNSt15iterator_traitsISK_E10value_typeEPNSQ_ISL_E10value_typeEPSM_NS1_7vsmem_tEENKUlT_SK_SL_SM_E_clISE_PiSF_SF_EESJ_SZ_SK_SL_SM_EUlSZ_E0_NS1_11comp_targetILNS1_3genE8ELNS1_11target_archE1030ELNS1_3gpuE2ELNS1_3repE0EEENS1_38merge_mergepath_config_static_selectorELNS0_4arch9wavefront6targetE1EEEvSL_.has_recursion, 0
	.set _ZN7rocprim17ROCPRIM_400000_NS6detail17trampoline_kernelINS0_14default_configENS1_38merge_sort_block_merge_config_selectorIiNS0_10empty_typeEEEZZNS1_27merge_sort_block_merge_implIS3_N6thrust23THRUST_200600_302600_NS6detail15normal_iteratorINS9_10device_ptrIiEEEEPS5_jNS1_19radix_merge_compareILb1ELb1EiNS0_19identity_decomposerEEEEE10hipError_tT0_T1_T2_jT3_P12ihipStream_tbPNSt15iterator_traitsISK_E10value_typeEPNSQ_ISL_E10value_typeEPSM_NS1_7vsmem_tEENKUlT_SK_SL_SM_E_clISE_PiSF_SF_EESJ_SZ_SK_SL_SM_EUlSZ_E0_NS1_11comp_targetILNS1_3genE8ELNS1_11target_archE1030ELNS1_3gpuE2ELNS1_3repE0EEENS1_38merge_mergepath_config_static_selectorELNS0_4arch9wavefront6targetE1EEEvSL_.has_indirect_call, 0
	.section	.AMDGPU.csdata,"",@progbits
; Kernel info:
; codeLenInByte = 0
; TotalNumSgprs: 6
; NumVgprs: 0
; NumAgprs: 0
; TotalNumVgprs: 0
; ScratchSize: 0
; MemoryBound: 0
; FloatMode: 240
; IeeeMode: 1
; LDSByteSize: 0 bytes/workgroup (compile time only)
; SGPRBlocks: 0
; VGPRBlocks: 0
; NumSGPRsForWavesPerEU: 6
; NumVGPRsForWavesPerEU: 1
; AccumOffset: 4
; Occupancy: 8
; WaveLimiterHint : 0
; COMPUTE_PGM_RSRC2:SCRATCH_EN: 0
; COMPUTE_PGM_RSRC2:USER_SGPR: 2
; COMPUTE_PGM_RSRC2:TRAP_HANDLER: 0
; COMPUTE_PGM_RSRC2:TGID_X_EN: 1
; COMPUTE_PGM_RSRC2:TGID_Y_EN: 0
; COMPUTE_PGM_RSRC2:TGID_Z_EN: 0
; COMPUTE_PGM_RSRC2:TIDIG_COMP_CNT: 0
; COMPUTE_PGM_RSRC3_GFX90A:ACCUM_OFFSET: 0
; COMPUTE_PGM_RSRC3_GFX90A:TG_SPLIT: 0
	.section	.text._ZN7rocprim17ROCPRIM_400000_NS6detail17trampoline_kernelINS0_14default_configENS1_38merge_sort_block_merge_config_selectorIiNS0_10empty_typeEEEZZNS1_27merge_sort_block_merge_implIS3_N6thrust23THRUST_200600_302600_NS6detail15normal_iteratorINS9_10device_ptrIiEEEEPS5_jNS1_19radix_merge_compareILb1ELb1EiNS0_19identity_decomposerEEEEE10hipError_tT0_T1_T2_jT3_P12ihipStream_tbPNSt15iterator_traitsISK_E10value_typeEPNSQ_ISL_E10value_typeEPSM_NS1_7vsmem_tEENKUlT_SK_SL_SM_E_clISE_PiSF_SF_EESJ_SZ_SK_SL_SM_EUlSZ_E1_NS1_11comp_targetILNS1_3genE0ELNS1_11target_archE4294967295ELNS1_3gpuE0ELNS1_3repE0EEENS1_36merge_oddeven_config_static_selectorELNS0_4arch9wavefront6targetE1EEEvSL_,"axG",@progbits,_ZN7rocprim17ROCPRIM_400000_NS6detail17trampoline_kernelINS0_14default_configENS1_38merge_sort_block_merge_config_selectorIiNS0_10empty_typeEEEZZNS1_27merge_sort_block_merge_implIS3_N6thrust23THRUST_200600_302600_NS6detail15normal_iteratorINS9_10device_ptrIiEEEEPS5_jNS1_19radix_merge_compareILb1ELb1EiNS0_19identity_decomposerEEEEE10hipError_tT0_T1_T2_jT3_P12ihipStream_tbPNSt15iterator_traitsISK_E10value_typeEPNSQ_ISL_E10value_typeEPSM_NS1_7vsmem_tEENKUlT_SK_SL_SM_E_clISE_PiSF_SF_EESJ_SZ_SK_SL_SM_EUlSZ_E1_NS1_11comp_targetILNS1_3genE0ELNS1_11target_archE4294967295ELNS1_3gpuE0ELNS1_3repE0EEENS1_36merge_oddeven_config_static_selectorELNS0_4arch9wavefront6targetE1EEEvSL_,comdat
	.protected	_ZN7rocprim17ROCPRIM_400000_NS6detail17trampoline_kernelINS0_14default_configENS1_38merge_sort_block_merge_config_selectorIiNS0_10empty_typeEEEZZNS1_27merge_sort_block_merge_implIS3_N6thrust23THRUST_200600_302600_NS6detail15normal_iteratorINS9_10device_ptrIiEEEEPS5_jNS1_19radix_merge_compareILb1ELb1EiNS0_19identity_decomposerEEEEE10hipError_tT0_T1_T2_jT3_P12ihipStream_tbPNSt15iterator_traitsISK_E10value_typeEPNSQ_ISL_E10value_typeEPSM_NS1_7vsmem_tEENKUlT_SK_SL_SM_E_clISE_PiSF_SF_EESJ_SZ_SK_SL_SM_EUlSZ_E1_NS1_11comp_targetILNS1_3genE0ELNS1_11target_archE4294967295ELNS1_3gpuE0ELNS1_3repE0EEENS1_36merge_oddeven_config_static_selectorELNS0_4arch9wavefront6targetE1EEEvSL_ ; -- Begin function _ZN7rocprim17ROCPRIM_400000_NS6detail17trampoline_kernelINS0_14default_configENS1_38merge_sort_block_merge_config_selectorIiNS0_10empty_typeEEEZZNS1_27merge_sort_block_merge_implIS3_N6thrust23THRUST_200600_302600_NS6detail15normal_iteratorINS9_10device_ptrIiEEEEPS5_jNS1_19radix_merge_compareILb1ELb1EiNS0_19identity_decomposerEEEEE10hipError_tT0_T1_T2_jT3_P12ihipStream_tbPNSt15iterator_traitsISK_E10value_typeEPNSQ_ISL_E10value_typeEPSM_NS1_7vsmem_tEENKUlT_SK_SL_SM_E_clISE_PiSF_SF_EESJ_SZ_SK_SL_SM_EUlSZ_E1_NS1_11comp_targetILNS1_3genE0ELNS1_11target_archE4294967295ELNS1_3gpuE0ELNS1_3repE0EEENS1_36merge_oddeven_config_static_selectorELNS0_4arch9wavefront6targetE1EEEvSL_
	.globl	_ZN7rocprim17ROCPRIM_400000_NS6detail17trampoline_kernelINS0_14default_configENS1_38merge_sort_block_merge_config_selectorIiNS0_10empty_typeEEEZZNS1_27merge_sort_block_merge_implIS3_N6thrust23THRUST_200600_302600_NS6detail15normal_iteratorINS9_10device_ptrIiEEEEPS5_jNS1_19radix_merge_compareILb1ELb1EiNS0_19identity_decomposerEEEEE10hipError_tT0_T1_T2_jT3_P12ihipStream_tbPNSt15iterator_traitsISK_E10value_typeEPNSQ_ISL_E10value_typeEPSM_NS1_7vsmem_tEENKUlT_SK_SL_SM_E_clISE_PiSF_SF_EESJ_SZ_SK_SL_SM_EUlSZ_E1_NS1_11comp_targetILNS1_3genE0ELNS1_11target_archE4294967295ELNS1_3gpuE0ELNS1_3repE0EEENS1_36merge_oddeven_config_static_selectorELNS0_4arch9wavefront6targetE1EEEvSL_
	.p2align	8
	.type	_ZN7rocprim17ROCPRIM_400000_NS6detail17trampoline_kernelINS0_14default_configENS1_38merge_sort_block_merge_config_selectorIiNS0_10empty_typeEEEZZNS1_27merge_sort_block_merge_implIS3_N6thrust23THRUST_200600_302600_NS6detail15normal_iteratorINS9_10device_ptrIiEEEEPS5_jNS1_19radix_merge_compareILb1ELb1EiNS0_19identity_decomposerEEEEE10hipError_tT0_T1_T2_jT3_P12ihipStream_tbPNSt15iterator_traitsISK_E10value_typeEPNSQ_ISL_E10value_typeEPSM_NS1_7vsmem_tEENKUlT_SK_SL_SM_E_clISE_PiSF_SF_EESJ_SZ_SK_SL_SM_EUlSZ_E1_NS1_11comp_targetILNS1_3genE0ELNS1_11target_archE4294967295ELNS1_3gpuE0ELNS1_3repE0EEENS1_36merge_oddeven_config_static_selectorELNS0_4arch9wavefront6targetE1EEEvSL_,@function
_ZN7rocprim17ROCPRIM_400000_NS6detail17trampoline_kernelINS0_14default_configENS1_38merge_sort_block_merge_config_selectorIiNS0_10empty_typeEEEZZNS1_27merge_sort_block_merge_implIS3_N6thrust23THRUST_200600_302600_NS6detail15normal_iteratorINS9_10device_ptrIiEEEEPS5_jNS1_19radix_merge_compareILb1ELb1EiNS0_19identity_decomposerEEEEE10hipError_tT0_T1_T2_jT3_P12ihipStream_tbPNSt15iterator_traitsISK_E10value_typeEPNSQ_ISL_E10value_typeEPSM_NS1_7vsmem_tEENKUlT_SK_SL_SM_E_clISE_PiSF_SF_EESJ_SZ_SK_SL_SM_EUlSZ_E1_NS1_11comp_targetILNS1_3genE0ELNS1_11target_archE4294967295ELNS1_3gpuE0ELNS1_3repE0EEENS1_36merge_oddeven_config_static_selectorELNS0_4arch9wavefront6targetE1EEEvSL_: ; @_ZN7rocprim17ROCPRIM_400000_NS6detail17trampoline_kernelINS0_14default_configENS1_38merge_sort_block_merge_config_selectorIiNS0_10empty_typeEEEZZNS1_27merge_sort_block_merge_implIS3_N6thrust23THRUST_200600_302600_NS6detail15normal_iteratorINS9_10device_ptrIiEEEEPS5_jNS1_19radix_merge_compareILb1ELb1EiNS0_19identity_decomposerEEEEE10hipError_tT0_T1_T2_jT3_P12ihipStream_tbPNSt15iterator_traitsISK_E10value_typeEPNSQ_ISL_E10value_typeEPSM_NS1_7vsmem_tEENKUlT_SK_SL_SM_E_clISE_PiSF_SF_EESJ_SZ_SK_SL_SM_EUlSZ_E1_NS1_11comp_targetILNS1_3genE0ELNS1_11target_archE4294967295ELNS1_3gpuE0ELNS1_3repE0EEENS1_36merge_oddeven_config_static_selectorELNS0_4arch9wavefront6targetE1EEEvSL_
; %bb.0:
	s_load_dword s18, s[0:1], 0x20
	s_waitcnt lgkmcnt(0)
	s_lshr_b32 s3, s18, 8
	s_cmp_lg_u32 s2, s3
	s_cselect_b64 s[14:15], -1, 0
	s_cmp_eq_u32 s2, s3
	s_cselect_b64 s[12:13], -1, 0
	s_lshl_b32 s16, s2, 8
	s_sub_i32 s3, s18, s16
	v_cmp_gt_u32_e64 s[6:7], s3, v0
	s_or_b64 s[4:5], s[14:15], s[6:7]
	s_and_saveexec_b64 s[8:9], s[4:5]
	s_cbranch_execz .LBB310_20
; %bb.1:
	s_load_dwordx4 s[8:11], s[0:1], 0x0
	s_load_dword s19, s[0:1], 0x24
	s_mov_b32 s17, 0
	s_lshl_b64 s[4:5], s[16:17], 2
	v_lshlrev_b32_e32 v1, 2, v0
	s_waitcnt lgkmcnt(0)
	s_add_u32 s4, s8, s4
	s_addc_u32 s5, s9, s5
	global_load_dword v2, v1, s[4:5]
	s_lshr_b32 s3, s19, 8
	s_sub_i32 s4, 0, s3
	s_and_b32 s2, s2, s4
	s_and_b32 s3, s2, s3
	s_lshl_b32 s20, s2, 8
	s_sub_i32 s17, 0, s19
	s_cmp_eq_u32 s3, 0
	s_cselect_b64 s[4:5], -1, 0
	s_and_b64 s[2:3], s[4:5], exec
	s_cselect_b32 s17, s19, s17
	s_add_i32 s17, s17, s20
	s_cmp_gt_u32 s18, s17
	v_add_u32_e32 v0, s16, v0
	s_cbranch_scc1 .LBB310_3
; %bb.2:
	v_cmp_gt_u32_e32 vcc, s18, v0
	s_or_b64 s[2:3], vcc, s[14:15]
	s_and_b64 s[2:3], s[2:3], exec
	s_cbranch_execz .LBB310_4
	s_branch .LBB310_18
.LBB310_3:
	s_mov_b64 s[2:3], 0
.LBB310_4:
	s_load_dword s14, s[0:1], 0x28
	s_min_u32 s15, s17, s18
	s_add_i32 s0, s15, s19
	s_min_u32 s16, s0, s18
	s_min_u32 s0, s20, s15
	s_add_i32 s20, s20, s15
	v_subrev_u32_e32 v0, s20, v0
	v_add_u32_e32 v3, s0, v0
	s_waitcnt vmcnt(0) lgkmcnt(0)
	v_and_b32_e32 v4, s14, v2
	s_and_b64 vcc, exec, s[12:13]
	s_cbranch_vccz .LBB310_12
; %bb.5:
                                        ; implicit-def: $vgpr0
	s_and_saveexec_b64 s[0:1], s[6:7]
	s_cbranch_execz .LBB310_11
; %bb.6:
	s_cmp_ge_u32 s17, s16
	v_mov_b32_e32 v5, s15
	s_cbranch_scc1 .LBB310_10
; %bb.7:
	s_mov_b64 s[6:7], 0
	v_mov_b32_e32 v6, s16
	v_mov_b32_e32 v5, s15
	v_mov_b32_e32 v1, 0
.LBB310_8:                              ; =>This Inner Loop Header: Depth=1
	v_add_u32_e32 v0, v5, v6
	v_lshrrev_b32_e32 v0, 1, v0
	v_lshl_add_u64 v[8:9], v[0:1], 2, s[8:9]
	global_load_dword v7, v[8:9], off
	v_add_u32_e32 v8, 1, v0
	s_waitcnt vmcnt(0)
	v_and_b32_e32 v7, s14, v7
	v_cmp_gt_i32_e32 vcc, v7, v4
	s_nop 1
	v_cndmask_b32_e64 v9, 0, 1, vcc
	v_cmp_le_i32_e32 vcc, v4, v7
	s_nop 1
	v_cndmask_b32_e64 v7, 0, 1, vcc
	v_cndmask_b32_e64 v7, v7, v9, s[4:5]
	v_and_b32_e32 v7, 1, v7
	v_cmp_eq_u32_e32 vcc, 1, v7
	s_nop 1
	v_cndmask_b32_e32 v6, v0, v6, vcc
	v_cndmask_b32_e32 v5, v5, v8, vcc
	v_cmp_ge_u32_e32 vcc, v5, v6
	s_or_b64 s[6:7], vcc, s[6:7]
	s_andn2_b64 exec, exec, s[6:7]
	s_cbranch_execnz .LBB310_8
; %bb.9:
	s_or_b64 exec, exec, s[6:7]
.LBB310_10:
	v_add_u32_e32 v0, v5, v3
	s_or_b64 s[2:3], s[2:3], exec
.LBB310_11:
	s_or_b64 exec, exec, s[0:1]
	s_branch .LBB310_18
.LBB310_12:
                                        ; implicit-def: $vgpr0
	s_cbranch_execz .LBB310_18
; %bb.13:
	s_cmp_ge_u32 s17, s16
	v_mov_b32_e32 v5, s15
	s_cbranch_scc1 .LBB310_17
; %bb.14:
	s_mov_b64 s[0:1], 0
	v_mov_b32_e32 v6, s16
	v_mov_b32_e32 v5, s15
	;; [unrolled: 1-line block ×3, first 2 shown]
.LBB310_15:                             ; =>This Inner Loop Header: Depth=1
	v_add_u32_e32 v0, v5, v6
	v_lshrrev_b32_e32 v0, 1, v0
	v_lshl_add_u64 v[8:9], v[0:1], 2, s[8:9]
	global_load_dword v7, v[8:9], off
	v_add_u32_e32 v8, 1, v0
	s_waitcnt vmcnt(0)
	v_and_b32_e32 v7, s14, v7
	v_cmp_gt_i32_e32 vcc, v7, v4
	s_nop 1
	v_cndmask_b32_e64 v9, 0, 1, vcc
	v_cmp_le_i32_e32 vcc, v4, v7
	s_nop 1
	v_cndmask_b32_e64 v7, 0, 1, vcc
	v_cndmask_b32_e64 v7, v7, v9, s[4:5]
	v_and_b32_e32 v7, 1, v7
	v_cmp_eq_u32_e32 vcc, 1, v7
	s_nop 1
	v_cndmask_b32_e32 v6, v0, v6, vcc
	v_cndmask_b32_e32 v5, v5, v8, vcc
	v_cmp_ge_u32_e32 vcc, v5, v6
	s_or_b64 s[0:1], vcc, s[0:1]
	s_andn2_b64 exec, exec, s[0:1]
	s_cbranch_execnz .LBB310_15
; %bb.16:
	s_or_b64 exec, exec, s[0:1]
.LBB310_17:
	v_add_u32_e32 v0, v5, v3
	s_mov_b64 s[2:3], -1
.LBB310_18:
	s_and_b64 exec, exec, s[2:3]
	s_cbranch_execz .LBB310_20
; %bb.19:
	v_mov_b32_e32 v4, s10
	v_mov_b32_e32 v5, s11
	;; [unrolled: 1-line block ×3, first 2 shown]
	v_lshl_add_u64 v[0:1], v[0:1], 2, v[4:5]
	s_waitcnt vmcnt(0)
	global_store_dword v[0:1], v2, off
.LBB310_20:
	s_endpgm
	.section	.rodata,"a",@progbits
	.p2align	6, 0x0
	.amdhsa_kernel _ZN7rocprim17ROCPRIM_400000_NS6detail17trampoline_kernelINS0_14default_configENS1_38merge_sort_block_merge_config_selectorIiNS0_10empty_typeEEEZZNS1_27merge_sort_block_merge_implIS3_N6thrust23THRUST_200600_302600_NS6detail15normal_iteratorINS9_10device_ptrIiEEEEPS5_jNS1_19radix_merge_compareILb1ELb1EiNS0_19identity_decomposerEEEEE10hipError_tT0_T1_T2_jT3_P12ihipStream_tbPNSt15iterator_traitsISK_E10value_typeEPNSQ_ISL_E10value_typeEPSM_NS1_7vsmem_tEENKUlT_SK_SL_SM_E_clISE_PiSF_SF_EESJ_SZ_SK_SL_SM_EUlSZ_E1_NS1_11comp_targetILNS1_3genE0ELNS1_11target_archE4294967295ELNS1_3gpuE0ELNS1_3repE0EEENS1_36merge_oddeven_config_static_selectorELNS0_4arch9wavefront6targetE1EEEvSL_
		.amdhsa_group_segment_fixed_size 0
		.amdhsa_private_segment_fixed_size 0
		.amdhsa_kernarg_size 48
		.amdhsa_user_sgpr_count 2
		.amdhsa_user_sgpr_dispatch_ptr 0
		.amdhsa_user_sgpr_queue_ptr 0
		.amdhsa_user_sgpr_kernarg_segment_ptr 1
		.amdhsa_user_sgpr_dispatch_id 0
		.amdhsa_user_sgpr_kernarg_preload_length 0
		.amdhsa_user_sgpr_kernarg_preload_offset 0
		.amdhsa_user_sgpr_private_segment_size 0
		.amdhsa_uses_dynamic_stack 0
		.amdhsa_enable_private_segment 0
		.amdhsa_system_sgpr_workgroup_id_x 1
		.amdhsa_system_sgpr_workgroup_id_y 0
		.amdhsa_system_sgpr_workgroup_id_z 0
		.amdhsa_system_sgpr_workgroup_info 0
		.amdhsa_system_vgpr_workitem_id 0
		.amdhsa_next_free_vgpr 10
		.amdhsa_next_free_sgpr 21
		.amdhsa_accum_offset 12
		.amdhsa_reserve_vcc 1
		.amdhsa_float_round_mode_32 0
		.amdhsa_float_round_mode_16_64 0
		.amdhsa_float_denorm_mode_32 3
		.amdhsa_float_denorm_mode_16_64 3
		.amdhsa_dx10_clamp 1
		.amdhsa_ieee_mode 1
		.amdhsa_fp16_overflow 0
		.amdhsa_tg_split 0
		.amdhsa_exception_fp_ieee_invalid_op 0
		.amdhsa_exception_fp_denorm_src 0
		.amdhsa_exception_fp_ieee_div_zero 0
		.amdhsa_exception_fp_ieee_overflow 0
		.amdhsa_exception_fp_ieee_underflow 0
		.amdhsa_exception_fp_ieee_inexact 0
		.amdhsa_exception_int_div_zero 0
	.end_amdhsa_kernel
	.section	.text._ZN7rocprim17ROCPRIM_400000_NS6detail17trampoline_kernelINS0_14default_configENS1_38merge_sort_block_merge_config_selectorIiNS0_10empty_typeEEEZZNS1_27merge_sort_block_merge_implIS3_N6thrust23THRUST_200600_302600_NS6detail15normal_iteratorINS9_10device_ptrIiEEEEPS5_jNS1_19radix_merge_compareILb1ELb1EiNS0_19identity_decomposerEEEEE10hipError_tT0_T1_T2_jT3_P12ihipStream_tbPNSt15iterator_traitsISK_E10value_typeEPNSQ_ISL_E10value_typeEPSM_NS1_7vsmem_tEENKUlT_SK_SL_SM_E_clISE_PiSF_SF_EESJ_SZ_SK_SL_SM_EUlSZ_E1_NS1_11comp_targetILNS1_3genE0ELNS1_11target_archE4294967295ELNS1_3gpuE0ELNS1_3repE0EEENS1_36merge_oddeven_config_static_selectorELNS0_4arch9wavefront6targetE1EEEvSL_,"axG",@progbits,_ZN7rocprim17ROCPRIM_400000_NS6detail17trampoline_kernelINS0_14default_configENS1_38merge_sort_block_merge_config_selectorIiNS0_10empty_typeEEEZZNS1_27merge_sort_block_merge_implIS3_N6thrust23THRUST_200600_302600_NS6detail15normal_iteratorINS9_10device_ptrIiEEEEPS5_jNS1_19radix_merge_compareILb1ELb1EiNS0_19identity_decomposerEEEEE10hipError_tT0_T1_T2_jT3_P12ihipStream_tbPNSt15iterator_traitsISK_E10value_typeEPNSQ_ISL_E10value_typeEPSM_NS1_7vsmem_tEENKUlT_SK_SL_SM_E_clISE_PiSF_SF_EESJ_SZ_SK_SL_SM_EUlSZ_E1_NS1_11comp_targetILNS1_3genE0ELNS1_11target_archE4294967295ELNS1_3gpuE0ELNS1_3repE0EEENS1_36merge_oddeven_config_static_selectorELNS0_4arch9wavefront6targetE1EEEvSL_,comdat
.Lfunc_end310:
	.size	_ZN7rocprim17ROCPRIM_400000_NS6detail17trampoline_kernelINS0_14default_configENS1_38merge_sort_block_merge_config_selectorIiNS0_10empty_typeEEEZZNS1_27merge_sort_block_merge_implIS3_N6thrust23THRUST_200600_302600_NS6detail15normal_iteratorINS9_10device_ptrIiEEEEPS5_jNS1_19radix_merge_compareILb1ELb1EiNS0_19identity_decomposerEEEEE10hipError_tT0_T1_T2_jT3_P12ihipStream_tbPNSt15iterator_traitsISK_E10value_typeEPNSQ_ISL_E10value_typeEPSM_NS1_7vsmem_tEENKUlT_SK_SL_SM_E_clISE_PiSF_SF_EESJ_SZ_SK_SL_SM_EUlSZ_E1_NS1_11comp_targetILNS1_3genE0ELNS1_11target_archE4294967295ELNS1_3gpuE0ELNS1_3repE0EEENS1_36merge_oddeven_config_static_selectorELNS0_4arch9wavefront6targetE1EEEvSL_, .Lfunc_end310-_ZN7rocprim17ROCPRIM_400000_NS6detail17trampoline_kernelINS0_14default_configENS1_38merge_sort_block_merge_config_selectorIiNS0_10empty_typeEEEZZNS1_27merge_sort_block_merge_implIS3_N6thrust23THRUST_200600_302600_NS6detail15normal_iteratorINS9_10device_ptrIiEEEEPS5_jNS1_19radix_merge_compareILb1ELb1EiNS0_19identity_decomposerEEEEE10hipError_tT0_T1_T2_jT3_P12ihipStream_tbPNSt15iterator_traitsISK_E10value_typeEPNSQ_ISL_E10value_typeEPSM_NS1_7vsmem_tEENKUlT_SK_SL_SM_E_clISE_PiSF_SF_EESJ_SZ_SK_SL_SM_EUlSZ_E1_NS1_11comp_targetILNS1_3genE0ELNS1_11target_archE4294967295ELNS1_3gpuE0ELNS1_3repE0EEENS1_36merge_oddeven_config_static_selectorELNS0_4arch9wavefront6targetE1EEEvSL_
                                        ; -- End function
	.set _ZN7rocprim17ROCPRIM_400000_NS6detail17trampoline_kernelINS0_14default_configENS1_38merge_sort_block_merge_config_selectorIiNS0_10empty_typeEEEZZNS1_27merge_sort_block_merge_implIS3_N6thrust23THRUST_200600_302600_NS6detail15normal_iteratorINS9_10device_ptrIiEEEEPS5_jNS1_19radix_merge_compareILb1ELb1EiNS0_19identity_decomposerEEEEE10hipError_tT0_T1_T2_jT3_P12ihipStream_tbPNSt15iterator_traitsISK_E10value_typeEPNSQ_ISL_E10value_typeEPSM_NS1_7vsmem_tEENKUlT_SK_SL_SM_E_clISE_PiSF_SF_EESJ_SZ_SK_SL_SM_EUlSZ_E1_NS1_11comp_targetILNS1_3genE0ELNS1_11target_archE4294967295ELNS1_3gpuE0ELNS1_3repE0EEENS1_36merge_oddeven_config_static_selectorELNS0_4arch9wavefront6targetE1EEEvSL_.num_vgpr, 10
	.set _ZN7rocprim17ROCPRIM_400000_NS6detail17trampoline_kernelINS0_14default_configENS1_38merge_sort_block_merge_config_selectorIiNS0_10empty_typeEEEZZNS1_27merge_sort_block_merge_implIS3_N6thrust23THRUST_200600_302600_NS6detail15normal_iteratorINS9_10device_ptrIiEEEEPS5_jNS1_19radix_merge_compareILb1ELb1EiNS0_19identity_decomposerEEEEE10hipError_tT0_T1_T2_jT3_P12ihipStream_tbPNSt15iterator_traitsISK_E10value_typeEPNSQ_ISL_E10value_typeEPSM_NS1_7vsmem_tEENKUlT_SK_SL_SM_E_clISE_PiSF_SF_EESJ_SZ_SK_SL_SM_EUlSZ_E1_NS1_11comp_targetILNS1_3genE0ELNS1_11target_archE4294967295ELNS1_3gpuE0ELNS1_3repE0EEENS1_36merge_oddeven_config_static_selectorELNS0_4arch9wavefront6targetE1EEEvSL_.num_agpr, 0
	.set _ZN7rocprim17ROCPRIM_400000_NS6detail17trampoline_kernelINS0_14default_configENS1_38merge_sort_block_merge_config_selectorIiNS0_10empty_typeEEEZZNS1_27merge_sort_block_merge_implIS3_N6thrust23THRUST_200600_302600_NS6detail15normal_iteratorINS9_10device_ptrIiEEEEPS5_jNS1_19radix_merge_compareILb1ELb1EiNS0_19identity_decomposerEEEEE10hipError_tT0_T1_T2_jT3_P12ihipStream_tbPNSt15iterator_traitsISK_E10value_typeEPNSQ_ISL_E10value_typeEPSM_NS1_7vsmem_tEENKUlT_SK_SL_SM_E_clISE_PiSF_SF_EESJ_SZ_SK_SL_SM_EUlSZ_E1_NS1_11comp_targetILNS1_3genE0ELNS1_11target_archE4294967295ELNS1_3gpuE0ELNS1_3repE0EEENS1_36merge_oddeven_config_static_selectorELNS0_4arch9wavefront6targetE1EEEvSL_.numbered_sgpr, 21
	.set _ZN7rocprim17ROCPRIM_400000_NS6detail17trampoline_kernelINS0_14default_configENS1_38merge_sort_block_merge_config_selectorIiNS0_10empty_typeEEEZZNS1_27merge_sort_block_merge_implIS3_N6thrust23THRUST_200600_302600_NS6detail15normal_iteratorINS9_10device_ptrIiEEEEPS5_jNS1_19radix_merge_compareILb1ELb1EiNS0_19identity_decomposerEEEEE10hipError_tT0_T1_T2_jT3_P12ihipStream_tbPNSt15iterator_traitsISK_E10value_typeEPNSQ_ISL_E10value_typeEPSM_NS1_7vsmem_tEENKUlT_SK_SL_SM_E_clISE_PiSF_SF_EESJ_SZ_SK_SL_SM_EUlSZ_E1_NS1_11comp_targetILNS1_3genE0ELNS1_11target_archE4294967295ELNS1_3gpuE0ELNS1_3repE0EEENS1_36merge_oddeven_config_static_selectorELNS0_4arch9wavefront6targetE1EEEvSL_.num_named_barrier, 0
	.set _ZN7rocprim17ROCPRIM_400000_NS6detail17trampoline_kernelINS0_14default_configENS1_38merge_sort_block_merge_config_selectorIiNS0_10empty_typeEEEZZNS1_27merge_sort_block_merge_implIS3_N6thrust23THRUST_200600_302600_NS6detail15normal_iteratorINS9_10device_ptrIiEEEEPS5_jNS1_19radix_merge_compareILb1ELb1EiNS0_19identity_decomposerEEEEE10hipError_tT0_T1_T2_jT3_P12ihipStream_tbPNSt15iterator_traitsISK_E10value_typeEPNSQ_ISL_E10value_typeEPSM_NS1_7vsmem_tEENKUlT_SK_SL_SM_E_clISE_PiSF_SF_EESJ_SZ_SK_SL_SM_EUlSZ_E1_NS1_11comp_targetILNS1_3genE0ELNS1_11target_archE4294967295ELNS1_3gpuE0ELNS1_3repE0EEENS1_36merge_oddeven_config_static_selectorELNS0_4arch9wavefront6targetE1EEEvSL_.private_seg_size, 0
	.set _ZN7rocprim17ROCPRIM_400000_NS6detail17trampoline_kernelINS0_14default_configENS1_38merge_sort_block_merge_config_selectorIiNS0_10empty_typeEEEZZNS1_27merge_sort_block_merge_implIS3_N6thrust23THRUST_200600_302600_NS6detail15normal_iteratorINS9_10device_ptrIiEEEEPS5_jNS1_19radix_merge_compareILb1ELb1EiNS0_19identity_decomposerEEEEE10hipError_tT0_T1_T2_jT3_P12ihipStream_tbPNSt15iterator_traitsISK_E10value_typeEPNSQ_ISL_E10value_typeEPSM_NS1_7vsmem_tEENKUlT_SK_SL_SM_E_clISE_PiSF_SF_EESJ_SZ_SK_SL_SM_EUlSZ_E1_NS1_11comp_targetILNS1_3genE0ELNS1_11target_archE4294967295ELNS1_3gpuE0ELNS1_3repE0EEENS1_36merge_oddeven_config_static_selectorELNS0_4arch9wavefront6targetE1EEEvSL_.uses_vcc, 1
	.set _ZN7rocprim17ROCPRIM_400000_NS6detail17trampoline_kernelINS0_14default_configENS1_38merge_sort_block_merge_config_selectorIiNS0_10empty_typeEEEZZNS1_27merge_sort_block_merge_implIS3_N6thrust23THRUST_200600_302600_NS6detail15normal_iteratorINS9_10device_ptrIiEEEEPS5_jNS1_19radix_merge_compareILb1ELb1EiNS0_19identity_decomposerEEEEE10hipError_tT0_T1_T2_jT3_P12ihipStream_tbPNSt15iterator_traitsISK_E10value_typeEPNSQ_ISL_E10value_typeEPSM_NS1_7vsmem_tEENKUlT_SK_SL_SM_E_clISE_PiSF_SF_EESJ_SZ_SK_SL_SM_EUlSZ_E1_NS1_11comp_targetILNS1_3genE0ELNS1_11target_archE4294967295ELNS1_3gpuE0ELNS1_3repE0EEENS1_36merge_oddeven_config_static_selectorELNS0_4arch9wavefront6targetE1EEEvSL_.uses_flat_scratch, 0
	.set _ZN7rocprim17ROCPRIM_400000_NS6detail17trampoline_kernelINS0_14default_configENS1_38merge_sort_block_merge_config_selectorIiNS0_10empty_typeEEEZZNS1_27merge_sort_block_merge_implIS3_N6thrust23THRUST_200600_302600_NS6detail15normal_iteratorINS9_10device_ptrIiEEEEPS5_jNS1_19radix_merge_compareILb1ELb1EiNS0_19identity_decomposerEEEEE10hipError_tT0_T1_T2_jT3_P12ihipStream_tbPNSt15iterator_traitsISK_E10value_typeEPNSQ_ISL_E10value_typeEPSM_NS1_7vsmem_tEENKUlT_SK_SL_SM_E_clISE_PiSF_SF_EESJ_SZ_SK_SL_SM_EUlSZ_E1_NS1_11comp_targetILNS1_3genE0ELNS1_11target_archE4294967295ELNS1_3gpuE0ELNS1_3repE0EEENS1_36merge_oddeven_config_static_selectorELNS0_4arch9wavefront6targetE1EEEvSL_.has_dyn_sized_stack, 0
	.set _ZN7rocprim17ROCPRIM_400000_NS6detail17trampoline_kernelINS0_14default_configENS1_38merge_sort_block_merge_config_selectorIiNS0_10empty_typeEEEZZNS1_27merge_sort_block_merge_implIS3_N6thrust23THRUST_200600_302600_NS6detail15normal_iteratorINS9_10device_ptrIiEEEEPS5_jNS1_19radix_merge_compareILb1ELb1EiNS0_19identity_decomposerEEEEE10hipError_tT0_T1_T2_jT3_P12ihipStream_tbPNSt15iterator_traitsISK_E10value_typeEPNSQ_ISL_E10value_typeEPSM_NS1_7vsmem_tEENKUlT_SK_SL_SM_E_clISE_PiSF_SF_EESJ_SZ_SK_SL_SM_EUlSZ_E1_NS1_11comp_targetILNS1_3genE0ELNS1_11target_archE4294967295ELNS1_3gpuE0ELNS1_3repE0EEENS1_36merge_oddeven_config_static_selectorELNS0_4arch9wavefront6targetE1EEEvSL_.has_recursion, 0
	.set _ZN7rocprim17ROCPRIM_400000_NS6detail17trampoline_kernelINS0_14default_configENS1_38merge_sort_block_merge_config_selectorIiNS0_10empty_typeEEEZZNS1_27merge_sort_block_merge_implIS3_N6thrust23THRUST_200600_302600_NS6detail15normal_iteratorINS9_10device_ptrIiEEEEPS5_jNS1_19radix_merge_compareILb1ELb1EiNS0_19identity_decomposerEEEEE10hipError_tT0_T1_T2_jT3_P12ihipStream_tbPNSt15iterator_traitsISK_E10value_typeEPNSQ_ISL_E10value_typeEPSM_NS1_7vsmem_tEENKUlT_SK_SL_SM_E_clISE_PiSF_SF_EESJ_SZ_SK_SL_SM_EUlSZ_E1_NS1_11comp_targetILNS1_3genE0ELNS1_11target_archE4294967295ELNS1_3gpuE0ELNS1_3repE0EEENS1_36merge_oddeven_config_static_selectorELNS0_4arch9wavefront6targetE1EEEvSL_.has_indirect_call, 0
	.section	.AMDGPU.csdata,"",@progbits
; Kernel info:
; codeLenInByte = 608
; TotalNumSgprs: 27
; NumVgprs: 10
; NumAgprs: 0
; TotalNumVgprs: 10
; ScratchSize: 0
; MemoryBound: 0
; FloatMode: 240
; IeeeMode: 1
; LDSByteSize: 0 bytes/workgroup (compile time only)
; SGPRBlocks: 3
; VGPRBlocks: 1
; NumSGPRsForWavesPerEU: 27
; NumVGPRsForWavesPerEU: 10
; AccumOffset: 12
; Occupancy: 8
; WaveLimiterHint : 0
; COMPUTE_PGM_RSRC2:SCRATCH_EN: 0
; COMPUTE_PGM_RSRC2:USER_SGPR: 2
; COMPUTE_PGM_RSRC2:TRAP_HANDLER: 0
; COMPUTE_PGM_RSRC2:TGID_X_EN: 1
; COMPUTE_PGM_RSRC2:TGID_Y_EN: 0
; COMPUTE_PGM_RSRC2:TGID_Z_EN: 0
; COMPUTE_PGM_RSRC2:TIDIG_COMP_CNT: 0
; COMPUTE_PGM_RSRC3_GFX90A:ACCUM_OFFSET: 2
; COMPUTE_PGM_RSRC3_GFX90A:TG_SPLIT: 0
	.section	.text._ZN7rocprim17ROCPRIM_400000_NS6detail17trampoline_kernelINS0_14default_configENS1_38merge_sort_block_merge_config_selectorIiNS0_10empty_typeEEEZZNS1_27merge_sort_block_merge_implIS3_N6thrust23THRUST_200600_302600_NS6detail15normal_iteratorINS9_10device_ptrIiEEEEPS5_jNS1_19radix_merge_compareILb1ELb1EiNS0_19identity_decomposerEEEEE10hipError_tT0_T1_T2_jT3_P12ihipStream_tbPNSt15iterator_traitsISK_E10value_typeEPNSQ_ISL_E10value_typeEPSM_NS1_7vsmem_tEENKUlT_SK_SL_SM_E_clISE_PiSF_SF_EESJ_SZ_SK_SL_SM_EUlSZ_E1_NS1_11comp_targetILNS1_3genE10ELNS1_11target_archE1201ELNS1_3gpuE5ELNS1_3repE0EEENS1_36merge_oddeven_config_static_selectorELNS0_4arch9wavefront6targetE1EEEvSL_,"axG",@progbits,_ZN7rocprim17ROCPRIM_400000_NS6detail17trampoline_kernelINS0_14default_configENS1_38merge_sort_block_merge_config_selectorIiNS0_10empty_typeEEEZZNS1_27merge_sort_block_merge_implIS3_N6thrust23THRUST_200600_302600_NS6detail15normal_iteratorINS9_10device_ptrIiEEEEPS5_jNS1_19radix_merge_compareILb1ELb1EiNS0_19identity_decomposerEEEEE10hipError_tT0_T1_T2_jT3_P12ihipStream_tbPNSt15iterator_traitsISK_E10value_typeEPNSQ_ISL_E10value_typeEPSM_NS1_7vsmem_tEENKUlT_SK_SL_SM_E_clISE_PiSF_SF_EESJ_SZ_SK_SL_SM_EUlSZ_E1_NS1_11comp_targetILNS1_3genE10ELNS1_11target_archE1201ELNS1_3gpuE5ELNS1_3repE0EEENS1_36merge_oddeven_config_static_selectorELNS0_4arch9wavefront6targetE1EEEvSL_,comdat
	.protected	_ZN7rocprim17ROCPRIM_400000_NS6detail17trampoline_kernelINS0_14default_configENS1_38merge_sort_block_merge_config_selectorIiNS0_10empty_typeEEEZZNS1_27merge_sort_block_merge_implIS3_N6thrust23THRUST_200600_302600_NS6detail15normal_iteratorINS9_10device_ptrIiEEEEPS5_jNS1_19radix_merge_compareILb1ELb1EiNS0_19identity_decomposerEEEEE10hipError_tT0_T1_T2_jT3_P12ihipStream_tbPNSt15iterator_traitsISK_E10value_typeEPNSQ_ISL_E10value_typeEPSM_NS1_7vsmem_tEENKUlT_SK_SL_SM_E_clISE_PiSF_SF_EESJ_SZ_SK_SL_SM_EUlSZ_E1_NS1_11comp_targetILNS1_3genE10ELNS1_11target_archE1201ELNS1_3gpuE5ELNS1_3repE0EEENS1_36merge_oddeven_config_static_selectorELNS0_4arch9wavefront6targetE1EEEvSL_ ; -- Begin function _ZN7rocprim17ROCPRIM_400000_NS6detail17trampoline_kernelINS0_14default_configENS1_38merge_sort_block_merge_config_selectorIiNS0_10empty_typeEEEZZNS1_27merge_sort_block_merge_implIS3_N6thrust23THRUST_200600_302600_NS6detail15normal_iteratorINS9_10device_ptrIiEEEEPS5_jNS1_19radix_merge_compareILb1ELb1EiNS0_19identity_decomposerEEEEE10hipError_tT0_T1_T2_jT3_P12ihipStream_tbPNSt15iterator_traitsISK_E10value_typeEPNSQ_ISL_E10value_typeEPSM_NS1_7vsmem_tEENKUlT_SK_SL_SM_E_clISE_PiSF_SF_EESJ_SZ_SK_SL_SM_EUlSZ_E1_NS1_11comp_targetILNS1_3genE10ELNS1_11target_archE1201ELNS1_3gpuE5ELNS1_3repE0EEENS1_36merge_oddeven_config_static_selectorELNS0_4arch9wavefront6targetE1EEEvSL_
	.globl	_ZN7rocprim17ROCPRIM_400000_NS6detail17trampoline_kernelINS0_14default_configENS1_38merge_sort_block_merge_config_selectorIiNS0_10empty_typeEEEZZNS1_27merge_sort_block_merge_implIS3_N6thrust23THRUST_200600_302600_NS6detail15normal_iteratorINS9_10device_ptrIiEEEEPS5_jNS1_19radix_merge_compareILb1ELb1EiNS0_19identity_decomposerEEEEE10hipError_tT0_T1_T2_jT3_P12ihipStream_tbPNSt15iterator_traitsISK_E10value_typeEPNSQ_ISL_E10value_typeEPSM_NS1_7vsmem_tEENKUlT_SK_SL_SM_E_clISE_PiSF_SF_EESJ_SZ_SK_SL_SM_EUlSZ_E1_NS1_11comp_targetILNS1_3genE10ELNS1_11target_archE1201ELNS1_3gpuE5ELNS1_3repE0EEENS1_36merge_oddeven_config_static_selectorELNS0_4arch9wavefront6targetE1EEEvSL_
	.p2align	8
	.type	_ZN7rocprim17ROCPRIM_400000_NS6detail17trampoline_kernelINS0_14default_configENS1_38merge_sort_block_merge_config_selectorIiNS0_10empty_typeEEEZZNS1_27merge_sort_block_merge_implIS3_N6thrust23THRUST_200600_302600_NS6detail15normal_iteratorINS9_10device_ptrIiEEEEPS5_jNS1_19radix_merge_compareILb1ELb1EiNS0_19identity_decomposerEEEEE10hipError_tT0_T1_T2_jT3_P12ihipStream_tbPNSt15iterator_traitsISK_E10value_typeEPNSQ_ISL_E10value_typeEPSM_NS1_7vsmem_tEENKUlT_SK_SL_SM_E_clISE_PiSF_SF_EESJ_SZ_SK_SL_SM_EUlSZ_E1_NS1_11comp_targetILNS1_3genE10ELNS1_11target_archE1201ELNS1_3gpuE5ELNS1_3repE0EEENS1_36merge_oddeven_config_static_selectorELNS0_4arch9wavefront6targetE1EEEvSL_,@function
_ZN7rocprim17ROCPRIM_400000_NS6detail17trampoline_kernelINS0_14default_configENS1_38merge_sort_block_merge_config_selectorIiNS0_10empty_typeEEEZZNS1_27merge_sort_block_merge_implIS3_N6thrust23THRUST_200600_302600_NS6detail15normal_iteratorINS9_10device_ptrIiEEEEPS5_jNS1_19radix_merge_compareILb1ELb1EiNS0_19identity_decomposerEEEEE10hipError_tT0_T1_T2_jT3_P12ihipStream_tbPNSt15iterator_traitsISK_E10value_typeEPNSQ_ISL_E10value_typeEPSM_NS1_7vsmem_tEENKUlT_SK_SL_SM_E_clISE_PiSF_SF_EESJ_SZ_SK_SL_SM_EUlSZ_E1_NS1_11comp_targetILNS1_3genE10ELNS1_11target_archE1201ELNS1_3gpuE5ELNS1_3repE0EEENS1_36merge_oddeven_config_static_selectorELNS0_4arch9wavefront6targetE1EEEvSL_: ; @_ZN7rocprim17ROCPRIM_400000_NS6detail17trampoline_kernelINS0_14default_configENS1_38merge_sort_block_merge_config_selectorIiNS0_10empty_typeEEEZZNS1_27merge_sort_block_merge_implIS3_N6thrust23THRUST_200600_302600_NS6detail15normal_iteratorINS9_10device_ptrIiEEEEPS5_jNS1_19radix_merge_compareILb1ELb1EiNS0_19identity_decomposerEEEEE10hipError_tT0_T1_T2_jT3_P12ihipStream_tbPNSt15iterator_traitsISK_E10value_typeEPNSQ_ISL_E10value_typeEPSM_NS1_7vsmem_tEENKUlT_SK_SL_SM_E_clISE_PiSF_SF_EESJ_SZ_SK_SL_SM_EUlSZ_E1_NS1_11comp_targetILNS1_3genE10ELNS1_11target_archE1201ELNS1_3gpuE5ELNS1_3repE0EEENS1_36merge_oddeven_config_static_selectorELNS0_4arch9wavefront6targetE1EEEvSL_
; %bb.0:
	.section	.rodata,"a",@progbits
	.p2align	6, 0x0
	.amdhsa_kernel _ZN7rocprim17ROCPRIM_400000_NS6detail17trampoline_kernelINS0_14default_configENS1_38merge_sort_block_merge_config_selectorIiNS0_10empty_typeEEEZZNS1_27merge_sort_block_merge_implIS3_N6thrust23THRUST_200600_302600_NS6detail15normal_iteratorINS9_10device_ptrIiEEEEPS5_jNS1_19radix_merge_compareILb1ELb1EiNS0_19identity_decomposerEEEEE10hipError_tT0_T1_T2_jT3_P12ihipStream_tbPNSt15iterator_traitsISK_E10value_typeEPNSQ_ISL_E10value_typeEPSM_NS1_7vsmem_tEENKUlT_SK_SL_SM_E_clISE_PiSF_SF_EESJ_SZ_SK_SL_SM_EUlSZ_E1_NS1_11comp_targetILNS1_3genE10ELNS1_11target_archE1201ELNS1_3gpuE5ELNS1_3repE0EEENS1_36merge_oddeven_config_static_selectorELNS0_4arch9wavefront6targetE1EEEvSL_
		.amdhsa_group_segment_fixed_size 0
		.amdhsa_private_segment_fixed_size 0
		.amdhsa_kernarg_size 48
		.amdhsa_user_sgpr_count 2
		.amdhsa_user_sgpr_dispatch_ptr 0
		.amdhsa_user_sgpr_queue_ptr 0
		.amdhsa_user_sgpr_kernarg_segment_ptr 1
		.amdhsa_user_sgpr_dispatch_id 0
		.amdhsa_user_sgpr_kernarg_preload_length 0
		.amdhsa_user_sgpr_kernarg_preload_offset 0
		.amdhsa_user_sgpr_private_segment_size 0
		.amdhsa_uses_dynamic_stack 0
		.amdhsa_enable_private_segment 0
		.amdhsa_system_sgpr_workgroup_id_x 1
		.amdhsa_system_sgpr_workgroup_id_y 0
		.amdhsa_system_sgpr_workgroup_id_z 0
		.amdhsa_system_sgpr_workgroup_info 0
		.amdhsa_system_vgpr_workitem_id 0
		.amdhsa_next_free_vgpr 1
		.amdhsa_next_free_sgpr 0
		.amdhsa_accum_offset 4
		.amdhsa_reserve_vcc 0
		.amdhsa_float_round_mode_32 0
		.amdhsa_float_round_mode_16_64 0
		.amdhsa_float_denorm_mode_32 3
		.amdhsa_float_denorm_mode_16_64 3
		.amdhsa_dx10_clamp 1
		.amdhsa_ieee_mode 1
		.amdhsa_fp16_overflow 0
		.amdhsa_tg_split 0
		.amdhsa_exception_fp_ieee_invalid_op 0
		.amdhsa_exception_fp_denorm_src 0
		.amdhsa_exception_fp_ieee_div_zero 0
		.amdhsa_exception_fp_ieee_overflow 0
		.amdhsa_exception_fp_ieee_underflow 0
		.amdhsa_exception_fp_ieee_inexact 0
		.amdhsa_exception_int_div_zero 0
	.end_amdhsa_kernel
	.section	.text._ZN7rocprim17ROCPRIM_400000_NS6detail17trampoline_kernelINS0_14default_configENS1_38merge_sort_block_merge_config_selectorIiNS0_10empty_typeEEEZZNS1_27merge_sort_block_merge_implIS3_N6thrust23THRUST_200600_302600_NS6detail15normal_iteratorINS9_10device_ptrIiEEEEPS5_jNS1_19radix_merge_compareILb1ELb1EiNS0_19identity_decomposerEEEEE10hipError_tT0_T1_T2_jT3_P12ihipStream_tbPNSt15iterator_traitsISK_E10value_typeEPNSQ_ISL_E10value_typeEPSM_NS1_7vsmem_tEENKUlT_SK_SL_SM_E_clISE_PiSF_SF_EESJ_SZ_SK_SL_SM_EUlSZ_E1_NS1_11comp_targetILNS1_3genE10ELNS1_11target_archE1201ELNS1_3gpuE5ELNS1_3repE0EEENS1_36merge_oddeven_config_static_selectorELNS0_4arch9wavefront6targetE1EEEvSL_,"axG",@progbits,_ZN7rocprim17ROCPRIM_400000_NS6detail17trampoline_kernelINS0_14default_configENS1_38merge_sort_block_merge_config_selectorIiNS0_10empty_typeEEEZZNS1_27merge_sort_block_merge_implIS3_N6thrust23THRUST_200600_302600_NS6detail15normal_iteratorINS9_10device_ptrIiEEEEPS5_jNS1_19radix_merge_compareILb1ELb1EiNS0_19identity_decomposerEEEEE10hipError_tT0_T1_T2_jT3_P12ihipStream_tbPNSt15iterator_traitsISK_E10value_typeEPNSQ_ISL_E10value_typeEPSM_NS1_7vsmem_tEENKUlT_SK_SL_SM_E_clISE_PiSF_SF_EESJ_SZ_SK_SL_SM_EUlSZ_E1_NS1_11comp_targetILNS1_3genE10ELNS1_11target_archE1201ELNS1_3gpuE5ELNS1_3repE0EEENS1_36merge_oddeven_config_static_selectorELNS0_4arch9wavefront6targetE1EEEvSL_,comdat
.Lfunc_end311:
	.size	_ZN7rocprim17ROCPRIM_400000_NS6detail17trampoline_kernelINS0_14default_configENS1_38merge_sort_block_merge_config_selectorIiNS0_10empty_typeEEEZZNS1_27merge_sort_block_merge_implIS3_N6thrust23THRUST_200600_302600_NS6detail15normal_iteratorINS9_10device_ptrIiEEEEPS5_jNS1_19radix_merge_compareILb1ELb1EiNS0_19identity_decomposerEEEEE10hipError_tT0_T1_T2_jT3_P12ihipStream_tbPNSt15iterator_traitsISK_E10value_typeEPNSQ_ISL_E10value_typeEPSM_NS1_7vsmem_tEENKUlT_SK_SL_SM_E_clISE_PiSF_SF_EESJ_SZ_SK_SL_SM_EUlSZ_E1_NS1_11comp_targetILNS1_3genE10ELNS1_11target_archE1201ELNS1_3gpuE5ELNS1_3repE0EEENS1_36merge_oddeven_config_static_selectorELNS0_4arch9wavefront6targetE1EEEvSL_, .Lfunc_end311-_ZN7rocprim17ROCPRIM_400000_NS6detail17trampoline_kernelINS0_14default_configENS1_38merge_sort_block_merge_config_selectorIiNS0_10empty_typeEEEZZNS1_27merge_sort_block_merge_implIS3_N6thrust23THRUST_200600_302600_NS6detail15normal_iteratorINS9_10device_ptrIiEEEEPS5_jNS1_19radix_merge_compareILb1ELb1EiNS0_19identity_decomposerEEEEE10hipError_tT0_T1_T2_jT3_P12ihipStream_tbPNSt15iterator_traitsISK_E10value_typeEPNSQ_ISL_E10value_typeEPSM_NS1_7vsmem_tEENKUlT_SK_SL_SM_E_clISE_PiSF_SF_EESJ_SZ_SK_SL_SM_EUlSZ_E1_NS1_11comp_targetILNS1_3genE10ELNS1_11target_archE1201ELNS1_3gpuE5ELNS1_3repE0EEENS1_36merge_oddeven_config_static_selectorELNS0_4arch9wavefront6targetE1EEEvSL_
                                        ; -- End function
	.set _ZN7rocprim17ROCPRIM_400000_NS6detail17trampoline_kernelINS0_14default_configENS1_38merge_sort_block_merge_config_selectorIiNS0_10empty_typeEEEZZNS1_27merge_sort_block_merge_implIS3_N6thrust23THRUST_200600_302600_NS6detail15normal_iteratorINS9_10device_ptrIiEEEEPS5_jNS1_19radix_merge_compareILb1ELb1EiNS0_19identity_decomposerEEEEE10hipError_tT0_T1_T2_jT3_P12ihipStream_tbPNSt15iterator_traitsISK_E10value_typeEPNSQ_ISL_E10value_typeEPSM_NS1_7vsmem_tEENKUlT_SK_SL_SM_E_clISE_PiSF_SF_EESJ_SZ_SK_SL_SM_EUlSZ_E1_NS1_11comp_targetILNS1_3genE10ELNS1_11target_archE1201ELNS1_3gpuE5ELNS1_3repE0EEENS1_36merge_oddeven_config_static_selectorELNS0_4arch9wavefront6targetE1EEEvSL_.num_vgpr, 0
	.set _ZN7rocprim17ROCPRIM_400000_NS6detail17trampoline_kernelINS0_14default_configENS1_38merge_sort_block_merge_config_selectorIiNS0_10empty_typeEEEZZNS1_27merge_sort_block_merge_implIS3_N6thrust23THRUST_200600_302600_NS6detail15normal_iteratorINS9_10device_ptrIiEEEEPS5_jNS1_19radix_merge_compareILb1ELb1EiNS0_19identity_decomposerEEEEE10hipError_tT0_T1_T2_jT3_P12ihipStream_tbPNSt15iterator_traitsISK_E10value_typeEPNSQ_ISL_E10value_typeEPSM_NS1_7vsmem_tEENKUlT_SK_SL_SM_E_clISE_PiSF_SF_EESJ_SZ_SK_SL_SM_EUlSZ_E1_NS1_11comp_targetILNS1_3genE10ELNS1_11target_archE1201ELNS1_3gpuE5ELNS1_3repE0EEENS1_36merge_oddeven_config_static_selectorELNS0_4arch9wavefront6targetE1EEEvSL_.num_agpr, 0
	.set _ZN7rocprim17ROCPRIM_400000_NS6detail17trampoline_kernelINS0_14default_configENS1_38merge_sort_block_merge_config_selectorIiNS0_10empty_typeEEEZZNS1_27merge_sort_block_merge_implIS3_N6thrust23THRUST_200600_302600_NS6detail15normal_iteratorINS9_10device_ptrIiEEEEPS5_jNS1_19radix_merge_compareILb1ELb1EiNS0_19identity_decomposerEEEEE10hipError_tT0_T1_T2_jT3_P12ihipStream_tbPNSt15iterator_traitsISK_E10value_typeEPNSQ_ISL_E10value_typeEPSM_NS1_7vsmem_tEENKUlT_SK_SL_SM_E_clISE_PiSF_SF_EESJ_SZ_SK_SL_SM_EUlSZ_E1_NS1_11comp_targetILNS1_3genE10ELNS1_11target_archE1201ELNS1_3gpuE5ELNS1_3repE0EEENS1_36merge_oddeven_config_static_selectorELNS0_4arch9wavefront6targetE1EEEvSL_.numbered_sgpr, 0
	.set _ZN7rocprim17ROCPRIM_400000_NS6detail17trampoline_kernelINS0_14default_configENS1_38merge_sort_block_merge_config_selectorIiNS0_10empty_typeEEEZZNS1_27merge_sort_block_merge_implIS3_N6thrust23THRUST_200600_302600_NS6detail15normal_iteratorINS9_10device_ptrIiEEEEPS5_jNS1_19radix_merge_compareILb1ELb1EiNS0_19identity_decomposerEEEEE10hipError_tT0_T1_T2_jT3_P12ihipStream_tbPNSt15iterator_traitsISK_E10value_typeEPNSQ_ISL_E10value_typeEPSM_NS1_7vsmem_tEENKUlT_SK_SL_SM_E_clISE_PiSF_SF_EESJ_SZ_SK_SL_SM_EUlSZ_E1_NS1_11comp_targetILNS1_3genE10ELNS1_11target_archE1201ELNS1_3gpuE5ELNS1_3repE0EEENS1_36merge_oddeven_config_static_selectorELNS0_4arch9wavefront6targetE1EEEvSL_.num_named_barrier, 0
	.set _ZN7rocprim17ROCPRIM_400000_NS6detail17trampoline_kernelINS0_14default_configENS1_38merge_sort_block_merge_config_selectorIiNS0_10empty_typeEEEZZNS1_27merge_sort_block_merge_implIS3_N6thrust23THRUST_200600_302600_NS6detail15normal_iteratorINS9_10device_ptrIiEEEEPS5_jNS1_19radix_merge_compareILb1ELb1EiNS0_19identity_decomposerEEEEE10hipError_tT0_T1_T2_jT3_P12ihipStream_tbPNSt15iterator_traitsISK_E10value_typeEPNSQ_ISL_E10value_typeEPSM_NS1_7vsmem_tEENKUlT_SK_SL_SM_E_clISE_PiSF_SF_EESJ_SZ_SK_SL_SM_EUlSZ_E1_NS1_11comp_targetILNS1_3genE10ELNS1_11target_archE1201ELNS1_3gpuE5ELNS1_3repE0EEENS1_36merge_oddeven_config_static_selectorELNS0_4arch9wavefront6targetE1EEEvSL_.private_seg_size, 0
	.set _ZN7rocprim17ROCPRIM_400000_NS6detail17trampoline_kernelINS0_14default_configENS1_38merge_sort_block_merge_config_selectorIiNS0_10empty_typeEEEZZNS1_27merge_sort_block_merge_implIS3_N6thrust23THRUST_200600_302600_NS6detail15normal_iteratorINS9_10device_ptrIiEEEEPS5_jNS1_19radix_merge_compareILb1ELb1EiNS0_19identity_decomposerEEEEE10hipError_tT0_T1_T2_jT3_P12ihipStream_tbPNSt15iterator_traitsISK_E10value_typeEPNSQ_ISL_E10value_typeEPSM_NS1_7vsmem_tEENKUlT_SK_SL_SM_E_clISE_PiSF_SF_EESJ_SZ_SK_SL_SM_EUlSZ_E1_NS1_11comp_targetILNS1_3genE10ELNS1_11target_archE1201ELNS1_3gpuE5ELNS1_3repE0EEENS1_36merge_oddeven_config_static_selectorELNS0_4arch9wavefront6targetE1EEEvSL_.uses_vcc, 0
	.set _ZN7rocprim17ROCPRIM_400000_NS6detail17trampoline_kernelINS0_14default_configENS1_38merge_sort_block_merge_config_selectorIiNS0_10empty_typeEEEZZNS1_27merge_sort_block_merge_implIS3_N6thrust23THRUST_200600_302600_NS6detail15normal_iteratorINS9_10device_ptrIiEEEEPS5_jNS1_19radix_merge_compareILb1ELb1EiNS0_19identity_decomposerEEEEE10hipError_tT0_T1_T2_jT3_P12ihipStream_tbPNSt15iterator_traitsISK_E10value_typeEPNSQ_ISL_E10value_typeEPSM_NS1_7vsmem_tEENKUlT_SK_SL_SM_E_clISE_PiSF_SF_EESJ_SZ_SK_SL_SM_EUlSZ_E1_NS1_11comp_targetILNS1_3genE10ELNS1_11target_archE1201ELNS1_3gpuE5ELNS1_3repE0EEENS1_36merge_oddeven_config_static_selectorELNS0_4arch9wavefront6targetE1EEEvSL_.uses_flat_scratch, 0
	.set _ZN7rocprim17ROCPRIM_400000_NS6detail17trampoline_kernelINS0_14default_configENS1_38merge_sort_block_merge_config_selectorIiNS0_10empty_typeEEEZZNS1_27merge_sort_block_merge_implIS3_N6thrust23THRUST_200600_302600_NS6detail15normal_iteratorINS9_10device_ptrIiEEEEPS5_jNS1_19radix_merge_compareILb1ELb1EiNS0_19identity_decomposerEEEEE10hipError_tT0_T1_T2_jT3_P12ihipStream_tbPNSt15iterator_traitsISK_E10value_typeEPNSQ_ISL_E10value_typeEPSM_NS1_7vsmem_tEENKUlT_SK_SL_SM_E_clISE_PiSF_SF_EESJ_SZ_SK_SL_SM_EUlSZ_E1_NS1_11comp_targetILNS1_3genE10ELNS1_11target_archE1201ELNS1_3gpuE5ELNS1_3repE0EEENS1_36merge_oddeven_config_static_selectorELNS0_4arch9wavefront6targetE1EEEvSL_.has_dyn_sized_stack, 0
	.set _ZN7rocprim17ROCPRIM_400000_NS6detail17trampoline_kernelINS0_14default_configENS1_38merge_sort_block_merge_config_selectorIiNS0_10empty_typeEEEZZNS1_27merge_sort_block_merge_implIS3_N6thrust23THRUST_200600_302600_NS6detail15normal_iteratorINS9_10device_ptrIiEEEEPS5_jNS1_19radix_merge_compareILb1ELb1EiNS0_19identity_decomposerEEEEE10hipError_tT0_T1_T2_jT3_P12ihipStream_tbPNSt15iterator_traitsISK_E10value_typeEPNSQ_ISL_E10value_typeEPSM_NS1_7vsmem_tEENKUlT_SK_SL_SM_E_clISE_PiSF_SF_EESJ_SZ_SK_SL_SM_EUlSZ_E1_NS1_11comp_targetILNS1_3genE10ELNS1_11target_archE1201ELNS1_3gpuE5ELNS1_3repE0EEENS1_36merge_oddeven_config_static_selectorELNS0_4arch9wavefront6targetE1EEEvSL_.has_recursion, 0
	.set _ZN7rocprim17ROCPRIM_400000_NS6detail17trampoline_kernelINS0_14default_configENS1_38merge_sort_block_merge_config_selectorIiNS0_10empty_typeEEEZZNS1_27merge_sort_block_merge_implIS3_N6thrust23THRUST_200600_302600_NS6detail15normal_iteratorINS9_10device_ptrIiEEEEPS5_jNS1_19radix_merge_compareILb1ELb1EiNS0_19identity_decomposerEEEEE10hipError_tT0_T1_T2_jT3_P12ihipStream_tbPNSt15iterator_traitsISK_E10value_typeEPNSQ_ISL_E10value_typeEPSM_NS1_7vsmem_tEENKUlT_SK_SL_SM_E_clISE_PiSF_SF_EESJ_SZ_SK_SL_SM_EUlSZ_E1_NS1_11comp_targetILNS1_3genE10ELNS1_11target_archE1201ELNS1_3gpuE5ELNS1_3repE0EEENS1_36merge_oddeven_config_static_selectorELNS0_4arch9wavefront6targetE1EEEvSL_.has_indirect_call, 0
	.section	.AMDGPU.csdata,"",@progbits
; Kernel info:
; codeLenInByte = 0
; TotalNumSgprs: 6
; NumVgprs: 0
; NumAgprs: 0
; TotalNumVgprs: 0
; ScratchSize: 0
; MemoryBound: 0
; FloatMode: 240
; IeeeMode: 1
; LDSByteSize: 0 bytes/workgroup (compile time only)
; SGPRBlocks: 0
; VGPRBlocks: 0
; NumSGPRsForWavesPerEU: 6
; NumVGPRsForWavesPerEU: 1
; AccumOffset: 4
; Occupancy: 8
; WaveLimiterHint : 0
; COMPUTE_PGM_RSRC2:SCRATCH_EN: 0
; COMPUTE_PGM_RSRC2:USER_SGPR: 2
; COMPUTE_PGM_RSRC2:TRAP_HANDLER: 0
; COMPUTE_PGM_RSRC2:TGID_X_EN: 1
; COMPUTE_PGM_RSRC2:TGID_Y_EN: 0
; COMPUTE_PGM_RSRC2:TGID_Z_EN: 0
; COMPUTE_PGM_RSRC2:TIDIG_COMP_CNT: 0
; COMPUTE_PGM_RSRC3_GFX90A:ACCUM_OFFSET: 0
; COMPUTE_PGM_RSRC3_GFX90A:TG_SPLIT: 0
	.section	.text._ZN7rocprim17ROCPRIM_400000_NS6detail17trampoline_kernelINS0_14default_configENS1_38merge_sort_block_merge_config_selectorIiNS0_10empty_typeEEEZZNS1_27merge_sort_block_merge_implIS3_N6thrust23THRUST_200600_302600_NS6detail15normal_iteratorINS9_10device_ptrIiEEEEPS5_jNS1_19radix_merge_compareILb1ELb1EiNS0_19identity_decomposerEEEEE10hipError_tT0_T1_T2_jT3_P12ihipStream_tbPNSt15iterator_traitsISK_E10value_typeEPNSQ_ISL_E10value_typeEPSM_NS1_7vsmem_tEENKUlT_SK_SL_SM_E_clISE_PiSF_SF_EESJ_SZ_SK_SL_SM_EUlSZ_E1_NS1_11comp_targetILNS1_3genE5ELNS1_11target_archE942ELNS1_3gpuE9ELNS1_3repE0EEENS1_36merge_oddeven_config_static_selectorELNS0_4arch9wavefront6targetE1EEEvSL_,"axG",@progbits,_ZN7rocprim17ROCPRIM_400000_NS6detail17trampoline_kernelINS0_14default_configENS1_38merge_sort_block_merge_config_selectorIiNS0_10empty_typeEEEZZNS1_27merge_sort_block_merge_implIS3_N6thrust23THRUST_200600_302600_NS6detail15normal_iteratorINS9_10device_ptrIiEEEEPS5_jNS1_19radix_merge_compareILb1ELb1EiNS0_19identity_decomposerEEEEE10hipError_tT0_T1_T2_jT3_P12ihipStream_tbPNSt15iterator_traitsISK_E10value_typeEPNSQ_ISL_E10value_typeEPSM_NS1_7vsmem_tEENKUlT_SK_SL_SM_E_clISE_PiSF_SF_EESJ_SZ_SK_SL_SM_EUlSZ_E1_NS1_11comp_targetILNS1_3genE5ELNS1_11target_archE942ELNS1_3gpuE9ELNS1_3repE0EEENS1_36merge_oddeven_config_static_selectorELNS0_4arch9wavefront6targetE1EEEvSL_,comdat
	.protected	_ZN7rocprim17ROCPRIM_400000_NS6detail17trampoline_kernelINS0_14default_configENS1_38merge_sort_block_merge_config_selectorIiNS0_10empty_typeEEEZZNS1_27merge_sort_block_merge_implIS3_N6thrust23THRUST_200600_302600_NS6detail15normal_iteratorINS9_10device_ptrIiEEEEPS5_jNS1_19radix_merge_compareILb1ELb1EiNS0_19identity_decomposerEEEEE10hipError_tT0_T1_T2_jT3_P12ihipStream_tbPNSt15iterator_traitsISK_E10value_typeEPNSQ_ISL_E10value_typeEPSM_NS1_7vsmem_tEENKUlT_SK_SL_SM_E_clISE_PiSF_SF_EESJ_SZ_SK_SL_SM_EUlSZ_E1_NS1_11comp_targetILNS1_3genE5ELNS1_11target_archE942ELNS1_3gpuE9ELNS1_3repE0EEENS1_36merge_oddeven_config_static_selectorELNS0_4arch9wavefront6targetE1EEEvSL_ ; -- Begin function _ZN7rocprim17ROCPRIM_400000_NS6detail17trampoline_kernelINS0_14default_configENS1_38merge_sort_block_merge_config_selectorIiNS0_10empty_typeEEEZZNS1_27merge_sort_block_merge_implIS3_N6thrust23THRUST_200600_302600_NS6detail15normal_iteratorINS9_10device_ptrIiEEEEPS5_jNS1_19radix_merge_compareILb1ELb1EiNS0_19identity_decomposerEEEEE10hipError_tT0_T1_T2_jT3_P12ihipStream_tbPNSt15iterator_traitsISK_E10value_typeEPNSQ_ISL_E10value_typeEPSM_NS1_7vsmem_tEENKUlT_SK_SL_SM_E_clISE_PiSF_SF_EESJ_SZ_SK_SL_SM_EUlSZ_E1_NS1_11comp_targetILNS1_3genE5ELNS1_11target_archE942ELNS1_3gpuE9ELNS1_3repE0EEENS1_36merge_oddeven_config_static_selectorELNS0_4arch9wavefront6targetE1EEEvSL_
	.globl	_ZN7rocprim17ROCPRIM_400000_NS6detail17trampoline_kernelINS0_14default_configENS1_38merge_sort_block_merge_config_selectorIiNS0_10empty_typeEEEZZNS1_27merge_sort_block_merge_implIS3_N6thrust23THRUST_200600_302600_NS6detail15normal_iteratorINS9_10device_ptrIiEEEEPS5_jNS1_19radix_merge_compareILb1ELb1EiNS0_19identity_decomposerEEEEE10hipError_tT0_T1_T2_jT3_P12ihipStream_tbPNSt15iterator_traitsISK_E10value_typeEPNSQ_ISL_E10value_typeEPSM_NS1_7vsmem_tEENKUlT_SK_SL_SM_E_clISE_PiSF_SF_EESJ_SZ_SK_SL_SM_EUlSZ_E1_NS1_11comp_targetILNS1_3genE5ELNS1_11target_archE942ELNS1_3gpuE9ELNS1_3repE0EEENS1_36merge_oddeven_config_static_selectorELNS0_4arch9wavefront6targetE1EEEvSL_
	.p2align	8
	.type	_ZN7rocprim17ROCPRIM_400000_NS6detail17trampoline_kernelINS0_14default_configENS1_38merge_sort_block_merge_config_selectorIiNS0_10empty_typeEEEZZNS1_27merge_sort_block_merge_implIS3_N6thrust23THRUST_200600_302600_NS6detail15normal_iteratorINS9_10device_ptrIiEEEEPS5_jNS1_19radix_merge_compareILb1ELb1EiNS0_19identity_decomposerEEEEE10hipError_tT0_T1_T2_jT3_P12ihipStream_tbPNSt15iterator_traitsISK_E10value_typeEPNSQ_ISL_E10value_typeEPSM_NS1_7vsmem_tEENKUlT_SK_SL_SM_E_clISE_PiSF_SF_EESJ_SZ_SK_SL_SM_EUlSZ_E1_NS1_11comp_targetILNS1_3genE5ELNS1_11target_archE942ELNS1_3gpuE9ELNS1_3repE0EEENS1_36merge_oddeven_config_static_selectorELNS0_4arch9wavefront6targetE1EEEvSL_,@function
_ZN7rocprim17ROCPRIM_400000_NS6detail17trampoline_kernelINS0_14default_configENS1_38merge_sort_block_merge_config_selectorIiNS0_10empty_typeEEEZZNS1_27merge_sort_block_merge_implIS3_N6thrust23THRUST_200600_302600_NS6detail15normal_iteratorINS9_10device_ptrIiEEEEPS5_jNS1_19radix_merge_compareILb1ELb1EiNS0_19identity_decomposerEEEEE10hipError_tT0_T1_T2_jT3_P12ihipStream_tbPNSt15iterator_traitsISK_E10value_typeEPNSQ_ISL_E10value_typeEPSM_NS1_7vsmem_tEENKUlT_SK_SL_SM_E_clISE_PiSF_SF_EESJ_SZ_SK_SL_SM_EUlSZ_E1_NS1_11comp_targetILNS1_3genE5ELNS1_11target_archE942ELNS1_3gpuE9ELNS1_3repE0EEENS1_36merge_oddeven_config_static_selectorELNS0_4arch9wavefront6targetE1EEEvSL_: ; @_ZN7rocprim17ROCPRIM_400000_NS6detail17trampoline_kernelINS0_14default_configENS1_38merge_sort_block_merge_config_selectorIiNS0_10empty_typeEEEZZNS1_27merge_sort_block_merge_implIS3_N6thrust23THRUST_200600_302600_NS6detail15normal_iteratorINS9_10device_ptrIiEEEEPS5_jNS1_19radix_merge_compareILb1ELb1EiNS0_19identity_decomposerEEEEE10hipError_tT0_T1_T2_jT3_P12ihipStream_tbPNSt15iterator_traitsISK_E10value_typeEPNSQ_ISL_E10value_typeEPSM_NS1_7vsmem_tEENKUlT_SK_SL_SM_E_clISE_PiSF_SF_EESJ_SZ_SK_SL_SM_EUlSZ_E1_NS1_11comp_targetILNS1_3genE5ELNS1_11target_archE942ELNS1_3gpuE9ELNS1_3repE0EEENS1_36merge_oddeven_config_static_selectorELNS0_4arch9wavefront6targetE1EEEvSL_
; %bb.0:
	.section	.rodata,"a",@progbits
	.p2align	6, 0x0
	.amdhsa_kernel _ZN7rocprim17ROCPRIM_400000_NS6detail17trampoline_kernelINS0_14default_configENS1_38merge_sort_block_merge_config_selectorIiNS0_10empty_typeEEEZZNS1_27merge_sort_block_merge_implIS3_N6thrust23THRUST_200600_302600_NS6detail15normal_iteratorINS9_10device_ptrIiEEEEPS5_jNS1_19radix_merge_compareILb1ELb1EiNS0_19identity_decomposerEEEEE10hipError_tT0_T1_T2_jT3_P12ihipStream_tbPNSt15iterator_traitsISK_E10value_typeEPNSQ_ISL_E10value_typeEPSM_NS1_7vsmem_tEENKUlT_SK_SL_SM_E_clISE_PiSF_SF_EESJ_SZ_SK_SL_SM_EUlSZ_E1_NS1_11comp_targetILNS1_3genE5ELNS1_11target_archE942ELNS1_3gpuE9ELNS1_3repE0EEENS1_36merge_oddeven_config_static_selectorELNS0_4arch9wavefront6targetE1EEEvSL_
		.amdhsa_group_segment_fixed_size 0
		.amdhsa_private_segment_fixed_size 0
		.amdhsa_kernarg_size 48
		.amdhsa_user_sgpr_count 2
		.amdhsa_user_sgpr_dispatch_ptr 0
		.amdhsa_user_sgpr_queue_ptr 0
		.amdhsa_user_sgpr_kernarg_segment_ptr 1
		.amdhsa_user_sgpr_dispatch_id 0
		.amdhsa_user_sgpr_kernarg_preload_length 0
		.amdhsa_user_sgpr_kernarg_preload_offset 0
		.amdhsa_user_sgpr_private_segment_size 0
		.amdhsa_uses_dynamic_stack 0
		.amdhsa_enable_private_segment 0
		.amdhsa_system_sgpr_workgroup_id_x 1
		.amdhsa_system_sgpr_workgroup_id_y 0
		.amdhsa_system_sgpr_workgroup_id_z 0
		.amdhsa_system_sgpr_workgroup_info 0
		.amdhsa_system_vgpr_workitem_id 0
		.amdhsa_next_free_vgpr 1
		.amdhsa_next_free_sgpr 0
		.amdhsa_accum_offset 4
		.amdhsa_reserve_vcc 0
		.amdhsa_float_round_mode_32 0
		.amdhsa_float_round_mode_16_64 0
		.amdhsa_float_denorm_mode_32 3
		.amdhsa_float_denorm_mode_16_64 3
		.amdhsa_dx10_clamp 1
		.amdhsa_ieee_mode 1
		.amdhsa_fp16_overflow 0
		.amdhsa_tg_split 0
		.amdhsa_exception_fp_ieee_invalid_op 0
		.amdhsa_exception_fp_denorm_src 0
		.amdhsa_exception_fp_ieee_div_zero 0
		.amdhsa_exception_fp_ieee_overflow 0
		.amdhsa_exception_fp_ieee_underflow 0
		.amdhsa_exception_fp_ieee_inexact 0
		.amdhsa_exception_int_div_zero 0
	.end_amdhsa_kernel
	.section	.text._ZN7rocprim17ROCPRIM_400000_NS6detail17trampoline_kernelINS0_14default_configENS1_38merge_sort_block_merge_config_selectorIiNS0_10empty_typeEEEZZNS1_27merge_sort_block_merge_implIS3_N6thrust23THRUST_200600_302600_NS6detail15normal_iteratorINS9_10device_ptrIiEEEEPS5_jNS1_19radix_merge_compareILb1ELb1EiNS0_19identity_decomposerEEEEE10hipError_tT0_T1_T2_jT3_P12ihipStream_tbPNSt15iterator_traitsISK_E10value_typeEPNSQ_ISL_E10value_typeEPSM_NS1_7vsmem_tEENKUlT_SK_SL_SM_E_clISE_PiSF_SF_EESJ_SZ_SK_SL_SM_EUlSZ_E1_NS1_11comp_targetILNS1_3genE5ELNS1_11target_archE942ELNS1_3gpuE9ELNS1_3repE0EEENS1_36merge_oddeven_config_static_selectorELNS0_4arch9wavefront6targetE1EEEvSL_,"axG",@progbits,_ZN7rocprim17ROCPRIM_400000_NS6detail17trampoline_kernelINS0_14default_configENS1_38merge_sort_block_merge_config_selectorIiNS0_10empty_typeEEEZZNS1_27merge_sort_block_merge_implIS3_N6thrust23THRUST_200600_302600_NS6detail15normal_iteratorINS9_10device_ptrIiEEEEPS5_jNS1_19radix_merge_compareILb1ELb1EiNS0_19identity_decomposerEEEEE10hipError_tT0_T1_T2_jT3_P12ihipStream_tbPNSt15iterator_traitsISK_E10value_typeEPNSQ_ISL_E10value_typeEPSM_NS1_7vsmem_tEENKUlT_SK_SL_SM_E_clISE_PiSF_SF_EESJ_SZ_SK_SL_SM_EUlSZ_E1_NS1_11comp_targetILNS1_3genE5ELNS1_11target_archE942ELNS1_3gpuE9ELNS1_3repE0EEENS1_36merge_oddeven_config_static_selectorELNS0_4arch9wavefront6targetE1EEEvSL_,comdat
.Lfunc_end312:
	.size	_ZN7rocprim17ROCPRIM_400000_NS6detail17trampoline_kernelINS0_14default_configENS1_38merge_sort_block_merge_config_selectorIiNS0_10empty_typeEEEZZNS1_27merge_sort_block_merge_implIS3_N6thrust23THRUST_200600_302600_NS6detail15normal_iteratorINS9_10device_ptrIiEEEEPS5_jNS1_19radix_merge_compareILb1ELb1EiNS0_19identity_decomposerEEEEE10hipError_tT0_T1_T2_jT3_P12ihipStream_tbPNSt15iterator_traitsISK_E10value_typeEPNSQ_ISL_E10value_typeEPSM_NS1_7vsmem_tEENKUlT_SK_SL_SM_E_clISE_PiSF_SF_EESJ_SZ_SK_SL_SM_EUlSZ_E1_NS1_11comp_targetILNS1_3genE5ELNS1_11target_archE942ELNS1_3gpuE9ELNS1_3repE0EEENS1_36merge_oddeven_config_static_selectorELNS0_4arch9wavefront6targetE1EEEvSL_, .Lfunc_end312-_ZN7rocprim17ROCPRIM_400000_NS6detail17trampoline_kernelINS0_14default_configENS1_38merge_sort_block_merge_config_selectorIiNS0_10empty_typeEEEZZNS1_27merge_sort_block_merge_implIS3_N6thrust23THRUST_200600_302600_NS6detail15normal_iteratorINS9_10device_ptrIiEEEEPS5_jNS1_19radix_merge_compareILb1ELb1EiNS0_19identity_decomposerEEEEE10hipError_tT0_T1_T2_jT3_P12ihipStream_tbPNSt15iterator_traitsISK_E10value_typeEPNSQ_ISL_E10value_typeEPSM_NS1_7vsmem_tEENKUlT_SK_SL_SM_E_clISE_PiSF_SF_EESJ_SZ_SK_SL_SM_EUlSZ_E1_NS1_11comp_targetILNS1_3genE5ELNS1_11target_archE942ELNS1_3gpuE9ELNS1_3repE0EEENS1_36merge_oddeven_config_static_selectorELNS0_4arch9wavefront6targetE1EEEvSL_
                                        ; -- End function
	.set _ZN7rocprim17ROCPRIM_400000_NS6detail17trampoline_kernelINS0_14default_configENS1_38merge_sort_block_merge_config_selectorIiNS0_10empty_typeEEEZZNS1_27merge_sort_block_merge_implIS3_N6thrust23THRUST_200600_302600_NS6detail15normal_iteratorINS9_10device_ptrIiEEEEPS5_jNS1_19radix_merge_compareILb1ELb1EiNS0_19identity_decomposerEEEEE10hipError_tT0_T1_T2_jT3_P12ihipStream_tbPNSt15iterator_traitsISK_E10value_typeEPNSQ_ISL_E10value_typeEPSM_NS1_7vsmem_tEENKUlT_SK_SL_SM_E_clISE_PiSF_SF_EESJ_SZ_SK_SL_SM_EUlSZ_E1_NS1_11comp_targetILNS1_3genE5ELNS1_11target_archE942ELNS1_3gpuE9ELNS1_3repE0EEENS1_36merge_oddeven_config_static_selectorELNS0_4arch9wavefront6targetE1EEEvSL_.num_vgpr, 0
	.set _ZN7rocprim17ROCPRIM_400000_NS6detail17trampoline_kernelINS0_14default_configENS1_38merge_sort_block_merge_config_selectorIiNS0_10empty_typeEEEZZNS1_27merge_sort_block_merge_implIS3_N6thrust23THRUST_200600_302600_NS6detail15normal_iteratorINS9_10device_ptrIiEEEEPS5_jNS1_19radix_merge_compareILb1ELb1EiNS0_19identity_decomposerEEEEE10hipError_tT0_T1_T2_jT3_P12ihipStream_tbPNSt15iterator_traitsISK_E10value_typeEPNSQ_ISL_E10value_typeEPSM_NS1_7vsmem_tEENKUlT_SK_SL_SM_E_clISE_PiSF_SF_EESJ_SZ_SK_SL_SM_EUlSZ_E1_NS1_11comp_targetILNS1_3genE5ELNS1_11target_archE942ELNS1_3gpuE9ELNS1_3repE0EEENS1_36merge_oddeven_config_static_selectorELNS0_4arch9wavefront6targetE1EEEvSL_.num_agpr, 0
	.set _ZN7rocprim17ROCPRIM_400000_NS6detail17trampoline_kernelINS0_14default_configENS1_38merge_sort_block_merge_config_selectorIiNS0_10empty_typeEEEZZNS1_27merge_sort_block_merge_implIS3_N6thrust23THRUST_200600_302600_NS6detail15normal_iteratorINS9_10device_ptrIiEEEEPS5_jNS1_19radix_merge_compareILb1ELb1EiNS0_19identity_decomposerEEEEE10hipError_tT0_T1_T2_jT3_P12ihipStream_tbPNSt15iterator_traitsISK_E10value_typeEPNSQ_ISL_E10value_typeEPSM_NS1_7vsmem_tEENKUlT_SK_SL_SM_E_clISE_PiSF_SF_EESJ_SZ_SK_SL_SM_EUlSZ_E1_NS1_11comp_targetILNS1_3genE5ELNS1_11target_archE942ELNS1_3gpuE9ELNS1_3repE0EEENS1_36merge_oddeven_config_static_selectorELNS0_4arch9wavefront6targetE1EEEvSL_.numbered_sgpr, 0
	.set _ZN7rocprim17ROCPRIM_400000_NS6detail17trampoline_kernelINS0_14default_configENS1_38merge_sort_block_merge_config_selectorIiNS0_10empty_typeEEEZZNS1_27merge_sort_block_merge_implIS3_N6thrust23THRUST_200600_302600_NS6detail15normal_iteratorINS9_10device_ptrIiEEEEPS5_jNS1_19radix_merge_compareILb1ELb1EiNS0_19identity_decomposerEEEEE10hipError_tT0_T1_T2_jT3_P12ihipStream_tbPNSt15iterator_traitsISK_E10value_typeEPNSQ_ISL_E10value_typeEPSM_NS1_7vsmem_tEENKUlT_SK_SL_SM_E_clISE_PiSF_SF_EESJ_SZ_SK_SL_SM_EUlSZ_E1_NS1_11comp_targetILNS1_3genE5ELNS1_11target_archE942ELNS1_3gpuE9ELNS1_3repE0EEENS1_36merge_oddeven_config_static_selectorELNS0_4arch9wavefront6targetE1EEEvSL_.num_named_barrier, 0
	.set _ZN7rocprim17ROCPRIM_400000_NS6detail17trampoline_kernelINS0_14default_configENS1_38merge_sort_block_merge_config_selectorIiNS0_10empty_typeEEEZZNS1_27merge_sort_block_merge_implIS3_N6thrust23THRUST_200600_302600_NS6detail15normal_iteratorINS9_10device_ptrIiEEEEPS5_jNS1_19radix_merge_compareILb1ELb1EiNS0_19identity_decomposerEEEEE10hipError_tT0_T1_T2_jT3_P12ihipStream_tbPNSt15iterator_traitsISK_E10value_typeEPNSQ_ISL_E10value_typeEPSM_NS1_7vsmem_tEENKUlT_SK_SL_SM_E_clISE_PiSF_SF_EESJ_SZ_SK_SL_SM_EUlSZ_E1_NS1_11comp_targetILNS1_3genE5ELNS1_11target_archE942ELNS1_3gpuE9ELNS1_3repE0EEENS1_36merge_oddeven_config_static_selectorELNS0_4arch9wavefront6targetE1EEEvSL_.private_seg_size, 0
	.set _ZN7rocprim17ROCPRIM_400000_NS6detail17trampoline_kernelINS0_14default_configENS1_38merge_sort_block_merge_config_selectorIiNS0_10empty_typeEEEZZNS1_27merge_sort_block_merge_implIS3_N6thrust23THRUST_200600_302600_NS6detail15normal_iteratorINS9_10device_ptrIiEEEEPS5_jNS1_19radix_merge_compareILb1ELb1EiNS0_19identity_decomposerEEEEE10hipError_tT0_T1_T2_jT3_P12ihipStream_tbPNSt15iterator_traitsISK_E10value_typeEPNSQ_ISL_E10value_typeEPSM_NS1_7vsmem_tEENKUlT_SK_SL_SM_E_clISE_PiSF_SF_EESJ_SZ_SK_SL_SM_EUlSZ_E1_NS1_11comp_targetILNS1_3genE5ELNS1_11target_archE942ELNS1_3gpuE9ELNS1_3repE0EEENS1_36merge_oddeven_config_static_selectorELNS0_4arch9wavefront6targetE1EEEvSL_.uses_vcc, 0
	.set _ZN7rocprim17ROCPRIM_400000_NS6detail17trampoline_kernelINS0_14default_configENS1_38merge_sort_block_merge_config_selectorIiNS0_10empty_typeEEEZZNS1_27merge_sort_block_merge_implIS3_N6thrust23THRUST_200600_302600_NS6detail15normal_iteratorINS9_10device_ptrIiEEEEPS5_jNS1_19radix_merge_compareILb1ELb1EiNS0_19identity_decomposerEEEEE10hipError_tT0_T1_T2_jT3_P12ihipStream_tbPNSt15iterator_traitsISK_E10value_typeEPNSQ_ISL_E10value_typeEPSM_NS1_7vsmem_tEENKUlT_SK_SL_SM_E_clISE_PiSF_SF_EESJ_SZ_SK_SL_SM_EUlSZ_E1_NS1_11comp_targetILNS1_3genE5ELNS1_11target_archE942ELNS1_3gpuE9ELNS1_3repE0EEENS1_36merge_oddeven_config_static_selectorELNS0_4arch9wavefront6targetE1EEEvSL_.uses_flat_scratch, 0
	.set _ZN7rocprim17ROCPRIM_400000_NS6detail17trampoline_kernelINS0_14default_configENS1_38merge_sort_block_merge_config_selectorIiNS0_10empty_typeEEEZZNS1_27merge_sort_block_merge_implIS3_N6thrust23THRUST_200600_302600_NS6detail15normal_iteratorINS9_10device_ptrIiEEEEPS5_jNS1_19radix_merge_compareILb1ELb1EiNS0_19identity_decomposerEEEEE10hipError_tT0_T1_T2_jT3_P12ihipStream_tbPNSt15iterator_traitsISK_E10value_typeEPNSQ_ISL_E10value_typeEPSM_NS1_7vsmem_tEENKUlT_SK_SL_SM_E_clISE_PiSF_SF_EESJ_SZ_SK_SL_SM_EUlSZ_E1_NS1_11comp_targetILNS1_3genE5ELNS1_11target_archE942ELNS1_3gpuE9ELNS1_3repE0EEENS1_36merge_oddeven_config_static_selectorELNS0_4arch9wavefront6targetE1EEEvSL_.has_dyn_sized_stack, 0
	.set _ZN7rocprim17ROCPRIM_400000_NS6detail17trampoline_kernelINS0_14default_configENS1_38merge_sort_block_merge_config_selectorIiNS0_10empty_typeEEEZZNS1_27merge_sort_block_merge_implIS3_N6thrust23THRUST_200600_302600_NS6detail15normal_iteratorINS9_10device_ptrIiEEEEPS5_jNS1_19radix_merge_compareILb1ELb1EiNS0_19identity_decomposerEEEEE10hipError_tT0_T1_T2_jT3_P12ihipStream_tbPNSt15iterator_traitsISK_E10value_typeEPNSQ_ISL_E10value_typeEPSM_NS1_7vsmem_tEENKUlT_SK_SL_SM_E_clISE_PiSF_SF_EESJ_SZ_SK_SL_SM_EUlSZ_E1_NS1_11comp_targetILNS1_3genE5ELNS1_11target_archE942ELNS1_3gpuE9ELNS1_3repE0EEENS1_36merge_oddeven_config_static_selectorELNS0_4arch9wavefront6targetE1EEEvSL_.has_recursion, 0
	.set _ZN7rocprim17ROCPRIM_400000_NS6detail17trampoline_kernelINS0_14default_configENS1_38merge_sort_block_merge_config_selectorIiNS0_10empty_typeEEEZZNS1_27merge_sort_block_merge_implIS3_N6thrust23THRUST_200600_302600_NS6detail15normal_iteratorINS9_10device_ptrIiEEEEPS5_jNS1_19radix_merge_compareILb1ELb1EiNS0_19identity_decomposerEEEEE10hipError_tT0_T1_T2_jT3_P12ihipStream_tbPNSt15iterator_traitsISK_E10value_typeEPNSQ_ISL_E10value_typeEPSM_NS1_7vsmem_tEENKUlT_SK_SL_SM_E_clISE_PiSF_SF_EESJ_SZ_SK_SL_SM_EUlSZ_E1_NS1_11comp_targetILNS1_3genE5ELNS1_11target_archE942ELNS1_3gpuE9ELNS1_3repE0EEENS1_36merge_oddeven_config_static_selectorELNS0_4arch9wavefront6targetE1EEEvSL_.has_indirect_call, 0
	.section	.AMDGPU.csdata,"",@progbits
; Kernel info:
; codeLenInByte = 0
; TotalNumSgprs: 6
; NumVgprs: 0
; NumAgprs: 0
; TotalNumVgprs: 0
; ScratchSize: 0
; MemoryBound: 0
; FloatMode: 240
; IeeeMode: 1
; LDSByteSize: 0 bytes/workgroup (compile time only)
; SGPRBlocks: 0
; VGPRBlocks: 0
; NumSGPRsForWavesPerEU: 6
; NumVGPRsForWavesPerEU: 1
; AccumOffset: 4
; Occupancy: 8
; WaveLimiterHint : 0
; COMPUTE_PGM_RSRC2:SCRATCH_EN: 0
; COMPUTE_PGM_RSRC2:USER_SGPR: 2
; COMPUTE_PGM_RSRC2:TRAP_HANDLER: 0
; COMPUTE_PGM_RSRC2:TGID_X_EN: 1
; COMPUTE_PGM_RSRC2:TGID_Y_EN: 0
; COMPUTE_PGM_RSRC2:TGID_Z_EN: 0
; COMPUTE_PGM_RSRC2:TIDIG_COMP_CNT: 0
; COMPUTE_PGM_RSRC3_GFX90A:ACCUM_OFFSET: 0
; COMPUTE_PGM_RSRC3_GFX90A:TG_SPLIT: 0
	.section	.text._ZN7rocprim17ROCPRIM_400000_NS6detail17trampoline_kernelINS0_14default_configENS1_38merge_sort_block_merge_config_selectorIiNS0_10empty_typeEEEZZNS1_27merge_sort_block_merge_implIS3_N6thrust23THRUST_200600_302600_NS6detail15normal_iteratorINS9_10device_ptrIiEEEEPS5_jNS1_19radix_merge_compareILb1ELb1EiNS0_19identity_decomposerEEEEE10hipError_tT0_T1_T2_jT3_P12ihipStream_tbPNSt15iterator_traitsISK_E10value_typeEPNSQ_ISL_E10value_typeEPSM_NS1_7vsmem_tEENKUlT_SK_SL_SM_E_clISE_PiSF_SF_EESJ_SZ_SK_SL_SM_EUlSZ_E1_NS1_11comp_targetILNS1_3genE4ELNS1_11target_archE910ELNS1_3gpuE8ELNS1_3repE0EEENS1_36merge_oddeven_config_static_selectorELNS0_4arch9wavefront6targetE1EEEvSL_,"axG",@progbits,_ZN7rocprim17ROCPRIM_400000_NS6detail17trampoline_kernelINS0_14default_configENS1_38merge_sort_block_merge_config_selectorIiNS0_10empty_typeEEEZZNS1_27merge_sort_block_merge_implIS3_N6thrust23THRUST_200600_302600_NS6detail15normal_iteratorINS9_10device_ptrIiEEEEPS5_jNS1_19radix_merge_compareILb1ELb1EiNS0_19identity_decomposerEEEEE10hipError_tT0_T1_T2_jT3_P12ihipStream_tbPNSt15iterator_traitsISK_E10value_typeEPNSQ_ISL_E10value_typeEPSM_NS1_7vsmem_tEENKUlT_SK_SL_SM_E_clISE_PiSF_SF_EESJ_SZ_SK_SL_SM_EUlSZ_E1_NS1_11comp_targetILNS1_3genE4ELNS1_11target_archE910ELNS1_3gpuE8ELNS1_3repE0EEENS1_36merge_oddeven_config_static_selectorELNS0_4arch9wavefront6targetE1EEEvSL_,comdat
	.protected	_ZN7rocprim17ROCPRIM_400000_NS6detail17trampoline_kernelINS0_14default_configENS1_38merge_sort_block_merge_config_selectorIiNS0_10empty_typeEEEZZNS1_27merge_sort_block_merge_implIS3_N6thrust23THRUST_200600_302600_NS6detail15normal_iteratorINS9_10device_ptrIiEEEEPS5_jNS1_19radix_merge_compareILb1ELb1EiNS0_19identity_decomposerEEEEE10hipError_tT0_T1_T2_jT3_P12ihipStream_tbPNSt15iterator_traitsISK_E10value_typeEPNSQ_ISL_E10value_typeEPSM_NS1_7vsmem_tEENKUlT_SK_SL_SM_E_clISE_PiSF_SF_EESJ_SZ_SK_SL_SM_EUlSZ_E1_NS1_11comp_targetILNS1_3genE4ELNS1_11target_archE910ELNS1_3gpuE8ELNS1_3repE0EEENS1_36merge_oddeven_config_static_selectorELNS0_4arch9wavefront6targetE1EEEvSL_ ; -- Begin function _ZN7rocprim17ROCPRIM_400000_NS6detail17trampoline_kernelINS0_14default_configENS1_38merge_sort_block_merge_config_selectorIiNS0_10empty_typeEEEZZNS1_27merge_sort_block_merge_implIS3_N6thrust23THRUST_200600_302600_NS6detail15normal_iteratorINS9_10device_ptrIiEEEEPS5_jNS1_19radix_merge_compareILb1ELb1EiNS0_19identity_decomposerEEEEE10hipError_tT0_T1_T2_jT3_P12ihipStream_tbPNSt15iterator_traitsISK_E10value_typeEPNSQ_ISL_E10value_typeEPSM_NS1_7vsmem_tEENKUlT_SK_SL_SM_E_clISE_PiSF_SF_EESJ_SZ_SK_SL_SM_EUlSZ_E1_NS1_11comp_targetILNS1_3genE4ELNS1_11target_archE910ELNS1_3gpuE8ELNS1_3repE0EEENS1_36merge_oddeven_config_static_selectorELNS0_4arch9wavefront6targetE1EEEvSL_
	.globl	_ZN7rocprim17ROCPRIM_400000_NS6detail17trampoline_kernelINS0_14default_configENS1_38merge_sort_block_merge_config_selectorIiNS0_10empty_typeEEEZZNS1_27merge_sort_block_merge_implIS3_N6thrust23THRUST_200600_302600_NS6detail15normal_iteratorINS9_10device_ptrIiEEEEPS5_jNS1_19radix_merge_compareILb1ELb1EiNS0_19identity_decomposerEEEEE10hipError_tT0_T1_T2_jT3_P12ihipStream_tbPNSt15iterator_traitsISK_E10value_typeEPNSQ_ISL_E10value_typeEPSM_NS1_7vsmem_tEENKUlT_SK_SL_SM_E_clISE_PiSF_SF_EESJ_SZ_SK_SL_SM_EUlSZ_E1_NS1_11comp_targetILNS1_3genE4ELNS1_11target_archE910ELNS1_3gpuE8ELNS1_3repE0EEENS1_36merge_oddeven_config_static_selectorELNS0_4arch9wavefront6targetE1EEEvSL_
	.p2align	8
	.type	_ZN7rocprim17ROCPRIM_400000_NS6detail17trampoline_kernelINS0_14default_configENS1_38merge_sort_block_merge_config_selectorIiNS0_10empty_typeEEEZZNS1_27merge_sort_block_merge_implIS3_N6thrust23THRUST_200600_302600_NS6detail15normal_iteratorINS9_10device_ptrIiEEEEPS5_jNS1_19radix_merge_compareILb1ELb1EiNS0_19identity_decomposerEEEEE10hipError_tT0_T1_T2_jT3_P12ihipStream_tbPNSt15iterator_traitsISK_E10value_typeEPNSQ_ISL_E10value_typeEPSM_NS1_7vsmem_tEENKUlT_SK_SL_SM_E_clISE_PiSF_SF_EESJ_SZ_SK_SL_SM_EUlSZ_E1_NS1_11comp_targetILNS1_3genE4ELNS1_11target_archE910ELNS1_3gpuE8ELNS1_3repE0EEENS1_36merge_oddeven_config_static_selectorELNS0_4arch9wavefront6targetE1EEEvSL_,@function
_ZN7rocprim17ROCPRIM_400000_NS6detail17trampoline_kernelINS0_14default_configENS1_38merge_sort_block_merge_config_selectorIiNS0_10empty_typeEEEZZNS1_27merge_sort_block_merge_implIS3_N6thrust23THRUST_200600_302600_NS6detail15normal_iteratorINS9_10device_ptrIiEEEEPS5_jNS1_19radix_merge_compareILb1ELb1EiNS0_19identity_decomposerEEEEE10hipError_tT0_T1_T2_jT3_P12ihipStream_tbPNSt15iterator_traitsISK_E10value_typeEPNSQ_ISL_E10value_typeEPSM_NS1_7vsmem_tEENKUlT_SK_SL_SM_E_clISE_PiSF_SF_EESJ_SZ_SK_SL_SM_EUlSZ_E1_NS1_11comp_targetILNS1_3genE4ELNS1_11target_archE910ELNS1_3gpuE8ELNS1_3repE0EEENS1_36merge_oddeven_config_static_selectorELNS0_4arch9wavefront6targetE1EEEvSL_: ; @_ZN7rocprim17ROCPRIM_400000_NS6detail17trampoline_kernelINS0_14default_configENS1_38merge_sort_block_merge_config_selectorIiNS0_10empty_typeEEEZZNS1_27merge_sort_block_merge_implIS3_N6thrust23THRUST_200600_302600_NS6detail15normal_iteratorINS9_10device_ptrIiEEEEPS5_jNS1_19radix_merge_compareILb1ELb1EiNS0_19identity_decomposerEEEEE10hipError_tT0_T1_T2_jT3_P12ihipStream_tbPNSt15iterator_traitsISK_E10value_typeEPNSQ_ISL_E10value_typeEPSM_NS1_7vsmem_tEENKUlT_SK_SL_SM_E_clISE_PiSF_SF_EESJ_SZ_SK_SL_SM_EUlSZ_E1_NS1_11comp_targetILNS1_3genE4ELNS1_11target_archE910ELNS1_3gpuE8ELNS1_3repE0EEENS1_36merge_oddeven_config_static_selectorELNS0_4arch9wavefront6targetE1EEEvSL_
; %bb.0:
	.section	.rodata,"a",@progbits
	.p2align	6, 0x0
	.amdhsa_kernel _ZN7rocprim17ROCPRIM_400000_NS6detail17trampoline_kernelINS0_14default_configENS1_38merge_sort_block_merge_config_selectorIiNS0_10empty_typeEEEZZNS1_27merge_sort_block_merge_implIS3_N6thrust23THRUST_200600_302600_NS6detail15normal_iteratorINS9_10device_ptrIiEEEEPS5_jNS1_19radix_merge_compareILb1ELb1EiNS0_19identity_decomposerEEEEE10hipError_tT0_T1_T2_jT3_P12ihipStream_tbPNSt15iterator_traitsISK_E10value_typeEPNSQ_ISL_E10value_typeEPSM_NS1_7vsmem_tEENKUlT_SK_SL_SM_E_clISE_PiSF_SF_EESJ_SZ_SK_SL_SM_EUlSZ_E1_NS1_11comp_targetILNS1_3genE4ELNS1_11target_archE910ELNS1_3gpuE8ELNS1_3repE0EEENS1_36merge_oddeven_config_static_selectorELNS0_4arch9wavefront6targetE1EEEvSL_
		.amdhsa_group_segment_fixed_size 0
		.amdhsa_private_segment_fixed_size 0
		.amdhsa_kernarg_size 48
		.amdhsa_user_sgpr_count 2
		.amdhsa_user_sgpr_dispatch_ptr 0
		.amdhsa_user_sgpr_queue_ptr 0
		.amdhsa_user_sgpr_kernarg_segment_ptr 1
		.amdhsa_user_sgpr_dispatch_id 0
		.amdhsa_user_sgpr_kernarg_preload_length 0
		.amdhsa_user_sgpr_kernarg_preload_offset 0
		.amdhsa_user_sgpr_private_segment_size 0
		.amdhsa_uses_dynamic_stack 0
		.amdhsa_enable_private_segment 0
		.amdhsa_system_sgpr_workgroup_id_x 1
		.amdhsa_system_sgpr_workgroup_id_y 0
		.amdhsa_system_sgpr_workgroup_id_z 0
		.amdhsa_system_sgpr_workgroup_info 0
		.amdhsa_system_vgpr_workitem_id 0
		.amdhsa_next_free_vgpr 1
		.amdhsa_next_free_sgpr 0
		.amdhsa_accum_offset 4
		.amdhsa_reserve_vcc 0
		.amdhsa_float_round_mode_32 0
		.amdhsa_float_round_mode_16_64 0
		.amdhsa_float_denorm_mode_32 3
		.amdhsa_float_denorm_mode_16_64 3
		.amdhsa_dx10_clamp 1
		.amdhsa_ieee_mode 1
		.amdhsa_fp16_overflow 0
		.amdhsa_tg_split 0
		.amdhsa_exception_fp_ieee_invalid_op 0
		.amdhsa_exception_fp_denorm_src 0
		.amdhsa_exception_fp_ieee_div_zero 0
		.amdhsa_exception_fp_ieee_overflow 0
		.amdhsa_exception_fp_ieee_underflow 0
		.amdhsa_exception_fp_ieee_inexact 0
		.amdhsa_exception_int_div_zero 0
	.end_amdhsa_kernel
	.section	.text._ZN7rocprim17ROCPRIM_400000_NS6detail17trampoline_kernelINS0_14default_configENS1_38merge_sort_block_merge_config_selectorIiNS0_10empty_typeEEEZZNS1_27merge_sort_block_merge_implIS3_N6thrust23THRUST_200600_302600_NS6detail15normal_iteratorINS9_10device_ptrIiEEEEPS5_jNS1_19radix_merge_compareILb1ELb1EiNS0_19identity_decomposerEEEEE10hipError_tT0_T1_T2_jT3_P12ihipStream_tbPNSt15iterator_traitsISK_E10value_typeEPNSQ_ISL_E10value_typeEPSM_NS1_7vsmem_tEENKUlT_SK_SL_SM_E_clISE_PiSF_SF_EESJ_SZ_SK_SL_SM_EUlSZ_E1_NS1_11comp_targetILNS1_3genE4ELNS1_11target_archE910ELNS1_3gpuE8ELNS1_3repE0EEENS1_36merge_oddeven_config_static_selectorELNS0_4arch9wavefront6targetE1EEEvSL_,"axG",@progbits,_ZN7rocprim17ROCPRIM_400000_NS6detail17trampoline_kernelINS0_14default_configENS1_38merge_sort_block_merge_config_selectorIiNS0_10empty_typeEEEZZNS1_27merge_sort_block_merge_implIS3_N6thrust23THRUST_200600_302600_NS6detail15normal_iteratorINS9_10device_ptrIiEEEEPS5_jNS1_19radix_merge_compareILb1ELb1EiNS0_19identity_decomposerEEEEE10hipError_tT0_T1_T2_jT3_P12ihipStream_tbPNSt15iterator_traitsISK_E10value_typeEPNSQ_ISL_E10value_typeEPSM_NS1_7vsmem_tEENKUlT_SK_SL_SM_E_clISE_PiSF_SF_EESJ_SZ_SK_SL_SM_EUlSZ_E1_NS1_11comp_targetILNS1_3genE4ELNS1_11target_archE910ELNS1_3gpuE8ELNS1_3repE0EEENS1_36merge_oddeven_config_static_selectorELNS0_4arch9wavefront6targetE1EEEvSL_,comdat
.Lfunc_end313:
	.size	_ZN7rocprim17ROCPRIM_400000_NS6detail17trampoline_kernelINS0_14default_configENS1_38merge_sort_block_merge_config_selectorIiNS0_10empty_typeEEEZZNS1_27merge_sort_block_merge_implIS3_N6thrust23THRUST_200600_302600_NS6detail15normal_iteratorINS9_10device_ptrIiEEEEPS5_jNS1_19radix_merge_compareILb1ELb1EiNS0_19identity_decomposerEEEEE10hipError_tT0_T1_T2_jT3_P12ihipStream_tbPNSt15iterator_traitsISK_E10value_typeEPNSQ_ISL_E10value_typeEPSM_NS1_7vsmem_tEENKUlT_SK_SL_SM_E_clISE_PiSF_SF_EESJ_SZ_SK_SL_SM_EUlSZ_E1_NS1_11comp_targetILNS1_3genE4ELNS1_11target_archE910ELNS1_3gpuE8ELNS1_3repE0EEENS1_36merge_oddeven_config_static_selectorELNS0_4arch9wavefront6targetE1EEEvSL_, .Lfunc_end313-_ZN7rocprim17ROCPRIM_400000_NS6detail17trampoline_kernelINS0_14default_configENS1_38merge_sort_block_merge_config_selectorIiNS0_10empty_typeEEEZZNS1_27merge_sort_block_merge_implIS3_N6thrust23THRUST_200600_302600_NS6detail15normal_iteratorINS9_10device_ptrIiEEEEPS5_jNS1_19radix_merge_compareILb1ELb1EiNS0_19identity_decomposerEEEEE10hipError_tT0_T1_T2_jT3_P12ihipStream_tbPNSt15iterator_traitsISK_E10value_typeEPNSQ_ISL_E10value_typeEPSM_NS1_7vsmem_tEENKUlT_SK_SL_SM_E_clISE_PiSF_SF_EESJ_SZ_SK_SL_SM_EUlSZ_E1_NS1_11comp_targetILNS1_3genE4ELNS1_11target_archE910ELNS1_3gpuE8ELNS1_3repE0EEENS1_36merge_oddeven_config_static_selectorELNS0_4arch9wavefront6targetE1EEEvSL_
                                        ; -- End function
	.set _ZN7rocprim17ROCPRIM_400000_NS6detail17trampoline_kernelINS0_14default_configENS1_38merge_sort_block_merge_config_selectorIiNS0_10empty_typeEEEZZNS1_27merge_sort_block_merge_implIS3_N6thrust23THRUST_200600_302600_NS6detail15normal_iteratorINS9_10device_ptrIiEEEEPS5_jNS1_19radix_merge_compareILb1ELb1EiNS0_19identity_decomposerEEEEE10hipError_tT0_T1_T2_jT3_P12ihipStream_tbPNSt15iterator_traitsISK_E10value_typeEPNSQ_ISL_E10value_typeEPSM_NS1_7vsmem_tEENKUlT_SK_SL_SM_E_clISE_PiSF_SF_EESJ_SZ_SK_SL_SM_EUlSZ_E1_NS1_11comp_targetILNS1_3genE4ELNS1_11target_archE910ELNS1_3gpuE8ELNS1_3repE0EEENS1_36merge_oddeven_config_static_selectorELNS0_4arch9wavefront6targetE1EEEvSL_.num_vgpr, 0
	.set _ZN7rocprim17ROCPRIM_400000_NS6detail17trampoline_kernelINS0_14default_configENS1_38merge_sort_block_merge_config_selectorIiNS0_10empty_typeEEEZZNS1_27merge_sort_block_merge_implIS3_N6thrust23THRUST_200600_302600_NS6detail15normal_iteratorINS9_10device_ptrIiEEEEPS5_jNS1_19radix_merge_compareILb1ELb1EiNS0_19identity_decomposerEEEEE10hipError_tT0_T1_T2_jT3_P12ihipStream_tbPNSt15iterator_traitsISK_E10value_typeEPNSQ_ISL_E10value_typeEPSM_NS1_7vsmem_tEENKUlT_SK_SL_SM_E_clISE_PiSF_SF_EESJ_SZ_SK_SL_SM_EUlSZ_E1_NS1_11comp_targetILNS1_3genE4ELNS1_11target_archE910ELNS1_3gpuE8ELNS1_3repE0EEENS1_36merge_oddeven_config_static_selectorELNS0_4arch9wavefront6targetE1EEEvSL_.num_agpr, 0
	.set _ZN7rocprim17ROCPRIM_400000_NS6detail17trampoline_kernelINS0_14default_configENS1_38merge_sort_block_merge_config_selectorIiNS0_10empty_typeEEEZZNS1_27merge_sort_block_merge_implIS3_N6thrust23THRUST_200600_302600_NS6detail15normal_iteratorINS9_10device_ptrIiEEEEPS5_jNS1_19radix_merge_compareILb1ELb1EiNS0_19identity_decomposerEEEEE10hipError_tT0_T1_T2_jT3_P12ihipStream_tbPNSt15iterator_traitsISK_E10value_typeEPNSQ_ISL_E10value_typeEPSM_NS1_7vsmem_tEENKUlT_SK_SL_SM_E_clISE_PiSF_SF_EESJ_SZ_SK_SL_SM_EUlSZ_E1_NS1_11comp_targetILNS1_3genE4ELNS1_11target_archE910ELNS1_3gpuE8ELNS1_3repE0EEENS1_36merge_oddeven_config_static_selectorELNS0_4arch9wavefront6targetE1EEEvSL_.numbered_sgpr, 0
	.set _ZN7rocprim17ROCPRIM_400000_NS6detail17trampoline_kernelINS0_14default_configENS1_38merge_sort_block_merge_config_selectorIiNS0_10empty_typeEEEZZNS1_27merge_sort_block_merge_implIS3_N6thrust23THRUST_200600_302600_NS6detail15normal_iteratorINS9_10device_ptrIiEEEEPS5_jNS1_19radix_merge_compareILb1ELb1EiNS0_19identity_decomposerEEEEE10hipError_tT0_T1_T2_jT3_P12ihipStream_tbPNSt15iterator_traitsISK_E10value_typeEPNSQ_ISL_E10value_typeEPSM_NS1_7vsmem_tEENKUlT_SK_SL_SM_E_clISE_PiSF_SF_EESJ_SZ_SK_SL_SM_EUlSZ_E1_NS1_11comp_targetILNS1_3genE4ELNS1_11target_archE910ELNS1_3gpuE8ELNS1_3repE0EEENS1_36merge_oddeven_config_static_selectorELNS0_4arch9wavefront6targetE1EEEvSL_.num_named_barrier, 0
	.set _ZN7rocprim17ROCPRIM_400000_NS6detail17trampoline_kernelINS0_14default_configENS1_38merge_sort_block_merge_config_selectorIiNS0_10empty_typeEEEZZNS1_27merge_sort_block_merge_implIS3_N6thrust23THRUST_200600_302600_NS6detail15normal_iteratorINS9_10device_ptrIiEEEEPS5_jNS1_19radix_merge_compareILb1ELb1EiNS0_19identity_decomposerEEEEE10hipError_tT0_T1_T2_jT3_P12ihipStream_tbPNSt15iterator_traitsISK_E10value_typeEPNSQ_ISL_E10value_typeEPSM_NS1_7vsmem_tEENKUlT_SK_SL_SM_E_clISE_PiSF_SF_EESJ_SZ_SK_SL_SM_EUlSZ_E1_NS1_11comp_targetILNS1_3genE4ELNS1_11target_archE910ELNS1_3gpuE8ELNS1_3repE0EEENS1_36merge_oddeven_config_static_selectorELNS0_4arch9wavefront6targetE1EEEvSL_.private_seg_size, 0
	.set _ZN7rocprim17ROCPRIM_400000_NS6detail17trampoline_kernelINS0_14default_configENS1_38merge_sort_block_merge_config_selectorIiNS0_10empty_typeEEEZZNS1_27merge_sort_block_merge_implIS3_N6thrust23THRUST_200600_302600_NS6detail15normal_iteratorINS9_10device_ptrIiEEEEPS5_jNS1_19radix_merge_compareILb1ELb1EiNS0_19identity_decomposerEEEEE10hipError_tT0_T1_T2_jT3_P12ihipStream_tbPNSt15iterator_traitsISK_E10value_typeEPNSQ_ISL_E10value_typeEPSM_NS1_7vsmem_tEENKUlT_SK_SL_SM_E_clISE_PiSF_SF_EESJ_SZ_SK_SL_SM_EUlSZ_E1_NS1_11comp_targetILNS1_3genE4ELNS1_11target_archE910ELNS1_3gpuE8ELNS1_3repE0EEENS1_36merge_oddeven_config_static_selectorELNS0_4arch9wavefront6targetE1EEEvSL_.uses_vcc, 0
	.set _ZN7rocprim17ROCPRIM_400000_NS6detail17trampoline_kernelINS0_14default_configENS1_38merge_sort_block_merge_config_selectorIiNS0_10empty_typeEEEZZNS1_27merge_sort_block_merge_implIS3_N6thrust23THRUST_200600_302600_NS6detail15normal_iteratorINS9_10device_ptrIiEEEEPS5_jNS1_19radix_merge_compareILb1ELb1EiNS0_19identity_decomposerEEEEE10hipError_tT0_T1_T2_jT3_P12ihipStream_tbPNSt15iterator_traitsISK_E10value_typeEPNSQ_ISL_E10value_typeEPSM_NS1_7vsmem_tEENKUlT_SK_SL_SM_E_clISE_PiSF_SF_EESJ_SZ_SK_SL_SM_EUlSZ_E1_NS1_11comp_targetILNS1_3genE4ELNS1_11target_archE910ELNS1_3gpuE8ELNS1_3repE0EEENS1_36merge_oddeven_config_static_selectorELNS0_4arch9wavefront6targetE1EEEvSL_.uses_flat_scratch, 0
	.set _ZN7rocprim17ROCPRIM_400000_NS6detail17trampoline_kernelINS0_14default_configENS1_38merge_sort_block_merge_config_selectorIiNS0_10empty_typeEEEZZNS1_27merge_sort_block_merge_implIS3_N6thrust23THRUST_200600_302600_NS6detail15normal_iteratorINS9_10device_ptrIiEEEEPS5_jNS1_19radix_merge_compareILb1ELb1EiNS0_19identity_decomposerEEEEE10hipError_tT0_T1_T2_jT3_P12ihipStream_tbPNSt15iterator_traitsISK_E10value_typeEPNSQ_ISL_E10value_typeEPSM_NS1_7vsmem_tEENKUlT_SK_SL_SM_E_clISE_PiSF_SF_EESJ_SZ_SK_SL_SM_EUlSZ_E1_NS1_11comp_targetILNS1_3genE4ELNS1_11target_archE910ELNS1_3gpuE8ELNS1_3repE0EEENS1_36merge_oddeven_config_static_selectorELNS0_4arch9wavefront6targetE1EEEvSL_.has_dyn_sized_stack, 0
	.set _ZN7rocprim17ROCPRIM_400000_NS6detail17trampoline_kernelINS0_14default_configENS1_38merge_sort_block_merge_config_selectorIiNS0_10empty_typeEEEZZNS1_27merge_sort_block_merge_implIS3_N6thrust23THRUST_200600_302600_NS6detail15normal_iteratorINS9_10device_ptrIiEEEEPS5_jNS1_19radix_merge_compareILb1ELb1EiNS0_19identity_decomposerEEEEE10hipError_tT0_T1_T2_jT3_P12ihipStream_tbPNSt15iterator_traitsISK_E10value_typeEPNSQ_ISL_E10value_typeEPSM_NS1_7vsmem_tEENKUlT_SK_SL_SM_E_clISE_PiSF_SF_EESJ_SZ_SK_SL_SM_EUlSZ_E1_NS1_11comp_targetILNS1_3genE4ELNS1_11target_archE910ELNS1_3gpuE8ELNS1_3repE0EEENS1_36merge_oddeven_config_static_selectorELNS0_4arch9wavefront6targetE1EEEvSL_.has_recursion, 0
	.set _ZN7rocprim17ROCPRIM_400000_NS6detail17trampoline_kernelINS0_14default_configENS1_38merge_sort_block_merge_config_selectorIiNS0_10empty_typeEEEZZNS1_27merge_sort_block_merge_implIS3_N6thrust23THRUST_200600_302600_NS6detail15normal_iteratorINS9_10device_ptrIiEEEEPS5_jNS1_19radix_merge_compareILb1ELb1EiNS0_19identity_decomposerEEEEE10hipError_tT0_T1_T2_jT3_P12ihipStream_tbPNSt15iterator_traitsISK_E10value_typeEPNSQ_ISL_E10value_typeEPSM_NS1_7vsmem_tEENKUlT_SK_SL_SM_E_clISE_PiSF_SF_EESJ_SZ_SK_SL_SM_EUlSZ_E1_NS1_11comp_targetILNS1_3genE4ELNS1_11target_archE910ELNS1_3gpuE8ELNS1_3repE0EEENS1_36merge_oddeven_config_static_selectorELNS0_4arch9wavefront6targetE1EEEvSL_.has_indirect_call, 0
	.section	.AMDGPU.csdata,"",@progbits
; Kernel info:
; codeLenInByte = 0
; TotalNumSgprs: 6
; NumVgprs: 0
; NumAgprs: 0
; TotalNumVgprs: 0
; ScratchSize: 0
; MemoryBound: 0
; FloatMode: 240
; IeeeMode: 1
; LDSByteSize: 0 bytes/workgroup (compile time only)
; SGPRBlocks: 0
; VGPRBlocks: 0
; NumSGPRsForWavesPerEU: 6
; NumVGPRsForWavesPerEU: 1
; AccumOffset: 4
; Occupancy: 8
; WaveLimiterHint : 0
; COMPUTE_PGM_RSRC2:SCRATCH_EN: 0
; COMPUTE_PGM_RSRC2:USER_SGPR: 2
; COMPUTE_PGM_RSRC2:TRAP_HANDLER: 0
; COMPUTE_PGM_RSRC2:TGID_X_EN: 1
; COMPUTE_PGM_RSRC2:TGID_Y_EN: 0
; COMPUTE_PGM_RSRC2:TGID_Z_EN: 0
; COMPUTE_PGM_RSRC2:TIDIG_COMP_CNT: 0
; COMPUTE_PGM_RSRC3_GFX90A:ACCUM_OFFSET: 0
; COMPUTE_PGM_RSRC3_GFX90A:TG_SPLIT: 0
	.section	.text._ZN7rocprim17ROCPRIM_400000_NS6detail17trampoline_kernelINS0_14default_configENS1_38merge_sort_block_merge_config_selectorIiNS0_10empty_typeEEEZZNS1_27merge_sort_block_merge_implIS3_N6thrust23THRUST_200600_302600_NS6detail15normal_iteratorINS9_10device_ptrIiEEEEPS5_jNS1_19radix_merge_compareILb1ELb1EiNS0_19identity_decomposerEEEEE10hipError_tT0_T1_T2_jT3_P12ihipStream_tbPNSt15iterator_traitsISK_E10value_typeEPNSQ_ISL_E10value_typeEPSM_NS1_7vsmem_tEENKUlT_SK_SL_SM_E_clISE_PiSF_SF_EESJ_SZ_SK_SL_SM_EUlSZ_E1_NS1_11comp_targetILNS1_3genE3ELNS1_11target_archE908ELNS1_3gpuE7ELNS1_3repE0EEENS1_36merge_oddeven_config_static_selectorELNS0_4arch9wavefront6targetE1EEEvSL_,"axG",@progbits,_ZN7rocprim17ROCPRIM_400000_NS6detail17trampoline_kernelINS0_14default_configENS1_38merge_sort_block_merge_config_selectorIiNS0_10empty_typeEEEZZNS1_27merge_sort_block_merge_implIS3_N6thrust23THRUST_200600_302600_NS6detail15normal_iteratorINS9_10device_ptrIiEEEEPS5_jNS1_19radix_merge_compareILb1ELb1EiNS0_19identity_decomposerEEEEE10hipError_tT0_T1_T2_jT3_P12ihipStream_tbPNSt15iterator_traitsISK_E10value_typeEPNSQ_ISL_E10value_typeEPSM_NS1_7vsmem_tEENKUlT_SK_SL_SM_E_clISE_PiSF_SF_EESJ_SZ_SK_SL_SM_EUlSZ_E1_NS1_11comp_targetILNS1_3genE3ELNS1_11target_archE908ELNS1_3gpuE7ELNS1_3repE0EEENS1_36merge_oddeven_config_static_selectorELNS0_4arch9wavefront6targetE1EEEvSL_,comdat
	.protected	_ZN7rocprim17ROCPRIM_400000_NS6detail17trampoline_kernelINS0_14default_configENS1_38merge_sort_block_merge_config_selectorIiNS0_10empty_typeEEEZZNS1_27merge_sort_block_merge_implIS3_N6thrust23THRUST_200600_302600_NS6detail15normal_iteratorINS9_10device_ptrIiEEEEPS5_jNS1_19radix_merge_compareILb1ELb1EiNS0_19identity_decomposerEEEEE10hipError_tT0_T1_T2_jT3_P12ihipStream_tbPNSt15iterator_traitsISK_E10value_typeEPNSQ_ISL_E10value_typeEPSM_NS1_7vsmem_tEENKUlT_SK_SL_SM_E_clISE_PiSF_SF_EESJ_SZ_SK_SL_SM_EUlSZ_E1_NS1_11comp_targetILNS1_3genE3ELNS1_11target_archE908ELNS1_3gpuE7ELNS1_3repE0EEENS1_36merge_oddeven_config_static_selectorELNS0_4arch9wavefront6targetE1EEEvSL_ ; -- Begin function _ZN7rocprim17ROCPRIM_400000_NS6detail17trampoline_kernelINS0_14default_configENS1_38merge_sort_block_merge_config_selectorIiNS0_10empty_typeEEEZZNS1_27merge_sort_block_merge_implIS3_N6thrust23THRUST_200600_302600_NS6detail15normal_iteratorINS9_10device_ptrIiEEEEPS5_jNS1_19radix_merge_compareILb1ELb1EiNS0_19identity_decomposerEEEEE10hipError_tT0_T1_T2_jT3_P12ihipStream_tbPNSt15iterator_traitsISK_E10value_typeEPNSQ_ISL_E10value_typeEPSM_NS1_7vsmem_tEENKUlT_SK_SL_SM_E_clISE_PiSF_SF_EESJ_SZ_SK_SL_SM_EUlSZ_E1_NS1_11comp_targetILNS1_3genE3ELNS1_11target_archE908ELNS1_3gpuE7ELNS1_3repE0EEENS1_36merge_oddeven_config_static_selectorELNS0_4arch9wavefront6targetE1EEEvSL_
	.globl	_ZN7rocprim17ROCPRIM_400000_NS6detail17trampoline_kernelINS0_14default_configENS1_38merge_sort_block_merge_config_selectorIiNS0_10empty_typeEEEZZNS1_27merge_sort_block_merge_implIS3_N6thrust23THRUST_200600_302600_NS6detail15normal_iteratorINS9_10device_ptrIiEEEEPS5_jNS1_19radix_merge_compareILb1ELb1EiNS0_19identity_decomposerEEEEE10hipError_tT0_T1_T2_jT3_P12ihipStream_tbPNSt15iterator_traitsISK_E10value_typeEPNSQ_ISL_E10value_typeEPSM_NS1_7vsmem_tEENKUlT_SK_SL_SM_E_clISE_PiSF_SF_EESJ_SZ_SK_SL_SM_EUlSZ_E1_NS1_11comp_targetILNS1_3genE3ELNS1_11target_archE908ELNS1_3gpuE7ELNS1_3repE0EEENS1_36merge_oddeven_config_static_selectorELNS0_4arch9wavefront6targetE1EEEvSL_
	.p2align	8
	.type	_ZN7rocprim17ROCPRIM_400000_NS6detail17trampoline_kernelINS0_14default_configENS1_38merge_sort_block_merge_config_selectorIiNS0_10empty_typeEEEZZNS1_27merge_sort_block_merge_implIS3_N6thrust23THRUST_200600_302600_NS6detail15normal_iteratorINS9_10device_ptrIiEEEEPS5_jNS1_19radix_merge_compareILb1ELb1EiNS0_19identity_decomposerEEEEE10hipError_tT0_T1_T2_jT3_P12ihipStream_tbPNSt15iterator_traitsISK_E10value_typeEPNSQ_ISL_E10value_typeEPSM_NS1_7vsmem_tEENKUlT_SK_SL_SM_E_clISE_PiSF_SF_EESJ_SZ_SK_SL_SM_EUlSZ_E1_NS1_11comp_targetILNS1_3genE3ELNS1_11target_archE908ELNS1_3gpuE7ELNS1_3repE0EEENS1_36merge_oddeven_config_static_selectorELNS0_4arch9wavefront6targetE1EEEvSL_,@function
_ZN7rocprim17ROCPRIM_400000_NS6detail17trampoline_kernelINS0_14default_configENS1_38merge_sort_block_merge_config_selectorIiNS0_10empty_typeEEEZZNS1_27merge_sort_block_merge_implIS3_N6thrust23THRUST_200600_302600_NS6detail15normal_iteratorINS9_10device_ptrIiEEEEPS5_jNS1_19radix_merge_compareILb1ELb1EiNS0_19identity_decomposerEEEEE10hipError_tT0_T1_T2_jT3_P12ihipStream_tbPNSt15iterator_traitsISK_E10value_typeEPNSQ_ISL_E10value_typeEPSM_NS1_7vsmem_tEENKUlT_SK_SL_SM_E_clISE_PiSF_SF_EESJ_SZ_SK_SL_SM_EUlSZ_E1_NS1_11comp_targetILNS1_3genE3ELNS1_11target_archE908ELNS1_3gpuE7ELNS1_3repE0EEENS1_36merge_oddeven_config_static_selectorELNS0_4arch9wavefront6targetE1EEEvSL_: ; @_ZN7rocprim17ROCPRIM_400000_NS6detail17trampoline_kernelINS0_14default_configENS1_38merge_sort_block_merge_config_selectorIiNS0_10empty_typeEEEZZNS1_27merge_sort_block_merge_implIS3_N6thrust23THRUST_200600_302600_NS6detail15normal_iteratorINS9_10device_ptrIiEEEEPS5_jNS1_19radix_merge_compareILb1ELb1EiNS0_19identity_decomposerEEEEE10hipError_tT0_T1_T2_jT3_P12ihipStream_tbPNSt15iterator_traitsISK_E10value_typeEPNSQ_ISL_E10value_typeEPSM_NS1_7vsmem_tEENKUlT_SK_SL_SM_E_clISE_PiSF_SF_EESJ_SZ_SK_SL_SM_EUlSZ_E1_NS1_11comp_targetILNS1_3genE3ELNS1_11target_archE908ELNS1_3gpuE7ELNS1_3repE0EEENS1_36merge_oddeven_config_static_selectorELNS0_4arch9wavefront6targetE1EEEvSL_
; %bb.0:
	.section	.rodata,"a",@progbits
	.p2align	6, 0x0
	.amdhsa_kernel _ZN7rocprim17ROCPRIM_400000_NS6detail17trampoline_kernelINS0_14default_configENS1_38merge_sort_block_merge_config_selectorIiNS0_10empty_typeEEEZZNS1_27merge_sort_block_merge_implIS3_N6thrust23THRUST_200600_302600_NS6detail15normal_iteratorINS9_10device_ptrIiEEEEPS5_jNS1_19radix_merge_compareILb1ELb1EiNS0_19identity_decomposerEEEEE10hipError_tT0_T1_T2_jT3_P12ihipStream_tbPNSt15iterator_traitsISK_E10value_typeEPNSQ_ISL_E10value_typeEPSM_NS1_7vsmem_tEENKUlT_SK_SL_SM_E_clISE_PiSF_SF_EESJ_SZ_SK_SL_SM_EUlSZ_E1_NS1_11comp_targetILNS1_3genE3ELNS1_11target_archE908ELNS1_3gpuE7ELNS1_3repE0EEENS1_36merge_oddeven_config_static_selectorELNS0_4arch9wavefront6targetE1EEEvSL_
		.amdhsa_group_segment_fixed_size 0
		.amdhsa_private_segment_fixed_size 0
		.amdhsa_kernarg_size 48
		.amdhsa_user_sgpr_count 2
		.amdhsa_user_sgpr_dispatch_ptr 0
		.amdhsa_user_sgpr_queue_ptr 0
		.amdhsa_user_sgpr_kernarg_segment_ptr 1
		.amdhsa_user_sgpr_dispatch_id 0
		.amdhsa_user_sgpr_kernarg_preload_length 0
		.amdhsa_user_sgpr_kernarg_preload_offset 0
		.amdhsa_user_sgpr_private_segment_size 0
		.amdhsa_uses_dynamic_stack 0
		.amdhsa_enable_private_segment 0
		.amdhsa_system_sgpr_workgroup_id_x 1
		.amdhsa_system_sgpr_workgroup_id_y 0
		.amdhsa_system_sgpr_workgroup_id_z 0
		.amdhsa_system_sgpr_workgroup_info 0
		.amdhsa_system_vgpr_workitem_id 0
		.amdhsa_next_free_vgpr 1
		.amdhsa_next_free_sgpr 0
		.amdhsa_accum_offset 4
		.amdhsa_reserve_vcc 0
		.amdhsa_float_round_mode_32 0
		.amdhsa_float_round_mode_16_64 0
		.amdhsa_float_denorm_mode_32 3
		.amdhsa_float_denorm_mode_16_64 3
		.amdhsa_dx10_clamp 1
		.amdhsa_ieee_mode 1
		.amdhsa_fp16_overflow 0
		.amdhsa_tg_split 0
		.amdhsa_exception_fp_ieee_invalid_op 0
		.amdhsa_exception_fp_denorm_src 0
		.amdhsa_exception_fp_ieee_div_zero 0
		.amdhsa_exception_fp_ieee_overflow 0
		.amdhsa_exception_fp_ieee_underflow 0
		.amdhsa_exception_fp_ieee_inexact 0
		.amdhsa_exception_int_div_zero 0
	.end_amdhsa_kernel
	.section	.text._ZN7rocprim17ROCPRIM_400000_NS6detail17trampoline_kernelINS0_14default_configENS1_38merge_sort_block_merge_config_selectorIiNS0_10empty_typeEEEZZNS1_27merge_sort_block_merge_implIS3_N6thrust23THRUST_200600_302600_NS6detail15normal_iteratorINS9_10device_ptrIiEEEEPS5_jNS1_19radix_merge_compareILb1ELb1EiNS0_19identity_decomposerEEEEE10hipError_tT0_T1_T2_jT3_P12ihipStream_tbPNSt15iterator_traitsISK_E10value_typeEPNSQ_ISL_E10value_typeEPSM_NS1_7vsmem_tEENKUlT_SK_SL_SM_E_clISE_PiSF_SF_EESJ_SZ_SK_SL_SM_EUlSZ_E1_NS1_11comp_targetILNS1_3genE3ELNS1_11target_archE908ELNS1_3gpuE7ELNS1_3repE0EEENS1_36merge_oddeven_config_static_selectorELNS0_4arch9wavefront6targetE1EEEvSL_,"axG",@progbits,_ZN7rocprim17ROCPRIM_400000_NS6detail17trampoline_kernelINS0_14default_configENS1_38merge_sort_block_merge_config_selectorIiNS0_10empty_typeEEEZZNS1_27merge_sort_block_merge_implIS3_N6thrust23THRUST_200600_302600_NS6detail15normal_iteratorINS9_10device_ptrIiEEEEPS5_jNS1_19radix_merge_compareILb1ELb1EiNS0_19identity_decomposerEEEEE10hipError_tT0_T1_T2_jT3_P12ihipStream_tbPNSt15iterator_traitsISK_E10value_typeEPNSQ_ISL_E10value_typeEPSM_NS1_7vsmem_tEENKUlT_SK_SL_SM_E_clISE_PiSF_SF_EESJ_SZ_SK_SL_SM_EUlSZ_E1_NS1_11comp_targetILNS1_3genE3ELNS1_11target_archE908ELNS1_3gpuE7ELNS1_3repE0EEENS1_36merge_oddeven_config_static_selectorELNS0_4arch9wavefront6targetE1EEEvSL_,comdat
.Lfunc_end314:
	.size	_ZN7rocprim17ROCPRIM_400000_NS6detail17trampoline_kernelINS0_14default_configENS1_38merge_sort_block_merge_config_selectorIiNS0_10empty_typeEEEZZNS1_27merge_sort_block_merge_implIS3_N6thrust23THRUST_200600_302600_NS6detail15normal_iteratorINS9_10device_ptrIiEEEEPS5_jNS1_19radix_merge_compareILb1ELb1EiNS0_19identity_decomposerEEEEE10hipError_tT0_T1_T2_jT3_P12ihipStream_tbPNSt15iterator_traitsISK_E10value_typeEPNSQ_ISL_E10value_typeEPSM_NS1_7vsmem_tEENKUlT_SK_SL_SM_E_clISE_PiSF_SF_EESJ_SZ_SK_SL_SM_EUlSZ_E1_NS1_11comp_targetILNS1_3genE3ELNS1_11target_archE908ELNS1_3gpuE7ELNS1_3repE0EEENS1_36merge_oddeven_config_static_selectorELNS0_4arch9wavefront6targetE1EEEvSL_, .Lfunc_end314-_ZN7rocprim17ROCPRIM_400000_NS6detail17trampoline_kernelINS0_14default_configENS1_38merge_sort_block_merge_config_selectorIiNS0_10empty_typeEEEZZNS1_27merge_sort_block_merge_implIS3_N6thrust23THRUST_200600_302600_NS6detail15normal_iteratorINS9_10device_ptrIiEEEEPS5_jNS1_19radix_merge_compareILb1ELb1EiNS0_19identity_decomposerEEEEE10hipError_tT0_T1_T2_jT3_P12ihipStream_tbPNSt15iterator_traitsISK_E10value_typeEPNSQ_ISL_E10value_typeEPSM_NS1_7vsmem_tEENKUlT_SK_SL_SM_E_clISE_PiSF_SF_EESJ_SZ_SK_SL_SM_EUlSZ_E1_NS1_11comp_targetILNS1_3genE3ELNS1_11target_archE908ELNS1_3gpuE7ELNS1_3repE0EEENS1_36merge_oddeven_config_static_selectorELNS0_4arch9wavefront6targetE1EEEvSL_
                                        ; -- End function
	.set _ZN7rocprim17ROCPRIM_400000_NS6detail17trampoline_kernelINS0_14default_configENS1_38merge_sort_block_merge_config_selectorIiNS0_10empty_typeEEEZZNS1_27merge_sort_block_merge_implIS3_N6thrust23THRUST_200600_302600_NS6detail15normal_iteratorINS9_10device_ptrIiEEEEPS5_jNS1_19radix_merge_compareILb1ELb1EiNS0_19identity_decomposerEEEEE10hipError_tT0_T1_T2_jT3_P12ihipStream_tbPNSt15iterator_traitsISK_E10value_typeEPNSQ_ISL_E10value_typeEPSM_NS1_7vsmem_tEENKUlT_SK_SL_SM_E_clISE_PiSF_SF_EESJ_SZ_SK_SL_SM_EUlSZ_E1_NS1_11comp_targetILNS1_3genE3ELNS1_11target_archE908ELNS1_3gpuE7ELNS1_3repE0EEENS1_36merge_oddeven_config_static_selectorELNS0_4arch9wavefront6targetE1EEEvSL_.num_vgpr, 0
	.set _ZN7rocprim17ROCPRIM_400000_NS6detail17trampoline_kernelINS0_14default_configENS1_38merge_sort_block_merge_config_selectorIiNS0_10empty_typeEEEZZNS1_27merge_sort_block_merge_implIS3_N6thrust23THRUST_200600_302600_NS6detail15normal_iteratorINS9_10device_ptrIiEEEEPS5_jNS1_19radix_merge_compareILb1ELb1EiNS0_19identity_decomposerEEEEE10hipError_tT0_T1_T2_jT3_P12ihipStream_tbPNSt15iterator_traitsISK_E10value_typeEPNSQ_ISL_E10value_typeEPSM_NS1_7vsmem_tEENKUlT_SK_SL_SM_E_clISE_PiSF_SF_EESJ_SZ_SK_SL_SM_EUlSZ_E1_NS1_11comp_targetILNS1_3genE3ELNS1_11target_archE908ELNS1_3gpuE7ELNS1_3repE0EEENS1_36merge_oddeven_config_static_selectorELNS0_4arch9wavefront6targetE1EEEvSL_.num_agpr, 0
	.set _ZN7rocprim17ROCPRIM_400000_NS6detail17trampoline_kernelINS0_14default_configENS1_38merge_sort_block_merge_config_selectorIiNS0_10empty_typeEEEZZNS1_27merge_sort_block_merge_implIS3_N6thrust23THRUST_200600_302600_NS6detail15normal_iteratorINS9_10device_ptrIiEEEEPS5_jNS1_19radix_merge_compareILb1ELb1EiNS0_19identity_decomposerEEEEE10hipError_tT0_T1_T2_jT3_P12ihipStream_tbPNSt15iterator_traitsISK_E10value_typeEPNSQ_ISL_E10value_typeEPSM_NS1_7vsmem_tEENKUlT_SK_SL_SM_E_clISE_PiSF_SF_EESJ_SZ_SK_SL_SM_EUlSZ_E1_NS1_11comp_targetILNS1_3genE3ELNS1_11target_archE908ELNS1_3gpuE7ELNS1_3repE0EEENS1_36merge_oddeven_config_static_selectorELNS0_4arch9wavefront6targetE1EEEvSL_.numbered_sgpr, 0
	.set _ZN7rocprim17ROCPRIM_400000_NS6detail17trampoline_kernelINS0_14default_configENS1_38merge_sort_block_merge_config_selectorIiNS0_10empty_typeEEEZZNS1_27merge_sort_block_merge_implIS3_N6thrust23THRUST_200600_302600_NS6detail15normal_iteratorINS9_10device_ptrIiEEEEPS5_jNS1_19radix_merge_compareILb1ELb1EiNS0_19identity_decomposerEEEEE10hipError_tT0_T1_T2_jT3_P12ihipStream_tbPNSt15iterator_traitsISK_E10value_typeEPNSQ_ISL_E10value_typeEPSM_NS1_7vsmem_tEENKUlT_SK_SL_SM_E_clISE_PiSF_SF_EESJ_SZ_SK_SL_SM_EUlSZ_E1_NS1_11comp_targetILNS1_3genE3ELNS1_11target_archE908ELNS1_3gpuE7ELNS1_3repE0EEENS1_36merge_oddeven_config_static_selectorELNS0_4arch9wavefront6targetE1EEEvSL_.num_named_barrier, 0
	.set _ZN7rocprim17ROCPRIM_400000_NS6detail17trampoline_kernelINS0_14default_configENS1_38merge_sort_block_merge_config_selectorIiNS0_10empty_typeEEEZZNS1_27merge_sort_block_merge_implIS3_N6thrust23THRUST_200600_302600_NS6detail15normal_iteratorINS9_10device_ptrIiEEEEPS5_jNS1_19radix_merge_compareILb1ELb1EiNS0_19identity_decomposerEEEEE10hipError_tT0_T1_T2_jT3_P12ihipStream_tbPNSt15iterator_traitsISK_E10value_typeEPNSQ_ISL_E10value_typeEPSM_NS1_7vsmem_tEENKUlT_SK_SL_SM_E_clISE_PiSF_SF_EESJ_SZ_SK_SL_SM_EUlSZ_E1_NS1_11comp_targetILNS1_3genE3ELNS1_11target_archE908ELNS1_3gpuE7ELNS1_3repE0EEENS1_36merge_oddeven_config_static_selectorELNS0_4arch9wavefront6targetE1EEEvSL_.private_seg_size, 0
	.set _ZN7rocprim17ROCPRIM_400000_NS6detail17trampoline_kernelINS0_14default_configENS1_38merge_sort_block_merge_config_selectorIiNS0_10empty_typeEEEZZNS1_27merge_sort_block_merge_implIS3_N6thrust23THRUST_200600_302600_NS6detail15normal_iteratorINS9_10device_ptrIiEEEEPS5_jNS1_19radix_merge_compareILb1ELb1EiNS0_19identity_decomposerEEEEE10hipError_tT0_T1_T2_jT3_P12ihipStream_tbPNSt15iterator_traitsISK_E10value_typeEPNSQ_ISL_E10value_typeEPSM_NS1_7vsmem_tEENKUlT_SK_SL_SM_E_clISE_PiSF_SF_EESJ_SZ_SK_SL_SM_EUlSZ_E1_NS1_11comp_targetILNS1_3genE3ELNS1_11target_archE908ELNS1_3gpuE7ELNS1_3repE0EEENS1_36merge_oddeven_config_static_selectorELNS0_4arch9wavefront6targetE1EEEvSL_.uses_vcc, 0
	.set _ZN7rocprim17ROCPRIM_400000_NS6detail17trampoline_kernelINS0_14default_configENS1_38merge_sort_block_merge_config_selectorIiNS0_10empty_typeEEEZZNS1_27merge_sort_block_merge_implIS3_N6thrust23THRUST_200600_302600_NS6detail15normal_iteratorINS9_10device_ptrIiEEEEPS5_jNS1_19radix_merge_compareILb1ELb1EiNS0_19identity_decomposerEEEEE10hipError_tT0_T1_T2_jT3_P12ihipStream_tbPNSt15iterator_traitsISK_E10value_typeEPNSQ_ISL_E10value_typeEPSM_NS1_7vsmem_tEENKUlT_SK_SL_SM_E_clISE_PiSF_SF_EESJ_SZ_SK_SL_SM_EUlSZ_E1_NS1_11comp_targetILNS1_3genE3ELNS1_11target_archE908ELNS1_3gpuE7ELNS1_3repE0EEENS1_36merge_oddeven_config_static_selectorELNS0_4arch9wavefront6targetE1EEEvSL_.uses_flat_scratch, 0
	.set _ZN7rocprim17ROCPRIM_400000_NS6detail17trampoline_kernelINS0_14default_configENS1_38merge_sort_block_merge_config_selectorIiNS0_10empty_typeEEEZZNS1_27merge_sort_block_merge_implIS3_N6thrust23THRUST_200600_302600_NS6detail15normal_iteratorINS9_10device_ptrIiEEEEPS5_jNS1_19radix_merge_compareILb1ELb1EiNS0_19identity_decomposerEEEEE10hipError_tT0_T1_T2_jT3_P12ihipStream_tbPNSt15iterator_traitsISK_E10value_typeEPNSQ_ISL_E10value_typeEPSM_NS1_7vsmem_tEENKUlT_SK_SL_SM_E_clISE_PiSF_SF_EESJ_SZ_SK_SL_SM_EUlSZ_E1_NS1_11comp_targetILNS1_3genE3ELNS1_11target_archE908ELNS1_3gpuE7ELNS1_3repE0EEENS1_36merge_oddeven_config_static_selectorELNS0_4arch9wavefront6targetE1EEEvSL_.has_dyn_sized_stack, 0
	.set _ZN7rocprim17ROCPRIM_400000_NS6detail17trampoline_kernelINS0_14default_configENS1_38merge_sort_block_merge_config_selectorIiNS0_10empty_typeEEEZZNS1_27merge_sort_block_merge_implIS3_N6thrust23THRUST_200600_302600_NS6detail15normal_iteratorINS9_10device_ptrIiEEEEPS5_jNS1_19radix_merge_compareILb1ELb1EiNS0_19identity_decomposerEEEEE10hipError_tT0_T1_T2_jT3_P12ihipStream_tbPNSt15iterator_traitsISK_E10value_typeEPNSQ_ISL_E10value_typeEPSM_NS1_7vsmem_tEENKUlT_SK_SL_SM_E_clISE_PiSF_SF_EESJ_SZ_SK_SL_SM_EUlSZ_E1_NS1_11comp_targetILNS1_3genE3ELNS1_11target_archE908ELNS1_3gpuE7ELNS1_3repE0EEENS1_36merge_oddeven_config_static_selectorELNS0_4arch9wavefront6targetE1EEEvSL_.has_recursion, 0
	.set _ZN7rocprim17ROCPRIM_400000_NS6detail17trampoline_kernelINS0_14default_configENS1_38merge_sort_block_merge_config_selectorIiNS0_10empty_typeEEEZZNS1_27merge_sort_block_merge_implIS3_N6thrust23THRUST_200600_302600_NS6detail15normal_iteratorINS9_10device_ptrIiEEEEPS5_jNS1_19radix_merge_compareILb1ELb1EiNS0_19identity_decomposerEEEEE10hipError_tT0_T1_T2_jT3_P12ihipStream_tbPNSt15iterator_traitsISK_E10value_typeEPNSQ_ISL_E10value_typeEPSM_NS1_7vsmem_tEENKUlT_SK_SL_SM_E_clISE_PiSF_SF_EESJ_SZ_SK_SL_SM_EUlSZ_E1_NS1_11comp_targetILNS1_3genE3ELNS1_11target_archE908ELNS1_3gpuE7ELNS1_3repE0EEENS1_36merge_oddeven_config_static_selectorELNS0_4arch9wavefront6targetE1EEEvSL_.has_indirect_call, 0
	.section	.AMDGPU.csdata,"",@progbits
; Kernel info:
; codeLenInByte = 0
; TotalNumSgprs: 6
; NumVgprs: 0
; NumAgprs: 0
; TotalNumVgprs: 0
; ScratchSize: 0
; MemoryBound: 0
; FloatMode: 240
; IeeeMode: 1
; LDSByteSize: 0 bytes/workgroup (compile time only)
; SGPRBlocks: 0
; VGPRBlocks: 0
; NumSGPRsForWavesPerEU: 6
; NumVGPRsForWavesPerEU: 1
; AccumOffset: 4
; Occupancy: 8
; WaveLimiterHint : 0
; COMPUTE_PGM_RSRC2:SCRATCH_EN: 0
; COMPUTE_PGM_RSRC2:USER_SGPR: 2
; COMPUTE_PGM_RSRC2:TRAP_HANDLER: 0
; COMPUTE_PGM_RSRC2:TGID_X_EN: 1
; COMPUTE_PGM_RSRC2:TGID_Y_EN: 0
; COMPUTE_PGM_RSRC2:TGID_Z_EN: 0
; COMPUTE_PGM_RSRC2:TIDIG_COMP_CNT: 0
; COMPUTE_PGM_RSRC3_GFX90A:ACCUM_OFFSET: 0
; COMPUTE_PGM_RSRC3_GFX90A:TG_SPLIT: 0
	.section	.text._ZN7rocprim17ROCPRIM_400000_NS6detail17trampoline_kernelINS0_14default_configENS1_38merge_sort_block_merge_config_selectorIiNS0_10empty_typeEEEZZNS1_27merge_sort_block_merge_implIS3_N6thrust23THRUST_200600_302600_NS6detail15normal_iteratorINS9_10device_ptrIiEEEEPS5_jNS1_19radix_merge_compareILb1ELb1EiNS0_19identity_decomposerEEEEE10hipError_tT0_T1_T2_jT3_P12ihipStream_tbPNSt15iterator_traitsISK_E10value_typeEPNSQ_ISL_E10value_typeEPSM_NS1_7vsmem_tEENKUlT_SK_SL_SM_E_clISE_PiSF_SF_EESJ_SZ_SK_SL_SM_EUlSZ_E1_NS1_11comp_targetILNS1_3genE2ELNS1_11target_archE906ELNS1_3gpuE6ELNS1_3repE0EEENS1_36merge_oddeven_config_static_selectorELNS0_4arch9wavefront6targetE1EEEvSL_,"axG",@progbits,_ZN7rocprim17ROCPRIM_400000_NS6detail17trampoline_kernelINS0_14default_configENS1_38merge_sort_block_merge_config_selectorIiNS0_10empty_typeEEEZZNS1_27merge_sort_block_merge_implIS3_N6thrust23THRUST_200600_302600_NS6detail15normal_iteratorINS9_10device_ptrIiEEEEPS5_jNS1_19radix_merge_compareILb1ELb1EiNS0_19identity_decomposerEEEEE10hipError_tT0_T1_T2_jT3_P12ihipStream_tbPNSt15iterator_traitsISK_E10value_typeEPNSQ_ISL_E10value_typeEPSM_NS1_7vsmem_tEENKUlT_SK_SL_SM_E_clISE_PiSF_SF_EESJ_SZ_SK_SL_SM_EUlSZ_E1_NS1_11comp_targetILNS1_3genE2ELNS1_11target_archE906ELNS1_3gpuE6ELNS1_3repE0EEENS1_36merge_oddeven_config_static_selectorELNS0_4arch9wavefront6targetE1EEEvSL_,comdat
	.protected	_ZN7rocprim17ROCPRIM_400000_NS6detail17trampoline_kernelINS0_14default_configENS1_38merge_sort_block_merge_config_selectorIiNS0_10empty_typeEEEZZNS1_27merge_sort_block_merge_implIS3_N6thrust23THRUST_200600_302600_NS6detail15normal_iteratorINS9_10device_ptrIiEEEEPS5_jNS1_19radix_merge_compareILb1ELb1EiNS0_19identity_decomposerEEEEE10hipError_tT0_T1_T2_jT3_P12ihipStream_tbPNSt15iterator_traitsISK_E10value_typeEPNSQ_ISL_E10value_typeEPSM_NS1_7vsmem_tEENKUlT_SK_SL_SM_E_clISE_PiSF_SF_EESJ_SZ_SK_SL_SM_EUlSZ_E1_NS1_11comp_targetILNS1_3genE2ELNS1_11target_archE906ELNS1_3gpuE6ELNS1_3repE0EEENS1_36merge_oddeven_config_static_selectorELNS0_4arch9wavefront6targetE1EEEvSL_ ; -- Begin function _ZN7rocprim17ROCPRIM_400000_NS6detail17trampoline_kernelINS0_14default_configENS1_38merge_sort_block_merge_config_selectorIiNS0_10empty_typeEEEZZNS1_27merge_sort_block_merge_implIS3_N6thrust23THRUST_200600_302600_NS6detail15normal_iteratorINS9_10device_ptrIiEEEEPS5_jNS1_19radix_merge_compareILb1ELb1EiNS0_19identity_decomposerEEEEE10hipError_tT0_T1_T2_jT3_P12ihipStream_tbPNSt15iterator_traitsISK_E10value_typeEPNSQ_ISL_E10value_typeEPSM_NS1_7vsmem_tEENKUlT_SK_SL_SM_E_clISE_PiSF_SF_EESJ_SZ_SK_SL_SM_EUlSZ_E1_NS1_11comp_targetILNS1_3genE2ELNS1_11target_archE906ELNS1_3gpuE6ELNS1_3repE0EEENS1_36merge_oddeven_config_static_selectorELNS0_4arch9wavefront6targetE1EEEvSL_
	.globl	_ZN7rocprim17ROCPRIM_400000_NS6detail17trampoline_kernelINS0_14default_configENS1_38merge_sort_block_merge_config_selectorIiNS0_10empty_typeEEEZZNS1_27merge_sort_block_merge_implIS3_N6thrust23THRUST_200600_302600_NS6detail15normal_iteratorINS9_10device_ptrIiEEEEPS5_jNS1_19radix_merge_compareILb1ELb1EiNS0_19identity_decomposerEEEEE10hipError_tT0_T1_T2_jT3_P12ihipStream_tbPNSt15iterator_traitsISK_E10value_typeEPNSQ_ISL_E10value_typeEPSM_NS1_7vsmem_tEENKUlT_SK_SL_SM_E_clISE_PiSF_SF_EESJ_SZ_SK_SL_SM_EUlSZ_E1_NS1_11comp_targetILNS1_3genE2ELNS1_11target_archE906ELNS1_3gpuE6ELNS1_3repE0EEENS1_36merge_oddeven_config_static_selectorELNS0_4arch9wavefront6targetE1EEEvSL_
	.p2align	8
	.type	_ZN7rocprim17ROCPRIM_400000_NS6detail17trampoline_kernelINS0_14default_configENS1_38merge_sort_block_merge_config_selectorIiNS0_10empty_typeEEEZZNS1_27merge_sort_block_merge_implIS3_N6thrust23THRUST_200600_302600_NS6detail15normal_iteratorINS9_10device_ptrIiEEEEPS5_jNS1_19radix_merge_compareILb1ELb1EiNS0_19identity_decomposerEEEEE10hipError_tT0_T1_T2_jT3_P12ihipStream_tbPNSt15iterator_traitsISK_E10value_typeEPNSQ_ISL_E10value_typeEPSM_NS1_7vsmem_tEENKUlT_SK_SL_SM_E_clISE_PiSF_SF_EESJ_SZ_SK_SL_SM_EUlSZ_E1_NS1_11comp_targetILNS1_3genE2ELNS1_11target_archE906ELNS1_3gpuE6ELNS1_3repE0EEENS1_36merge_oddeven_config_static_selectorELNS0_4arch9wavefront6targetE1EEEvSL_,@function
_ZN7rocprim17ROCPRIM_400000_NS6detail17trampoline_kernelINS0_14default_configENS1_38merge_sort_block_merge_config_selectorIiNS0_10empty_typeEEEZZNS1_27merge_sort_block_merge_implIS3_N6thrust23THRUST_200600_302600_NS6detail15normal_iteratorINS9_10device_ptrIiEEEEPS5_jNS1_19radix_merge_compareILb1ELb1EiNS0_19identity_decomposerEEEEE10hipError_tT0_T1_T2_jT3_P12ihipStream_tbPNSt15iterator_traitsISK_E10value_typeEPNSQ_ISL_E10value_typeEPSM_NS1_7vsmem_tEENKUlT_SK_SL_SM_E_clISE_PiSF_SF_EESJ_SZ_SK_SL_SM_EUlSZ_E1_NS1_11comp_targetILNS1_3genE2ELNS1_11target_archE906ELNS1_3gpuE6ELNS1_3repE0EEENS1_36merge_oddeven_config_static_selectorELNS0_4arch9wavefront6targetE1EEEvSL_: ; @_ZN7rocprim17ROCPRIM_400000_NS6detail17trampoline_kernelINS0_14default_configENS1_38merge_sort_block_merge_config_selectorIiNS0_10empty_typeEEEZZNS1_27merge_sort_block_merge_implIS3_N6thrust23THRUST_200600_302600_NS6detail15normal_iteratorINS9_10device_ptrIiEEEEPS5_jNS1_19radix_merge_compareILb1ELb1EiNS0_19identity_decomposerEEEEE10hipError_tT0_T1_T2_jT3_P12ihipStream_tbPNSt15iterator_traitsISK_E10value_typeEPNSQ_ISL_E10value_typeEPSM_NS1_7vsmem_tEENKUlT_SK_SL_SM_E_clISE_PiSF_SF_EESJ_SZ_SK_SL_SM_EUlSZ_E1_NS1_11comp_targetILNS1_3genE2ELNS1_11target_archE906ELNS1_3gpuE6ELNS1_3repE0EEENS1_36merge_oddeven_config_static_selectorELNS0_4arch9wavefront6targetE1EEEvSL_
; %bb.0:
	.section	.rodata,"a",@progbits
	.p2align	6, 0x0
	.amdhsa_kernel _ZN7rocprim17ROCPRIM_400000_NS6detail17trampoline_kernelINS0_14default_configENS1_38merge_sort_block_merge_config_selectorIiNS0_10empty_typeEEEZZNS1_27merge_sort_block_merge_implIS3_N6thrust23THRUST_200600_302600_NS6detail15normal_iteratorINS9_10device_ptrIiEEEEPS5_jNS1_19radix_merge_compareILb1ELb1EiNS0_19identity_decomposerEEEEE10hipError_tT0_T1_T2_jT3_P12ihipStream_tbPNSt15iterator_traitsISK_E10value_typeEPNSQ_ISL_E10value_typeEPSM_NS1_7vsmem_tEENKUlT_SK_SL_SM_E_clISE_PiSF_SF_EESJ_SZ_SK_SL_SM_EUlSZ_E1_NS1_11comp_targetILNS1_3genE2ELNS1_11target_archE906ELNS1_3gpuE6ELNS1_3repE0EEENS1_36merge_oddeven_config_static_selectorELNS0_4arch9wavefront6targetE1EEEvSL_
		.amdhsa_group_segment_fixed_size 0
		.amdhsa_private_segment_fixed_size 0
		.amdhsa_kernarg_size 48
		.amdhsa_user_sgpr_count 2
		.amdhsa_user_sgpr_dispatch_ptr 0
		.amdhsa_user_sgpr_queue_ptr 0
		.amdhsa_user_sgpr_kernarg_segment_ptr 1
		.amdhsa_user_sgpr_dispatch_id 0
		.amdhsa_user_sgpr_kernarg_preload_length 0
		.amdhsa_user_sgpr_kernarg_preload_offset 0
		.amdhsa_user_sgpr_private_segment_size 0
		.amdhsa_uses_dynamic_stack 0
		.amdhsa_enable_private_segment 0
		.amdhsa_system_sgpr_workgroup_id_x 1
		.amdhsa_system_sgpr_workgroup_id_y 0
		.amdhsa_system_sgpr_workgroup_id_z 0
		.amdhsa_system_sgpr_workgroup_info 0
		.amdhsa_system_vgpr_workitem_id 0
		.amdhsa_next_free_vgpr 1
		.amdhsa_next_free_sgpr 0
		.amdhsa_accum_offset 4
		.amdhsa_reserve_vcc 0
		.amdhsa_float_round_mode_32 0
		.amdhsa_float_round_mode_16_64 0
		.amdhsa_float_denorm_mode_32 3
		.amdhsa_float_denorm_mode_16_64 3
		.amdhsa_dx10_clamp 1
		.amdhsa_ieee_mode 1
		.amdhsa_fp16_overflow 0
		.amdhsa_tg_split 0
		.amdhsa_exception_fp_ieee_invalid_op 0
		.amdhsa_exception_fp_denorm_src 0
		.amdhsa_exception_fp_ieee_div_zero 0
		.amdhsa_exception_fp_ieee_overflow 0
		.amdhsa_exception_fp_ieee_underflow 0
		.amdhsa_exception_fp_ieee_inexact 0
		.amdhsa_exception_int_div_zero 0
	.end_amdhsa_kernel
	.section	.text._ZN7rocprim17ROCPRIM_400000_NS6detail17trampoline_kernelINS0_14default_configENS1_38merge_sort_block_merge_config_selectorIiNS0_10empty_typeEEEZZNS1_27merge_sort_block_merge_implIS3_N6thrust23THRUST_200600_302600_NS6detail15normal_iteratorINS9_10device_ptrIiEEEEPS5_jNS1_19radix_merge_compareILb1ELb1EiNS0_19identity_decomposerEEEEE10hipError_tT0_T1_T2_jT3_P12ihipStream_tbPNSt15iterator_traitsISK_E10value_typeEPNSQ_ISL_E10value_typeEPSM_NS1_7vsmem_tEENKUlT_SK_SL_SM_E_clISE_PiSF_SF_EESJ_SZ_SK_SL_SM_EUlSZ_E1_NS1_11comp_targetILNS1_3genE2ELNS1_11target_archE906ELNS1_3gpuE6ELNS1_3repE0EEENS1_36merge_oddeven_config_static_selectorELNS0_4arch9wavefront6targetE1EEEvSL_,"axG",@progbits,_ZN7rocprim17ROCPRIM_400000_NS6detail17trampoline_kernelINS0_14default_configENS1_38merge_sort_block_merge_config_selectorIiNS0_10empty_typeEEEZZNS1_27merge_sort_block_merge_implIS3_N6thrust23THRUST_200600_302600_NS6detail15normal_iteratorINS9_10device_ptrIiEEEEPS5_jNS1_19radix_merge_compareILb1ELb1EiNS0_19identity_decomposerEEEEE10hipError_tT0_T1_T2_jT3_P12ihipStream_tbPNSt15iterator_traitsISK_E10value_typeEPNSQ_ISL_E10value_typeEPSM_NS1_7vsmem_tEENKUlT_SK_SL_SM_E_clISE_PiSF_SF_EESJ_SZ_SK_SL_SM_EUlSZ_E1_NS1_11comp_targetILNS1_3genE2ELNS1_11target_archE906ELNS1_3gpuE6ELNS1_3repE0EEENS1_36merge_oddeven_config_static_selectorELNS0_4arch9wavefront6targetE1EEEvSL_,comdat
.Lfunc_end315:
	.size	_ZN7rocprim17ROCPRIM_400000_NS6detail17trampoline_kernelINS0_14default_configENS1_38merge_sort_block_merge_config_selectorIiNS0_10empty_typeEEEZZNS1_27merge_sort_block_merge_implIS3_N6thrust23THRUST_200600_302600_NS6detail15normal_iteratorINS9_10device_ptrIiEEEEPS5_jNS1_19radix_merge_compareILb1ELb1EiNS0_19identity_decomposerEEEEE10hipError_tT0_T1_T2_jT3_P12ihipStream_tbPNSt15iterator_traitsISK_E10value_typeEPNSQ_ISL_E10value_typeEPSM_NS1_7vsmem_tEENKUlT_SK_SL_SM_E_clISE_PiSF_SF_EESJ_SZ_SK_SL_SM_EUlSZ_E1_NS1_11comp_targetILNS1_3genE2ELNS1_11target_archE906ELNS1_3gpuE6ELNS1_3repE0EEENS1_36merge_oddeven_config_static_selectorELNS0_4arch9wavefront6targetE1EEEvSL_, .Lfunc_end315-_ZN7rocprim17ROCPRIM_400000_NS6detail17trampoline_kernelINS0_14default_configENS1_38merge_sort_block_merge_config_selectorIiNS0_10empty_typeEEEZZNS1_27merge_sort_block_merge_implIS3_N6thrust23THRUST_200600_302600_NS6detail15normal_iteratorINS9_10device_ptrIiEEEEPS5_jNS1_19radix_merge_compareILb1ELb1EiNS0_19identity_decomposerEEEEE10hipError_tT0_T1_T2_jT3_P12ihipStream_tbPNSt15iterator_traitsISK_E10value_typeEPNSQ_ISL_E10value_typeEPSM_NS1_7vsmem_tEENKUlT_SK_SL_SM_E_clISE_PiSF_SF_EESJ_SZ_SK_SL_SM_EUlSZ_E1_NS1_11comp_targetILNS1_3genE2ELNS1_11target_archE906ELNS1_3gpuE6ELNS1_3repE0EEENS1_36merge_oddeven_config_static_selectorELNS0_4arch9wavefront6targetE1EEEvSL_
                                        ; -- End function
	.set _ZN7rocprim17ROCPRIM_400000_NS6detail17trampoline_kernelINS0_14default_configENS1_38merge_sort_block_merge_config_selectorIiNS0_10empty_typeEEEZZNS1_27merge_sort_block_merge_implIS3_N6thrust23THRUST_200600_302600_NS6detail15normal_iteratorINS9_10device_ptrIiEEEEPS5_jNS1_19radix_merge_compareILb1ELb1EiNS0_19identity_decomposerEEEEE10hipError_tT0_T1_T2_jT3_P12ihipStream_tbPNSt15iterator_traitsISK_E10value_typeEPNSQ_ISL_E10value_typeEPSM_NS1_7vsmem_tEENKUlT_SK_SL_SM_E_clISE_PiSF_SF_EESJ_SZ_SK_SL_SM_EUlSZ_E1_NS1_11comp_targetILNS1_3genE2ELNS1_11target_archE906ELNS1_3gpuE6ELNS1_3repE0EEENS1_36merge_oddeven_config_static_selectorELNS0_4arch9wavefront6targetE1EEEvSL_.num_vgpr, 0
	.set _ZN7rocprim17ROCPRIM_400000_NS6detail17trampoline_kernelINS0_14default_configENS1_38merge_sort_block_merge_config_selectorIiNS0_10empty_typeEEEZZNS1_27merge_sort_block_merge_implIS3_N6thrust23THRUST_200600_302600_NS6detail15normal_iteratorINS9_10device_ptrIiEEEEPS5_jNS1_19radix_merge_compareILb1ELb1EiNS0_19identity_decomposerEEEEE10hipError_tT0_T1_T2_jT3_P12ihipStream_tbPNSt15iterator_traitsISK_E10value_typeEPNSQ_ISL_E10value_typeEPSM_NS1_7vsmem_tEENKUlT_SK_SL_SM_E_clISE_PiSF_SF_EESJ_SZ_SK_SL_SM_EUlSZ_E1_NS1_11comp_targetILNS1_3genE2ELNS1_11target_archE906ELNS1_3gpuE6ELNS1_3repE0EEENS1_36merge_oddeven_config_static_selectorELNS0_4arch9wavefront6targetE1EEEvSL_.num_agpr, 0
	.set _ZN7rocprim17ROCPRIM_400000_NS6detail17trampoline_kernelINS0_14default_configENS1_38merge_sort_block_merge_config_selectorIiNS0_10empty_typeEEEZZNS1_27merge_sort_block_merge_implIS3_N6thrust23THRUST_200600_302600_NS6detail15normal_iteratorINS9_10device_ptrIiEEEEPS5_jNS1_19radix_merge_compareILb1ELb1EiNS0_19identity_decomposerEEEEE10hipError_tT0_T1_T2_jT3_P12ihipStream_tbPNSt15iterator_traitsISK_E10value_typeEPNSQ_ISL_E10value_typeEPSM_NS1_7vsmem_tEENKUlT_SK_SL_SM_E_clISE_PiSF_SF_EESJ_SZ_SK_SL_SM_EUlSZ_E1_NS1_11comp_targetILNS1_3genE2ELNS1_11target_archE906ELNS1_3gpuE6ELNS1_3repE0EEENS1_36merge_oddeven_config_static_selectorELNS0_4arch9wavefront6targetE1EEEvSL_.numbered_sgpr, 0
	.set _ZN7rocprim17ROCPRIM_400000_NS6detail17trampoline_kernelINS0_14default_configENS1_38merge_sort_block_merge_config_selectorIiNS0_10empty_typeEEEZZNS1_27merge_sort_block_merge_implIS3_N6thrust23THRUST_200600_302600_NS6detail15normal_iteratorINS9_10device_ptrIiEEEEPS5_jNS1_19radix_merge_compareILb1ELb1EiNS0_19identity_decomposerEEEEE10hipError_tT0_T1_T2_jT3_P12ihipStream_tbPNSt15iterator_traitsISK_E10value_typeEPNSQ_ISL_E10value_typeEPSM_NS1_7vsmem_tEENKUlT_SK_SL_SM_E_clISE_PiSF_SF_EESJ_SZ_SK_SL_SM_EUlSZ_E1_NS1_11comp_targetILNS1_3genE2ELNS1_11target_archE906ELNS1_3gpuE6ELNS1_3repE0EEENS1_36merge_oddeven_config_static_selectorELNS0_4arch9wavefront6targetE1EEEvSL_.num_named_barrier, 0
	.set _ZN7rocprim17ROCPRIM_400000_NS6detail17trampoline_kernelINS0_14default_configENS1_38merge_sort_block_merge_config_selectorIiNS0_10empty_typeEEEZZNS1_27merge_sort_block_merge_implIS3_N6thrust23THRUST_200600_302600_NS6detail15normal_iteratorINS9_10device_ptrIiEEEEPS5_jNS1_19radix_merge_compareILb1ELb1EiNS0_19identity_decomposerEEEEE10hipError_tT0_T1_T2_jT3_P12ihipStream_tbPNSt15iterator_traitsISK_E10value_typeEPNSQ_ISL_E10value_typeEPSM_NS1_7vsmem_tEENKUlT_SK_SL_SM_E_clISE_PiSF_SF_EESJ_SZ_SK_SL_SM_EUlSZ_E1_NS1_11comp_targetILNS1_3genE2ELNS1_11target_archE906ELNS1_3gpuE6ELNS1_3repE0EEENS1_36merge_oddeven_config_static_selectorELNS0_4arch9wavefront6targetE1EEEvSL_.private_seg_size, 0
	.set _ZN7rocprim17ROCPRIM_400000_NS6detail17trampoline_kernelINS0_14default_configENS1_38merge_sort_block_merge_config_selectorIiNS0_10empty_typeEEEZZNS1_27merge_sort_block_merge_implIS3_N6thrust23THRUST_200600_302600_NS6detail15normal_iteratorINS9_10device_ptrIiEEEEPS5_jNS1_19radix_merge_compareILb1ELb1EiNS0_19identity_decomposerEEEEE10hipError_tT0_T1_T2_jT3_P12ihipStream_tbPNSt15iterator_traitsISK_E10value_typeEPNSQ_ISL_E10value_typeEPSM_NS1_7vsmem_tEENKUlT_SK_SL_SM_E_clISE_PiSF_SF_EESJ_SZ_SK_SL_SM_EUlSZ_E1_NS1_11comp_targetILNS1_3genE2ELNS1_11target_archE906ELNS1_3gpuE6ELNS1_3repE0EEENS1_36merge_oddeven_config_static_selectorELNS0_4arch9wavefront6targetE1EEEvSL_.uses_vcc, 0
	.set _ZN7rocprim17ROCPRIM_400000_NS6detail17trampoline_kernelINS0_14default_configENS1_38merge_sort_block_merge_config_selectorIiNS0_10empty_typeEEEZZNS1_27merge_sort_block_merge_implIS3_N6thrust23THRUST_200600_302600_NS6detail15normal_iteratorINS9_10device_ptrIiEEEEPS5_jNS1_19radix_merge_compareILb1ELb1EiNS0_19identity_decomposerEEEEE10hipError_tT0_T1_T2_jT3_P12ihipStream_tbPNSt15iterator_traitsISK_E10value_typeEPNSQ_ISL_E10value_typeEPSM_NS1_7vsmem_tEENKUlT_SK_SL_SM_E_clISE_PiSF_SF_EESJ_SZ_SK_SL_SM_EUlSZ_E1_NS1_11comp_targetILNS1_3genE2ELNS1_11target_archE906ELNS1_3gpuE6ELNS1_3repE0EEENS1_36merge_oddeven_config_static_selectorELNS0_4arch9wavefront6targetE1EEEvSL_.uses_flat_scratch, 0
	.set _ZN7rocprim17ROCPRIM_400000_NS6detail17trampoline_kernelINS0_14default_configENS1_38merge_sort_block_merge_config_selectorIiNS0_10empty_typeEEEZZNS1_27merge_sort_block_merge_implIS3_N6thrust23THRUST_200600_302600_NS6detail15normal_iteratorINS9_10device_ptrIiEEEEPS5_jNS1_19radix_merge_compareILb1ELb1EiNS0_19identity_decomposerEEEEE10hipError_tT0_T1_T2_jT3_P12ihipStream_tbPNSt15iterator_traitsISK_E10value_typeEPNSQ_ISL_E10value_typeEPSM_NS1_7vsmem_tEENKUlT_SK_SL_SM_E_clISE_PiSF_SF_EESJ_SZ_SK_SL_SM_EUlSZ_E1_NS1_11comp_targetILNS1_3genE2ELNS1_11target_archE906ELNS1_3gpuE6ELNS1_3repE0EEENS1_36merge_oddeven_config_static_selectorELNS0_4arch9wavefront6targetE1EEEvSL_.has_dyn_sized_stack, 0
	.set _ZN7rocprim17ROCPRIM_400000_NS6detail17trampoline_kernelINS0_14default_configENS1_38merge_sort_block_merge_config_selectorIiNS0_10empty_typeEEEZZNS1_27merge_sort_block_merge_implIS3_N6thrust23THRUST_200600_302600_NS6detail15normal_iteratorINS9_10device_ptrIiEEEEPS5_jNS1_19radix_merge_compareILb1ELb1EiNS0_19identity_decomposerEEEEE10hipError_tT0_T1_T2_jT3_P12ihipStream_tbPNSt15iterator_traitsISK_E10value_typeEPNSQ_ISL_E10value_typeEPSM_NS1_7vsmem_tEENKUlT_SK_SL_SM_E_clISE_PiSF_SF_EESJ_SZ_SK_SL_SM_EUlSZ_E1_NS1_11comp_targetILNS1_3genE2ELNS1_11target_archE906ELNS1_3gpuE6ELNS1_3repE0EEENS1_36merge_oddeven_config_static_selectorELNS0_4arch9wavefront6targetE1EEEvSL_.has_recursion, 0
	.set _ZN7rocprim17ROCPRIM_400000_NS6detail17trampoline_kernelINS0_14default_configENS1_38merge_sort_block_merge_config_selectorIiNS0_10empty_typeEEEZZNS1_27merge_sort_block_merge_implIS3_N6thrust23THRUST_200600_302600_NS6detail15normal_iteratorINS9_10device_ptrIiEEEEPS5_jNS1_19radix_merge_compareILb1ELb1EiNS0_19identity_decomposerEEEEE10hipError_tT0_T1_T2_jT3_P12ihipStream_tbPNSt15iterator_traitsISK_E10value_typeEPNSQ_ISL_E10value_typeEPSM_NS1_7vsmem_tEENKUlT_SK_SL_SM_E_clISE_PiSF_SF_EESJ_SZ_SK_SL_SM_EUlSZ_E1_NS1_11comp_targetILNS1_3genE2ELNS1_11target_archE906ELNS1_3gpuE6ELNS1_3repE0EEENS1_36merge_oddeven_config_static_selectorELNS0_4arch9wavefront6targetE1EEEvSL_.has_indirect_call, 0
	.section	.AMDGPU.csdata,"",@progbits
; Kernel info:
; codeLenInByte = 0
; TotalNumSgprs: 6
; NumVgprs: 0
; NumAgprs: 0
; TotalNumVgprs: 0
; ScratchSize: 0
; MemoryBound: 0
; FloatMode: 240
; IeeeMode: 1
; LDSByteSize: 0 bytes/workgroup (compile time only)
; SGPRBlocks: 0
; VGPRBlocks: 0
; NumSGPRsForWavesPerEU: 6
; NumVGPRsForWavesPerEU: 1
; AccumOffset: 4
; Occupancy: 8
; WaveLimiterHint : 0
; COMPUTE_PGM_RSRC2:SCRATCH_EN: 0
; COMPUTE_PGM_RSRC2:USER_SGPR: 2
; COMPUTE_PGM_RSRC2:TRAP_HANDLER: 0
; COMPUTE_PGM_RSRC2:TGID_X_EN: 1
; COMPUTE_PGM_RSRC2:TGID_Y_EN: 0
; COMPUTE_PGM_RSRC2:TGID_Z_EN: 0
; COMPUTE_PGM_RSRC2:TIDIG_COMP_CNT: 0
; COMPUTE_PGM_RSRC3_GFX90A:ACCUM_OFFSET: 0
; COMPUTE_PGM_RSRC3_GFX90A:TG_SPLIT: 0
	.section	.text._ZN7rocprim17ROCPRIM_400000_NS6detail17trampoline_kernelINS0_14default_configENS1_38merge_sort_block_merge_config_selectorIiNS0_10empty_typeEEEZZNS1_27merge_sort_block_merge_implIS3_N6thrust23THRUST_200600_302600_NS6detail15normal_iteratorINS9_10device_ptrIiEEEEPS5_jNS1_19radix_merge_compareILb1ELb1EiNS0_19identity_decomposerEEEEE10hipError_tT0_T1_T2_jT3_P12ihipStream_tbPNSt15iterator_traitsISK_E10value_typeEPNSQ_ISL_E10value_typeEPSM_NS1_7vsmem_tEENKUlT_SK_SL_SM_E_clISE_PiSF_SF_EESJ_SZ_SK_SL_SM_EUlSZ_E1_NS1_11comp_targetILNS1_3genE9ELNS1_11target_archE1100ELNS1_3gpuE3ELNS1_3repE0EEENS1_36merge_oddeven_config_static_selectorELNS0_4arch9wavefront6targetE1EEEvSL_,"axG",@progbits,_ZN7rocprim17ROCPRIM_400000_NS6detail17trampoline_kernelINS0_14default_configENS1_38merge_sort_block_merge_config_selectorIiNS0_10empty_typeEEEZZNS1_27merge_sort_block_merge_implIS3_N6thrust23THRUST_200600_302600_NS6detail15normal_iteratorINS9_10device_ptrIiEEEEPS5_jNS1_19radix_merge_compareILb1ELb1EiNS0_19identity_decomposerEEEEE10hipError_tT0_T1_T2_jT3_P12ihipStream_tbPNSt15iterator_traitsISK_E10value_typeEPNSQ_ISL_E10value_typeEPSM_NS1_7vsmem_tEENKUlT_SK_SL_SM_E_clISE_PiSF_SF_EESJ_SZ_SK_SL_SM_EUlSZ_E1_NS1_11comp_targetILNS1_3genE9ELNS1_11target_archE1100ELNS1_3gpuE3ELNS1_3repE0EEENS1_36merge_oddeven_config_static_selectorELNS0_4arch9wavefront6targetE1EEEvSL_,comdat
	.protected	_ZN7rocprim17ROCPRIM_400000_NS6detail17trampoline_kernelINS0_14default_configENS1_38merge_sort_block_merge_config_selectorIiNS0_10empty_typeEEEZZNS1_27merge_sort_block_merge_implIS3_N6thrust23THRUST_200600_302600_NS6detail15normal_iteratorINS9_10device_ptrIiEEEEPS5_jNS1_19radix_merge_compareILb1ELb1EiNS0_19identity_decomposerEEEEE10hipError_tT0_T1_T2_jT3_P12ihipStream_tbPNSt15iterator_traitsISK_E10value_typeEPNSQ_ISL_E10value_typeEPSM_NS1_7vsmem_tEENKUlT_SK_SL_SM_E_clISE_PiSF_SF_EESJ_SZ_SK_SL_SM_EUlSZ_E1_NS1_11comp_targetILNS1_3genE9ELNS1_11target_archE1100ELNS1_3gpuE3ELNS1_3repE0EEENS1_36merge_oddeven_config_static_selectorELNS0_4arch9wavefront6targetE1EEEvSL_ ; -- Begin function _ZN7rocprim17ROCPRIM_400000_NS6detail17trampoline_kernelINS0_14default_configENS1_38merge_sort_block_merge_config_selectorIiNS0_10empty_typeEEEZZNS1_27merge_sort_block_merge_implIS3_N6thrust23THRUST_200600_302600_NS6detail15normal_iteratorINS9_10device_ptrIiEEEEPS5_jNS1_19radix_merge_compareILb1ELb1EiNS0_19identity_decomposerEEEEE10hipError_tT0_T1_T2_jT3_P12ihipStream_tbPNSt15iterator_traitsISK_E10value_typeEPNSQ_ISL_E10value_typeEPSM_NS1_7vsmem_tEENKUlT_SK_SL_SM_E_clISE_PiSF_SF_EESJ_SZ_SK_SL_SM_EUlSZ_E1_NS1_11comp_targetILNS1_3genE9ELNS1_11target_archE1100ELNS1_3gpuE3ELNS1_3repE0EEENS1_36merge_oddeven_config_static_selectorELNS0_4arch9wavefront6targetE1EEEvSL_
	.globl	_ZN7rocprim17ROCPRIM_400000_NS6detail17trampoline_kernelINS0_14default_configENS1_38merge_sort_block_merge_config_selectorIiNS0_10empty_typeEEEZZNS1_27merge_sort_block_merge_implIS3_N6thrust23THRUST_200600_302600_NS6detail15normal_iteratorINS9_10device_ptrIiEEEEPS5_jNS1_19radix_merge_compareILb1ELb1EiNS0_19identity_decomposerEEEEE10hipError_tT0_T1_T2_jT3_P12ihipStream_tbPNSt15iterator_traitsISK_E10value_typeEPNSQ_ISL_E10value_typeEPSM_NS1_7vsmem_tEENKUlT_SK_SL_SM_E_clISE_PiSF_SF_EESJ_SZ_SK_SL_SM_EUlSZ_E1_NS1_11comp_targetILNS1_3genE9ELNS1_11target_archE1100ELNS1_3gpuE3ELNS1_3repE0EEENS1_36merge_oddeven_config_static_selectorELNS0_4arch9wavefront6targetE1EEEvSL_
	.p2align	8
	.type	_ZN7rocprim17ROCPRIM_400000_NS6detail17trampoline_kernelINS0_14default_configENS1_38merge_sort_block_merge_config_selectorIiNS0_10empty_typeEEEZZNS1_27merge_sort_block_merge_implIS3_N6thrust23THRUST_200600_302600_NS6detail15normal_iteratorINS9_10device_ptrIiEEEEPS5_jNS1_19radix_merge_compareILb1ELb1EiNS0_19identity_decomposerEEEEE10hipError_tT0_T1_T2_jT3_P12ihipStream_tbPNSt15iterator_traitsISK_E10value_typeEPNSQ_ISL_E10value_typeEPSM_NS1_7vsmem_tEENKUlT_SK_SL_SM_E_clISE_PiSF_SF_EESJ_SZ_SK_SL_SM_EUlSZ_E1_NS1_11comp_targetILNS1_3genE9ELNS1_11target_archE1100ELNS1_3gpuE3ELNS1_3repE0EEENS1_36merge_oddeven_config_static_selectorELNS0_4arch9wavefront6targetE1EEEvSL_,@function
_ZN7rocprim17ROCPRIM_400000_NS6detail17trampoline_kernelINS0_14default_configENS1_38merge_sort_block_merge_config_selectorIiNS0_10empty_typeEEEZZNS1_27merge_sort_block_merge_implIS3_N6thrust23THRUST_200600_302600_NS6detail15normal_iteratorINS9_10device_ptrIiEEEEPS5_jNS1_19radix_merge_compareILb1ELb1EiNS0_19identity_decomposerEEEEE10hipError_tT0_T1_T2_jT3_P12ihipStream_tbPNSt15iterator_traitsISK_E10value_typeEPNSQ_ISL_E10value_typeEPSM_NS1_7vsmem_tEENKUlT_SK_SL_SM_E_clISE_PiSF_SF_EESJ_SZ_SK_SL_SM_EUlSZ_E1_NS1_11comp_targetILNS1_3genE9ELNS1_11target_archE1100ELNS1_3gpuE3ELNS1_3repE0EEENS1_36merge_oddeven_config_static_selectorELNS0_4arch9wavefront6targetE1EEEvSL_: ; @_ZN7rocprim17ROCPRIM_400000_NS6detail17trampoline_kernelINS0_14default_configENS1_38merge_sort_block_merge_config_selectorIiNS0_10empty_typeEEEZZNS1_27merge_sort_block_merge_implIS3_N6thrust23THRUST_200600_302600_NS6detail15normal_iteratorINS9_10device_ptrIiEEEEPS5_jNS1_19radix_merge_compareILb1ELb1EiNS0_19identity_decomposerEEEEE10hipError_tT0_T1_T2_jT3_P12ihipStream_tbPNSt15iterator_traitsISK_E10value_typeEPNSQ_ISL_E10value_typeEPSM_NS1_7vsmem_tEENKUlT_SK_SL_SM_E_clISE_PiSF_SF_EESJ_SZ_SK_SL_SM_EUlSZ_E1_NS1_11comp_targetILNS1_3genE9ELNS1_11target_archE1100ELNS1_3gpuE3ELNS1_3repE0EEENS1_36merge_oddeven_config_static_selectorELNS0_4arch9wavefront6targetE1EEEvSL_
; %bb.0:
	.section	.rodata,"a",@progbits
	.p2align	6, 0x0
	.amdhsa_kernel _ZN7rocprim17ROCPRIM_400000_NS6detail17trampoline_kernelINS0_14default_configENS1_38merge_sort_block_merge_config_selectorIiNS0_10empty_typeEEEZZNS1_27merge_sort_block_merge_implIS3_N6thrust23THRUST_200600_302600_NS6detail15normal_iteratorINS9_10device_ptrIiEEEEPS5_jNS1_19radix_merge_compareILb1ELb1EiNS0_19identity_decomposerEEEEE10hipError_tT0_T1_T2_jT3_P12ihipStream_tbPNSt15iterator_traitsISK_E10value_typeEPNSQ_ISL_E10value_typeEPSM_NS1_7vsmem_tEENKUlT_SK_SL_SM_E_clISE_PiSF_SF_EESJ_SZ_SK_SL_SM_EUlSZ_E1_NS1_11comp_targetILNS1_3genE9ELNS1_11target_archE1100ELNS1_3gpuE3ELNS1_3repE0EEENS1_36merge_oddeven_config_static_selectorELNS0_4arch9wavefront6targetE1EEEvSL_
		.amdhsa_group_segment_fixed_size 0
		.amdhsa_private_segment_fixed_size 0
		.amdhsa_kernarg_size 48
		.amdhsa_user_sgpr_count 2
		.amdhsa_user_sgpr_dispatch_ptr 0
		.amdhsa_user_sgpr_queue_ptr 0
		.amdhsa_user_sgpr_kernarg_segment_ptr 1
		.amdhsa_user_sgpr_dispatch_id 0
		.amdhsa_user_sgpr_kernarg_preload_length 0
		.amdhsa_user_sgpr_kernarg_preload_offset 0
		.amdhsa_user_sgpr_private_segment_size 0
		.amdhsa_uses_dynamic_stack 0
		.amdhsa_enable_private_segment 0
		.amdhsa_system_sgpr_workgroup_id_x 1
		.amdhsa_system_sgpr_workgroup_id_y 0
		.amdhsa_system_sgpr_workgroup_id_z 0
		.amdhsa_system_sgpr_workgroup_info 0
		.amdhsa_system_vgpr_workitem_id 0
		.amdhsa_next_free_vgpr 1
		.amdhsa_next_free_sgpr 0
		.amdhsa_accum_offset 4
		.amdhsa_reserve_vcc 0
		.amdhsa_float_round_mode_32 0
		.amdhsa_float_round_mode_16_64 0
		.amdhsa_float_denorm_mode_32 3
		.amdhsa_float_denorm_mode_16_64 3
		.amdhsa_dx10_clamp 1
		.amdhsa_ieee_mode 1
		.amdhsa_fp16_overflow 0
		.amdhsa_tg_split 0
		.amdhsa_exception_fp_ieee_invalid_op 0
		.amdhsa_exception_fp_denorm_src 0
		.amdhsa_exception_fp_ieee_div_zero 0
		.amdhsa_exception_fp_ieee_overflow 0
		.amdhsa_exception_fp_ieee_underflow 0
		.amdhsa_exception_fp_ieee_inexact 0
		.amdhsa_exception_int_div_zero 0
	.end_amdhsa_kernel
	.section	.text._ZN7rocprim17ROCPRIM_400000_NS6detail17trampoline_kernelINS0_14default_configENS1_38merge_sort_block_merge_config_selectorIiNS0_10empty_typeEEEZZNS1_27merge_sort_block_merge_implIS3_N6thrust23THRUST_200600_302600_NS6detail15normal_iteratorINS9_10device_ptrIiEEEEPS5_jNS1_19radix_merge_compareILb1ELb1EiNS0_19identity_decomposerEEEEE10hipError_tT0_T1_T2_jT3_P12ihipStream_tbPNSt15iterator_traitsISK_E10value_typeEPNSQ_ISL_E10value_typeEPSM_NS1_7vsmem_tEENKUlT_SK_SL_SM_E_clISE_PiSF_SF_EESJ_SZ_SK_SL_SM_EUlSZ_E1_NS1_11comp_targetILNS1_3genE9ELNS1_11target_archE1100ELNS1_3gpuE3ELNS1_3repE0EEENS1_36merge_oddeven_config_static_selectorELNS0_4arch9wavefront6targetE1EEEvSL_,"axG",@progbits,_ZN7rocprim17ROCPRIM_400000_NS6detail17trampoline_kernelINS0_14default_configENS1_38merge_sort_block_merge_config_selectorIiNS0_10empty_typeEEEZZNS1_27merge_sort_block_merge_implIS3_N6thrust23THRUST_200600_302600_NS6detail15normal_iteratorINS9_10device_ptrIiEEEEPS5_jNS1_19radix_merge_compareILb1ELb1EiNS0_19identity_decomposerEEEEE10hipError_tT0_T1_T2_jT3_P12ihipStream_tbPNSt15iterator_traitsISK_E10value_typeEPNSQ_ISL_E10value_typeEPSM_NS1_7vsmem_tEENKUlT_SK_SL_SM_E_clISE_PiSF_SF_EESJ_SZ_SK_SL_SM_EUlSZ_E1_NS1_11comp_targetILNS1_3genE9ELNS1_11target_archE1100ELNS1_3gpuE3ELNS1_3repE0EEENS1_36merge_oddeven_config_static_selectorELNS0_4arch9wavefront6targetE1EEEvSL_,comdat
.Lfunc_end316:
	.size	_ZN7rocprim17ROCPRIM_400000_NS6detail17trampoline_kernelINS0_14default_configENS1_38merge_sort_block_merge_config_selectorIiNS0_10empty_typeEEEZZNS1_27merge_sort_block_merge_implIS3_N6thrust23THRUST_200600_302600_NS6detail15normal_iteratorINS9_10device_ptrIiEEEEPS5_jNS1_19radix_merge_compareILb1ELb1EiNS0_19identity_decomposerEEEEE10hipError_tT0_T1_T2_jT3_P12ihipStream_tbPNSt15iterator_traitsISK_E10value_typeEPNSQ_ISL_E10value_typeEPSM_NS1_7vsmem_tEENKUlT_SK_SL_SM_E_clISE_PiSF_SF_EESJ_SZ_SK_SL_SM_EUlSZ_E1_NS1_11comp_targetILNS1_3genE9ELNS1_11target_archE1100ELNS1_3gpuE3ELNS1_3repE0EEENS1_36merge_oddeven_config_static_selectorELNS0_4arch9wavefront6targetE1EEEvSL_, .Lfunc_end316-_ZN7rocprim17ROCPRIM_400000_NS6detail17trampoline_kernelINS0_14default_configENS1_38merge_sort_block_merge_config_selectorIiNS0_10empty_typeEEEZZNS1_27merge_sort_block_merge_implIS3_N6thrust23THRUST_200600_302600_NS6detail15normal_iteratorINS9_10device_ptrIiEEEEPS5_jNS1_19radix_merge_compareILb1ELb1EiNS0_19identity_decomposerEEEEE10hipError_tT0_T1_T2_jT3_P12ihipStream_tbPNSt15iterator_traitsISK_E10value_typeEPNSQ_ISL_E10value_typeEPSM_NS1_7vsmem_tEENKUlT_SK_SL_SM_E_clISE_PiSF_SF_EESJ_SZ_SK_SL_SM_EUlSZ_E1_NS1_11comp_targetILNS1_3genE9ELNS1_11target_archE1100ELNS1_3gpuE3ELNS1_3repE0EEENS1_36merge_oddeven_config_static_selectorELNS0_4arch9wavefront6targetE1EEEvSL_
                                        ; -- End function
	.set _ZN7rocprim17ROCPRIM_400000_NS6detail17trampoline_kernelINS0_14default_configENS1_38merge_sort_block_merge_config_selectorIiNS0_10empty_typeEEEZZNS1_27merge_sort_block_merge_implIS3_N6thrust23THRUST_200600_302600_NS6detail15normal_iteratorINS9_10device_ptrIiEEEEPS5_jNS1_19radix_merge_compareILb1ELb1EiNS0_19identity_decomposerEEEEE10hipError_tT0_T1_T2_jT3_P12ihipStream_tbPNSt15iterator_traitsISK_E10value_typeEPNSQ_ISL_E10value_typeEPSM_NS1_7vsmem_tEENKUlT_SK_SL_SM_E_clISE_PiSF_SF_EESJ_SZ_SK_SL_SM_EUlSZ_E1_NS1_11comp_targetILNS1_3genE9ELNS1_11target_archE1100ELNS1_3gpuE3ELNS1_3repE0EEENS1_36merge_oddeven_config_static_selectorELNS0_4arch9wavefront6targetE1EEEvSL_.num_vgpr, 0
	.set _ZN7rocprim17ROCPRIM_400000_NS6detail17trampoline_kernelINS0_14default_configENS1_38merge_sort_block_merge_config_selectorIiNS0_10empty_typeEEEZZNS1_27merge_sort_block_merge_implIS3_N6thrust23THRUST_200600_302600_NS6detail15normal_iteratorINS9_10device_ptrIiEEEEPS5_jNS1_19radix_merge_compareILb1ELb1EiNS0_19identity_decomposerEEEEE10hipError_tT0_T1_T2_jT3_P12ihipStream_tbPNSt15iterator_traitsISK_E10value_typeEPNSQ_ISL_E10value_typeEPSM_NS1_7vsmem_tEENKUlT_SK_SL_SM_E_clISE_PiSF_SF_EESJ_SZ_SK_SL_SM_EUlSZ_E1_NS1_11comp_targetILNS1_3genE9ELNS1_11target_archE1100ELNS1_3gpuE3ELNS1_3repE0EEENS1_36merge_oddeven_config_static_selectorELNS0_4arch9wavefront6targetE1EEEvSL_.num_agpr, 0
	.set _ZN7rocprim17ROCPRIM_400000_NS6detail17trampoline_kernelINS0_14default_configENS1_38merge_sort_block_merge_config_selectorIiNS0_10empty_typeEEEZZNS1_27merge_sort_block_merge_implIS3_N6thrust23THRUST_200600_302600_NS6detail15normal_iteratorINS9_10device_ptrIiEEEEPS5_jNS1_19radix_merge_compareILb1ELb1EiNS0_19identity_decomposerEEEEE10hipError_tT0_T1_T2_jT3_P12ihipStream_tbPNSt15iterator_traitsISK_E10value_typeEPNSQ_ISL_E10value_typeEPSM_NS1_7vsmem_tEENKUlT_SK_SL_SM_E_clISE_PiSF_SF_EESJ_SZ_SK_SL_SM_EUlSZ_E1_NS1_11comp_targetILNS1_3genE9ELNS1_11target_archE1100ELNS1_3gpuE3ELNS1_3repE0EEENS1_36merge_oddeven_config_static_selectorELNS0_4arch9wavefront6targetE1EEEvSL_.numbered_sgpr, 0
	.set _ZN7rocprim17ROCPRIM_400000_NS6detail17trampoline_kernelINS0_14default_configENS1_38merge_sort_block_merge_config_selectorIiNS0_10empty_typeEEEZZNS1_27merge_sort_block_merge_implIS3_N6thrust23THRUST_200600_302600_NS6detail15normal_iteratorINS9_10device_ptrIiEEEEPS5_jNS1_19radix_merge_compareILb1ELb1EiNS0_19identity_decomposerEEEEE10hipError_tT0_T1_T2_jT3_P12ihipStream_tbPNSt15iterator_traitsISK_E10value_typeEPNSQ_ISL_E10value_typeEPSM_NS1_7vsmem_tEENKUlT_SK_SL_SM_E_clISE_PiSF_SF_EESJ_SZ_SK_SL_SM_EUlSZ_E1_NS1_11comp_targetILNS1_3genE9ELNS1_11target_archE1100ELNS1_3gpuE3ELNS1_3repE0EEENS1_36merge_oddeven_config_static_selectorELNS0_4arch9wavefront6targetE1EEEvSL_.num_named_barrier, 0
	.set _ZN7rocprim17ROCPRIM_400000_NS6detail17trampoline_kernelINS0_14default_configENS1_38merge_sort_block_merge_config_selectorIiNS0_10empty_typeEEEZZNS1_27merge_sort_block_merge_implIS3_N6thrust23THRUST_200600_302600_NS6detail15normal_iteratorINS9_10device_ptrIiEEEEPS5_jNS1_19radix_merge_compareILb1ELb1EiNS0_19identity_decomposerEEEEE10hipError_tT0_T1_T2_jT3_P12ihipStream_tbPNSt15iterator_traitsISK_E10value_typeEPNSQ_ISL_E10value_typeEPSM_NS1_7vsmem_tEENKUlT_SK_SL_SM_E_clISE_PiSF_SF_EESJ_SZ_SK_SL_SM_EUlSZ_E1_NS1_11comp_targetILNS1_3genE9ELNS1_11target_archE1100ELNS1_3gpuE3ELNS1_3repE0EEENS1_36merge_oddeven_config_static_selectorELNS0_4arch9wavefront6targetE1EEEvSL_.private_seg_size, 0
	.set _ZN7rocprim17ROCPRIM_400000_NS6detail17trampoline_kernelINS0_14default_configENS1_38merge_sort_block_merge_config_selectorIiNS0_10empty_typeEEEZZNS1_27merge_sort_block_merge_implIS3_N6thrust23THRUST_200600_302600_NS6detail15normal_iteratorINS9_10device_ptrIiEEEEPS5_jNS1_19radix_merge_compareILb1ELb1EiNS0_19identity_decomposerEEEEE10hipError_tT0_T1_T2_jT3_P12ihipStream_tbPNSt15iterator_traitsISK_E10value_typeEPNSQ_ISL_E10value_typeEPSM_NS1_7vsmem_tEENKUlT_SK_SL_SM_E_clISE_PiSF_SF_EESJ_SZ_SK_SL_SM_EUlSZ_E1_NS1_11comp_targetILNS1_3genE9ELNS1_11target_archE1100ELNS1_3gpuE3ELNS1_3repE0EEENS1_36merge_oddeven_config_static_selectorELNS0_4arch9wavefront6targetE1EEEvSL_.uses_vcc, 0
	.set _ZN7rocprim17ROCPRIM_400000_NS6detail17trampoline_kernelINS0_14default_configENS1_38merge_sort_block_merge_config_selectorIiNS0_10empty_typeEEEZZNS1_27merge_sort_block_merge_implIS3_N6thrust23THRUST_200600_302600_NS6detail15normal_iteratorINS9_10device_ptrIiEEEEPS5_jNS1_19radix_merge_compareILb1ELb1EiNS0_19identity_decomposerEEEEE10hipError_tT0_T1_T2_jT3_P12ihipStream_tbPNSt15iterator_traitsISK_E10value_typeEPNSQ_ISL_E10value_typeEPSM_NS1_7vsmem_tEENKUlT_SK_SL_SM_E_clISE_PiSF_SF_EESJ_SZ_SK_SL_SM_EUlSZ_E1_NS1_11comp_targetILNS1_3genE9ELNS1_11target_archE1100ELNS1_3gpuE3ELNS1_3repE0EEENS1_36merge_oddeven_config_static_selectorELNS0_4arch9wavefront6targetE1EEEvSL_.uses_flat_scratch, 0
	.set _ZN7rocprim17ROCPRIM_400000_NS6detail17trampoline_kernelINS0_14default_configENS1_38merge_sort_block_merge_config_selectorIiNS0_10empty_typeEEEZZNS1_27merge_sort_block_merge_implIS3_N6thrust23THRUST_200600_302600_NS6detail15normal_iteratorINS9_10device_ptrIiEEEEPS5_jNS1_19radix_merge_compareILb1ELb1EiNS0_19identity_decomposerEEEEE10hipError_tT0_T1_T2_jT3_P12ihipStream_tbPNSt15iterator_traitsISK_E10value_typeEPNSQ_ISL_E10value_typeEPSM_NS1_7vsmem_tEENKUlT_SK_SL_SM_E_clISE_PiSF_SF_EESJ_SZ_SK_SL_SM_EUlSZ_E1_NS1_11comp_targetILNS1_3genE9ELNS1_11target_archE1100ELNS1_3gpuE3ELNS1_3repE0EEENS1_36merge_oddeven_config_static_selectorELNS0_4arch9wavefront6targetE1EEEvSL_.has_dyn_sized_stack, 0
	.set _ZN7rocprim17ROCPRIM_400000_NS6detail17trampoline_kernelINS0_14default_configENS1_38merge_sort_block_merge_config_selectorIiNS0_10empty_typeEEEZZNS1_27merge_sort_block_merge_implIS3_N6thrust23THRUST_200600_302600_NS6detail15normal_iteratorINS9_10device_ptrIiEEEEPS5_jNS1_19radix_merge_compareILb1ELb1EiNS0_19identity_decomposerEEEEE10hipError_tT0_T1_T2_jT3_P12ihipStream_tbPNSt15iterator_traitsISK_E10value_typeEPNSQ_ISL_E10value_typeEPSM_NS1_7vsmem_tEENKUlT_SK_SL_SM_E_clISE_PiSF_SF_EESJ_SZ_SK_SL_SM_EUlSZ_E1_NS1_11comp_targetILNS1_3genE9ELNS1_11target_archE1100ELNS1_3gpuE3ELNS1_3repE0EEENS1_36merge_oddeven_config_static_selectorELNS0_4arch9wavefront6targetE1EEEvSL_.has_recursion, 0
	.set _ZN7rocprim17ROCPRIM_400000_NS6detail17trampoline_kernelINS0_14default_configENS1_38merge_sort_block_merge_config_selectorIiNS0_10empty_typeEEEZZNS1_27merge_sort_block_merge_implIS3_N6thrust23THRUST_200600_302600_NS6detail15normal_iteratorINS9_10device_ptrIiEEEEPS5_jNS1_19radix_merge_compareILb1ELb1EiNS0_19identity_decomposerEEEEE10hipError_tT0_T1_T2_jT3_P12ihipStream_tbPNSt15iterator_traitsISK_E10value_typeEPNSQ_ISL_E10value_typeEPSM_NS1_7vsmem_tEENKUlT_SK_SL_SM_E_clISE_PiSF_SF_EESJ_SZ_SK_SL_SM_EUlSZ_E1_NS1_11comp_targetILNS1_3genE9ELNS1_11target_archE1100ELNS1_3gpuE3ELNS1_3repE0EEENS1_36merge_oddeven_config_static_selectorELNS0_4arch9wavefront6targetE1EEEvSL_.has_indirect_call, 0
	.section	.AMDGPU.csdata,"",@progbits
; Kernel info:
; codeLenInByte = 0
; TotalNumSgprs: 6
; NumVgprs: 0
; NumAgprs: 0
; TotalNumVgprs: 0
; ScratchSize: 0
; MemoryBound: 0
; FloatMode: 240
; IeeeMode: 1
; LDSByteSize: 0 bytes/workgroup (compile time only)
; SGPRBlocks: 0
; VGPRBlocks: 0
; NumSGPRsForWavesPerEU: 6
; NumVGPRsForWavesPerEU: 1
; AccumOffset: 4
; Occupancy: 8
; WaveLimiterHint : 0
; COMPUTE_PGM_RSRC2:SCRATCH_EN: 0
; COMPUTE_PGM_RSRC2:USER_SGPR: 2
; COMPUTE_PGM_RSRC2:TRAP_HANDLER: 0
; COMPUTE_PGM_RSRC2:TGID_X_EN: 1
; COMPUTE_PGM_RSRC2:TGID_Y_EN: 0
; COMPUTE_PGM_RSRC2:TGID_Z_EN: 0
; COMPUTE_PGM_RSRC2:TIDIG_COMP_CNT: 0
; COMPUTE_PGM_RSRC3_GFX90A:ACCUM_OFFSET: 0
; COMPUTE_PGM_RSRC3_GFX90A:TG_SPLIT: 0
	.section	.text._ZN7rocprim17ROCPRIM_400000_NS6detail17trampoline_kernelINS0_14default_configENS1_38merge_sort_block_merge_config_selectorIiNS0_10empty_typeEEEZZNS1_27merge_sort_block_merge_implIS3_N6thrust23THRUST_200600_302600_NS6detail15normal_iteratorINS9_10device_ptrIiEEEEPS5_jNS1_19radix_merge_compareILb1ELb1EiNS0_19identity_decomposerEEEEE10hipError_tT0_T1_T2_jT3_P12ihipStream_tbPNSt15iterator_traitsISK_E10value_typeEPNSQ_ISL_E10value_typeEPSM_NS1_7vsmem_tEENKUlT_SK_SL_SM_E_clISE_PiSF_SF_EESJ_SZ_SK_SL_SM_EUlSZ_E1_NS1_11comp_targetILNS1_3genE8ELNS1_11target_archE1030ELNS1_3gpuE2ELNS1_3repE0EEENS1_36merge_oddeven_config_static_selectorELNS0_4arch9wavefront6targetE1EEEvSL_,"axG",@progbits,_ZN7rocprim17ROCPRIM_400000_NS6detail17trampoline_kernelINS0_14default_configENS1_38merge_sort_block_merge_config_selectorIiNS0_10empty_typeEEEZZNS1_27merge_sort_block_merge_implIS3_N6thrust23THRUST_200600_302600_NS6detail15normal_iteratorINS9_10device_ptrIiEEEEPS5_jNS1_19radix_merge_compareILb1ELb1EiNS0_19identity_decomposerEEEEE10hipError_tT0_T1_T2_jT3_P12ihipStream_tbPNSt15iterator_traitsISK_E10value_typeEPNSQ_ISL_E10value_typeEPSM_NS1_7vsmem_tEENKUlT_SK_SL_SM_E_clISE_PiSF_SF_EESJ_SZ_SK_SL_SM_EUlSZ_E1_NS1_11comp_targetILNS1_3genE8ELNS1_11target_archE1030ELNS1_3gpuE2ELNS1_3repE0EEENS1_36merge_oddeven_config_static_selectorELNS0_4arch9wavefront6targetE1EEEvSL_,comdat
	.protected	_ZN7rocprim17ROCPRIM_400000_NS6detail17trampoline_kernelINS0_14default_configENS1_38merge_sort_block_merge_config_selectorIiNS0_10empty_typeEEEZZNS1_27merge_sort_block_merge_implIS3_N6thrust23THRUST_200600_302600_NS6detail15normal_iteratorINS9_10device_ptrIiEEEEPS5_jNS1_19radix_merge_compareILb1ELb1EiNS0_19identity_decomposerEEEEE10hipError_tT0_T1_T2_jT3_P12ihipStream_tbPNSt15iterator_traitsISK_E10value_typeEPNSQ_ISL_E10value_typeEPSM_NS1_7vsmem_tEENKUlT_SK_SL_SM_E_clISE_PiSF_SF_EESJ_SZ_SK_SL_SM_EUlSZ_E1_NS1_11comp_targetILNS1_3genE8ELNS1_11target_archE1030ELNS1_3gpuE2ELNS1_3repE0EEENS1_36merge_oddeven_config_static_selectorELNS0_4arch9wavefront6targetE1EEEvSL_ ; -- Begin function _ZN7rocprim17ROCPRIM_400000_NS6detail17trampoline_kernelINS0_14default_configENS1_38merge_sort_block_merge_config_selectorIiNS0_10empty_typeEEEZZNS1_27merge_sort_block_merge_implIS3_N6thrust23THRUST_200600_302600_NS6detail15normal_iteratorINS9_10device_ptrIiEEEEPS5_jNS1_19radix_merge_compareILb1ELb1EiNS0_19identity_decomposerEEEEE10hipError_tT0_T1_T2_jT3_P12ihipStream_tbPNSt15iterator_traitsISK_E10value_typeEPNSQ_ISL_E10value_typeEPSM_NS1_7vsmem_tEENKUlT_SK_SL_SM_E_clISE_PiSF_SF_EESJ_SZ_SK_SL_SM_EUlSZ_E1_NS1_11comp_targetILNS1_3genE8ELNS1_11target_archE1030ELNS1_3gpuE2ELNS1_3repE0EEENS1_36merge_oddeven_config_static_selectorELNS0_4arch9wavefront6targetE1EEEvSL_
	.globl	_ZN7rocprim17ROCPRIM_400000_NS6detail17trampoline_kernelINS0_14default_configENS1_38merge_sort_block_merge_config_selectorIiNS0_10empty_typeEEEZZNS1_27merge_sort_block_merge_implIS3_N6thrust23THRUST_200600_302600_NS6detail15normal_iteratorINS9_10device_ptrIiEEEEPS5_jNS1_19radix_merge_compareILb1ELb1EiNS0_19identity_decomposerEEEEE10hipError_tT0_T1_T2_jT3_P12ihipStream_tbPNSt15iterator_traitsISK_E10value_typeEPNSQ_ISL_E10value_typeEPSM_NS1_7vsmem_tEENKUlT_SK_SL_SM_E_clISE_PiSF_SF_EESJ_SZ_SK_SL_SM_EUlSZ_E1_NS1_11comp_targetILNS1_3genE8ELNS1_11target_archE1030ELNS1_3gpuE2ELNS1_3repE0EEENS1_36merge_oddeven_config_static_selectorELNS0_4arch9wavefront6targetE1EEEvSL_
	.p2align	8
	.type	_ZN7rocprim17ROCPRIM_400000_NS6detail17trampoline_kernelINS0_14default_configENS1_38merge_sort_block_merge_config_selectorIiNS0_10empty_typeEEEZZNS1_27merge_sort_block_merge_implIS3_N6thrust23THRUST_200600_302600_NS6detail15normal_iteratorINS9_10device_ptrIiEEEEPS5_jNS1_19radix_merge_compareILb1ELb1EiNS0_19identity_decomposerEEEEE10hipError_tT0_T1_T2_jT3_P12ihipStream_tbPNSt15iterator_traitsISK_E10value_typeEPNSQ_ISL_E10value_typeEPSM_NS1_7vsmem_tEENKUlT_SK_SL_SM_E_clISE_PiSF_SF_EESJ_SZ_SK_SL_SM_EUlSZ_E1_NS1_11comp_targetILNS1_3genE8ELNS1_11target_archE1030ELNS1_3gpuE2ELNS1_3repE0EEENS1_36merge_oddeven_config_static_selectorELNS0_4arch9wavefront6targetE1EEEvSL_,@function
_ZN7rocprim17ROCPRIM_400000_NS6detail17trampoline_kernelINS0_14default_configENS1_38merge_sort_block_merge_config_selectorIiNS0_10empty_typeEEEZZNS1_27merge_sort_block_merge_implIS3_N6thrust23THRUST_200600_302600_NS6detail15normal_iteratorINS9_10device_ptrIiEEEEPS5_jNS1_19radix_merge_compareILb1ELb1EiNS0_19identity_decomposerEEEEE10hipError_tT0_T1_T2_jT3_P12ihipStream_tbPNSt15iterator_traitsISK_E10value_typeEPNSQ_ISL_E10value_typeEPSM_NS1_7vsmem_tEENKUlT_SK_SL_SM_E_clISE_PiSF_SF_EESJ_SZ_SK_SL_SM_EUlSZ_E1_NS1_11comp_targetILNS1_3genE8ELNS1_11target_archE1030ELNS1_3gpuE2ELNS1_3repE0EEENS1_36merge_oddeven_config_static_selectorELNS0_4arch9wavefront6targetE1EEEvSL_: ; @_ZN7rocprim17ROCPRIM_400000_NS6detail17trampoline_kernelINS0_14default_configENS1_38merge_sort_block_merge_config_selectorIiNS0_10empty_typeEEEZZNS1_27merge_sort_block_merge_implIS3_N6thrust23THRUST_200600_302600_NS6detail15normal_iteratorINS9_10device_ptrIiEEEEPS5_jNS1_19radix_merge_compareILb1ELb1EiNS0_19identity_decomposerEEEEE10hipError_tT0_T1_T2_jT3_P12ihipStream_tbPNSt15iterator_traitsISK_E10value_typeEPNSQ_ISL_E10value_typeEPSM_NS1_7vsmem_tEENKUlT_SK_SL_SM_E_clISE_PiSF_SF_EESJ_SZ_SK_SL_SM_EUlSZ_E1_NS1_11comp_targetILNS1_3genE8ELNS1_11target_archE1030ELNS1_3gpuE2ELNS1_3repE0EEENS1_36merge_oddeven_config_static_selectorELNS0_4arch9wavefront6targetE1EEEvSL_
; %bb.0:
	.section	.rodata,"a",@progbits
	.p2align	6, 0x0
	.amdhsa_kernel _ZN7rocprim17ROCPRIM_400000_NS6detail17trampoline_kernelINS0_14default_configENS1_38merge_sort_block_merge_config_selectorIiNS0_10empty_typeEEEZZNS1_27merge_sort_block_merge_implIS3_N6thrust23THRUST_200600_302600_NS6detail15normal_iteratorINS9_10device_ptrIiEEEEPS5_jNS1_19radix_merge_compareILb1ELb1EiNS0_19identity_decomposerEEEEE10hipError_tT0_T1_T2_jT3_P12ihipStream_tbPNSt15iterator_traitsISK_E10value_typeEPNSQ_ISL_E10value_typeEPSM_NS1_7vsmem_tEENKUlT_SK_SL_SM_E_clISE_PiSF_SF_EESJ_SZ_SK_SL_SM_EUlSZ_E1_NS1_11comp_targetILNS1_3genE8ELNS1_11target_archE1030ELNS1_3gpuE2ELNS1_3repE0EEENS1_36merge_oddeven_config_static_selectorELNS0_4arch9wavefront6targetE1EEEvSL_
		.amdhsa_group_segment_fixed_size 0
		.amdhsa_private_segment_fixed_size 0
		.amdhsa_kernarg_size 48
		.amdhsa_user_sgpr_count 2
		.amdhsa_user_sgpr_dispatch_ptr 0
		.amdhsa_user_sgpr_queue_ptr 0
		.amdhsa_user_sgpr_kernarg_segment_ptr 1
		.amdhsa_user_sgpr_dispatch_id 0
		.amdhsa_user_sgpr_kernarg_preload_length 0
		.amdhsa_user_sgpr_kernarg_preload_offset 0
		.amdhsa_user_sgpr_private_segment_size 0
		.amdhsa_uses_dynamic_stack 0
		.amdhsa_enable_private_segment 0
		.amdhsa_system_sgpr_workgroup_id_x 1
		.amdhsa_system_sgpr_workgroup_id_y 0
		.amdhsa_system_sgpr_workgroup_id_z 0
		.amdhsa_system_sgpr_workgroup_info 0
		.amdhsa_system_vgpr_workitem_id 0
		.amdhsa_next_free_vgpr 1
		.amdhsa_next_free_sgpr 0
		.amdhsa_accum_offset 4
		.amdhsa_reserve_vcc 0
		.amdhsa_float_round_mode_32 0
		.amdhsa_float_round_mode_16_64 0
		.amdhsa_float_denorm_mode_32 3
		.amdhsa_float_denorm_mode_16_64 3
		.amdhsa_dx10_clamp 1
		.amdhsa_ieee_mode 1
		.amdhsa_fp16_overflow 0
		.amdhsa_tg_split 0
		.amdhsa_exception_fp_ieee_invalid_op 0
		.amdhsa_exception_fp_denorm_src 0
		.amdhsa_exception_fp_ieee_div_zero 0
		.amdhsa_exception_fp_ieee_overflow 0
		.amdhsa_exception_fp_ieee_underflow 0
		.amdhsa_exception_fp_ieee_inexact 0
		.amdhsa_exception_int_div_zero 0
	.end_amdhsa_kernel
	.section	.text._ZN7rocprim17ROCPRIM_400000_NS6detail17trampoline_kernelINS0_14default_configENS1_38merge_sort_block_merge_config_selectorIiNS0_10empty_typeEEEZZNS1_27merge_sort_block_merge_implIS3_N6thrust23THRUST_200600_302600_NS6detail15normal_iteratorINS9_10device_ptrIiEEEEPS5_jNS1_19radix_merge_compareILb1ELb1EiNS0_19identity_decomposerEEEEE10hipError_tT0_T1_T2_jT3_P12ihipStream_tbPNSt15iterator_traitsISK_E10value_typeEPNSQ_ISL_E10value_typeEPSM_NS1_7vsmem_tEENKUlT_SK_SL_SM_E_clISE_PiSF_SF_EESJ_SZ_SK_SL_SM_EUlSZ_E1_NS1_11comp_targetILNS1_3genE8ELNS1_11target_archE1030ELNS1_3gpuE2ELNS1_3repE0EEENS1_36merge_oddeven_config_static_selectorELNS0_4arch9wavefront6targetE1EEEvSL_,"axG",@progbits,_ZN7rocprim17ROCPRIM_400000_NS6detail17trampoline_kernelINS0_14default_configENS1_38merge_sort_block_merge_config_selectorIiNS0_10empty_typeEEEZZNS1_27merge_sort_block_merge_implIS3_N6thrust23THRUST_200600_302600_NS6detail15normal_iteratorINS9_10device_ptrIiEEEEPS5_jNS1_19radix_merge_compareILb1ELb1EiNS0_19identity_decomposerEEEEE10hipError_tT0_T1_T2_jT3_P12ihipStream_tbPNSt15iterator_traitsISK_E10value_typeEPNSQ_ISL_E10value_typeEPSM_NS1_7vsmem_tEENKUlT_SK_SL_SM_E_clISE_PiSF_SF_EESJ_SZ_SK_SL_SM_EUlSZ_E1_NS1_11comp_targetILNS1_3genE8ELNS1_11target_archE1030ELNS1_3gpuE2ELNS1_3repE0EEENS1_36merge_oddeven_config_static_selectorELNS0_4arch9wavefront6targetE1EEEvSL_,comdat
.Lfunc_end317:
	.size	_ZN7rocprim17ROCPRIM_400000_NS6detail17trampoline_kernelINS0_14default_configENS1_38merge_sort_block_merge_config_selectorIiNS0_10empty_typeEEEZZNS1_27merge_sort_block_merge_implIS3_N6thrust23THRUST_200600_302600_NS6detail15normal_iteratorINS9_10device_ptrIiEEEEPS5_jNS1_19radix_merge_compareILb1ELb1EiNS0_19identity_decomposerEEEEE10hipError_tT0_T1_T2_jT3_P12ihipStream_tbPNSt15iterator_traitsISK_E10value_typeEPNSQ_ISL_E10value_typeEPSM_NS1_7vsmem_tEENKUlT_SK_SL_SM_E_clISE_PiSF_SF_EESJ_SZ_SK_SL_SM_EUlSZ_E1_NS1_11comp_targetILNS1_3genE8ELNS1_11target_archE1030ELNS1_3gpuE2ELNS1_3repE0EEENS1_36merge_oddeven_config_static_selectorELNS0_4arch9wavefront6targetE1EEEvSL_, .Lfunc_end317-_ZN7rocprim17ROCPRIM_400000_NS6detail17trampoline_kernelINS0_14default_configENS1_38merge_sort_block_merge_config_selectorIiNS0_10empty_typeEEEZZNS1_27merge_sort_block_merge_implIS3_N6thrust23THRUST_200600_302600_NS6detail15normal_iteratorINS9_10device_ptrIiEEEEPS5_jNS1_19radix_merge_compareILb1ELb1EiNS0_19identity_decomposerEEEEE10hipError_tT0_T1_T2_jT3_P12ihipStream_tbPNSt15iterator_traitsISK_E10value_typeEPNSQ_ISL_E10value_typeEPSM_NS1_7vsmem_tEENKUlT_SK_SL_SM_E_clISE_PiSF_SF_EESJ_SZ_SK_SL_SM_EUlSZ_E1_NS1_11comp_targetILNS1_3genE8ELNS1_11target_archE1030ELNS1_3gpuE2ELNS1_3repE0EEENS1_36merge_oddeven_config_static_selectorELNS0_4arch9wavefront6targetE1EEEvSL_
                                        ; -- End function
	.set _ZN7rocprim17ROCPRIM_400000_NS6detail17trampoline_kernelINS0_14default_configENS1_38merge_sort_block_merge_config_selectorIiNS0_10empty_typeEEEZZNS1_27merge_sort_block_merge_implIS3_N6thrust23THRUST_200600_302600_NS6detail15normal_iteratorINS9_10device_ptrIiEEEEPS5_jNS1_19radix_merge_compareILb1ELb1EiNS0_19identity_decomposerEEEEE10hipError_tT0_T1_T2_jT3_P12ihipStream_tbPNSt15iterator_traitsISK_E10value_typeEPNSQ_ISL_E10value_typeEPSM_NS1_7vsmem_tEENKUlT_SK_SL_SM_E_clISE_PiSF_SF_EESJ_SZ_SK_SL_SM_EUlSZ_E1_NS1_11comp_targetILNS1_3genE8ELNS1_11target_archE1030ELNS1_3gpuE2ELNS1_3repE0EEENS1_36merge_oddeven_config_static_selectorELNS0_4arch9wavefront6targetE1EEEvSL_.num_vgpr, 0
	.set _ZN7rocprim17ROCPRIM_400000_NS6detail17trampoline_kernelINS0_14default_configENS1_38merge_sort_block_merge_config_selectorIiNS0_10empty_typeEEEZZNS1_27merge_sort_block_merge_implIS3_N6thrust23THRUST_200600_302600_NS6detail15normal_iteratorINS9_10device_ptrIiEEEEPS5_jNS1_19radix_merge_compareILb1ELb1EiNS0_19identity_decomposerEEEEE10hipError_tT0_T1_T2_jT3_P12ihipStream_tbPNSt15iterator_traitsISK_E10value_typeEPNSQ_ISL_E10value_typeEPSM_NS1_7vsmem_tEENKUlT_SK_SL_SM_E_clISE_PiSF_SF_EESJ_SZ_SK_SL_SM_EUlSZ_E1_NS1_11comp_targetILNS1_3genE8ELNS1_11target_archE1030ELNS1_3gpuE2ELNS1_3repE0EEENS1_36merge_oddeven_config_static_selectorELNS0_4arch9wavefront6targetE1EEEvSL_.num_agpr, 0
	.set _ZN7rocprim17ROCPRIM_400000_NS6detail17trampoline_kernelINS0_14default_configENS1_38merge_sort_block_merge_config_selectorIiNS0_10empty_typeEEEZZNS1_27merge_sort_block_merge_implIS3_N6thrust23THRUST_200600_302600_NS6detail15normal_iteratorINS9_10device_ptrIiEEEEPS5_jNS1_19radix_merge_compareILb1ELb1EiNS0_19identity_decomposerEEEEE10hipError_tT0_T1_T2_jT3_P12ihipStream_tbPNSt15iterator_traitsISK_E10value_typeEPNSQ_ISL_E10value_typeEPSM_NS1_7vsmem_tEENKUlT_SK_SL_SM_E_clISE_PiSF_SF_EESJ_SZ_SK_SL_SM_EUlSZ_E1_NS1_11comp_targetILNS1_3genE8ELNS1_11target_archE1030ELNS1_3gpuE2ELNS1_3repE0EEENS1_36merge_oddeven_config_static_selectorELNS0_4arch9wavefront6targetE1EEEvSL_.numbered_sgpr, 0
	.set _ZN7rocprim17ROCPRIM_400000_NS6detail17trampoline_kernelINS0_14default_configENS1_38merge_sort_block_merge_config_selectorIiNS0_10empty_typeEEEZZNS1_27merge_sort_block_merge_implIS3_N6thrust23THRUST_200600_302600_NS6detail15normal_iteratorINS9_10device_ptrIiEEEEPS5_jNS1_19radix_merge_compareILb1ELb1EiNS0_19identity_decomposerEEEEE10hipError_tT0_T1_T2_jT3_P12ihipStream_tbPNSt15iterator_traitsISK_E10value_typeEPNSQ_ISL_E10value_typeEPSM_NS1_7vsmem_tEENKUlT_SK_SL_SM_E_clISE_PiSF_SF_EESJ_SZ_SK_SL_SM_EUlSZ_E1_NS1_11comp_targetILNS1_3genE8ELNS1_11target_archE1030ELNS1_3gpuE2ELNS1_3repE0EEENS1_36merge_oddeven_config_static_selectorELNS0_4arch9wavefront6targetE1EEEvSL_.num_named_barrier, 0
	.set _ZN7rocprim17ROCPRIM_400000_NS6detail17trampoline_kernelINS0_14default_configENS1_38merge_sort_block_merge_config_selectorIiNS0_10empty_typeEEEZZNS1_27merge_sort_block_merge_implIS3_N6thrust23THRUST_200600_302600_NS6detail15normal_iteratorINS9_10device_ptrIiEEEEPS5_jNS1_19radix_merge_compareILb1ELb1EiNS0_19identity_decomposerEEEEE10hipError_tT0_T1_T2_jT3_P12ihipStream_tbPNSt15iterator_traitsISK_E10value_typeEPNSQ_ISL_E10value_typeEPSM_NS1_7vsmem_tEENKUlT_SK_SL_SM_E_clISE_PiSF_SF_EESJ_SZ_SK_SL_SM_EUlSZ_E1_NS1_11comp_targetILNS1_3genE8ELNS1_11target_archE1030ELNS1_3gpuE2ELNS1_3repE0EEENS1_36merge_oddeven_config_static_selectorELNS0_4arch9wavefront6targetE1EEEvSL_.private_seg_size, 0
	.set _ZN7rocprim17ROCPRIM_400000_NS6detail17trampoline_kernelINS0_14default_configENS1_38merge_sort_block_merge_config_selectorIiNS0_10empty_typeEEEZZNS1_27merge_sort_block_merge_implIS3_N6thrust23THRUST_200600_302600_NS6detail15normal_iteratorINS9_10device_ptrIiEEEEPS5_jNS1_19radix_merge_compareILb1ELb1EiNS0_19identity_decomposerEEEEE10hipError_tT0_T1_T2_jT3_P12ihipStream_tbPNSt15iterator_traitsISK_E10value_typeEPNSQ_ISL_E10value_typeEPSM_NS1_7vsmem_tEENKUlT_SK_SL_SM_E_clISE_PiSF_SF_EESJ_SZ_SK_SL_SM_EUlSZ_E1_NS1_11comp_targetILNS1_3genE8ELNS1_11target_archE1030ELNS1_3gpuE2ELNS1_3repE0EEENS1_36merge_oddeven_config_static_selectorELNS0_4arch9wavefront6targetE1EEEvSL_.uses_vcc, 0
	.set _ZN7rocprim17ROCPRIM_400000_NS6detail17trampoline_kernelINS0_14default_configENS1_38merge_sort_block_merge_config_selectorIiNS0_10empty_typeEEEZZNS1_27merge_sort_block_merge_implIS3_N6thrust23THRUST_200600_302600_NS6detail15normal_iteratorINS9_10device_ptrIiEEEEPS5_jNS1_19radix_merge_compareILb1ELb1EiNS0_19identity_decomposerEEEEE10hipError_tT0_T1_T2_jT3_P12ihipStream_tbPNSt15iterator_traitsISK_E10value_typeEPNSQ_ISL_E10value_typeEPSM_NS1_7vsmem_tEENKUlT_SK_SL_SM_E_clISE_PiSF_SF_EESJ_SZ_SK_SL_SM_EUlSZ_E1_NS1_11comp_targetILNS1_3genE8ELNS1_11target_archE1030ELNS1_3gpuE2ELNS1_3repE0EEENS1_36merge_oddeven_config_static_selectorELNS0_4arch9wavefront6targetE1EEEvSL_.uses_flat_scratch, 0
	.set _ZN7rocprim17ROCPRIM_400000_NS6detail17trampoline_kernelINS0_14default_configENS1_38merge_sort_block_merge_config_selectorIiNS0_10empty_typeEEEZZNS1_27merge_sort_block_merge_implIS3_N6thrust23THRUST_200600_302600_NS6detail15normal_iteratorINS9_10device_ptrIiEEEEPS5_jNS1_19radix_merge_compareILb1ELb1EiNS0_19identity_decomposerEEEEE10hipError_tT0_T1_T2_jT3_P12ihipStream_tbPNSt15iterator_traitsISK_E10value_typeEPNSQ_ISL_E10value_typeEPSM_NS1_7vsmem_tEENKUlT_SK_SL_SM_E_clISE_PiSF_SF_EESJ_SZ_SK_SL_SM_EUlSZ_E1_NS1_11comp_targetILNS1_3genE8ELNS1_11target_archE1030ELNS1_3gpuE2ELNS1_3repE0EEENS1_36merge_oddeven_config_static_selectorELNS0_4arch9wavefront6targetE1EEEvSL_.has_dyn_sized_stack, 0
	.set _ZN7rocprim17ROCPRIM_400000_NS6detail17trampoline_kernelINS0_14default_configENS1_38merge_sort_block_merge_config_selectorIiNS0_10empty_typeEEEZZNS1_27merge_sort_block_merge_implIS3_N6thrust23THRUST_200600_302600_NS6detail15normal_iteratorINS9_10device_ptrIiEEEEPS5_jNS1_19radix_merge_compareILb1ELb1EiNS0_19identity_decomposerEEEEE10hipError_tT0_T1_T2_jT3_P12ihipStream_tbPNSt15iterator_traitsISK_E10value_typeEPNSQ_ISL_E10value_typeEPSM_NS1_7vsmem_tEENKUlT_SK_SL_SM_E_clISE_PiSF_SF_EESJ_SZ_SK_SL_SM_EUlSZ_E1_NS1_11comp_targetILNS1_3genE8ELNS1_11target_archE1030ELNS1_3gpuE2ELNS1_3repE0EEENS1_36merge_oddeven_config_static_selectorELNS0_4arch9wavefront6targetE1EEEvSL_.has_recursion, 0
	.set _ZN7rocprim17ROCPRIM_400000_NS6detail17trampoline_kernelINS0_14default_configENS1_38merge_sort_block_merge_config_selectorIiNS0_10empty_typeEEEZZNS1_27merge_sort_block_merge_implIS3_N6thrust23THRUST_200600_302600_NS6detail15normal_iteratorINS9_10device_ptrIiEEEEPS5_jNS1_19radix_merge_compareILb1ELb1EiNS0_19identity_decomposerEEEEE10hipError_tT0_T1_T2_jT3_P12ihipStream_tbPNSt15iterator_traitsISK_E10value_typeEPNSQ_ISL_E10value_typeEPSM_NS1_7vsmem_tEENKUlT_SK_SL_SM_E_clISE_PiSF_SF_EESJ_SZ_SK_SL_SM_EUlSZ_E1_NS1_11comp_targetILNS1_3genE8ELNS1_11target_archE1030ELNS1_3gpuE2ELNS1_3repE0EEENS1_36merge_oddeven_config_static_selectorELNS0_4arch9wavefront6targetE1EEEvSL_.has_indirect_call, 0
	.section	.AMDGPU.csdata,"",@progbits
; Kernel info:
; codeLenInByte = 0
; TotalNumSgprs: 6
; NumVgprs: 0
; NumAgprs: 0
; TotalNumVgprs: 0
; ScratchSize: 0
; MemoryBound: 0
; FloatMode: 240
; IeeeMode: 1
; LDSByteSize: 0 bytes/workgroup (compile time only)
; SGPRBlocks: 0
; VGPRBlocks: 0
; NumSGPRsForWavesPerEU: 6
; NumVGPRsForWavesPerEU: 1
; AccumOffset: 4
; Occupancy: 8
; WaveLimiterHint : 0
; COMPUTE_PGM_RSRC2:SCRATCH_EN: 0
; COMPUTE_PGM_RSRC2:USER_SGPR: 2
; COMPUTE_PGM_RSRC2:TRAP_HANDLER: 0
; COMPUTE_PGM_RSRC2:TGID_X_EN: 1
; COMPUTE_PGM_RSRC2:TGID_Y_EN: 0
; COMPUTE_PGM_RSRC2:TGID_Z_EN: 0
; COMPUTE_PGM_RSRC2:TIDIG_COMP_CNT: 0
; COMPUTE_PGM_RSRC3_GFX90A:ACCUM_OFFSET: 0
; COMPUTE_PGM_RSRC3_GFX90A:TG_SPLIT: 0
	.section	.text._ZN7rocprim17ROCPRIM_400000_NS6detail17trampoline_kernelINS0_14default_configENS1_35radix_sort_onesweep_config_selectorIiNS0_10empty_typeEEEZNS1_34radix_sort_onesweep_global_offsetsIS3_Lb1EN6thrust23THRUST_200600_302600_NS6detail15normal_iteratorINS9_10device_ptrIiEEEEPS5_jNS0_19identity_decomposerEEE10hipError_tT1_T2_PT3_SK_jT4_jjP12ihipStream_tbEUlT_E_NS1_11comp_targetILNS1_3genE0ELNS1_11target_archE4294967295ELNS1_3gpuE0ELNS1_3repE0EEENS1_52radix_sort_onesweep_histogram_config_static_selectorELNS0_4arch9wavefront6targetE1EEEvSI_,"axG",@progbits,_ZN7rocprim17ROCPRIM_400000_NS6detail17trampoline_kernelINS0_14default_configENS1_35radix_sort_onesweep_config_selectorIiNS0_10empty_typeEEEZNS1_34radix_sort_onesweep_global_offsetsIS3_Lb1EN6thrust23THRUST_200600_302600_NS6detail15normal_iteratorINS9_10device_ptrIiEEEEPS5_jNS0_19identity_decomposerEEE10hipError_tT1_T2_PT3_SK_jT4_jjP12ihipStream_tbEUlT_E_NS1_11comp_targetILNS1_3genE0ELNS1_11target_archE4294967295ELNS1_3gpuE0ELNS1_3repE0EEENS1_52radix_sort_onesweep_histogram_config_static_selectorELNS0_4arch9wavefront6targetE1EEEvSI_,comdat
	.protected	_ZN7rocprim17ROCPRIM_400000_NS6detail17trampoline_kernelINS0_14default_configENS1_35radix_sort_onesweep_config_selectorIiNS0_10empty_typeEEEZNS1_34radix_sort_onesweep_global_offsetsIS3_Lb1EN6thrust23THRUST_200600_302600_NS6detail15normal_iteratorINS9_10device_ptrIiEEEEPS5_jNS0_19identity_decomposerEEE10hipError_tT1_T2_PT3_SK_jT4_jjP12ihipStream_tbEUlT_E_NS1_11comp_targetILNS1_3genE0ELNS1_11target_archE4294967295ELNS1_3gpuE0ELNS1_3repE0EEENS1_52radix_sort_onesweep_histogram_config_static_selectorELNS0_4arch9wavefront6targetE1EEEvSI_ ; -- Begin function _ZN7rocprim17ROCPRIM_400000_NS6detail17trampoline_kernelINS0_14default_configENS1_35radix_sort_onesweep_config_selectorIiNS0_10empty_typeEEEZNS1_34radix_sort_onesweep_global_offsetsIS3_Lb1EN6thrust23THRUST_200600_302600_NS6detail15normal_iteratorINS9_10device_ptrIiEEEEPS5_jNS0_19identity_decomposerEEE10hipError_tT1_T2_PT3_SK_jT4_jjP12ihipStream_tbEUlT_E_NS1_11comp_targetILNS1_3genE0ELNS1_11target_archE4294967295ELNS1_3gpuE0ELNS1_3repE0EEENS1_52radix_sort_onesweep_histogram_config_static_selectorELNS0_4arch9wavefront6targetE1EEEvSI_
	.globl	_ZN7rocprim17ROCPRIM_400000_NS6detail17trampoline_kernelINS0_14default_configENS1_35radix_sort_onesweep_config_selectorIiNS0_10empty_typeEEEZNS1_34radix_sort_onesweep_global_offsetsIS3_Lb1EN6thrust23THRUST_200600_302600_NS6detail15normal_iteratorINS9_10device_ptrIiEEEEPS5_jNS0_19identity_decomposerEEE10hipError_tT1_T2_PT3_SK_jT4_jjP12ihipStream_tbEUlT_E_NS1_11comp_targetILNS1_3genE0ELNS1_11target_archE4294967295ELNS1_3gpuE0ELNS1_3repE0EEENS1_52radix_sort_onesweep_histogram_config_static_selectorELNS0_4arch9wavefront6targetE1EEEvSI_
	.p2align	8
	.type	_ZN7rocprim17ROCPRIM_400000_NS6detail17trampoline_kernelINS0_14default_configENS1_35radix_sort_onesweep_config_selectorIiNS0_10empty_typeEEEZNS1_34radix_sort_onesweep_global_offsetsIS3_Lb1EN6thrust23THRUST_200600_302600_NS6detail15normal_iteratorINS9_10device_ptrIiEEEEPS5_jNS0_19identity_decomposerEEE10hipError_tT1_T2_PT3_SK_jT4_jjP12ihipStream_tbEUlT_E_NS1_11comp_targetILNS1_3genE0ELNS1_11target_archE4294967295ELNS1_3gpuE0ELNS1_3repE0EEENS1_52radix_sort_onesweep_histogram_config_static_selectorELNS0_4arch9wavefront6targetE1EEEvSI_,@function
_ZN7rocprim17ROCPRIM_400000_NS6detail17trampoline_kernelINS0_14default_configENS1_35radix_sort_onesweep_config_selectorIiNS0_10empty_typeEEEZNS1_34radix_sort_onesweep_global_offsetsIS3_Lb1EN6thrust23THRUST_200600_302600_NS6detail15normal_iteratorINS9_10device_ptrIiEEEEPS5_jNS0_19identity_decomposerEEE10hipError_tT1_T2_PT3_SK_jT4_jjP12ihipStream_tbEUlT_E_NS1_11comp_targetILNS1_3genE0ELNS1_11target_archE4294967295ELNS1_3gpuE0ELNS1_3repE0EEENS1_52radix_sort_onesweep_histogram_config_static_selectorELNS0_4arch9wavefront6targetE1EEEvSI_: ; @_ZN7rocprim17ROCPRIM_400000_NS6detail17trampoline_kernelINS0_14default_configENS1_35radix_sort_onesweep_config_selectorIiNS0_10empty_typeEEEZNS1_34radix_sort_onesweep_global_offsetsIS3_Lb1EN6thrust23THRUST_200600_302600_NS6detail15normal_iteratorINS9_10device_ptrIiEEEEPS5_jNS0_19identity_decomposerEEE10hipError_tT1_T2_PT3_SK_jT4_jjP12ihipStream_tbEUlT_E_NS1_11comp_targetILNS1_3genE0ELNS1_11target_archE4294967295ELNS1_3gpuE0ELNS1_3repE0EEENS1_52radix_sort_onesweep_histogram_config_static_selectorELNS0_4arch9wavefront6targetE1EEEvSI_
; %bb.0:
	.section	.rodata,"a",@progbits
	.p2align	6, 0x0
	.amdhsa_kernel _ZN7rocprim17ROCPRIM_400000_NS6detail17trampoline_kernelINS0_14default_configENS1_35radix_sort_onesweep_config_selectorIiNS0_10empty_typeEEEZNS1_34radix_sort_onesweep_global_offsetsIS3_Lb1EN6thrust23THRUST_200600_302600_NS6detail15normal_iteratorINS9_10device_ptrIiEEEEPS5_jNS0_19identity_decomposerEEE10hipError_tT1_T2_PT3_SK_jT4_jjP12ihipStream_tbEUlT_E_NS1_11comp_targetILNS1_3genE0ELNS1_11target_archE4294967295ELNS1_3gpuE0ELNS1_3repE0EEENS1_52radix_sort_onesweep_histogram_config_static_selectorELNS0_4arch9wavefront6targetE1EEEvSI_
		.amdhsa_group_segment_fixed_size 0
		.amdhsa_private_segment_fixed_size 0
		.amdhsa_kernarg_size 40
		.amdhsa_user_sgpr_count 2
		.amdhsa_user_sgpr_dispatch_ptr 0
		.amdhsa_user_sgpr_queue_ptr 0
		.amdhsa_user_sgpr_kernarg_segment_ptr 1
		.amdhsa_user_sgpr_dispatch_id 0
		.amdhsa_user_sgpr_kernarg_preload_length 0
		.amdhsa_user_sgpr_kernarg_preload_offset 0
		.amdhsa_user_sgpr_private_segment_size 0
		.amdhsa_uses_dynamic_stack 0
		.amdhsa_enable_private_segment 0
		.amdhsa_system_sgpr_workgroup_id_x 1
		.amdhsa_system_sgpr_workgroup_id_y 0
		.amdhsa_system_sgpr_workgroup_id_z 0
		.amdhsa_system_sgpr_workgroup_info 0
		.amdhsa_system_vgpr_workitem_id 0
		.amdhsa_next_free_vgpr 1
		.amdhsa_next_free_sgpr 0
		.amdhsa_accum_offset 4
		.amdhsa_reserve_vcc 0
		.amdhsa_float_round_mode_32 0
		.amdhsa_float_round_mode_16_64 0
		.amdhsa_float_denorm_mode_32 3
		.amdhsa_float_denorm_mode_16_64 3
		.amdhsa_dx10_clamp 1
		.amdhsa_ieee_mode 1
		.amdhsa_fp16_overflow 0
		.amdhsa_tg_split 0
		.amdhsa_exception_fp_ieee_invalid_op 0
		.amdhsa_exception_fp_denorm_src 0
		.amdhsa_exception_fp_ieee_div_zero 0
		.amdhsa_exception_fp_ieee_overflow 0
		.amdhsa_exception_fp_ieee_underflow 0
		.amdhsa_exception_fp_ieee_inexact 0
		.amdhsa_exception_int_div_zero 0
	.end_amdhsa_kernel
	.section	.text._ZN7rocprim17ROCPRIM_400000_NS6detail17trampoline_kernelINS0_14default_configENS1_35radix_sort_onesweep_config_selectorIiNS0_10empty_typeEEEZNS1_34radix_sort_onesweep_global_offsetsIS3_Lb1EN6thrust23THRUST_200600_302600_NS6detail15normal_iteratorINS9_10device_ptrIiEEEEPS5_jNS0_19identity_decomposerEEE10hipError_tT1_T2_PT3_SK_jT4_jjP12ihipStream_tbEUlT_E_NS1_11comp_targetILNS1_3genE0ELNS1_11target_archE4294967295ELNS1_3gpuE0ELNS1_3repE0EEENS1_52radix_sort_onesweep_histogram_config_static_selectorELNS0_4arch9wavefront6targetE1EEEvSI_,"axG",@progbits,_ZN7rocprim17ROCPRIM_400000_NS6detail17trampoline_kernelINS0_14default_configENS1_35radix_sort_onesweep_config_selectorIiNS0_10empty_typeEEEZNS1_34radix_sort_onesweep_global_offsetsIS3_Lb1EN6thrust23THRUST_200600_302600_NS6detail15normal_iteratorINS9_10device_ptrIiEEEEPS5_jNS0_19identity_decomposerEEE10hipError_tT1_T2_PT3_SK_jT4_jjP12ihipStream_tbEUlT_E_NS1_11comp_targetILNS1_3genE0ELNS1_11target_archE4294967295ELNS1_3gpuE0ELNS1_3repE0EEENS1_52radix_sort_onesweep_histogram_config_static_selectorELNS0_4arch9wavefront6targetE1EEEvSI_,comdat
.Lfunc_end318:
	.size	_ZN7rocprim17ROCPRIM_400000_NS6detail17trampoline_kernelINS0_14default_configENS1_35radix_sort_onesweep_config_selectorIiNS0_10empty_typeEEEZNS1_34radix_sort_onesweep_global_offsetsIS3_Lb1EN6thrust23THRUST_200600_302600_NS6detail15normal_iteratorINS9_10device_ptrIiEEEEPS5_jNS0_19identity_decomposerEEE10hipError_tT1_T2_PT3_SK_jT4_jjP12ihipStream_tbEUlT_E_NS1_11comp_targetILNS1_3genE0ELNS1_11target_archE4294967295ELNS1_3gpuE0ELNS1_3repE0EEENS1_52radix_sort_onesweep_histogram_config_static_selectorELNS0_4arch9wavefront6targetE1EEEvSI_, .Lfunc_end318-_ZN7rocprim17ROCPRIM_400000_NS6detail17trampoline_kernelINS0_14default_configENS1_35radix_sort_onesweep_config_selectorIiNS0_10empty_typeEEEZNS1_34radix_sort_onesweep_global_offsetsIS3_Lb1EN6thrust23THRUST_200600_302600_NS6detail15normal_iteratorINS9_10device_ptrIiEEEEPS5_jNS0_19identity_decomposerEEE10hipError_tT1_T2_PT3_SK_jT4_jjP12ihipStream_tbEUlT_E_NS1_11comp_targetILNS1_3genE0ELNS1_11target_archE4294967295ELNS1_3gpuE0ELNS1_3repE0EEENS1_52radix_sort_onesweep_histogram_config_static_selectorELNS0_4arch9wavefront6targetE1EEEvSI_
                                        ; -- End function
	.set _ZN7rocprim17ROCPRIM_400000_NS6detail17trampoline_kernelINS0_14default_configENS1_35radix_sort_onesweep_config_selectorIiNS0_10empty_typeEEEZNS1_34radix_sort_onesweep_global_offsetsIS3_Lb1EN6thrust23THRUST_200600_302600_NS6detail15normal_iteratorINS9_10device_ptrIiEEEEPS5_jNS0_19identity_decomposerEEE10hipError_tT1_T2_PT3_SK_jT4_jjP12ihipStream_tbEUlT_E_NS1_11comp_targetILNS1_3genE0ELNS1_11target_archE4294967295ELNS1_3gpuE0ELNS1_3repE0EEENS1_52radix_sort_onesweep_histogram_config_static_selectorELNS0_4arch9wavefront6targetE1EEEvSI_.num_vgpr, 0
	.set _ZN7rocprim17ROCPRIM_400000_NS6detail17trampoline_kernelINS0_14default_configENS1_35radix_sort_onesweep_config_selectorIiNS0_10empty_typeEEEZNS1_34radix_sort_onesweep_global_offsetsIS3_Lb1EN6thrust23THRUST_200600_302600_NS6detail15normal_iteratorINS9_10device_ptrIiEEEEPS5_jNS0_19identity_decomposerEEE10hipError_tT1_T2_PT3_SK_jT4_jjP12ihipStream_tbEUlT_E_NS1_11comp_targetILNS1_3genE0ELNS1_11target_archE4294967295ELNS1_3gpuE0ELNS1_3repE0EEENS1_52radix_sort_onesweep_histogram_config_static_selectorELNS0_4arch9wavefront6targetE1EEEvSI_.num_agpr, 0
	.set _ZN7rocprim17ROCPRIM_400000_NS6detail17trampoline_kernelINS0_14default_configENS1_35radix_sort_onesweep_config_selectorIiNS0_10empty_typeEEEZNS1_34radix_sort_onesweep_global_offsetsIS3_Lb1EN6thrust23THRUST_200600_302600_NS6detail15normal_iteratorINS9_10device_ptrIiEEEEPS5_jNS0_19identity_decomposerEEE10hipError_tT1_T2_PT3_SK_jT4_jjP12ihipStream_tbEUlT_E_NS1_11comp_targetILNS1_3genE0ELNS1_11target_archE4294967295ELNS1_3gpuE0ELNS1_3repE0EEENS1_52radix_sort_onesweep_histogram_config_static_selectorELNS0_4arch9wavefront6targetE1EEEvSI_.numbered_sgpr, 0
	.set _ZN7rocprim17ROCPRIM_400000_NS6detail17trampoline_kernelINS0_14default_configENS1_35radix_sort_onesweep_config_selectorIiNS0_10empty_typeEEEZNS1_34radix_sort_onesweep_global_offsetsIS3_Lb1EN6thrust23THRUST_200600_302600_NS6detail15normal_iteratorINS9_10device_ptrIiEEEEPS5_jNS0_19identity_decomposerEEE10hipError_tT1_T2_PT3_SK_jT4_jjP12ihipStream_tbEUlT_E_NS1_11comp_targetILNS1_3genE0ELNS1_11target_archE4294967295ELNS1_3gpuE0ELNS1_3repE0EEENS1_52radix_sort_onesweep_histogram_config_static_selectorELNS0_4arch9wavefront6targetE1EEEvSI_.num_named_barrier, 0
	.set _ZN7rocprim17ROCPRIM_400000_NS6detail17trampoline_kernelINS0_14default_configENS1_35radix_sort_onesweep_config_selectorIiNS0_10empty_typeEEEZNS1_34radix_sort_onesweep_global_offsetsIS3_Lb1EN6thrust23THRUST_200600_302600_NS6detail15normal_iteratorINS9_10device_ptrIiEEEEPS5_jNS0_19identity_decomposerEEE10hipError_tT1_T2_PT3_SK_jT4_jjP12ihipStream_tbEUlT_E_NS1_11comp_targetILNS1_3genE0ELNS1_11target_archE4294967295ELNS1_3gpuE0ELNS1_3repE0EEENS1_52radix_sort_onesweep_histogram_config_static_selectorELNS0_4arch9wavefront6targetE1EEEvSI_.private_seg_size, 0
	.set _ZN7rocprim17ROCPRIM_400000_NS6detail17trampoline_kernelINS0_14default_configENS1_35radix_sort_onesweep_config_selectorIiNS0_10empty_typeEEEZNS1_34radix_sort_onesweep_global_offsetsIS3_Lb1EN6thrust23THRUST_200600_302600_NS6detail15normal_iteratorINS9_10device_ptrIiEEEEPS5_jNS0_19identity_decomposerEEE10hipError_tT1_T2_PT3_SK_jT4_jjP12ihipStream_tbEUlT_E_NS1_11comp_targetILNS1_3genE0ELNS1_11target_archE4294967295ELNS1_3gpuE0ELNS1_3repE0EEENS1_52radix_sort_onesweep_histogram_config_static_selectorELNS0_4arch9wavefront6targetE1EEEvSI_.uses_vcc, 0
	.set _ZN7rocprim17ROCPRIM_400000_NS6detail17trampoline_kernelINS0_14default_configENS1_35radix_sort_onesweep_config_selectorIiNS0_10empty_typeEEEZNS1_34radix_sort_onesweep_global_offsetsIS3_Lb1EN6thrust23THRUST_200600_302600_NS6detail15normal_iteratorINS9_10device_ptrIiEEEEPS5_jNS0_19identity_decomposerEEE10hipError_tT1_T2_PT3_SK_jT4_jjP12ihipStream_tbEUlT_E_NS1_11comp_targetILNS1_3genE0ELNS1_11target_archE4294967295ELNS1_3gpuE0ELNS1_3repE0EEENS1_52radix_sort_onesweep_histogram_config_static_selectorELNS0_4arch9wavefront6targetE1EEEvSI_.uses_flat_scratch, 0
	.set _ZN7rocprim17ROCPRIM_400000_NS6detail17trampoline_kernelINS0_14default_configENS1_35radix_sort_onesweep_config_selectorIiNS0_10empty_typeEEEZNS1_34radix_sort_onesweep_global_offsetsIS3_Lb1EN6thrust23THRUST_200600_302600_NS6detail15normal_iteratorINS9_10device_ptrIiEEEEPS5_jNS0_19identity_decomposerEEE10hipError_tT1_T2_PT3_SK_jT4_jjP12ihipStream_tbEUlT_E_NS1_11comp_targetILNS1_3genE0ELNS1_11target_archE4294967295ELNS1_3gpuE0ELNS1_3repE0EEENS1_52radix_sort_onesweep_histogram_config_static_selectorELNS0_4arch9wavefront6targetE1EEEvSI_.has_dyn_sized_stack, 0
	.set _ZN7rocprim17ROCPRIM_400000_NS6detail17trampoline_kernelINS0_14default_configENS1_35radix_sort_onesweep_config_selectorIiNS0_10empty_typeEEEZNS1_34radix_sort_onesweep_global_offsetsIS3_Lb1EN6thrust23THRUST_200600_302600_NS6detail15normal_iteratorINS9_10device_ptrIiEEEEPS5_jNS0_19identity_decomposerEEE10hipError_tT1_T2_PT3_SK_jT4_jjP12ihipStream_tbEUlT_E_NS1_11comp_targetILNS1_3genE0ELNS1_11target_archE4294967295ELNS1_3gpuE0ELNS1_3repE0EEENS1_52radix_sort_onesweep_histogram_config_static_selectorELNS0_4arch9wavefront6targetE1EEEvSI_.has_recursion, 0
	.set _ZN7rocprim17ROCPRIM_400000_NS6detail17trampoline_kernelINS0_14default_configENS1_35radix_sort_onesweep_config_selectorIiNS0_10empty_typeEEEZNS1_34radix_sort_onesweep_global_offsetsIS3_Lb1EN6thrust23THRUST_200600_302600_NS6detail15normal_iteratorINS9_10device_ptrIiEEEEPS5_jNS0_19identity_decomposerEEE10hipError_tT1_T2_PT3_SK_jT4_jjP12ihipStream_tbEUlT_E_NS1_11comp_targetILNS1_3genE0ELNS1_11target_archE4294967295ELNS1_3gpuE0ELNS1_3repE0EEENS1_52radix_sort_onesweep_histogram_config_static_selectorELNS0_4arch9wavefront6targetE1EEEvSI_.has_indirect_call, 0
	.section	.AMDGPU.csdata,"",@progbits
; Kernel info:
; codeLenInByte = 0
; TotalNumSgprs: 6
; NumVgprs: 0
; NumAgprs: 0
; TotalNumVgprs: 0
; ScratchSize: 0
; MemoryBound: 0
; FloatMode: 240
; IeeeMode: 1
; LDSByteSize: 0 bytes/workgroup (compile time only)
; SGPRBlocks: 0
; VGPRBlocks: 0
; NumSGPRsForWavesPerEU: 6
; NumVGPRsForWavesPerEU: 1
; AccumOffset: 4
; Occupancy: 8
; WaveLimiterHint : 0
; COMPUTE_PGM_RSRC2:SCRATCH_EN: 0
; COMPUTE_PGM_RSRC2:USER_SGPR: 2
; COMPUTE_PGM_RSRC2:TRAP_HANDLER: 0
; COMPUTE_PGM_RSRC2:TGID_X_EN: 1
; COMPUTE_PGM_RSRC2:TGID_Y_EN: 0
; COMPUTE_PGM_RSRC2:TGID_Z_EN: 0
; COMPUTE_PGM_RSRC2:TIDIG_COMP_CNT: 0
; COMPUTE_PGM_RSRC3_GFX90A:ACCUM_OFFSET: 0
; COMPUTE_PGM_RSRC3_GFX90A:TG_SPLIT: 0
	.section	.text._ZN7rocprim17ROCPRIM_400000_NS6detail17trampoline_kernelINS0_14default_configENS1_35radix_sort_onesweep_config_selectorIiNS0_10empty_typeEEEZNS1_34radix_sort_onesweep_global_offsetsIS3_Lb1EN6thrust23THRUST_200600_302600_NS6detail15normal_iteratorINS9_10device_ptrIiEEEEPS5_jNS0_19identity_decomposerEEE10hipError_tT1_T2_PT3_SK_jT4_jjP12ihipStream_tbEUlT_E_NS1_11comp_targetILNS1_3genE6ELNS1_11target_archE950ELNS1_3gpuE13ELNS1_3repE0EEENS1_52radix_sort_onesweep_histogram_config_static_selectorELNS0_4arch9wavefront6targetE1EEEvSI_,"axG",@progbits,_ZN7rocprim17ROCPRIM_400000_NS6detail17trampoline_kernelINS0_14default_configENS1_35radix_sort_onesweep_config_selectorIiNS0_10empty_typeEEEZNS1_34radix_sort_onesweep_global_offsetsIS3_Lb1EN6thrust23THRUST_200600_302600_NS6detail15normal_iteratorINS9_10device_ptrIiEEEEPS5_jNS0_19identity_decomposerEEE10hipError_tT1_T2_PT3_SK_jT4_jjP12ihipStream_tbEUlT_E_NS1_11comp_targetILNS1_3genE6ELNS1_11target_archE950ELNS1_3gpuE13ELNS1_3repE0EEENS1_52radix_sort_onesweep_histogram_config_static_selectorELNS0_4arch9wavefront6targetE1EEEvSI_,comdat
	.protected	_ZN7rocprim17ROCPRIM_400000_NS6detail17trampoline_kernelINS0_14default_configENS1_35radix_sort_onesweep_config_selectorIiNS0_10empty_typeEEEZNS1_34radix_sort_onesweep_global_offsetsIS3_Lb1EN6thrust23THRUST_200600_302600_NS6detail15normal_iteratorINS9_10device_ptrIiEEEEPS5_jNS0_19identity_decomposerEEE10hipError_tT1_T2_PT3_SK_jT4_jjP12ihipStream_tbEUlT_E_NS1_11comp_targetILNS1_3genE6ELNS1_11target_archE950ELNS1_3gpuE13ELNS1_3repE0EEENS1_52radix_sort_onesweep_histogram_config_static_selectorELNS0_4arch9wavefront6targetE1EEEvSI_ ; -- Begin function _ZN7rocprim17ROCPRIM_400000_NS6detail17trampoline_kernelINS0_14default_configENS1_35radix_sort_onesweep_config_selectorIiNS0_10empty_typeEEEZNS1_34radix_sort_onesweep_global_offsetsIS3_Lb1EN6thrust23THRUST_200600_302600_NS6detail15normal_iteratorINS9_10device_ptrIiEEEEPS5_jNS0_19identity_decomposerEEE10hipError_tT1_T2_PT3_SK_jT4_jjP12ihipStream_tbEUlT_E_NS1_11comp_targetILNS1_3genE6ELNS1_11target_archE950ELNS1_3gpuE13ELNS1_3repE0EEENS1_52radix_sort_onesweep_histogram_config_static_selectorELNS0_4arch9wavefront6targetE1EEEvSI_
	.globl	_ZN7rocprim17ROCPRIM_400000_NS6detail17trampoline_kernelINS0_14default_configENS1_35radix_sort_onesweep_config_selectorIiNS0_10empty_typeEEEZNS1_34radix_sort_onesweep_global_offsetsIS3_Lb1EN6thrust23THRUST_200600_302600_NS6detail15normal_iteratorINS9_10device_ptrIiEEEEPS5_jNS0_19identity_decomposerEEE10hipError_tT1_T2_PT3_SK_jT4_jjP12ihipStream_tbEUlT_E_NS1_11comp_targetILNS1_3genE6ELNS1_11target_archE950ELNS1_3gpuE13ELNS1_3repE0EEENS1_52radix_sort_onesweep_histogram_config_static_selectorELNS0_4arch9wavefront6targetE1EEEvSI_
	.p2align	8
	.type	_ZN7rocprim17ROCPRIM_400000_NS6detail17trampoline_kernelINS0_14default_configENS1_35radix_sort_onesweep_config_selectorIiNS0_10empty_typeEEEZNS1_34radix_sort_onesweep_global_offsetsIS3_Lb1EN6thrust23THRUST_200600_302600_NS6detail15normal_iteratorINS9_10device_ptrIiEEEEPS5_jNS0_19identity_decomposerEEE10hipError_tT1_T2_PT3_SK_jT4_jjP12ihipStream_tbEUlT_E_NS1_11comp_targetILNS1_3genE6ELNS1_11target_archE950ELNS1_3gpuE13ELNS1_3repE0EEENS1_52radix_sort_onesweep_histogram_config_static_selectorELNS0_4arch9wavefront6targetE1EEEvSI_,@function
_ZN7rocprim17ROCPRIM_400000_NS6detail17trampoline_kernelINS0_14default_configENS1_35radix_sort_onesweep_config_selectorIiNS0_10empty_typeEEEZNS1_34radix_sort_onesweep_global_offsetsIS3_Lb1EN6thrust23THRUST_200600_302600_NS6detail15normal_iteratorINS9_10device_ptrIiEEEEPS5_jNS0_19identity_decomposerEEE10hipError_tT1_T2_PT3_SK_jT4_jjP12ihipStream_tbEUlT_E_NS1_11comp_targetILNS1_3genE6ELNS1_11target_archE950ELNS1_3gpuE13ELNS1_3repE0EEENS1_52radix_sort_onesweep_histogram_config_static_selectorELNS0_4arch9wavefront6targetE1EEEvSI_: ; @_ZN7rocprim17ROCPRIM_400000_NS6detail17trampoline_kernelINS0_14default_configENS1_35radix_sort_onesweep_config_selectorIiNS0_10empty_typeEEEZNS1_34radix_sort_onesweep_global_offsetsIS3_Lb1EN6thrust23THRUST_200600_302600_NS6detail15normal_iteratorINS9_10device_ptrIiEEEEPS5_jNS0_19identity_decomposerEEE10hipError_tT1_T2_PT3_SK_jT4_jjP12ihipStream_tbEUlT_E_NS1_11comp_targetILNS1_3genE6ELNS1_11target_archE950ELNS1_3gpuE13ELNS1_3repE0EEENS1_52radix_sort_onesweep_histogram_config_static_selectorELNS0_4arch9wavefront6targetE1EEEvSI_
; %bb.0:
	s_load_dword s11, s[0:1], 0x14
	s_load_dwordx4 s[4:7], s[0:1], 0x0
	s_load_dwordx2 s[8:9], s[0:1], 0x1c
	s_lshl_b32 s10, s2, 13
	s_waitcnt lgkmcnt(0)
	s_cmp_ge_u32 s2, s11
	s_mov_b64 s[2:3], -1
	s_cbranch_scc0 .LBB319_159
; %bb.1:
	s_load_dword s2, s[0:1], 0x10
	s_lshl_b32 s3, s11, 13
	s_mov_b32 s11, 0
	s_lshl_b64 s[0:1], s[10:11], 2
	v_mov_b32_e32 v2, 0
	s_waitcnt lgkmcnt(0)
	s_sub_i32 s11, s2, s3
	s_add_u32 s0, s4, s0
	v_cmp_gt_u32_e32 vcc, s11, v0
	s_addc_u32 s1, s5, s1
	v_mov_b32_e32 v3, v2
	v_mov_b32_e32 v4, v2
	;; [unrolled: 1-line block ×7, first 2 shown]
	s_and_saveexec_b64 s[2:3], vcc
	s_cbranch_execz .LBB319_3
; %bb.2:
	v_lshlrev_b32_e32 v1, 2, v0
	global_load_dword v4, v1, s[0:1]
	v_mov_b32_e32 v5, v2
	v_mov_b32_e32 v6, v2
	;; [unrolled: 1-line block ×7, first 2 shown]
	s_waitcnt vmcnt(0)
	v_mov_b64_e32 v[2:3], v[4:5]
	v_mov_b64_e32 v[4:5], v[6:7]
	;; [unrolled: 1-line block ×4, first 2 shown]
.LBB319_3:
	s_or_b64 exec, exec, s[2:3]
	v_or_b32_e32 v17, 0x400, v0
	v_cmp_gt_u32_e32 vcc, s11, v17
	s_and_saveexec_b64 s[2:3], vcc
	s_cbranch_execz .LBB319_5
; %bb.4:
	v_lshlrev_b32_e32 v1, 2, v17
	global_load_dword v3, v1, s[0:1]
.LBB319_5:
	s_or_b64 exec, exec, s[2:3]
	v_or_b32_e32 v16, 0x800, v0
	v_cmp_gt_u32_e32 vcc, s11, v16
	s_and_saveexec_b64 s[2:3], vcc
	s_cbranch_execz .LBB319_7
; %bb.6:
	v_lshlrev_b32_e32 v1, 2, v16
	global_load_dword v4, v1, s[0:1]
.LBB319_7:
	;; [unrolled: 9-line block ×7, first 2 shown]
	s_or_b64 exec, exec, s[2:3]
	s_cmp_le_u32 s9, s8
	s_cselect_b64 s[2:3], -1, 0
	s_and_b64 s[0:1], s[2:3], exec
	v_lshlrev_b32_e32 v1, 2, v0
	v_mov_b32_e32 v18, 0
	v_cmp_le_u32_e32 vcc, s11, v0
	s_cselect_b32 s18, 8, 10
	v_and_b32_e32 v10, 3, v0
	ds_write2st64_b32 v1, v18, v18 offset1:16
	ds_write2st64_b32 v1, v18, v18 offset0:32 offset1:48
	v_xor_b32_e32 v2, 0x7fffffff, v2
	s_nor_b64 s[12:13], s[2:3], vcc
	v_mov_b32_e32 v18, s18
	s_waitcnt lgkmcnt(0)
	s_barrier
	s_and_saveexec_b64 s[0:1], s[12:13]
	s_cbranch_execz .LBB319_19
; %bb.18:
	s_sub_i32 s12, s9, s8
	s_min_u32 s12, s12, 8
	v_lshrrev_b32_e32 v18, s8, v2
	v_bfe_u32 v18, v18, 0, s12
	v_lshlrev_b32_e32 v19, 2, v10
	v_lshl_or_b32 v18, v18, 4, v19
	v_mov_b32_e32 v19, 1
	ds_add_u32 v18, v19
	v_mov_b32_e32 v18, 0
.LBB319_19:
	s_or_b64 exec, exec, s[0:1]
	v_cmp_gt_i32_e64 s[0:1], 10, v18
	s_mov_b64 s[14:15], -1
	s_and_saveexec_b64 s[12:13], s[0:1]
; %bb.20:
	v_cmp_eq_u32_e64 s[0:1], 0, v18
	s_orn2_b64 s[14:15], s[0:1], exec
; %bb.21:
	s_or_b64 exec, exec, s[12:13]
	s_and_saveexec_b64 s[12:13], s[14:15]
	s_cbranch_execz .LBB319_34
; %bb.22:
	s_add_i32 s14, s8, 8
	s_cmp_le_u32 s9, s14
	s_cselect_b64 s[0:1], -1, 0
	s_and_b64 s[16:17], s[0:1], exec
	s_cselect_b32 s15, 8, 10
	s_nor_b64 s[16:17], s[0:1], vcc
	v_mov_b32_e32 v18, s15
	s_and_saveexec_b64 s[0:1], s[16:17]
	s_cbranch_execz .LBB319_24
; %bb.23:
	s_sub_i32 s15, s9, s14
	s_min_u32 s15, s15, 8
	v_lshrrev_b32_e32 v18, s14, v2
	v_bfe_u32 v18, v18, 0, s15
	v_lshlrev_b32_e32 v19, 2, v10
	v_lshl_or_b32 v18, v18, 4, v19
	v_mov_b32_e32 v19, 1
	ds_add_u32 v18, v19 offset:4096
	v_mov_b32_e32 v18, 0
.LBB319_24:
	s_or_b64 exec, exec, s[0:1]
	v_cmp_gt_i32_e64 s[0:1], 10, v18
	s_mov_b64 s[14:15], -1
	s_and_saveexec_b64 s[16:17], s[0:1]
; %bb.25:
	v_cmp_eq_u32_e64 s[0:1], 0, v18
	s_orn2_b64 s[14:15], s[0:1], exec
; %bb.26:
	s_or_b64 exec, exec, s[16:17]
	s_and_b64 exec, exec, s[14:15]
	s_cbranch_execz .LBB319_34
; %bb.27:
	s_add_i32 s14, s8, 16
	s_cmp_le_u32 s9, s14
	s_cselect_b64 s[0:1], -1, 0
	s_and_b64 s[16:17], s[0:1], exec
	s_cselect_b32 s15, 8, 10
	s_nor_b64 s[16:17], s[0:1], vcc
	v_mov_b32_e32 v18, s15
	s_and_saveexec_b64 s[0:1], s[16:17]
	s_cbranch_execz .LBB319_29
; %bb.28:
	s_sub_i32 s15, s9, s14
	s_min_u32 s15, s15, 8
	v_lshrrev_b32_e32 v18, s14, v2
	v_bfe_u32 v18, v18, 0, s15
	v_lshlrev_b32_e32 v19, 2, v10
	v_lshl_or_b32 v18, v18, 4, v19
	v_mov_b32_e32 v19, 1
	ds_add_u32 v18, v19 offset:8192
	v_mov_b32_e32 v18, 0
.LBB319_29:
	s_or_b64 exec, exec, s[0:1]
	v_cmp_gt_i32_e64 s[0:1], 10, v18
	s_mov_b64 s[14:15], -1
	s_and_saveexec_b64 s[16:17], s[0:1]
; %bb.30:
	v_cmp_eq_u32_e64 s[0:1], 0, v18
	s_orn2_b64 s[14:15], s[0:1], exec
; %bb.31:
	s_or_b64 exec, exec, s[16:17]
	s_and_b64 exec, exec, s[14:15]
	s_cbranch_execz .LBB319_34
; %bb.32:
	s_add_i32 s0, s8, 24
	s_cmp_gt_u32 s9, s0
	s_cselect_b64 s[14:15], -1, 0
	s_xor_b64 s[16:17], vcc, -1
	s_and_b64 s[14:15], s[14:15], s[16:17]
	s_and_b64 exec, exec, s[14:15]
	s_cbranch_execz .LBB319_34
; %bb.33:
	s_sub_i32 s1, s9, s0
	s_min_u32 s1, s1, 8
	v_lshrrev_b32_e32 v2, s0, v2
	v_bfe_u32 v2, v2, 0, s1
	v_lshlrev_b32_e32 v18, 2, v10
	v_lshl_or_b32 v2, v2, 4, v18
	v_mov_b32_e32 v18, 1
	ds_add_u32 v2, v18 offset:12288
.LBB319_34:
	s_or_b64 exec, exec, s[12:13]
	v_cmp_le_u32_e32 vcc, s11, v17
	s_waitcnt vmcnt(0)
	v_xor_b32_e32 v2, 0x7fffffff, v3
	s_nor_b64 s[12:13], s[2:3], vcc
	v_mov_b32_e32 v3, s18
	s_and_saveexec_b64 s[0:1], s[12:13]
	s_cbranch_execz .LBB319_36
; %bb.35:
	s_sub_i32 s12, s9, s8
	s_min_u32 s12, s12, 8
	v_lshrrev_b32_e32 v3, s8, v2
	v_bfe_u32 v3, v3, 0, s12
	v_lshlrev_b32_e32 v17, 2, v10
	v_lshl_or_b32 v3, v3, 4, v17
	v_mov_b32_e32 v17, 1
	ds_add_u32 v3, v17
	v_mov_b32_e32 v3, 0
.LBB319_36:
	s_or_b64 exec, exec, s[0:1]
	v_cmp_gt_i32_e64 s[0:1], 10, v3
	s_mov_b64 s[14:15], -1
	s_and_saveexec_b64 s[12:13], s[0:1]
; %bb.37:
	v_cmp_eq_u32_e64 s[0:1], 0, v3
	s_orn2_b64 s[14:15], s[0:1], exec
; %bb.38:
	s_or_b64 exec, exec, s[12:13]
	s_and_saveexec_b64 s[12:13], s[14:15]
	s_cbranch_execz .LBB319_51
; %bb.39:
	s_add_i32 s14, s8, 8
	s_cmp_le_u32 s9, s14
	s_cselect_b64 s[0:1], -1, 0
	s_and_b64 s[16:17], s[0:1], exec
	s_cselect_b32 s15, 8, 10
	s_nor_b64 s[16:17], s[0:1], vcc
	v_mov_b32_e32 v3, s15
	s_and_saveexec_b64 s[0:1], s[16:17]
	s_cbranch_execz .LBB319_41
; %bb.40:
	s_sub_i32 s15, s9, s14
	s_min_u32 s15, s15, 8
	v_lshrrev_b32_e32 v3, s14, v2
	v_bfe_u32 v3, v3, 0, s15
	v_lshlrev_b32_e32 v17, 2, v10
	v_lshl_or_b32 v3, v3, 4, v17
	v_mov_b32_e32 v17, 1
	ds_add_u32 v3, v17 offset:4096
	v_mov_b32_e32 v3, 0
.LBB319_41:
	s_or_b64 exec, exec, s[0:1]
	v_cmp_gt_i32_e64 s[0:1], 10, v3
	s_mov_b64 s[14:15], -1
	s_and_saveexec_b64 s[16:17], s[0:1]
; %bb.42:
	v_cmp_eq_u32_e64 s[0:1], 0, v3
	s_orn2_b64 s[14:15], s[0:1], exec
; %bb.43:
	s_or_b64 exec, exec, s[16:17]
	s_and_b64 exec, exec, s[14:15]
	s_cbranch_execz .LBB319_51
; %bb.44:
	s_add_i32 s14, s8, 16
	s_cmp_le_u32 s9, s14
	s_cselect_b64 s[0:1], -1, 0
	s_and_b64 s[16:17], s[0:1], exec
	s_cselect_b32 s15, 8, 10
	s_nor_b64 s[16:17], s[0:1], vcc
	v_mov_b32_e32 v3, s15
	s_and_saveexec_b64 s[0:1], s[16:17]
	s_cbranch_execz .LBB319_46
; %bb.45:
	s_sub_i32 s15, s9, s14
	s_min_u32 s15, s15, 8
	v_lshrrev_b32_e32 v3, s14, v2
	v_bfe_u32 v3, v3, 0, s15
	v_lshlrev_b32_e32 v17, 2, v10
	v_lshl_or_b32 v3, v3, 4, v17
	v_mov_b32_e32 v17, 1
	ds_add_u32 v3, v17 offset:8192
	v_mov_b32_e32 v3, 0
.LBB319_46:
	s_or_b64 exec, exec, s[0:1]
	v_cmp_gt_i32_e64 s[0:1], 10, v3
	s_mov_b64 s[14:15], -1
	s_and_saveexec_b64 s[16:17], s[0:1]
; %bb.47:
	v_cmp_eq_u32_e64 s[0:1], 0, v3
	s_orn2_b64 s[14:15], s[0:1], exec
; %bb.48:
	s_or_b64 exec, exec, s[16:17]
	s_and_b64 exec, exec, s[14:15]
	s_cbranch_execz .LBB319_51
; %bb.49:
	s_add_i32 s0, s8, 24
	s_cmp_gt_u32 s9, s0
	s_cselect_b64 s[14:15], -1, 0
	s_xor_b64 s[16:17], vcc, -1
	s_and_b64 s[14:15], s[14:15], s[16:17]
	s_and_b64 exec, exec, s[14:15]
	s_cbranch_execz .LBB319_51
; %bb.50:
	s_sub_i32 s1, s9, s0
	s_min_u32 s1, s1, 8
	v_lshrrev_b32_e32 v2, s0, v2
	v_bfe_u32 v2, v2, 0, s1
	v_lshlrev_b32_e32 v3, 2, v10
	v_lshl_or_b32 v2, v2, 4, v3
	v_mov_b32_e32 v3, 1
	ds_add_u32 v2, v3 offset:12288
.LBB319_51:
	s_or_b64 exec, exec, s[12:13]
	v_cmp_le_u32_e32 vcc, s11, v16
	v_xor_b32_e32 v2, 0x7fffffff, v4
	s_nor_b64 s[12:13], s[2:3], vcc
	v_mov_b32_e32 v3, s18
	s_and_saveexec_b64 s[0:1], s[12:13]
	s_cbranch_execz .LBB319_53
; %bb.52:
	s_sub_i32 s12, s9, s8
	s_min_u32 s12, s12, 8
	v_lshrrev_b32_e32 v3, s8, v2
	v_bfe_u32 v3, v3, 0, s12
	v_lshlrev_b32_e32 v4, 2, v10
	v_lshl_or_b32 v3, v3, 4, v4
	v_mov_b32_e32 v4, 1
	ds_add_u32 v3, v4
	v_mov_b32_e32 v3, 0
.LBB319_53:
	s_or_b64 exec, exec, s[0:1]
	v_cmp_gt_i32_e64 s[0:1], 10, v3
	s_mov_b64 s[14:15], -1
	s_and_saveexec_b64 s[12:13], s[0:1]
; %bb.54:
	v_cmp_eq_u32_e64 s[0:1], 0, v3
	s_orn2_b64 s[14:15], s[0:1], exec
; %bb.55:
	s_or_b64 exec, exec, s[12:13]
	s_and_saveexec_b64 s[12:13], s[14:15]
	s_cbranch_execz .LBB319_68
; %bb.56:
	s_add_i32 s14, s8, 8
	s_cmp_le_u32 s9, s14
	s_cselect_b64 s[0:1], -1, 0
	s_and_b64 s[16:17], s[0:1], exec
	s_cselect_b32 s15, 8, 10
	s_nor_b64 s[16:17], s[0:1], vcc
	v_mov_b32_e32 v3, s15
	s_and_saveexec_b64 s[0:1], s[16:17]
	s_cbranch_execz .LBB319_58
; %bb.57:
	s_sub_i32 s15, s9, s14
	s_min_u32 s15, s15, 8
	v_lshrrev_b32_e32 v3, s14, v2
	v_bfe_u32 v3, v3, 0, s15
	v_lshlrev_b32_e32 v4, 2, v10
	v_lshl_or_b32 v3, v3, 4, v4
	v_mov_b32_e32 v4, 1
	ds_add_u32 v3, v4 offset:4096
	v_mov_b32_e32 v3, 0
.LBB319_58:
	s_or_b64 exec, exec, s[0:1]
	v_cmp_gt_i32_e64 s[0:1], 10, v3
	s_mov_b64 s[14:15], -1
	s_and_saveexec_b64 s[16:17], s[0:1]
; %bb.59:
	v_cmp_eq_u32_e64 s[0:1], 0, v3
	s_orn2_b64 s[14:15], s[0:1], exec
; %bb.60:
	s_or_b64 exec, exec, s[16:17]
	s_and_b64 exec, exec, s[14:15]
	s_cbranch_execz .LBB319_68
; %bb.61:
	s_add_i32 s14, s8, 16
	s_cmp_le_u32 s9, s14
	s_cselect_b64 s[0:1], -1, 0
	s_and_b64 s[16:17], s[0:1], exec
	s_cselect_b32 s15, 8, 10
	s_nor_b64 s[16:17], s[0:1], vcc
	v_mov_b32_e32 v3, s15
	s_and_saveexec_b64 s[0:1], s[16:17]
	s_cbranch_execz .LBB319_63
; %bb.62:
	s_sub_i32 s15, s9, s14
	s_min_u32 s15, s15, 8
	v_lshrrev_b32_e32 v3, s14, v2
	v_bfe_u32 v3, v3, 0, s15
	v_lshlrev_b32_e32 v4, 2, v10
	v_lshl_or_b32 v3, v3, 4, v4
	v_mov_b32_e32 v4, 1
	ds_add_u32 v3, v4 offset:8192
	v_mov_b32_e32 v3, 0
.LBB319_63:
	s_or_b64 exec, exec, s[0:1]
	v_cmp_gt_i32_e64 s[0:1], 10, v3
	s_mov_b64 s[14:15], -1
	s_and_saveexec_b64 s[16:17], s[0:1]
; %bb.64:
	v_cmp_eq_u32_e64 s[0:1], 0, v3
	s_orn2_b64 s[14:15], s[0:1], exec
; %bb.65:
	s_or_b64 exec, exec, s[16:17]
	s_and_b64 exec, exec, s[14:15]
	s_cbranch_execz .LBB319_68
; %bb.66:
	s_add_i32 s0, s8, 24
	s_cmp_gt_u32 s9, s0
	s_cselect_b64 s[14:15], -1, 0
	s_xor_b64 s[16:17], vcc, -1
	s_and_b64 s[14:15], s[14:15], s[16:17]
	s_and_b64 exec, exec, s[14:15]
	s_cbranch_execz .LBB319_68
; %bb.67:
	s_sub_i32 s1, s9, s0
	s_min_u32 s1, s1, 8
	v_lshrrev_b32_e32 v2, s0, v2
	v_bfe_u32 v2, v2, 0, s1
	v_lshlrev_b32_e32 v3, 2, v10
	v_lshl_or_b32 v2, v2, 4, v3
	v_mov_b32_e32 v3, 1
	ds_add_u32 v2, v3 offset:12288
.LBB319_68:
	s_or_b64 exec, exec, s[12:13]
	v_cmp_le_u32_e32 vcc, s11, v15
	v_xor_b32_e32 v2, 0x7fffffff, v5
	s_nor_b64 s[12:13], s[2:3], vcc
	v_mov_b32_e32 v3, s18
	s_and_saveexec_b64 s[0:1], s[12:13]
	s_cbranch_execz .LBB319_70
; %bb.69:
	s_sub_i32 s12, s9, s8
	s_min_u32 s12, s12, 8
	v_lshrrev_b32_e32 v3, s8, v2
	v_bfe_u32 v3, v3, 0, s12
	v_lshlrev_b32_e32 v4, 2, v10
	v_lshl_or_b32 v3, v3, 4, v4
	v_mov_b32_e32 v4, 1
	ds_add_u32 v3, v4
	v_mov_b32_e32 v3, 0
.LBB319_70:
	s_or_b64 exec, exec, s[0:1]
	v_cmp_gt_i32_e64 s[0:1], 10, v3
	s_mov_b64 s[14:15], -1
	s_and_saveexec_b64 s[12:13], s[0:1]
; %bb.71:
	v_cmp_eq_u32_e64 s[0:1], 0, v3
	s_orn2_b64 s[14:15], s[0:1], exec
; %bb.72:
	s_or_b64 exec, exec, s[12:13]
	s_and_saveexec_b64 s[12:13], s[14:15]
	s_cbranch_execz .LBB319_85
; %bb.73:
	s_add_i32 s14, s8, 8
	s_cmp_le_u32 s9, s14
	s_cselect_b64 s[0:1], -1, 0
	s_and_b64 s[16:17], s[0:1], exec
	s_cselect_b32 s15, 8, 10
	s_nor_b64 s[16:17], s[0:1], vcc
	v_mov_b32_e32 v3, s15
	s_and_saveexec_b64 s[0:1], s[16:17]
	s_cbranch_execz .LBB319_75
; %bb.74:
	s_sub_i32 s15, s9, s14
	s_min_u32 s15, s15, 8
	v_lshrrev_b32_e32 v3, s14, v2
	v_bfe_u32 v3, v3, 0, s15
	v_lshlrev_b32_e32 v4, 2, v10
	v_lshl_or_b32 v3, v3, 4, v4
	v_mov_b32_e32 v4, 1
	ds_add_u32 v3, v4 offset:4096
	v_mov_b32_e32 v3, 0
.LBB319_75:
	s_or_b64 exec, exec, s[0:1]
	v_cmp_gt_i32_e64 s[0:1], 10, v3
	s_mov_b64 s[14:15], -1
	s_and_saveexec_b64 s[16:17], s[0:1]
; %bb.76:
	v_cmp_eq_u32_e64 s[0:1], 0, v3
	s_orn2_b64 s[14:15], s[0:1], exec
; %bb.77:
	s_or_b64 exec, exec, s[16:17]
	s_and_b64 exec, exec, s[14:15]
	s_cbranch_execz .LBB319_85
; %bb.78:
	s_add_i32 s14, s8, 16
	s_cmp_le_u32 s9, s14
	s_cselect_b64 s[0:1], -1, 0
	s_and_b64 s[16:17], s[0:1], exec
	s_cselect_b32 s15, 8, 10
	s_nor_b64 s[16:17], s[0:1], vcc
	v_mov_b32_e32 v3, s15
	s_and_saveexec_b64 s[0:1], s[16:17]
	s_cbranch_execz .LBB319_80
; %bb.79:
	s_sub_i32 s15, s9, s14
	s_min_u32 s15, s15, 8
	v_lshrrev_b32_e32 v3, s14, v2
	v_bfe_u32 v3, v3, 0, s15
	v_lshlrev_b32_e32 v4, 2, v10
	v_lshl_or_b32 v3, v3, 4, v4
	v_mov_b32_e32 v4, 1
	ds_add_u32 v3, v4 offset:8192
	v_mov_b32_e32 v3, 0
.LBB319_80:
	s_or_b64 exec, exec, s[0:1]
	v_cmp_gt_i32_e64 s[0:1], 10, v3
	s_mov_b64 s[14:15], -1
	s_and_saveexec_b64 s[16:17], s[0:1]
; %bb.81:
	v_cmp_eq_u32_e64 s[0:1], 0, v3
	s_orn2_b64 s[14:15], s[0:1], exec
; %bb.82:
	s_or_b64 exec, exec, s[16:17]
	s_and_b64 exec, exec, s[14:15]
	s_cbranch_execz .LBB319_85
; %bb.83:
	s_add_i32 s0, s8, 24
	s_cmp_gt_u32 s9, s0
	s_cselect_b64 s[14:15], -1, 0
	s_xor_b64 s[16:17], vcc, -1
	s_and_b64 s[14:15], s[14:15], s[16:17]
	s_and_b64 exec, exec, s[14:15]
	s_cbranch_execz .LBB319_85
; %bb.84:
	s_sub_i32 s1, s9, s0
	s_min_u32 s1, s1, 8
	v_lshrrev_b32_e32 v2, s0, v2
	v_bfe_u32 v2, v2, 0, s1
	v_lshlrev_b32_e32 v3, 2, v10
	v_lshl_or_b32 v2, v2, 4, v3
	v_mov_b32_e32 v3, 1
	ds_add_u32 v2, v3 offset:12288
.LBB319_85:
	s_or_b64 exec, exec, s[12:13]
	v_cmp_le_u32_e32 vcc, s11, v14
	v_xor_b32_e32 v2, 0x7fffffff, v6
	s_nor_b64 s[12:13], s[2:3], vcc
	v_mov_b32_e32 v3, s18
	s_and_saveexec_b64 s[0:1], s[12:13]
	s_cbranch_execz .LBB319_87
; %bb.86:
	s_sub_i32 s12, s9, s8
	s_min_u32 s12, s12, 8
	v_lshrrev_b32_e32 v3, s8, v2
	v_bfe_u32 v3, v3, 0, s12
	v_lshlrev_b32_e32 v4, 2, v10
	v_lshl_or_b32 v3, v3, 4, v4
	v_mov_b32_e32 v4, 1
	ds_add_u32 v3, v4
	v_mov_b32_e32 v3, 0
.LBB319_87:
	s_or_b64 exec, exec, s[0:1]
	v_cmp_gt_i32_e64 s[0:1], 10, v3
	s_mov_b64 s[14:15], -1
	s_and_saveexec_b64 s[12:13], s[0:1]
; %bb.88:
	v_cmp_eq_u32_e64 s[0:1], 0, v3
	s_orn2_b64 s[14:15], s[0:1], exec
; %bb.89:
	s_or_b64 exec, exec, s[12:13]
	s_and_saveexec_b64 s[12:13], s[14:15]
	s_cbranch_execz .LBB319_102
; %bb.90:
	s_add_i32 s14, s8, 8
	s_cmp_le_u32 s9, s14
	s_cselect_b64 s[0:1], -1, 0
	s_and_b64 s[16:17], s[0:1], exec
	s_cselect_b32 s15, 8, 10
	s_nor_b64 s[16:17], s[0:1], vcc
	v_mov_b32_e32 v3, s15
	s_and_saveexec_b64 s[0:1], s[16:17]
	s_cbranch_execz .LBB319_92
; %bb.91:
	s_sub_i32 s15, s9, s14
	s_min_u32 s15, s15, 8
	v_lshrrev_b32_e32 v3, s14, v2
	v_bfe_u32 v3, v3, 0, s15
	v_lshlrev_b32_e32 v4, 2, v10
	v_lshl_or_b32 v3, v3, 4, v4
	v_mov_b32_e32 v4, 1
	ds_add_u32 v3, v4 offset:4096
	v_mov_b32_e32 v3, 0
.LBB319_92:
	s_or_b64 exec, exec, s[0:1]
	v_cmp_gt_i32_e64 s[0:1], 10, v3
	s_mov_b64 s[14:15], -1
	s_and_saveexec_b64 s[16:17], s[0:1]
; %bb.93:
	v_cmp_eq_u32_e64 s[0:1], 0, v3
	s_orn2_b64 s[14:15], s[0:1], exec
; %bb.94:
	s_or_b64 exec, exec, s[16:17]
	s_and_b64 exec, exec, s[14:15]
	s_cbranch_execz .LBB319_102
; %bb.95:
	s_add_i32 s14, s8, 16
	s_cmp_le_u32 s9, s14
	s_cselect_b64 s[0:1], -1, 0
	s_and_b64 s[16:17], s[0:1], exec
	s_cselect_b32 s15, 8, 10
	s_nor_b64 s[16:17], s[0:1], vcc
	v_mov_b32_e32 v3, s15
	s_and_saveexec_b64 s[0:1], s[16:17]
	s_cbranch_execz .LBB319_97
; %bb.96:
	s_sub_i32 s15, s9, s14
	s_min_u32 s15, s15, 8
	v_lshrrev_b32_e32 v3, s14, v2
	v_bfe_u32 v3, v3, 0, s15
	v_lshlrev_b32_e32 v4, 2, v10
	v_lshl_or_b32 v3, v3, 4, v4
	v_mov_b32_e32 v4, 1
	ds_add_u32 v3, v4 offset:8192
	v_mov_b32_e32 v3, 0
.LBB319_97:
	s_or_b64 exec, exec, s[0:1]
	v_cmp_gt_i32_e64 s[0:1], 10, v3
	s_mov_b64 s[14:15], -1
	s_and_saveexec_b64 s[16:17], s[0:1]
; %bb.98:
	v_cmp_eq_u32_e64 s[0:1], 0, v3
	s_orn2_b64 s[14:15], s[0:1], exec
; %bb.99:
	s_or_b64 exec, exec, s[16:17]
	s_and_b64 exec, exec, s[14:15]
	s_cbranch_execz .LBB319_102
; %bb.100:
	s_add_i32 s0, s8, 24
	s_cmp_gt_u32 s9, s0
	s_cselect_b64 s[14:15], -1, 0
	s_xor_b64 s[16:17], vcc, -1
	s_and_b64 s[14:15], s[14:15], s[16:17]
	s_and_b64 exec, exec, s[14:15]
	s_cbranch_execz .LBB319_102
; %bb.101:
	s_sub_i32 s1, s9, s0
	s_min_u32 s1, s1, 8
	v_lshrrev_b32_e32 v2, s0, v2
	v_bfe_u32 v2, v2, 0, s1
	v_lshlrev_b32_e32 v3, 2, v10
	v_lshl_or_b32 v2, v2, 4, v3
	v_mov_b32_e32 v3, 1
	ds_add_u32 v2, v3 offset:12288
.LBB319_102:
	s_or_b64 exec, exec, s[12:13]
	v_cmp_le_u32_e32 vcc, s11, v13
	v_xor_b32_e32 v2, 0x7fffffff, v7
	s_nor_b64 s[12:13], s[2:3], vcc
	v_mov_b32_e32 v3, s18
	s_and_saveexec_b64 s[0:1], s[12:13]
	s_cbranch_execz .LBB319_104
; %bb.103:
	s_sub_i32 s12, s9, s8
	s_min_u32 s12, s12, 8
	v_lshrrev_b32_e32 v3, s8, v2
	v_bfe_u32 v3, v3, 0, s12
	v_lshlrev_b32_e32 v4, 2, v10
	v_lshl_or_b32 v3, v3, 4, v4
	v_mov_b32_e32 v4, 1
	ds_add_u32 v3, v4
	v_mov_b32_e32 v3, 0
.LBB319_104:
	s_or_b64 exec, exec, s[0:1]
	v_cmp_gt_i32_e64 s[0:1], 10, v3
	s_mov_b64 s[14:15], -1
	s_and_saveexec_b64 s[12:13], s[0:1]
; %bb.105:
	v_cmp_eq_u32_e64 s[0:1], 0, v3
	s_orn2_b64 s[14:15], s[0:1], exec
; %bb.106:
	s_or_b64 exec, exec, s[12:13]
	s_and_saveexec_b64 s[12:13], s[14:15]
	s_cbranch_execz .LBB319_119
; %bb.107:
	s_add_i32 s14, s8, 8
	s_cmp_le_u32 s9, s14
	s_cselect_b64 s[0:1], -1, 0
	s_and_b64 s[16:17], s[0:1], exec
	s_cselect_b32 s15, 8, 10
	s_nor_b64 s[16:17], s[0:1], vcc
	v_mov_b32_e32 v3, s15
	s_and_saveexec_b64 s[0:1], s[16:17]
	s_cbranch_execz .LBB319_109
; %bb.108:
	s_sub_i32 s15, s9, s14
	s_min_u32 s15, s15, 8
	v_lshrrev_b32_e32 v3, s14, v2
	v_bfe_u32 v3, v3, 0, s15
	v_lshlrev_b32_e32 v4, 2, v10
	v_lshl_or_b32 v3, v3, 4, v4
	v_mov_b32_e32 v4, 1
	ds_add_u32 v3, v4 offset:4096
	v_mov_b32_e32 v3, 0
.LBB319_109:
	s_or_b64 exec, exec, s[0:1]
	v_cmp_gt_i32_e64 s[0:1], 10, v3
	s_mov_b64 s[14:15], -1
	s_and_saveexec_b64 s[16:17], s[0:1]
; %bb.110:
	v_cmp_eq_u32_e64 s[0:1], 0, v3
	s_orn2_b64 s[14:15], s[0:1], exec
; %bb.111:
	s_or_b64 exec, exec, s[16:17]
	s_and_b64 exec, exec, s[14:15]
	s_cbranch_execz .LBB319_119
; %bb.112:
	s_add_i32 s14, s8, 16
	s_cmp_le_u32 s9, s14
	s_cselect_b64 s[0:1], -1, 0
	s_and_b64 s[16:17], s[0:1], exec
	s_cselect_b32 s15, 8, 10
	s_nor_b64 s[16:17], s[0:1], vcc
	v_mov_b32_e32 v3, s15
	s_and_saveexec_b64 s[0:1], s[16:17]
	s_cbranch_execz .LBB319_114
; %bb.113:
	s_sub_i32 s15, s9, s14
	s_min_u32 s15, s15, 8
	v_lshrrev_b32_e32 v3, s14, v2
	v_bfe_u32 v3, v3, 0, s15
	v_lshlrev_b32_e32 v4, 2, v10
	v_lshl_or_b32 v3, v3, 4, v4
	v_mov_b32_e32 v4, 1
	ds_add_u32 v3, v4 offset:8192
	v_mov_b32_e32 v3, 0
.LBB319_114:
	s_or_b64 exec, exec, s[0:1]
	v_cmp_gt_i32_e64 s[0:1], 10, v3
	s_mov_b64 s[14:15], -1
	s_and_saveexec_b64 s[16:17], s[0:1]
; %bb.115:
	v_cmp_eq_u32_e64 s[0:1], 0, v3
	s_orn2_b64 s[14:15], s[0:1], exec
; %bb.116:
	s_or_b64 exec, exec, s[16:17]
	s_and_b64 exec, exec, s[14:15]
	s_cbranch_execz .LBB319_119
; %bb.117:
	s_add_i32 s0, s8, 24
	s_cmp_gt_u32 s9, s0
	s_cselect_b64 s[14:15], -1, 0
	s_xor_b64 s[16:17], vcc, -1
	s_and_b64 s[14:15], s[14:15], s[16:17]
	s_and_b64 exec, exec, s[14:15]
	s_cbranch_execz .LBB319_119
; %bb.118:
	s_sub_i32 s1, s9, s0
	s_min_u32 s1, s1, 8
	v_lshrrev_b32_e32 v2, s0, v2
	v_bfe_u32 v2, v2, 0, s1
	v_lshlrev_b32_e32 v3, 2, v10
	v_lshl_or_b32 v2, v2, 4, v3
	v_mov_b32_e32 v3, 1
	ds_add_u32 v2, v3 offset:12288
.LBB319_119:
	s_or_b64 exec, exec, s[12:13]
	v_cmp_le_u32_e32 vcc, s11, v12
	v_xor_b32_e32 v2, 0x7fffffff, v8
	s_nor_b64 s[12:13], s[2:3], vcc
	v_mov_b32_e32 v3, s18
	s_and_saveexec_b64 s[0:1], s[12:13]
	s_cbranch_execz .LBB319_121
; %bb.120:
	s_sub_i32 s12, s9, s8
	s_min_u32 s12, s12, 8
	v_lshrrev_b32_e32 v3, s8, v2
	v_bfe_u32 v3, v3, 0, s12
	v_lshlrev_b32_e32 v4, 2, v10
	v_lshl_or_b32 v3, v3, 4, v4
	v_mov_b32_e32 v4, 1
	ds_add_u32 v3, v4
	v_mov_b32_e32 v3, 0
.LBB319_121:
	s_or_b64 exec, exec, s[0:1]
	v_cmp_gt_i32_e64 s[0:1], 10, v3
	s_mov_b64 s[14:15], -1
	s_and_saveexec_b64 s[12:13], s[0:1]
; %bb.122:
	v_cmp_eq_u32_e64 s[0:1], 0, v3
	s_orn2_b64 s[14:15], s[0:1], exec
; %bb.123:
	s_or_b64 exec, exec, s[12:13]
	s_and_saveexec_b64 s[12:13], s[14:15]
	s_cbranch_execz .LBB319_136
; %bb.124:
	s_add_i32 s14, s8, 8
	s_cmp_le_u32 s9, s14
	s_cselect_b64 s[0:1], -1, 0
	s_and_b64 s[16:17], s[0:1], exec
	s_cselect_b32 s15, 8, 10
	s_nor_b64 s[16:17], s[0:1], vcc
	v_mov_b32_e32 v3, s15
	s_and_saveexec_b64 s[0:1], s[16:17]
	s_cbranch_execz .LBB319_126
; %bb.125:
	s_sub_i32 s15, s9, s14
	s_min_u32 s15, s15, 8
	v_lshrrev_b32_e32 v3, s14, v2
	v_bfe_u32 v3, v3, 0, s15
	v_lshlrev_b32_e32 v4, 2, v10
	v_lshl_or_b32 v3, v3, 4, v4
	v_mov_b32_e32 v4, 1
	ds_add_u32 v3, v4 offset:4096
	v_mov_b32_e32 v3, 0
.LBB319_126:
	s_or_b64 exec, exec, s[0:1]
	v_cmp_gt_i32_e64 s[0:1], 10, v3
	s_mov_b64 s[14:15], -1
	s_and_saveexec_b64 s[16:17], s[0:1]
; %bb.127:
	v_cmp_eq_u32_e64 s[0:1], 0, v3
	s_orn2_b64 s[14:15], s[0:1], exec
; %bb.128:
	s_or_b64 exec, exec, s[16:17]
	s_and_b64 exec, exec, s[14:15]
	s_cbranch_execz .LBB319_136
; %bb.129:
	s_add_i32 s14, s8, 16
	s_cmp_le_u32 s9, s14
	s_cselect_b64 s[0:1], -1, 0
	s_and_b64 s[16:17], s[0:1], exec
	s_cselect_b32 s15, 8, 10
	s_nor_b64 s[16:17], s[0:1], vcc
	v_mov_b32_e32 v3, s15
	s_and_saveexec_b64 s[0:1], s[16:17]
	s_cbranch_execz .LBB319_131
; %bb.130:
	s_sub_i32 s15, s9, s14
	s_min_u32 s15, s15, 8
	v_lshrrev_b32_e32 v3, s14, v2
	v_bfe_u32 v3, v3, 0, s15
	v_lshlrev_b32_e32 v4, 2, v10
	v_lshl_or_b32 v3, v3, 4, v4
	v_mov_b32_e32 v4, 1
	ds_add_u32 v3, v4 offset:8192
	v_mov_b32_e32 v3, 0
.LBB319_131:
	s_or_b64 exec, exec, s[0:1]
	v_cmp_gt_i32_e64 s[0:1], 10, v3
	s_mov_b64 s[14:15], -1
	s_and_saveexec_b64 s[16:17], s[0:1]
; %bb.132:
	v_cmp_eq_u32_e64 s[0:1], 0, v3
	s_orn2_b64 s[14:15], s[0:1], exec
; %bb.133:
	s_or_b64 exec, exec, s[16:17]
	s_and_b64 exec, exec, s[14:15]
	s_cbranch_execz .LBB319_136
; %bb.134:
	s_add_i32 s0, s8, 24
	s_cmp_gt_u32 s9, s0
	s_cselect_b64 s[14:15], -1, 0
	s_xor_b64 s[16:17], vcc, -1
	s_and_b64 s[14:15], s[14:15], s[16:17]
	s_and_b64 exec, exec, s[14:15]
	s_cbranch_execz .LBB319_136
; %bb.135:
	s_sub_i32 s1, s9, s0
	s_min_u32 s1, s1, 8
	v_lshrrev_b32_e32 v2, s0, v2
	v_bfe_u32 v2, v2, 0, s1
	v_lshlrev_b32_e32 v3, 2, v10
	v_lshl_or_b32 v2, v2, 4, v3
	v_mov_b32_e32 v3, 1
	ds_add_u32 v2, v3 offset:12288
.LBB319_136:
	s_or_b64 exec, exec, s[12:13]
	v_cmp_le_u32_e32 vcc, s11, v11
	v_xor_b32_e32 v2, 0x7fffffff, v9
	s_nor_b64 s[2:3], s[2:3], vcc
	v_mov_b32_e32 v3, s18
	s_and_saveexec_b64 s[0:1], s[2:3]
	s_cbranch_execz .LBB319_138
; %bb.137:
	s_sub_i32 s2, s9, s8
	s_min_u32 s2, s2, 8
	v_lshrrev_b32_e32 v3, s8, v2
	v_bfe_u32 v3, v3, 0, s2
	v_lshlrev_b32_e32 v4, 2, v10
	v_lshl_or_b32 v3, v3, 4, v4
	v_mov_b32_e32 v4, 1
	ds_add_u32 v3, v4
	v_mov_b32_e32 v3, 0
.LBB319_138:
	s_or_b64 exec, exec, s[0:1]
	v_cmp_gt_i32_e64 s[0:1], 10, v3
	s_mov_b64 s[12:13], -1
	s_and_saveexec_b64 s[2:3], s[0:1]
; %bb.139:
	v_cmp_eq_u32_e64 s[0:1], 0, v3
	s_orn2_b64 s[12:13], s[0:1], exec
; %bb.140:
	s_or_b64 exec, exec, s[2:3]
	s_and_saveexec_b64 s[2:3], s[12:13]
	s_cbranch_execz .LBB319_153
; %bb.141:
	s_add_i32 s11, s8, 8
	s_cmp_le_u32 s9, s11
	s_cselect_b64 s[0:1], -1, 0
	s_and_b64 s[12:13], s[0:1], exec
	s_cselect_b32 s14, 8, 10
	s_nor_b64 s[12:13], s[0:1], vcc
	v_mov_b32_e32 v3, s14
	s_and_saveexec_b64 s[0:1], s[12:13]
	s_cbranch_execz .LBB319_143
; %bb.142:
	s_sub_i32 s12, s9, s11
	s_min_u32 s12, s12, 8
	v_lshrrev_b32_e32 v3, s11, v2
	v_bfe_u32 v3, v3, 0, s12
	v_lshlrev_b32_e32 v4, 2, v10
	v_lshl_or_b32 v3, v3, 4, v4
	v_mov_b32_e32 v4, 1
	ds_add_u32 v3, v4 offset:4096
	v_mov_b32_e32 v3, 0
.LBB319_143:
	s_or_b64 exec, exec, s[0:1]
	v_cmp_gt_i32_e64 s[0:1], 10, v3
	s_mov_b64 s[12:13], -1
	s_and_saveexec_b64 s[14:15], s[0:1]
; %bb.144:
	v_cmp_eq_u32_e64 s[0:1], 0, v3
	s_orn2_b64 s[12:13], s[0:1], exec
; %bb.145:
	s_or_b64 exec, exec, s[14:15]
	s_and_b64 exec, exec, s[12:13]
	s_cbranch_execz .LBB319_153
; %bb.146:
	s_add_i32 s11, s8, 16
	s_cmp_le_u32 s9, s11
	s_cselect_b64 s[0:1], -1, 0
	s_and_b64 s[12:13], s[0:1], exec
	s_cselect_b32 s14, 8, 10
	s_nor_b64 s[12:13], s[0:1], vcc
	v_mov_b32_e32 v3, s14
	s_and_saveexec_b64 s[0:1], s[12:13]
	s_cbranch_execz .LBB319_148
; %bb.147:
	s_sub_i32 s12, s9, s11
	s_min_u32 s12, s12, 8
	v_lshrrev_b32_e32 v3, s11, v2
	v_bfe_u32 v3, v3, 0, s12
	v_lshlrev_b32_e32 v4, 2, v10
	v_lshl_or_b32 v3, v3, 4, v4
	v_mov_b32_e32 v4, 1
	ds_add_u32 v3, v4 offset:8192
	v_mov_b32_e32 v3, 0
.LBB319_148:
	s_or_b64 exec, exec, s[0:1]
	v_cmp_gt_i32_e64 s[0:1], 10, v3
	s_mov_b64 s[12:13], -1
	s_and_saveexec_b64 s[14:15], s[0:1]
; %bb.149:
	v_cmp_eq_u32_e64 s[0:1], 0, v3
	s_orn2_b64 s[12:13], s[0:1], exec
; %bb.150:
	s_or_b64 exec, exec, s[14:15]
	s_and_b64 exec, exec, s[12:13]
	s_cbranch_execz .LBB319_153
; %bb.151:
	s_add_i32 s0, s8, 24
	s_cmp_gt_u32 s9, s0
	s_cselect_b64 s[12:13], -1, 0
	s_xor_b64 s[14:15], vcc, -1
	s_and_b64 s[12:13], s[12:13], s[14:15]
	s_and_b64 exec, exec, s[12:13]
	s_cbranch_execz .LBB319_153
; %bb.152:
	s_sub_i32 s1, s9, s0
	s_min_u32 s1, s1, 8
	v_lshrrev_b32_e32 v2, s0, v2
	v_bfe_u32 v2, v2, 0, s1
	v_lshlrev_b32_e32 v3, 2, v10
	v_lshl_or_b32 v2, v2, 4, v3
	v_mov_b32_e32 v3, 1
	ds_add_u32 v2, v3 offset:12288
.LBB319_153:
	s_or_b64 exec, exec, s[2:3]
	s_cmp_gt_u32 s9, s8
	s_waitcnt lgkmcnt(0)
	s_barrier
	s_cbranch_scc0 .LBB319_158
; %bb.154:
	s_movk_i32 s0, 0x100
	v_cmp_gt_u32_e32 vcc, s0, v0
	v_mad_u32_u24 v1, v0, 12, v1
	v_mov_b32_e32 v3, 0
	v_mov_b32_e32 v2, v0
	s_mov_b32 s2, s8
	s_branch .LBB319_156
.LBB319_155:                            ;   in Loop: Header=BB319_156 Depth=1
	s_or_b64 exec, exec, s[0:1]
	s_add_i32 s2, s2, 8
	v_add_u32_e32 v2, 0x100, v2
	s_cmp_lt_u32 s2, s9
	v_add_u32_e32 v1, 0x1000, v1
	s_cbranch_scc0 .LBB319_158
.LBB319_156:                            ; =>This Inner Loop Header: Depth=1
	s_and_saveexec_b64 s[0:1], vcc
	s_cbranch_execz .LBB319_155
; %bb.157:                              ;   in Loop: Header=BB319_156 Depth=1
	ds_read2_b32 v[4:5], v1 offset1:1
	ds_read2_b32 v[6:7], v1 offset0:2 offset1:3
	s_waitcnt lgkmcnt(1)
	v_add_u32_e32 v4, v5, v4
	s_waitcnt lgkmcnt(0)
	v_add3_u32 v6, v4, v6, v7
	v_lshl_add_u64 v[4:5], v[2:3], 2, s[6:7]
	global_atomic_add v[4:5], v6, off
	s_branch .LBB319_155
.LBB319_158:
	s_mov_b64 s[2:3], 0
.LBB319_159:
	s_and_b64 vcc, exec, s[2:3]
	s_cbranch_vccz .LBB319_219
; %bb.160:
	s_cmp_eq_u32 s8, 0
	s_cselect_b64 s[0:1], -1, 0
	s_cmp_eq_u32 s9, 32
	s_mov_b32 s11, 0
	s_cselect_b64 s[2:3], -1, 0
	s_and_b64 s[2:3], s[0:1], s[2:3]
	s_lshl_b64 s[0:1], s[10:11], 2
	s_add_u32 s0, s4, s0
	s_addc_u32 s1, s5, s1
	v_mov_b32_e32 v3, 0
	v_lshlrev_b32_e32 v2, 2, v0
	v_lshl_add_u64 v[4:5], s[0:1], 0, v[2:3]
	s_movk_i32 s4, 0x2000
	v_add_co_u32_e32 v14, vcc, s4, v4
	s_movk_i32 s4, 0x4000
	s_nop 0
	v_addc_co_u32_e32 v15, vcc, 0, v5, vcc
	v_add_co_u32_e32 v16, vcc, s4, v4
	s_movk_i32 s4, 0x5000
	s_nop 0
	v_addc_co_u32_e32 v17, vcc, 0, v5, vcc
	v_add_co_u32_e32 v18, vcc, s4, v4
	s_nop 1
	v_addc_co_u32_e32 v19, vcc, 0, v5, vcc
	v_add_co_u32_e32 v20, vcc, 0x6000, v4
	;; [unrolled: 3-line block ×3, first 2 shown]
	s_nop 1
	v_addc_co_u32_e32 v5, vcc, 0, v5, vcc
	global_load_dword v1, v2, s[0:1]
	global_load_dword v6, v[14:15], off offset:-4096
	global_load_dword v7, v[14:15], off
	global_load_dword v8, v[16:17], off offset:-4096
	global_load_dword v9, v[16:17], off
	global_load_dword v10, v[18:19], off
	;; [unrolled: 1-line block ×4, first 2 shown]
	s_mov_b64 s[0:1], -1
	s_and_b64 vcc, exec, s[2:3]
	s_cbranch_vccnz .LBB319_216
; %bb.161:
	s_cmp_gt_u32 s9, s8
	s_cselect_b64 s[0:1], -1, 0
	s_and_b64 vcc, exec, s[0:1]
	ds_write2st64_b32 v2, v3, v3 offset1:16
	ds_write2st64_b32 v2, v3, v3 offset0:32 offset1:48
	s_waitcnt lgkmcnt(0)
	s_barrier
	s_cbranch_vccz .LBB319_210
; %bb.162:
	s_sub_i32 s2, s9, s8
	s_waitcnt vmcnt(7)
	v_xor_b32_e32 v13, 0x7fffffff, v1
	s_min_u32 s2, s2, 8
	v_and_b32_e32 v3, 3, v0
	s_lshl_b32 s2, -1, s2
	v_lshrrev_b32_e32 v4, s8, v13
	v_bitop3_b32 v14, v4, s2, v4 bitop3:0x30
	v_lshlrev_b32_e32 v4, 2, v3
	v_lshl_or_b32 v14, v14, 4, v4
	v_mov_b32_e32 v15, 1
	s_not_b32 s13, s2
	ds_add_u32 v14, v15
	s_add_i32 s12, s8, 8
	s_waitcnt vmcnt(6)
	v_xor_b32_e32 v5, 0x7fffffff, v6
	s_cmp_le_u32 s9, s12
	s_cselect_b64 s[2:3], -1, 0
	v_lshrrev_b32_e32 v14, s8, v5
	s_and_b64 vcc, exec, s[2:3]
	v_and_b32_e32 v14, s13, v14
	s_cbranch_vccz .LBB319_164
; %bb.163:
	v_lshlrev_b32_e32 v15, 4, v14
	s_mov_b64 s[4:5], -1
	s_cbranch_execz .LBB319_165
	s_branch .LBB319_172
.LBB319_164:
	s_mov_b64 s[4:5], 0
                                        ; implicit-def: $vgpr15
.LBB319_165:
	s_sub_i32 s10, s9, s12
	s_min_u32 s10, s10, 8
	s_lshl_b32 s10, -1, s10
	v_lshrrev_b32_e32 v15, s12, v13
	v_bitop3_b32 v15, v15, s10, v15 bitop3:0x30
	v_lshl_or_b32 v16, v15, 4, v4
	v_mov_b32_e32 v15, 1
	ds_add_u32 v16, v15 offset:4096
	s_not_b32 s15, s10
	s_add_i32 s14, s8, 16
	s_cmp_gt_u32 s9, s14
	s_cselect_b64 s[10:11], -1, 0
	s_cmp_le_u32 s9, s14
	s_cbranch_scc1 .LBB319_168
; %bb.166:
	s_sub_i32 s16, s9, s14
	s_min_u32 s16, s16, 8
	v_lshrrev_b32_e32 v16, s14, v13
	v_bfe_u32 v16, v16, 0, s16
	v_lshl_or_b32 v16, v16, 4, v4
	ds_add_u32 v16, v15 offset:8192
	s_add_i32 s16, s8, 24
	s_cmp_le_u32 s9, s16
	s_cbranch_scc1 .LBB319_168
; %bb.167:
	s_sub_i32 s17, s9, s16
	s_min_u32 s17, s17, 8
	v_lshrrev_b32_e32 v13, s16, v13
	v_bfe_u32 v13, v13, 0, s17
	v_lshl_or_b32 v13, v13, 4, v4
	v_mov_b32_e32 v16, 1
	ds_add_u32 v13, v16 offset:12288
.LBB319_168:
	v_lshl_or_b32 v13, v14, 4, v4
	ds_add_u32 v13, v15
	v_lshrrev_b32_e32 v13, s12, v5
	v_and_b32_e32 v13, s15, v13
	v_lshl_or_b32 v13, v13, 4, v4
	ds_add_u32 v13, v15 offset:4096
	s_andn2_b64 vcc, exec, s[10:11]
	s_cbranch_vccnz .LBB319_171
; %bb.169:
	s_sub_i32 s10, s9, s14
	s_min_u32 s10, s10, 8
	v_lshrrev_b32_e32 v13, s14, v5
	v_bfe_u32 v13, v13, 0, s10
	v_lshl_or_b32 v13, v13, 4, v4
	v_mov_b32_e32 v14, 1
	ds_add_u32 v13, v14 offset:8192
	s_add_i32 s10, s8, 24
	s_cmp_gt_u32 s9, s10
                                        ; implicit-def: $vgpr15
	s_cbranch_scc0 .LBB319_172
; %bb.170:
	s_sub_i32 s4, s9, s10
	s_min_u32 s4, s4, 8
	v_lshrrev_b32_e32 v5, s10, v5
	v_bfe_u32 v5, v5, 0, s4
	v_mov_b32_e32 v13, 0x3000
	v_lshl_add_u32 v15, v5, 4, v13
	s_mov_b64 s[4:5], -1
	s_branch .LBB319_172
.LBB319_171:
                                        ; implicit-def: $vgpr15
.LBB319_172:
	s_and_b64 vcc, exec, s[4:5]
	s_cbranch_vccz .LBB319_174
; %bb.173:
	v_lshl_add_u32 v5, v3, 2, v15
	v_mov_b32_e32 v13, 1
	ds_add_u32 v5, v13
.LBB319_174:
	s_waitcnt vmcnt(5)
	v_xor_b32_e32 v13, 0x7fffffff, v7
	v_lshrrev_b32_e32 v14, s8, v13
	v_and_b32_e32 v14, s13, v14
	v_lshl_or_b32 v14, v14, 4, v4
	v_mov_b32_e32 v15, 1
	ds_add_u32 v14, v15
	s_waitcnt vmcnt(4)
	v_xor_b32_e32 v5, 0x7fffffff, v8
	v_lshrrev_b32_e32 v14, s8, v5
	s_and_b64 vcc, exec, s[2:3]
	v_and_b32_e32 v14, s13, v14
	s_cbranch_vccz .LBB319_176
; %bb.175:
	v_lshlrev_b32_e32 v15, 4, v14
	s_mov_b64 s[4:5], -1
	s_cbranch_execz .LBB319_177
	s_branch .LBB319_184
.LBB319_176:
	s_mov_b64 s[4:5], 0
                                        ; implicit-def: $vgpr15
.LBB319_177:
	s_sub_i32 s10, s9, s12
	s_min_u32 s10, s10, 8
	s_lshl_b32 s10, -1, s10
	v_lshrrev_b32_e32 v15, s12, v13
	v_bitop3_b32 v15, v15, s10, v15 bitop3:0x30
	v_lshl_or_b32 v16, v15, 4, v4
	v_mov_b32_e32 v15, 1
	ds_add_u32 v16, v15 offset:4096
	s_not_b32 s15, s10
	s_add_i32 s14, s8, 16
	s_cmp_gt_u32 s9, s14
	s_cselect_b64 s[10:11], -1, 0
	s_cmp_le_u32 s9, s14
	s_cbranch_scc1 .LBB319_180
; %bb.178:
	s_sub_i32 s16, s9, s14
	s_min_u32 s16, s16, 8
	v_lshrrev_b32_e32 v16, s14, v13
	v_bfe_u32 v16, v16, 0, s16
	v_lshl_or_b32 v16, v16, 4, v4
	ds_add_u32 v16, v15 offset:8192
	s_add_i32 s16, s8, 24
	s_cmp_le_u32 s9, s16
	s_cbranch_scc1 .LBB319_180
; %bb.179:
	s_sub_i32 s17, s9, s16
	s_min_u32 s17, s17, 8
	v_lshrrev_b32_e32 v13, s16, v13
	v_bfe_u32 v13, v13, 0, s17
	v_lshl_or_b32 v13, v13, 4, v4
	v_mov_b32_e32 v16, 1
	ds_add_u32 v13, v16 offset:12288
.LBB319_180:
	v_lshl_or_b32 v13, v14, 4, v4
	ds_add_u32 v13, v15
	v_lshrrev_b32_e32 v13, s12, v5
	v_and_b32_e32 v13, s15, v13
	v_lshl_or_b32 v13, v13, 4, v4
	ds_add_u32 v13, v15 offset:4096
	s_andn2_b64 vcc, exec, s[10:11]
	s_cbranch_vccnz .LBB319_183
; %bb.181:
	s_sub_i32 s10, s9, s14
	s_min_u32 s10, s10, 8
	v_lshrrev_b32_e32 v13, s14, v5
	v_bfe_u32 v13, v13, 0, s10
	v_lshl_or_b32 v13, v13, 4, v4
	v_mov_b32_e32 v14, 1
	ds_add_u32 v13, v14 offset:8192
	s_add_i32 s10, s8, 24
	s_cmp_gt_u32 s9, s10
                                        ; implicit-def: $vgpr15
	s_cbranch_scc0 .LBB319_184
; %bb.182:
	s_sub_i32 s4, s9, s10
	s_min_u32 s4, s4, 8
	v_lshrrev_b32_e32 v5, s10, v5
	v_bfe_u32 v5, v5, 0, s4
	v_mov_b32_e32 v13, 0x3000
	v_lshl_add_u32 v15, v5, 4, v13
	s_mov_b64 s[4:5], -1
	s_branch .LBB319_184
.LBB319_183:
                                        ; implicit-def: $vgpr15
.LBB319_184:
	s_and_b64 vcc, exec, s[4:5]
	s_cbranch_vccz .LBB319_186
; %bb.185:
	v_lshl_add_u32 v5, v3, 2, v15
	v_mov_b32_e32 v13, 1
	ds_add_u32 v5, v13
.LBB319_186:
	s_waitcnt vmcnt(3)
	v_xor_b32_e32 v13, 0x7fffffff, v9
	v_lshrrev_b32_e32 v14, s8, v13
	v_and_b32_e32 v14, s13, v14
	v_lshl_or_b32 v14, v14, 4, v4
	v_mov_b32_e32 v15, 1
	ds_add_u32 v14, v15
	s_waitcnt vmcnt(2)
	v_xor_b32_e32 v5, 0x7fffffff, v10
	v_lshrrev_b32_e32 v14, s8, v5
	s_and_b64 vcc, exec, s[2:3]
	v_and_b32_e32 v14, s13, v14
	s_cbranch_vccz .LBB319_188
; %bb.187:
	v_lshlrev_b32_e32 v15, 4, v14
	s_mov_b64 s[4:5], -1
	s_cbranch_execz .LBB319_189
	s_branch .LBB319_196
.LBB319_188:
	s_mov_b64 s[4:5], 0
                                        ; implicit-def: $vgpr15
.LBB319_189:
	s_sub_i32 s10, s9, s12
	s_min_u32 s10, s10, 8
	s_lshl_b32 s10, -1, s10
	v_lshrrev_b32_e32 v15, s12, v13
	v_bitop3_b32 v15, v15, s10, v15 bitop3:0x30
	v_lshl_or_b32 v16, v15, 4, v4
	v_mov_b32_e32 v15, 1
	ds_add_u32 v16, v15 offset:4096
	s_not_b32 s15, s10
	s_add_i32 s14, s8, 16
	s_cmp_gt_u32 s9, s14
	s_cselect_b64 s[10:11], -1, 0
	s_cmp_le_u32 s9, s14
	s_cbranch_scc1 .LBB319_192
; %bb.190:
	s_sub_i32 s16, s9, s14
	s_min_u32 s16, s16, 8
	v_lshrrev_b32_e32 v16, s14, v13
	v_bfe_u32 v16, v16, 0, s16
	v_lshl_or_b32 v16, v16, 4, v4
	ds_add_u32 v16, v15 offset:8192
	s_add_i32 s16, s8, 24
	s_cmp_le_u32 s9, s16
	s_cbranch_scc1 .LBB319_192
; %bb.191:
	s_sub_i32 s17, s9, s16
	s_min_u32 s17, s17, 8
	v_lshrrev_b32_e32 v13, s16, v13
	v_bfe_u32 v13, v13, 0, s17
	v_lshl_or_b32 v13, v13, 4, v4
	v_mov_b32_e32 v16, 1
	ds_add_u32 v13, v16 offset:12288
.LBB319_192:
	v_lshl_or_b32 v13, v14, 4, v4
	ds_add_u32 v13, v15
	v_lshrrev_b32_e32 v13, s12, v5
	v_and_b32_e32 v13, s15, v13
	v_lshl_or_b32 v13, v13, 4, v4
	ds_add_u32 v13, v15 offset:4096
	s_andn2_b64 vcc, exec, s[10:11]
	s_cbranch_vccnz .LBB319_195
; %bb.193:
	s_sub_i32 s10, s9, s14
	s_min_u32 s10, s10, 8
	v_lshrrev_b32_e32 v13, s14, v5
	v_bfe_u32 v13, v13, 0, s10
	v_lshl_or_b32 v13, v13, 4, v4
	v_mov_b32_e32 v14, 1
	ds_add_u32 v13, v14 offset:8192
	s_add_i32 s10, s8, 24
	s_cmp_gt_u32 s9, s10
                                        ; implicit-def: $vgpr15
	s_cbranch_scc0 .LBB319_196
; %bb.194:
	s_sub_i32 s4, s9, s10
	s_min_u32 s4, s4, 8
	v_lshrrev_b32_e32 v5, s10, v5
	v_bfe_u32 v5, v5, 0, s4
	v_mov_b32_e32 v13, 0x3000
	v_lshl_add_u32 v15, v5, 4, v13
	s_mov_b64 s[4:5], -1
	s_branch .LBB319_196
.LBB319_195:
                                        ; implicit-def: $vgpr15
.LBB319_196:
	s_and_b64 vcc, exec, s[4:5]
	s_cbranch_vccz .LBB319_198
; %bb.197:
	v_lshl_add_u32 v5, v3, 2, v15
	v_mov_b32_e32 v13, 1
	ds_add_u32 v5, v13
.LBB319_198:
	s_waitcnt vmcnt(1)
	v_xor_b32_e32 v13, 0x7fffffff, v11
	v_lshrrev_b32_e32 v14, s8, v13
	v_and_b32_e32 v14, s13, v14
	v_lshl_or_b32 v14, v14, 4, v4
	v_mov_b32_e32 v15, 1
	ds_add_u32 v14, v15
	s_waitcnt vmcnt(0)
	v_xor_b32_e32 v5, 0x7fffffff, v12
	v_lshrrev_b32_e32 v14, s8, v5
	s_and_b64 vcc, exec, s[2:3]
	v_and_b32_e32 v14, s13, v14
	s_cbranch_vccz .LBB319_200
; %bb.199:
	v_lshlrev_b32_e32 v15, 4, v14
	s_mov_b64 s[2:3], -1
	s_cbranch_execz .LBB319_201
	s_branch .LBB319_208
.LBB319_200:
	s_mov_b64 s[2:3], 0
                                        ; implicit-def: $vgpr15
.LBB319_201:
	s_sub_i32 s4, s9, s12
	s_min_u32 s4, s4, 8
	s_lshl_b32 s4, -1, s4
	v_lshrrev_b32_e32 v15, s12, v13
	v_bitop3_b32 v15, v15, s4, v15 bitop3:0x30
	v_lshl_or_b32 v16, v15, 4, v4
	v_mov_b32_e32 v15, 1
	ds_add_u32 v16, v15 offset:4096
	s_not_b32 s11, s4
	s_add_i32 s10, s8, 16
	s_cmp_gt_u32 s9, s10
	s_cselect_b64 s[4:5], -1, 0
	s_cmp_le_u32 s9, s10
	s_cbranch_scc1 .LBB319_204
; %bb.202:
	s_sub_i32 s13, s9, s10
	s_min_u32 s13, s13, 8
	v_lshrrev_b32_e32 v16, s10, v13
	v_bfe_u32 v16, v16, 0, s13
	v_lshl_or_b32 v16, v16, 4, v4
	ds_add_u32 v16, v15 offset:8192
	s_add_i32 s13, s8, 24
	s_cmp_le_u32 s9, s13
	s_cbranch_scc1 .LBB319_204
; %bb.203:
	s_sub_i32 s14, s9, s13
	s_min_u32 s14, s14, 8
	v_lshrrev_b32_e32 v13, s13, v13
	v_bfe_u32 v13, v13, 0, s14
	v_lshl_or_b32 v13, v13, 4, v4
	v_mov_b32_e32 v16, 1
	ds_add_u32 v13, v16 offset:12288
.LBB319_204:
	v_lshl_or_b32 v13, v14, 4, v4
	ds_add_u32 v13, v15
	v_lshrrev_b32_e32 v13, s12, v5
	v_and_b32_e32 v13, s11, v13
	v_lshl_or_b32 v13, v13, 4, v4
	ds_add_u32 v13, v15 offset:4096
	s_andn2_b64 vcc, exec, s[4:5]
	s_cbranch_vccnz .LBB319_207
; %bb.205:
	s_sub_i32 s4, s9, s10
	s_min_u32 s4, s4, 8
	v_lshrrev_b32_e32 v13, s10, v5
	v_bfe_u32 v13, v13, 0, s4
	v_lshl_or_b32 v4, v13, 4, v4
	v_mov_b32_e32 v13, 1
	ds_add_u32 v4, v13 offset:8192
	s_add_i32 s4, s8, 24
	s_cmp_gt_u32 s9, s4
                                        ; implicit-def: $vgpr15
	s_cbranch_scc0 .LBB319_208
; %bb.206:
	s_sub_i32 s2, s9, s4
	s_min_u32 s2, s2, 8
	v_lshrrev_b32_e32 v4, s4, v5
	v_bfe_u32 v4, v4, 0, s2
	v_mov_b32_e32 v5, 0x3000
	v_lshl_add_u32 v15, v4, 4, v5
	s_mov_b64 s[2:3], -1
	s_branch .LBB319_208
.LBB319_207:
                                        ; implicit-def: $vgpr15
.LBB319_208:
	s_and_b64 vcc, exec, s[2:3]
	s_cbranch_vccz .LBB319_210
; %bb.209:
	v_lshl_add_u32 v3, v3, 2, v15
	v_mov_b32_e32 v4, 1
	ds_add_u32 v3, v4
.LBB319_210:
	s_and_b64 vcc, exec, s[0:1]
	s_waitcnt lgkmcnt(0)
	s_barrier
	s_cbranch_vccz .LBB319_215
; %bb.211:
	s_movk_i32 s0, 0x100
	v_cmp_gt_u32_e32 vcc, s0, v0
	v_lshlrev_b32_e32 v3, 4, v0
	v_mov_b32_e32 v5, 0
	v_mov_b32_e32 v4, v0
	s_branch .LBB319_213
.LBB319_212:                            ;   in Loop: Header=BB319_213 Depth=1
	s_or_b64 exec, exec, s[0:1]
	s_add_i32 s8, s8, 8
	v_add_u32_e32 v4, 0x100, v4
	s_cmp_ge_u32 s8, s9
	v_add_u32_e32 v3, 0x1000, v3
	s_cbranch_scc1 .LBB319_215
.LBB319_213:                            ; =>This Inner Loop Header: Depth=1
	s_and_saveexec_b64 s[0:1], vcc
	s_cbranch_execz .LBB319_212
; %bb.214:                              ;   in Loop: Header=BB319_213 Depth=1
	ds_read2_b32 v[14:15], v3 offset1:1
	ds_read2_b32 v[16:17], v3 offset0:2 offset1:3
	s_waitcnt lgkmcnt(1)
	v_add_u32_e32 v13, v15, v14
	s_waitcnt lgkmcnt(0)
	v_add3_u32 v13, v13, v16, v17
	v_lshl_add_u64 v[14:15], v[4:5], 2, s[6:7]
	global_atomic_add v[14:15], v13, off
	s_branch .LBB319_212
.LBB319_215:
	s_mov_b64 s[0:1], 0
.LBB319_216:
	s_and_b64 vcc, exec, s[0:1]
	s_cbranch_vccz .LBB319_219
; %bb.217:
	s_waitcnt vmcnt(7)
	v_xor_b32_e32 v1, 0x7fffffff, v1
	s_waitcnt vmcnt(5)
	v_xor_b32_e32 v4, 0x7fffffff, v7
	;; [unrolled: 2-line block ×3, first 2 shown]
	v_and_b32_e32 v10, 3, v0
	v_mov_b32_e32 v3, 0
	v_xor_b32_e32 v5, 0x7fffffff, v8
	s_waitcnt vmcnt(1)
	v_xor_b32_e32 v8, 0x7fffffff, v11
	v_lshlrev_b32_e32 v11, 4, v1
	v_lshlrev_b32_e32 v10, 2, v10
	s_movk_i32 s0, 0xff0
	ds_write2st64_b32 v2, v3, v3 offset1:16
	ds_write2st64_b32 v2, v3, v3 offset0:32 offset1:48
	v_xor_b32_e32 v3, 0x7fffffff, v6
	v_xor_b32_e32 v6, 0x7fffffff, v9
	s_waitcnt vmcnt(0)
	v_xor_b32_e32 v9, 0x7fffffff, v12
	v_and_or_b32 v11, v11, s0, v10
	v_mov_b32_e32 v12, 1
	s_waitcnt lgkmcnt(0)
	s_barrier
	ds_add_u32 v11, v12
	v_bfe_u32 v11, v1, 8, 8
	v_lshl_or_b32 v11, v11, 4, v10
	ds_add_u32 v11, v12 offset:4096
	v_bfe_u32 v11, v1, 16, 8
	v_lshl_or_b32 v11, v11, 4, v10
	v_lshrrev_b32_e32 v1, 24, v1
	ds_add_u32 v11, v12 offset:8192
	v_lshl_or_b32 v1, v1, 4, v10
	ds_add_u32 v1, v12 offset:12288
	v_lshlrev_b32_e32 v1, 4, v3
	v_and_or_b32 v1, v1, s0, v10
	ds_add_u32 v1, v12
	v_bfe_u32 v1, v3, 8, 8
	v_lshl_or_b32 v1, v1, 4, v10
	ds_add_u32 v1, v12 offset:4096
	v_bfe_u32 v1, v3, 16, 8
	v_lshl_or_b32 v1, v1, 4, v10
	ds_add_u32 v1, v12 offset:8192
	v_lshrrev_b32_e32 v1, 24, v3
	v_lshl_or_b32 v1, v1, 4, v10
	ds_add_u32 v1, v12 offset:12288
	v_lshlrev_b32_e32 v1, 4, v4
	v_and_or_b32 v1, v1, s0, v10
	ds_add_u32 v1, v12
	v_bfe_u32 v1, v4, 8, 8
	v_lshl_or_b32 v1, v1, 4, v10
	ds_add_u32 v1, v12 offset:4096
	v_bfe_u32 v1, v4, 16, 8
	v_lshl_or_b32 v1, v1, 4, v10
	ds_add_u32 v1, v12 offset:8192
	v_lshrrev_b32_e32 v1, 24, v4
	v_lshl_or_b32 v1, v1, 4, v10
	ds_add_u32 v1, v12 offset:12288
	v_lshlrev_b32_e32 v1, 4, v5
	v_and_or_b32 v1, v1, s0, v10
	ds_add_u32 v1, v12
	v_bfe_u32 v1, v5, 8, 8
	v_lshl_or_b32 v1, v1, 4, v10
	ds_add_u32 v1, v12 offset:4096
	v_bfe_u32 v1, v5, 16, 8
	v_lshl_or_b32 v1, v1, 4, v10
	ds_add_u32 v1, v12 offset:8192
	v_lshrrev_b32_e32 v1, 24, v5
	v_lshl_or_b32 v1, v1, 4, v10
	ds_add_u32 v1, v12 offset:12288
	v_lshlrev_b32_e32 v1, 4, v6
	v_and_or_b32 v1, v1, s0, v10
	ds_add_u32 v1, v12
	v_bfe_u32 v1, v6, 8, 8
	v_lshl_or_b32 v1, v1, 4, v10
	ds_add_u32 v1, v12 offset:4096
	v_bfe_u32 v1, v6, 16, 8
	v_lshl_or_b32 v1, v1, 4, v10
	ds_add_u32 v1, v12 offset:8192
	v_lshrrev_b32_e32 v1, 24, v6
	v_lshl_or_b32 v1, v1, 4, v10
	ds_add_u32 v1, v12 offset:12288
	v_lshlrev_b32_e32 v1, 4, v7
	v_and_or_b32 v1, v1, s0, v10
	ds_add_u32 v1, v12
	v_bfe_u32 v1, v7, 8, 8
	v_lshl_or_b32 v1, v1, 4, v10
	ds_add_u32 v1, v12 offset:4096
	v_bfe_u32 v1, v7, 16, 8
	v_lshl_or_b32 v1, v1, 4, v10
	ds_add_u32 v1, v12 offset:8192
	v_lshrrev_b32_e32 v1, 24, v7
	v_lshl_or_b32 v1, v1, 4, v10
	ds_add_u32 v1, v12 offset:12288
	v_lshlrev_b32_e32 v1, 4, v8
	v_and_or_b32 v1, v1, s0, v10
	ds_add_u32 v1, v12
	v_bfe_u32 v1, v8, 8, 8
	v_lshl_or_b32 v1, v1, 4, v10
	ds_add_u32 v1, v12 offset:4096
	v_bfe_u32 v1, v8, 16, 8
	v_lshl_or_b32 v1, v1, 4, v10
	ds_add_u32 v1, v12 offset:8192
	v_lshrrev_b32_e32 v1, 24, v8
	v_lshl_or_b32 v1, v1, 4, v10
	ds_add_u32 v1, v12 offset:12288
	v_lshlrev_b32_e32 v1, 4, v9
	v_and_or_b32 v1, v1, s0, v10
	ds_add_u32 v1, v12
	v_bfe_u32 v1, v9, 8, 8
	v_lshl_or_b32 v1, v1, 4, v10
	ds_add_u32 v1, v12 offset:4096
	v_bfe_u32 v1, v9, 16, 8
	v_lshl_or_b32 v1, v1, 4, v10
	ds_add_u32 v1, v12 offset:8192
	v_lshrrev_b32_e32 v1, 24, v9
	v_lshl_or_b32 v1, v1, 4, v10
	ds_add_u32 v1, v12 offset:12288
	s_movk_i32 s0, 0x100
	v_cmp_gt_u32_e32 vcc, s0, v0
	s_waitcnt lgkmcnt(0)
	s_barrier
	s_and_saveexec_b64 s[0:1], vcc
	s_cbranch_execz .LBB319_219
; %bb.218:
	v_lshlrev_b32_e32 v3, 4, v0
	ds_read2_b32 v[0:1], v3 offset1:1
	ds_read2_b32 v[4:5], v3 offset0:2 offset1:3
	v_add_u32_e32 v6, 0x1000, v3
	v_add_u32_e32 v7, 0x1008, v3
	s_waitcnt lgkmcnt(1)
	v_add_u32_e32 v0, v1, v0
	s_waitcnt lgkmcnt(0)
	v_add3_u32 v0, v0, v4, v5
	global_atomic_add v2, v0, s[6:7]
	ds_read2_b32 v[0:1], v6 offset1:1
	ds_read2_b32 v[4:5], v7 offset1:1
	v_add_u32_e32 v6, 0x2000, v3
	v_add_u32_e32 v7, 0x2008, v3
	s_waitcnt lgkmcnt(1)
	v_add_u32_e32 v0, v1, v0
	s_waitcnt lgkmcnt(0)
	v_add3_u32 v0, v0, v4, v5
	global_atomic_add v2, v0, s[6:7] offset:1024
	ds_read2_b32 v[0:1], v6 offset1:1
	ds_read2_b32 v[4:5], v7 offset1:1
	v_add_u32_e32 v6, 0x3000, v3
	v_add_u32_e32 v3, 0x3008, v3
	s_waitcnt lgkmcnt(1)
	v_add_u32_e32 v0, v1, v0
	s_waitcnt lgkmcnt(0)
	v_add3_u32 v0, v0, v4, v5
	global_atomic_add v2, v0, s[6:7] offset:2048
	ds_read2_b32 v[0:1], v6 offset1:1
	ds_read2_b32 v[4:5], v3 offset1:1
	s_waitcnt lgkmcnt(1)
	v_add_u32_e32 v0, v1, v0
	s_waitcnt lgkmcnt(0)
	v_add3_u32 v0, v0, v4, v5
	global_atomic_add v2, v0, s[6:7] offset:3072
.LBB319_219:
	s_endpgm
	.section	.rodata,"a",@progbits
	.p2align	6, 0x0
	.amdhsa_kernel _ZN7rocprim17ROCPRIM_400000_NS6detail17trampoline_kernelINS0_14default_configENS1_35radix_sort_onesweep_config_selectorIiNS0_10empty_typeEEEZNS1_34radix_sort_onesweep_global_offsetsIS3_Lb1EN6thrust23THRUST_200600_302600_NS6detail15normal_iteratorINS9_10device_ptrIiEEEEPS5_jNS0_19identity_decomposerEEE10hipError_tT1_T2_PT3_SK_jT4_jjP12ihipStream_tbEUlT_E_NS1_11comp_targetILNS1_3genE6ELNS1_11target_archE950ELNS1_3gpuE13ELNS1_3repE0EEENS1_52radix_sort_onesweep_histogram_config_static_selectorELNS0_4arch9wavefront6targetE1EEEvSI_
		.amdhsa_group_segment_fixed_size 16384
		.amdhsa_private_segment_fixed_size 0
		.amdhsa_kernarg_size 40
		.amdhsa_user_sgpr_count 2
		.amdhsa_user_sgpr_dispatch_ptr 0
		.amdhsa_user_sgpr_queue_ptr 0
		.amdhsa_user_sgpr_kernarg_segment_ptr 1
		.amdhsa_user_sgpr_dispatch_id 0
		.amdhsa_user_sgpr_kernarg_preload_length 0
		.amdhsa_user_sgpr_kernarg_preload_offset 0
		.amdhsa_user_sgpr_private_segment_size 0
		.amdhsa_uses_dynamic_stack 0
		.amdhsa_enable_private_segment 0
		.amdhsa_system_sgpr_workgroup_id_x 1
		.amdhsa_system_sgpr_workgroup_id_y 0
		.amdhsa_system_sgpr_workgroup_id_z 0
		.amdhsa_system_sgpr_workgroup_info 0
		.amdhsa_system_vgpr_workitem_id 0
		.amdhsa_next_free_vgpr 22
		.amdhsa_next_free_sgpr 19
		.amdhsa_accum_offset 24
		.amdhsa_reserve_vcc 1
		.amdhsa_float_round_mode_32 0
		.amdhsa_float_round_mode_16_64 0
		.amdhsa_float_denorm_mode_32 3
		.amdhsa_float_denorm_mode_16_64 3
		.amdhsa_dx10_clamp 1
		.amdhsa_ieee_mode 1
		.amdhsa_fp16_overflow 0
		.amdhsa_tg_split 0
		.amdhsa_exception_fp_ieee_invalid_op 0
		.amdhsa_exception_fp_denorm_src 0
		.amdhsa_exception_fp_ieee_div_zero 0
		.amdhsa_exception_fp_ieee_overflow 0
		.amdhsa_exception_fp_ieee_underflow 0
		.amdhsa_exception_fp_ieee_inexact 0
		.amdhsa_exception_int_div_zero 0
	.end_amdhsa_kernel
	.section	.text._ZN7rocprim17ROCPRIM_400000_NS6detail17trampoline_kernelINS0_14default_configENS1_35radix_sort_onesweep_config_selectorIiNS0_10empty_typeEEEZNS1_34radix_sort_onesweep_global_offsetsIS3_Lb1EN6thrust23THRUST_200600_302600_NS6detail15normal_iteratorINS9_10device_ptrIiEEEEPS5_jNS0_19identity_decomposerEEE10hipError_tT1_T2_PT3_SK_jT4_jjP12ihipStream_tbEUlT_E_NS1_11comp_targetILNS1_3genE6ELNS1_11target_archE950ELNS1_3gpuE13ELNS1_3repE0EEENS1_52radix_sort_onesweep_histogram_config_static_selectorELNS0_4arch9wavefront6targetE1EEEvSI_,"axG",@progbits,_ZN7rocprim17ROCPRIM_400000_NS6detail17trampoline_kernelINS0_14default_configENS1_35radix_sort_onesweep_config_selectorIiNS0_10empty_typeEEEZNS1_34radix_sort_onesweep_global_offsetsIS3_Lb1EN6thrust23THRUST_200600_302600_NS6detail15normal_iteratorINS9_10device_ptrIiEEEEPS5_jNS0_19identity_decomposerEEE10hipError_tT1_T2_PT3_SK_jT4_jjP12ihipStream_tbEUlT_E_NS1_11comp_targetILNS1_3genE6ELNS1_11target_archE950ELNS1_3gpuE13ELNS1_3repE0EEENS1_52radix_sort_onesweep_histogram_config_static_selectorELNS0_4arch9wavefront6targetE1EEEvSI_,comdat
.Lfunc_end319:
	.size	_ZN7rocprim17ROCPRIM_400000_NS6detail17trampoline_kernelINS0_14default_configENS1_35radix_sort_onesweep_config_selectorIiNS0_10empty_typeEEEZNS1_34radix_sort_onesweep_global_offsetsIS3_Lb1EN6thrust23THRUST_200600_302600_NS6detail15normal_iteratorINS9_10device_ptrIiEEEEPS5_jNS0_19identity_decomposerEEE10hipError_tT1_T2_PT3_SK_jT4_jjP12ihipStream_tbEUlT_E_NS1_11comp_targetILNS1_3genE6ELNS1_11target_archE950ELNS1_3gpuE13ELNS1_3repE0EEENS1_52radix_sort_onesweep_histogram_config_static_selectorELNS0_4arch9wavefront6targetE1EEEvSI_, .Lfunc_end319-_ZN7rocprim17ROCPRIM_400000_NS6detail17trampoline_kernelINS0_14default_configENS1_35radix_sort_onesweep_config_selectorIiNS0_10empty_typeEEEZNS1_34radix_sort_onesweep_global_offsetsIS3_Lb1EN6thrust23THRUST_200600_302600_NS6detail15normal_iteratorINS9_10device_ptrIiEEEEPS5_jNS0_19identity_decomposerEEE10hipError_tT1_T2_PT3_SK_jT4_jjP12ihipStream_tbEUlT_E_NS1_11comp_targetILNS1_3genE6ELNS1_11target_archE950ELNS1_3gpuE13ELNS1_3repE0EEENS1_52radix_sort_onesweep_histogram_config_static_selectorELNS0_4arch9wavefront6targetE1EEEvSI_
                                        ; -- End function
	.set _ZN7rocprim17ROCPRIM_400000_NS6detail17trampoline_kernelINS0_14default_configENS1_35radix_sort_onesweep_config_selectorIiNS0_10empty_typeEEEZNS1_34radix_sort_onesweep_global_offsetsIS3_Lb1EN6thrust23THRUST_200600_302600_NS6detail15normal_iteratorINS9_10device_ptrIiEEEEPS5_jNS0_19identity_decomposerEEE10hipError_tT1_T2_PT3_SK_jT4_jjP12ihipStream_tbEUlT_E_NS1_11comp_targetILNS1_3genE6ELNS1_11target_archE950ELNS1_3gpuE13ELNS1_3repE0EEENS1_52radix_sort_onesweep_histogram_config_static_selectorELNS0_4arch9wavefront6targetE1EEEvSI_.num_vgpr, 22
	.set _ZN7rocprim17ROCPRIM_400000_NS6detail17trampoline_kernelINS0_14default_configENS1_35radix_sort_onesweep_config_selectorIiNS0_10empty_typeEEEZNS1_34radix_sort_onesweep_global_offsetsIS3_Lb1EN6thrust23THRUST_200600_302600_NS6detail15normal_iteratorINS9_10device_ptrIiEEEEPS5_jNS0_19identity_decomposerEEE10hipError_tT1_T2_PT3_SK_jT4_jjP12ihipStream_tbEUlT_E_NS1_11comp_targetILNS1_3genE6ELNS1_11target_archE950ELNS1_3gpuE13ELNS1_3repE0EEENS1_52radix_sort_onesweep_histogram_config_static_selectorELNS0_4arch9wavefront6targetE1EEEvSI_.num_agpr, 0
	.set _ZN7rocprim17ROCPRIM_400000_NS6detail17trampoline_kernelINS0_14default_configENS1_35radix_sort_onesweep_config_selectorIiNS0_10empty_typeEEEZNS1_34radix_sort_onesweep_global_offsetsIS3_Lb1EN6thrust23THRUST_200600_302600_NS6detail15normal_iteratorINS9_10device_ptrIiEEEEPS5_jNS0_19identity_decomposerEEE10hipError_tT1_T2_PT3_SK_jT4_jjP12ihipStream_tbEUlT_E_NS1_11comp_targetILNS1_3genE6ELNS1_11target_archE950ELNS1_3gpuE13ELNS1_3repE0EEENS1_52radix_sort_onesweep_histogram_config_static_selectorELNS0_4arch9wavefront6targetE1EEEvSI_.numbered_sgpr, 19
	.set _ZN7rocprim17ROCPRIM_400000_NS6detail17trampoline_kernelINS0_14default_configENS1_35radix_sort_onesweep_config_selectorIiNS0_10empty_typeEEEZNS1_34radix_sort_onesweep_global_offsetsIS3_Lb1EN6thrust23THRUST_200600_302600_NS6detail15normal_iteratorINS9_10device_ptrIiEEEEPS5_jNS0_19identity_decomposerEEE10hipError_tT1_T2_PT3_SK_jT4_jjP12ihipStream_tbEUlT_E_NS1_11comp_targetILNS1_3genE6ELNS1_11target_archE950ELNS1_3gpuE13ELNS1_3repE0EEENS1_52radix_sort_onesweep_histogram_config_static_selectorELNS0_4arch9wavefront6targetE1EEEvSI_.num_named_barrier, 0
	.set _ZN7rocprim17ROCPRIM_400000_NS6detail17trampoline_kernelINS0_14default_configENS1_35radix_sort_onesweep_config_selectorIiNS0_10empty_typeEEEZNS1_34radix_sort_onesweep_global_offsetsIS3_Lb1EN6thrust23THRUST_200600_302600_NS6detail15normal_iteratorINS9_10device_ptrIiEEEEPS5_jNS0_19identity_decomposerEEE10hipError_tT1_T2_PT3_SK_jT4_jjP12ihipStream_tbEUlT_E_NS1_11comp_targetILNS1_3genE6ELNS1_11target_archE950ELNS1_3gpuE13ELNS1_3repE0EEENS1_52radix_sort_onesweep_histogram_config_static_selectorELNS0_4arch9wavefront6targetE1EEEvSI_.private_seg_size, 0
	.set _ZN7rocprim17ROCPRIM_400000_NS6detail17trampoline_kernelINS0_14default_configENS1_35radix_sort_onesweep_config_selectorIiNS0_10empty_typeEEEZNS1_34radix_sort_onesweep_global_offsetsIS3_Lb1EN6thrust23THRUST_200600_302600_NS6detail15normal_iteratorINS9_10device_ptrIiEEEEPS5_jNS0_19identity_decomposerEEE10hipError_tT1_T2_PT3_SK_jT4_jjP12ihipStream_tbEUlT_E_NS1_11comp_targetILNS1_3genE6ELNS1_11target_archE950ELNS1_3gpuE13ELNS1_3repE0EEENS1_52radix_sort_onesweep_histogram_config_static_selectorELNS0_4arch9wavefront6targetE1EEEvSI_.uses_vcc, 1
	.set _ZN7rocprim17ROCPRIM_400000_NS6detail17trampoline_kernelINS0_14default_configENS1_35radix_sort_onesweep_config_selectorIiNS0_10empty_typeEEEZNS1_34radix_sort_onesweep_global_offsetsIS3_Lb1EN6thrust23THRUST_200600_302600_NS6detail15normal_iteratorINS9_10device_ptrIiEEEEPS5_jNS0_19identity_decomposerEEE10hipError_tT1_T2_PT3_SK_jT4_jjP12ihipStream_tbEUlT_E_NS1_11comp_targetILNS1_3genE6ELNS1_11target_archE950ELNS1_3gpuE13ELNS1_3repE0EEENS1_52radix_sort_onesweep_histogram_config_static_selectorELNS0_4arch9wavefront6targetE1EEEvSI_.uses_flat_scratch, 0
	.set _ZN7rocprim17ROCPRIM_400000_NS6detail17trampoline_kernelINS0_14default_configENS1_35radix_sort_onesweep_config_selectorIiNS0_10empty_typeEEEZNS1_34radix_sort_onesweep_global_offsetsIS3_Lb1EN6thrust23THRUST_200600_302600_NS6detail15normal_iteratorINS9_10device_ptrIiEEEEPS5_jNS0_19identity_decomposerEEE10hipError_tT1_T2_PT3_SK_jT4_jjP12ihipStream_tbEUlT_E_NS1_11comp_targetILNS1_3genE6ELNS1_11target_archE950ELNS1_3gpuE13ELNS1_3repE0EEENS1_52radix_sort_onesweep_histogram_config_static_selectorELNS0_4arch9wavefront6targetE1EEEvSI_.has_dyn_sized_stack, 0
	.set _ZN7rocprim17ROCPRIM_400000_NS6detail17trampoline_kernelINS0_14default_configENS1_35radix_sort_onesweep_config_selectorIiNS0_10empty_typeEEEZNS1_34radix_sort_onesweep_global_offsetsIS3_Lb1EN6thrust23THRUST_200600_302600_NS6detail15normal_iteratorINS9_10device_ptrIiEEEEPS5_jNS0_19identity_decomposerEEE10hipError_tT1_T2_PT3_SK_jT4_jjP12ihipStream_tbEUlT_E_NS1_11comp_targetILNS1_3genE6ELNS1_11target_archE950ELNS1_3gpuE13ELNS1_3repE0EEENS1_52radix_sort_onesweep_histogram_config_static_selectorELNS0_4arch9wavefront6targetE1EEEvSI_.has_recursion, 0
	.set _ZN7rocprim17ROCPRIM_400000_NS6detail17trampoline_kernelINS0_14default_configENS1_35radix_sort_onesweep_config_selectorIiNS0_10empty_typeEEEZNS1_34radix_sort_onesweep_global_offsetsIS3_Lb1EN6thrust23THRUST_200600_302600_NS6detail15normal_iteratorINS9_10device_ptrIiEEEEPS5_jNS0_19identity_decomposerEEE10hipError_tT1_T2_PT3_SK_jT4_jjP12ihipStream_tbEUlT_E_NS1_11comp_targetILNS1_3genE6ELNS1_11target_archE950ELNS1_3gpuE13ELNS1_3repE0EEENS1_52radix_sort_onesweep_histogram_config_static_selectorELNS0_4arch9wavefront6targetE1EEEvSI_.has_indirect_call, 0
	.section	.AMDGPU.csdata,"",@progbits
; Kernel info:
; codeLenInByte = 7456
; TotalNumSgprs: 25
; NumVgprs: 22
; NumAgprs: 0
; TotalNumVgprs: 22
; ScratchSize: 0
; MemoryBound: 0
; FloatMode: 240
; IeeeMode: 1
; LDSByteSize: 16384 bytes/workgroup (compile time only)
; SGPRBlocks: 3
; VGPRBlocks: 2
; NumSGPRsForWavesPerEU: 25
; NumVGPRsForWavesPerEU: 22
; AccumOffset: 24
; Occupancy: 8
; WaveLimiterHint : 1
; COMPUTE_PGM_RSRC2:SCRATCH_EN: 0
; COMPUTE_PGM_RSRC2:USER_SGPR: 2
; COMPUTE_PGM_RSRC2:TRAP_HANDLER: 0
; COMPUTE_PGM_RSRC2:TGID_X_EN: 1
; COMPUTE_PGM_RSRC2:TGID_Y_EN: 0
; COMPUTE_PGM_RSRC2:TGID_Z_EN: 0
; COMPUTE_PGM_RSRC2:TIDIG_COMP_CNT: 0
; COMPUTE_PGM_RSRC3_GFX90A:ACCUM_OFFSET: 5
; COMPUTE_PGM_RSRC3_GFX90A:TG_SPLIT: 0
	.section	.text._ZN7rocprim17ROCPRIM_400000_NS6detail17trampoline_kernelINS0_14default_configENS1_35radix_sort_onesweep_config_selectorIiNS0_10empty_typeEEEZNS1_34radix_sort_onesweep_global_offsetsIS3_Lb1EN6thrust23THRUST_200600_302600_NS6detail15normal_iteratorINS9_10device_ptrIiEEEEPS5_jNS0_19identity_decomposerEEE10hipError_tT1_T2_PT3_SK_jT4_jjP12ihipStream_tbEUlT_E_NS1_11comp_targetILNS1_3genE5ELNS1_11target_archE942ELNS1_3gpuE9ELNS1_3repE0EEENS1_52radix_sort_onesweep_histogram_config_static_selectorELNS0_4arch9wavefront6targetE1EEEvSI_,"axG",@progbits,_ZN7rocprim17ROCPRIM_400000_NS6detail17trampoline_kernelINS0_14default_configENS1_35radix_sort_onesweep_config_selectorIiNS0_10empty_typeEEEZNS1_34radix_sort_onesweep_global_offsetsIS3_Lb1EN6thrust23THRUST_200600_302600_NS6detail15normal_iteratorINS9_10device_ptrIiEEEEPS5_jNS0_19identity_decomposerEEE10hipError_tT1_T2_PT3_SK_jT4_jjP12ihipStream_tbEUlT_E_NS1_11comp_targetILNS1_3genE5ELNS1_11target_archE942ELNS1_3gpuE9ELNS1_3repE0EEENS1_52radix_sort_onesweep_histogram_config_static_selectorELNS0_4arch9wavefront6targetE1EEEvSI_,comdat
	.protected	_ZN7rocprim17ROCPRIM_400000_NS6detail17trampoline_kernelINS0_14default_configENS1_35radix_sort_onesweep_config_selectorIiNS0_10empty_typeEEEZNS1_34radix_sort_onesweep_global_offsetsIS3_Lb1EN6thrust23THRUST_200600_302600_NS6detail15normal_iteratorINS9_10device_ptrIiEEEEPS5_jNS0_19identity_decomposerEEE10hipError_tT1_T2_PT3_SK_jT4_jjP12ihipStream_tbEUlT_E_NS1_11comp_targetILNS1_3genE5ELNS1_11target_archE942ELNS1_3gpuE9ELNS1_3repE0EEENS1_52radix_sort_onesweep_histogram_config_static_selectorELNS0_4arch9wavefront6targetE1EEEvSI_ ; -- Begin function _ZN7rocprim17ROCPRIM_400000_NS6detail17trampoline_kernelINS0_14default_configENS1_35radix_sort_onesweep_config_selectorIiNS0_10empty_typeEEEZNS1_34radix_sort_onesweep_global_offsetsIS3_Lb1EN6thrust23THRUST_200600_302600_NS6detail15normal_iteratorINS9_10device_ptrIiEEEEPS5_jNS0_19identity_decomposerEEE10hipError_tT1_T2_PT3_SK_jT4_jjP12ihipStream_tbEUlT_E_NS1_11comp_targetILNS1_3genE5ELNS1_11target_archE942ELNS1_3gpuE9ELNS1_3repE0EEENS1_52radix_sort_onesweep_histogram_config_static_selectorELNS0_4arch9wavefront6targetE1EEEvSI_
	.globl	_ZN7rocprim17ROCPRIM_400000_NS6detail17trampoline_kernelINS0_14default_configENS1_35radix_sort_onesweep_config_selectorIiNS0_10empty_typeEEEZNS1_34radix_sort_onesweep_global_offsetsIS3_Lb1EN6thrust23THRUST_200600_302600_NS6detail15normal_iteratorINS9_10device_ptrIiEEEEPS5_jNS0_19identity_decomposerEEE10hipError_tT1_T2_PT3_SK_jT4_jjP12ihipStream_tbEUlT_E_NS1_11comp_targetILNS1_3genE5ELNS1_11target_archE942ELNS1_3gpuE9ELNS1_3repE0EEENS1_52radix_sort_onesweep_histogram_config_static_selectorELNS0_4arch9wavefront6targetE1EEEvSI_
	.p2align	8
	.type	_ZN7rocprim17ROCPRIM_400000_NS6detail17trampoline_kernelINS0_14default_configENS1_35radix_sort_onesweep_config_selectorIiNS0_10empty_typeEEEZNS1_34radix_sort_onesweep_global_offsetsIS3_Lb1EN6thrust23THRUST_200600_302600_NS6detail15normal_iteratorINS9_10device_ptrIiEEEEPS5_jNS0_19identity_decomposerEEE10hipError_tT1_T2_PT3_SK_jT4_jjP12ihipStream_tbEUlT_E_NS1_11comp_targetILNS1_3genE5ELNS1_11target_archE942ELNS1_3gpuE9ELNS1_3repE0EEENS1_52radix_sort_onesweep_histogram_config_static_selectorELNS0_4arch9wavefront6targetE1EEEvSI_,@function
_ZN7rocprim17ROCPRIM_400000_NS6detail17trampoline_kernelINS0_14default_configENS1_35radix_sort_onesweep_config_selectorIiNS0_10empty_typeEEEZNS1_34radix_sort_onesweep_global_offsetsIS3_Lb1EN6thrust23THRUST_200600_302600_NS6detail15normal_iteratorINS9_10device_ptrIiEEEEPS5_jNS0_19identity_decomposerEEE10hipError_tT1_T2_PT3_SK_jT4_jjP12ihipStream_tbEUlT_E_NS1_11comp_targetILNS1_3genE5ELNS1_11target_archE942ELNS1_3gpuE9ELNS1_3repE0EEENS1_52radix_sort_onesweep_histogram_config_static_selectorELNS0_4arch9wavefront6targetE1EEEvSI_: ; @_ZN7rocprim17ROCPRIM_400000_NS6detail17trampoline_kernelINS0_14default_configENS1_35radix_sort_onesweep_config_selectorIiNS0_10empty_typeEEEZNS1_34radix_sort_onesweep_global_offsetsIS3_Lb1EN6thrust23THRUST_200600_302600_NS6detail15normal_iteratorINS9_10device_ptrIiEEEEPS5_jNS0_19identity_decomposerEEE10hipError_tT1_T2_PT3_SK_jT4_jjP12ihipStream_tbEUlT_E_NS1_11comp_targetILNS1_3genE5ELNS1_11target_archE942ELNS1_3gpuE9ELNS1_3repE0EEENS1_52radix_sort_onesweep_histogram_config_static_selectorELNS0_4arch9wavefront6targetE1EEEvSI_
; %bb.0:
	.section	.rodata,"a",@progbits
	.p2align	6, 0x0
	.amdhsa_kernel _ZN7rocprim17ROCPRIM_400000_NS6detail17trampoline_kernelINS0_14default_configENS1_35radix_sort_onesweep_config_selectorIiNS0_10empty_typeEEEZNS1_34radix_sort_onesweep_global_offsetsIS3_Lb1EN6thrust23THRUST_200600_302600_NS6detail15normal_iteratorINS9_10device_ptrIiEEEEPS5_jNS0_19identity_decomposerEEE10hipError_tT1_T2_PT3_SK_jT4_jjP12ihipStream_tbEUlT_E_NS1_11comp_targetILNS1_3genE5ELNS1_11target_archE942ELNS1_3gpuE9ELNS1_3repE0EEENS1_52radix_sort_onesweep_histogram_config_static_selectorELNS0_4arch9wavefront6targetE1EEEvSI_
		.amdhsa_group_segment_fixed_size 0
		.amdhsa_private_segment_fixed_size 0
		.amdhsa_kernarg_size 40
		.amdhsa_user_sgpr_count 2
		.amdhsa_user_sgpr_dispatch_ptr 0
		.amdhsa_user_sgpr_queue_ptr 0
		.amdhsa_user_sgpr_kernarg_segment_ptr 1
		.amdhsa_user_sgpr_dispatch_id 0
		.amdhsa_user_sgpr_kernarg_preload_length 0
		.amdhsa_user_sgpr_kernarg_preload_offset 0
		.amdhsa_user_sgpr_private_segment_size 0
		.amdhsa_uses_dynamic_stack 0
		.amdhsa_enable_private_segment 0
		.amdhsa_system_sgpr_workgroup_id_x 1
		.amdhsa_system_sgpr_workgroup_id_y 0
		.amdhsa_system_sgpr_workgroup_id_z 0
		.amdhsa_system_sgpr_workgroup_info 0
		.amdhsa_system_vgpr_workitem_id 0
		.amdhsa_next_free_vgpr 1
		.amdhsa_next_free_sgpr 0
		.amdhsa_accum_offset 4
		.amdhsa_reserve_vcc 0
		.amdhsa_float_round_mode_32 0
		.amdhsa_float_round_mode_16_64 0
		.amdhsa_float_denorm_mode_32 3
		.amdhsa_float_denorm_mode_16_64 3
		.amdhsa_dx10_clamp 1
		.amdhsa_ieee_mode 1
		.amdhsa_fp16_overflow 0
		.amdhsa_tg_split 0
		.amdhsa_exception_fp_ieee_invalid_op 0
		.amdhsa_exception_fp_denorm_src 0
		.amdhsa_exception_fp_ieee_div_zero 0
		.amdhsa_exception_fp_ieee_overflow 0
		.amdhsa_exception_fp_ieee_underflow 0
		.amdhsa_exception_fp_ieee_inexact 0
		.amdhsa_exception_int_div_zero 0
	.end_amdhsa_kernel
	.section	.text._ZN7rocprim17ROCPRIM_400000_NS6detail17trampoline_kernelINS0_14default_configENS1_35radix_sort_onesweep_config_selectorIiNS0_10empty_typeEEEZNS1_34radix_sort_onesweep_global_offsetsIS3_Lb1EN6thrust23THRUST_200600_302600_NS6detail15normal_iteratorINS9_10device_ptrIiEEEEPS5_jNS0_19identity_decomposerEEE10hipError_tT1_T2_PT3_SK_jT4_jjP12ihipStream_tbEUlT_E_NS1_11comp_targetILNS1_3genE5ELNS1_11target_archE942ELNS1_3gpuE9ELNS1_3repE0EEENS1_52radix_sort_onesweep_histogram_config_static_selectorELNS0_4arch9wavefront6targetE1EEEvSI_,"axG",@progbits,_ZN7rocprim17ROCPRIM_400000_NS6detail17trampoline_kernelINS0_14default_configENS1_35radix_sort_onesweep_config_selectorIiNS0_10empty_typeEEEZNS1_34radix_sort_onesweep_global_offsetsIS3_Lb1EN6thrust23THRUST_200600_302600_NS6detail15normal_iteratorINS9_10device_ptrIiEEEEPS5_jNS0_19identity_decomposerEEE10hipError_tT1_T2_PT3_SK_jT4_jjP12ihipStream_tbEUlT_E_NS1_11comp_targetILNS1_3genE5ELNS1_11target_archE942ELNS1_3gpuE9ELNS1_3repE0EEENS1_52radix_sort_onesweep_histogram_config_static_selectorELNS0_4arch9wavefront6targetE1EEEvSI_,comdat
.Lfunc_end320:
	.size	_ZN7rocprim17ROCPRIM_400000_NS6detail17trampoline_kernelINS0_14default_configENS1_35radix_sort_onesweep_config_selectorIiNS0_10empty_typeEEEZNS1_34radix_sort_onesweep_global_offsetsIS3_Lb1EN6thrust23THRUST_200600_302600_NS6detail15normal_iteratorINS9_10device_ptrIiEEEEPS5_jNS0_19identity_decomposerEEE10hipError_tT1_T2_PT3_SK_jT4_jjP12ihipStream_tbEUlT_E_NS1_11comp_targetILNS1_3genE5ELNS1_11target_archE942ELNS1_3gpuE9ELNS1_3repE0EEENS1_52radix_sort_onesweep_histogram_config_static_selectorELNS0_4arch9wavefront6targetE1EEEvSI_, .Lfunc_end320-_ZN7rocprim17ROCPRIM_400000_NS6detail17trampoline_kernelINS0_14default_configENS1_35radix_sort_onesweep_config_selectorIiNS0_10empty_typeEEEZNS1_34radix_sort_onesweep_global_offsetsIS3_Lb1EN6thrust23THRUST_200600_302600_NS6detail15normal_iteratorINS9_10device_ptrIiEEEEPS5_jNS0_19identity_decomposerEEE10hipError_tT1_T2_PT3_SK_jT4_jjP12ihipStream_tbEUlT_E_NS1_11comp_targetILNS1_3genE5ELNS1_11target_archE942ELNS1_3gpuE9ELNS1_3repE0EEENS1_52radix_sort_onesweep_histogram_config_static_selectorELNS0_4arch9wavefront6targetE1EEEvSI_
                                        ; -- End function
	.set _ZN7rocprim17ROCPRIM_400000_NS6detail17trampoline_kernelINS0_14default_configENS1_35radix_sort_onesweep_config_selectorIiNS0_10empty_typeEEEZNS1_34radix_sort_onesweep_global_offsetsIS3_Lb1EN6thrust23THRUST_200600_302600_NS6detail15normal_iteratorINS9_10device_ptrIiEEEEPS5_jNS0_19identity_decomposerEEE10hipError_tT1_T2_PT3_SK_jT4_jjP12ihipStream_tbEUlT_E_NS1_11comp_targetILNS1_3genE5ELNS1_11target_archE942ELNS1_3gpuE9ELNS1_3repE0EEENS1_52radix_sort_onesweep_histogram_config_static_selectorELNS0_4arch9wavefront6targetE1EEEvSI_.num_vgpr, 0
	.set _ZN7rocprim17ROCPRIM_400000_NS6detail17trampoline_kernelINS0_14default_configENS1_35radix_sort_onesweep_config_selectorIiNS0_10empty_typeEEEZNS1_34radix_sort_onesweep_global_offsetsIS3_Lb1EN6thrust23THRUST_200600_302600_NS6detail15normal_iteratorINS9_10device_ptrIiEEEEPS5_jNS0_19identity_decomposerEEE10hipError_tT1_T2_PT3_SK_jT4_jjP12ihipStream_tbEUlT_E_NS1_11comp_targetILNS1_3genE5ELNS1_11target_archE942ELNS1_3gpuE9ELNS1_3repE0EEENS1_52radix_sort_onesweep_histogram_config_static_selectorELNS0_4arch9wavefront6targetE1EEEvSI_.num_agpr, 0
	.set _ZN7rocprim17ROCPRIM_400000_NS6detail17trampoline_kernelINS0_14default_configENS1_35radix_sort_onesweep_config_selectorIiNS0_10empty_typeEEEZNS1_34radix_sort_onesweep_global_offsetsIS3_Lb1EN6thrust23THRUST_200600_302600_NS6detail15normal_iteratorINS9_10device_ptrIiEEEEPS5_jNS0_19identity_decomposerEEE10hipError_tT1_T2_PT3_SK_jT4_jjP12ihipStream_tbEUlT_E_NS1_11comp_targetILNS1_3genE5ELNS1_11target_archE942ELNS1_3gpuE9ELNS1_3repE0EEENS1_52radix_sort_onesweep_histogram_config_static_selectorELNS0_4arch9wavefront6targetE1EEEvSI_.numbered_sgpr, 0
	.set _ZN7rocprim17ROCPRIM_400000_NS6detail17trampoline_kernelINS0_14default_configENS1_35radix_sort_onesweep_config_selectorIiNS0_10empty_typeEEEZNS1_34radix_sort_onesweep_global_offsetsIS3_Lb1EN6thrust23THRUST_200600_302600_NS6detail15normal_iteratorINS9_10device_ptrIiEEEEPS5_jNS0_19identity_decomposerEEE10hipError_tT1_T2_PT3_SK_jT4_jjP12ihipStream_tbEUlT_E_NS1_11comp_targetILNS1_3genE5ELNS1_11target_archE942ELNS1_3gpuE9ELNS1_3repE0EEENS1_52radix_sort_onesweep_histogram_config_static_selectorELNS0_4arch9wavefront6targetE1EEEvSI_.num_named_barrier, 0
	.set _ZN7rocprim17ROCPRIM_400000_NS6detail17trampoline_kernelINS0_14default_configENS1_35radix_sort_onesweep_config_selectorIiNS0_10empty_typeEEEZNS1_34radix_sort_onesweep_global_offsetsIS3_Lb1EN6thrust23THRUST_200600_302600_NS6detail15normal_iteratorINS9_10device_ptrIiEEEEPS5_jNS0_19identity_decomposerEEE10hipError_tT1_T2_PT3_SK_jT4_jjP12ihipStream_tbEUlT_E_NS1_11comp_targetILNS1_3genE5ELNS1_11target_archE942ELNS1_3gpuE9ELNS1_3repE0EEENS1_52radix_sort_onesweep_histogram_config_static_selectorELNS0_4arch9wavefront6targetE1EEEvSI_.private_seg_size, 0
	.set _ZN7rocprim17ROCPRIM_400000_NS6detail17trampoline_kernelINS0_14default_configENS1_35radix_sort_onesweep_config_selectorIiNS0_10empty_typeEEEZNS1_34radix_sort_onesweep_global_offsetsIS3_Lb1EN6thrust23THRUST_200600_302600_NS6detail15normal_iteratorINS9_10device_ptrIiEEEEPS5_jNS0_19identity_decomposerEEE10hipError_tT1_T2_PT3_SK_jT4_jjP12ihipStream_tbEUlT_E_NS1_11comp_targetILNS1_3genE5ELNS1_11target_archE942ELNS1_3gpuE9ELNS1_3repE0EEENS1_52radix_sort_onesweep_histogram_config_static_selectorELNS0_4arch9wavefront6targetE1EEEvSI_.uses_vcc, 0
	.set _ZN7rocprim17ROCPRIM_400000_NS6detail17trampoline_kernelINS0_14default_configENS1_35radix_sort_onesweep_config_selectorIiNS0_10empty_typeEEEZNS1_34radix_sort_onesweep_global_offsetsIS3_Lb1EN6thrust23THRUST_200600_302600_NS6detail15normal_iteratorINS9_10device_ptrIiEEEEPS5_jNS0_19identity_decomposerEEE10hipError_tT1_T2_PT3_SK_jT4_jjP12ihipStream_tbEUlT_E_NS1_11comp_targetILNS1_3genE5ELNS1_11target_archE942ELNS1_3gpuE9ELNS1_3repE0EEENS1_52radix_sort_onesweep_histogram_config_static_selectorELNS0_4arch9wavefront6targetE1EEEvSI_.uses_flat_scratch, 0
	.set _ZN7rocprim17ROCPRIM_400000_NS6detail17trampoline_kernelINS0_14default_configENS1_35radix_sort_onesweep_config_selectorIiNS0_10empty_typeEEEZNS1_34radix_sort_onesweep_global_offsetsIS3_Lb1EN6thrust23THRUST_200600_302600_NS6detail15normal_iteratorINS9_10device_ptrIiEEEEPS5_jNS0_19identity_decomposerEEE10hipError_tT1_T2_PT3_SK_jT4_jjP12ihipStream_tbEUlT_E_NS1_11comp_targetILNS1_3genE5ELNS1_11target_archE942ELNS1_3gpuE9ELNS1_3repE0EEENS1_52radix_sort_onesweep_histogram_config_static_selectorELNS0_4arch9wavefront6targetE1EEEvSI_.has_dyn_sized_stack, 0
	.set _ZN7rocprim17ROCPRIM_400000_NS6detail17trampoline_kernelINS0_14default_configENS1_35radix_sort_onesweep_config_selectorIiNS0_10empty_typeEEEZNS1_34radix_sort_onesweep_global_offsetsIS3_Lb1EN6thrust23THRUST_200600_302600_NS6detail15normal_iteratorINS9_10device_ptrIiEEEEPS5_jNS0_19identity_decomposerEEE10hipError_tT1_T2_PT3_SK_jT4_jjP12ihipStream_tbEUlT_E_NS1_11comp_targetILNS1_3genE5ELNS1_11target_archE942ELNS1_3gpuE9ELNS1_3repE0EEENS1_52radix_sort_onesweep_histogram_config_static_selectorELNS0_4arch9wavefront6targetE1EEEvSI_.has_recursion, 0
	.set _ZN7rocprim17ROCPRIM_400000_NS6detail17trampoline_kernelINS0_14default_configENS1_35radix_sort_onesweep_config_selectorIiNS0_10empty_typeEEEZNS1_34radix_sort_onesweep_global_offsetsIS3_Lb1EN6thrust23THRUST_200600_302600_NS6detail15normal_iteratorINS9_10device_ptrIiEEEEPS5_jNS0_19identity_decomposerEEE10hipError_tT1_T2_PT3_SK_jT4_jjP12ihipStream_tbEUlT_E_NS1_11comp_targetILNS1_3genE5ELNS1_11target_archE942ELNS1_3gpuE9ELNS1_3repE0EEENS1_52radix_sort_onesweep_histogram_config_static_selectorELNS0_4arch9wavefront6targetE1EEEvSI_.has_indirect_call, 0
	.section	.AMDGPU.csdata,"",@progbits
; Kernel info:
; codeLenInByte = 0
; TotalNumSgprs: 6
; NumVgprs: 0
; NumAgprs: 0
; TotalNumVgprs: 0
; ScratchSize: 0
; MemoryBound: 0
; FloatMode: 240
; IeeeMode: 1
; LDSByteSize: 0 bytes/workgroup (compile time only)
; SGPRBlocks: 0
; VGPRBlocks: 0
; NumSGPRsForWavesPerEU: 6
; NumVGPRsForWavesPerEU: 1
; AccumOffset: 4
; Occupancy: 8
; WaveLimiterHint : 0
; COMPUTE_PGM_RSRC2:SCRATCH_EN: 0
; COMPUTE_PGM_RSRC2:USER_SGPR: 2
; COMPUTE_PGM_RSRC2:TRAP_HANDLER: 0
; COMPUTE_PGM_RSRC2:TGID_X_EN: 1
; COMPUTE_PGM_RSRC2:TGID_Y_EN: 0
; COMPUTE_PGM_RSRC2:TGID_Z_EN: 0
; COMPUTE_PGM_RSRC2:TIDIG_COMP_CNT: 0
; COMPUTE_PGM_RSRC3_GFX90A:ACCUM_OFFSET: 0
; COMPUTE_PGM_RSRC3_GFX90A:TG_SPLIT: 0
	.section	.text._ZN7rocprim17ROCPRIM_400000_NS6detail17trampoline_kernelINS0_14default_configENS1_35radix_sort_onesweep_config_selectorIiNS0_10empty_typeEEEZNS1_34radix_sort_onesweep_global_offsetsIS3_Lb1EN6thrust23THRUST_200600_302600_NS6detail15normal_iteratorINS9_10device_ptrIiEEEEPS5_jNS0_19identity_decomposerEEE10hipError_tT1_T2_PT3_SK_jT4_jjP12ihipStream_tbEUlT_E_NS1_11comp_targetILNS1_3genE2ELNS1_11target_archE906ELNS1_3gpuE6ELNS1_3repE0EEENS1_52radix_sort_onesweep_histogram_config_static_selectorELNS0_4arch9wavefront6targetE1EEEvSI_,"axG",@progbits,_ZN7rocprim17ROCPRIM_400000_NS6detail17trampoline_kernelINS0_14default_configENS1_35radix_sort_onesweep_config_selectorIiNS0_10empty_typeEEEZNS1_34radix_sort_onesweep_global_offsetsIS3_Lb1EN6thrust23THRUST_200600_302600_NS6detail15normal_iteratorINS9_10device_ptrIiEEEEPS5_jNS0_19identity_decomposerEEE10hipError_tT1_T2_PT3_SK_jT4_jjP12ihipStream_tbEUlT_E_NS1_11comp_targetILNS1_3genE2ELNS1_11target_archE906ELNS1_3gpuE6ELNS1_3repE0EEENS1_52radix_sort_onesweep_histogram_config_static_selectorELNS0_4arch9wavefront6targetE1EEEvSI_,comdat
	.protected	_ZN7rocprim17ROCPRIM_400000_NS6detail17trampoline_kernelINS0_14default_configENS1_35radix_sort_onesweep_config_selectorIiNS0_10empty_typeEEEZNS1_34radix_sort_onesweep_global_offsetsIS3_Lb1EN6thrust23THRUST_200600_302600_NS6detail15normal_iteratorINS9_10device_ptrIiEEEEPS5_jNS0_19identity_decomposerEEE10hipError_tT1_T2_PT3_SK_jT4_jjP12ihipStream_tbEUlT_E_NS1_11comp_targetILNS1_3genE2ELNS1_11target_archE906ELNS1_3gpuE6ELNS1_3repE0EEENS1_52radix_sort_onesweep_histogram_config_static_selectorELNS0_4arch9wavefront6targetE1EEEvSI_ ; -- Begin function _ZN7rocprim17ROCPRIM_400000_NS6detail17trampoline_kernelINS0_14default_configENS1_35radix_sort_onesweep_config_selectorIiNS0_10empty_typeEEEZNS1_34radix_sort_onesweep_global_offsetsIS3_Lb1EN6thrust23THRUST_200600_302600_NS6detail15normal_iteratorINS9_10device_ptrIiEEEEPS5_jNS0_19identity_decomposerEEE10hipError_tT1_T2_PT3_SK_jT4_jjP12ihipStream_tbEUlT_E_NS1_11comp_targetILNS1_3genE2ELNS1_11target_archE906ELNS1_3gpuE6ELNS1_3repE0EEENS1_52radix_sort_onesweep_histogram_config_static_selectorELNS0_4arch9wavefront6targetE1EEEvSI_
	.globl	_ZN7rocprim17ROCPRIM_400000_NS6detail17trampoline_kernelINS0_14default_configENS1_35radix_sort_onesweep_config_selectorIiNS0_10empty_typeEEEZNS1_34radix_sort_onesweep_global_offsetsIS3_Lb1EN6thrust23THRUST_200600_302600_NS6detail15normal_iteratorINS9_10device_ptrIiEEEEPS5_jNS0_19identity_decomposerEEE10hipError_tT1_T2_PT3_SK_jT4_jjP12ihipStream_tbEUlT_E_NS1_11comp_targetILNS1_3genE2ELNS1_11target_archE906ELNS1_3gpuE6ELNS1_3repE0EEENS1_52radix_sort_onesweep_histogram_config_static_selectorELNS0_4arch9wavefront6targetE1EEEvSI_
	.p2align	8
	.type	_ZN7rocprim17ROCPRIM_400000_NS6detail17trampoline_kernelINS0_14default_configENS1_35radix_sort_onesweep_config_selectorIiNS0_10empty_typeEEEZNS1_34radix_sort_onesweep_global_offsetsIS3_Lb1EN6thrust23THRUST_200600_302600_NS6detail15normal_iteratorINS9_10device_ptrIiEEEEPS5_jNS0_19identity_decomposerEEE10hipError_tT1_T2_PT3_SK_jT4_jjP12ihipStream_tbEUlT_E_NS1_11comp_targetILNS1_3genE2ELNS1_11target_archE906ELNS1_3gpuE6ELNS1_3repE0EEENS1_52radix_sort_onesweep_histogram_config_static_selectorELNS0_4arch9wavefront6targetE1EEEvSI_,@function
_ZN7rocprim17ROCPRIM_400000_NS6detail17trampoline_kernelINS0_14default_configENS1_35radix_sort_onesweep_config_selectorIiNS0_10empty_typeEEEZNS1_34radix_sort_onesweep_global_offsetsIS3_Lb1EN6thrust23THRUST_200600_302600_NS6detail15normal_iteratorINS9_10device_ptrIiEEEEPS5_jNS0_19identity_decomposerEEE10hipError_tT1_T2_PT3_SK_jT4_jjP12ihipStream_tbEUlT_E_NS1_11comp_targetILNS1_3genE2ELNS1_11target_archE906ELNS1_3gpuE6ELNS1_3repE0EEENS1_52radix_sort_onesweep_histogram_config_static_selectorELNS0_4arch9wavefront6targetE1EEEvSI_: ; @_ZN7rocprim17ROCPRIM_400000_NS6detail17trampoline_kernelINS0_14default_configENS1_35radix_sort_onesweep_config_selectorIiNS0_10empty_typeEEEZNS1_34radix_sort_onesweep_global_offsetsIS3_Lb1EN6thrust23THRUST_200600_302600_NS6detail15normal_iteratorINS9_10device_ptrIiEEEEPS5_jNS0_19identity_decomposerEEE10hipError_tT1_T2_PT3_SK_jT4_jjP12ihipStream_tbEUlT_E_NS1_11comp_targetILNS1_3genE2ELNS1_11target_archE906ELNS1_3gpuE6ELNS1_3repE0EEENS1_52radix_sort_onesweep_histogram_config_static_selectorELNS0_4arch9wavefront6targetE1EEEvSI_
; %bb.0:
	.section	.rodata,"a",@progbits
	.p2align	6, 0x0
	.amdhsa_kernel _ZN7rocprim17ROCPRIM_400000_NS6detail17trampoline_kernelINS0_14default_configENS1_35radix_sort_onesweep_config_selectorIiNS0_10empty_typeEEEZNS1_34radix_sort_onesweep_global_offsetsIS3_Lb1EN6thrust23THRUST_200600_302600_NS6detail15normal_iteratorINS9_10device_ptrIiEEEEPS5_jNS0_19identity_decomposerEEE10hipError_tT1_T2_PT3_SK_jT4_jjP12ihipStream_tbEUlT_E_NS1_11comp_targetILNS1_3genE2ELNS1_11target_archE906ELNS1_3gpuE6ELNS1_3repE0EEENS1_52radix_sort_onesweep_histogram_config_static_selectorELNS0_4arch9wavefront6targetE1EEEvSI_
		.amdhsa_group_segment_fixed_size 0
		.amdhsa_private_segment_fixed_size 0
		.amdhsa_kernarg_size 40
		.amdhsa_user_sgpr_count 2
		.amdhsa_user_sgpr_dispatch_ptr 0
		.amdhsa_user_sgpr_queue_ptr 0
		.amdhsa_user_sgpr_kernarg_segment_ptr 1
		.amdhsa_user_sgpr_dispatch_id 0
		.amdhsa_user_sgpr_kernarg_preload_length 0
		.amdhsa_user_sgpr_kernarg_preload_offset 0
		.amdhsa_user_sgpr_private_segment_size 0
		.amdhsa_uses_dynamic_stack 0
		.amdhsa_enable_private_segment 0
		.amdhsa_system_sgpr_workgroup_id_x 1
		.amdhsa_system_sgpr_workgroup_id_y 0
		.amdhsa_system_sgpr_workgroup_id_z 0
		.amdhsa_system_sgpr_workgroup_info 0
		.amdhsa_system_vgpr_workitem_id 0
		.amdhsa_next_free_vgpr 1
		.amdhsa_next_free_sgpr 0
		.amdhsa_accum_offset 4
		.amdhsa_reserve_vcc 0
		.amdhsa_float_round_mode_32 0
		.amdhsa_float_round_mode_16_64 0
		.amdhsa_float_denorm_mode_32 3
		.amdhsa_float_denorm_mode_16_64 3
		.amdhsa_dx10_clamp 1
		.amdhsa_ieee_mode 1
		.amdhsa_fp16_overflow 0
		.amdhsa_tg_split 0
		.amdhsa_exception_fp_ieee_invalid_op 0
		.amdhsa_exception_fp_denorm_src 0
		.amdhsa_exception_fp_ieee_div_zero 0
		.amdhsa_exception_fp_ieee_overflow 0
		.amdhsa_exception_fp_ieee_underflow 0
		.amdhsa_exception_fp_ieee_inexact 0
		.amdhsa_exception_int_div_zero 0
	.end_amdhsa_kernel
	.section	.text._ZN7rocprim17ROCPRIM_400000_NS6detail17trampoline_kernelINS0_14default_configENS1_35radix_sort_onesweep_config_selectorIiNS0_10empty_typeEEEZNS1_34radix_sort_onesweep_global_offsetsIS3_Lb1EN6thrust23THRUST_200600_302600_NS6detail15normal_iteratorINS9_10device_ptrIiEEEEPS5_jNS0_19identity_decomposerEEE10hipError_tT1_T2_PT3_SK_jT4_jjP12ihipStream_tbEUlT_E_NS1_11comp_targetILNS1_3genE2ELNS1_11target_archE906ELNS1_3gpuE6ELNS1_3repE0EEENS1_52radix_sort_onesweep_histogram_config_static_selectorELNS0_4arch9wavefront6targetE1EEEvSI_,"axG",@progbits,_ZN7rocprim17ROCPRIM_400000_NS6detail17trampoline_kernelINS0_14default_configENS1_35radix_sort_onesweep_config_selectorIiNS0_10empty_typeEEEZNS1_34radix_sort_onesweep_global_offsetsIS3_Lb1EN6thrust23THRUST_200600_302600_NS6detail15normal_iteratorINS9_10device_ptrIiEEEEPS5_jNS0_19identity_decomposerEEE10hipError_tT1_T2_PT3_SK_jT4_jjP12ihipStream_tbEUlT_E_NS1_11comp_targetILNS1_3genE2ELNS1_11target_archE906ELNS1_3gpuE6ELNS1_3repE0EEENS1_52radix_sort_onesweep_histogram_config_static_selectorELNS0_4arch9wavefront6targetE1EEEvSI_,comdat
.Lfunc_end321:
	.size	_ZN7rocprim17ROCPRIM_400000_NS6detail17trampoline_kernelINS0_14default_configENS1_35radix_sort_onesweep_config_selectorIiNS0_10empty_typeEEEZNS1_34radix_sort_onesweep_global_offsetsIS3_Lb1EN6thrust23THRUST_200600_302600_NS6detail15normal_iteratorINS9_10device_ptrIiEEEEPS5_jNS0_19identity_decomposerEEE10hipError_tT1_T2_PT3_SK_jT4_jjP12ihipStream_tbEUlT_E_NS1_11comp_targetILNS1_3genE2ELNS1_11target_archE906ELNS1_3gpuE6ELNS1_3repE0EEENS1_52radix_sort_onesweep_histogram_config_static_selectorELNS0_4arch9wavefront6targetE1EEEvSI_, .Lfunc_end321-_ZN7rocprim17ROCPRIM_400000_NS6detail17trampoline_kernelINS0_14default_configENS1_35radix_sort_onesweep_config_selectorIiNS0_10empty_typeEEEZNS1_34radix_sort_onesweep_global_offsetsIS3_Lb1EN6thrust23THRUST_200600_302600_NS6detail15normal_iteratorINS9_10device_ptrIiEEEEPS5_jNS0_19identity_decomposerEEE10hipError_tT1_T2_PT3_SK_jT4_jjP12ihipStream_tbEUlT_E_NS1_11comp_targetILNS1_3genE2ELNS1_11target_archE906ELNS1_3gpuE6ELNS1_3repE0EEENS1_52radix_sort_onesweep_histogram_config_static_selectorELNS0_4arch9wavefront6targetE1EEEvSI_
                                        ; -- End function
	.set _ZN7rocprim17ROCPRIM_400000_NS6detail17trampoline_kernelINS0_14default_configENS1_35radix_sort_onesweep_config_selectorIiNS0_10empty_typeEEEZNS1_34radix_sort_onesweep_global_offsetsIS3_Lb1EN6thrust23THRUST_200600_302600_NS6detail15normal_iteratorINS9_10device_ptrIiEEEEPS5_jNS0_19identity_decomposerEEE10hipError_tT1_T2_PT3_SK_jT4_jjP12ihipStream_tbEUlT_E_NS1_11comp_targetILNS1_3genE2ELNS1_11target_archE906ELNS1_3gpuE6ELNS1_3repE0EEENS1_52radix_sort_onesweep_histogram_config_static_selectorELNS0_4arch9wavefront6targetE1EEEvSI_.num_vgpr, 0
	.set _ZN7rocprim17ROCPRIM_400000_NS6detail17trampoline_kernelINS0_14default_configENS1_35radix_sort_onesweep_config_selectorIiNS0_10empty_typeEEEZNS1_34radix_sort_onesweep_global_offsetsIS3_Lb1EN6thrust23THRUST_200600_302600_NS6detail15normal_iteratorINS9_10device_ptrIiEEEEPS5_jNS0_19identity_decomposerEEE10hipError_tT1_T2_PT3_SK_jT4_jjP12ihipStream_tbEUlT_E_NS1_11comp_targetILNS1_3genE2ELNS1_11target_archE906ELNS1_3gpuE6ELNS1_3repE0EEENS1_52radix_sort_onesweep_histogram_config_static_selectorELNS0_4arch9wavefront6targetE1EEEvSI_.num_agpr, 0
	.set _ZN7rocprim17ROCPRIM_400000_NS6detail17trampoline_kernelINS0_14default_configENS1_35radix_sort_onesweep_config_selectorIiNS0_10empty_typeEEEZNS1_34radix_sort_onesweep_global_offsetsIS3_Lb1EN6thrust23THRUST_200600_302600_NS6detail15normal_iteratorINS9_10device_ptrIiEEEEPS5_jNS0_19identity_decomposerEEE10hipError_tT1_T2_PT3_SK_jT4_jjP12ihipStream_tbEUlT_E_NS1_11comp_targetILNS1_3genE2ELNS1_11target_archE906ELNS1_3gpuE6ELNS1_3repE0EEENS1_52radix_sort_onesweep_histogram_config_static_selectorELNS0_4arch9wavefront6targetE1EEEvSI_.numbered_sgpr, 0
	.set _ZN7rocprim17ROCPRIM_400000_NS6detail17trampoline_kernelINS0_14default_configENS1_35radix_sort_onesweep_config_selectorIiNS0_10empty_typeEEEZNS1_34radix_sort_onesweep_global_offsetsIS3_Lb1EN6thrust23THRUST_200600_302600_NS6detail15normal_iteratorINS9_10device_ptrIiEEEEPS5_jNS0_19identity_decomposerEEE10hipError_tT1_T2_PT3_SK_jT4_jjP12ihipStream_tbEUlT_E_NS1_11comp_targetILNS1_3genE2ELNS1_11target_archE906ELNS1_3gpuE6ELNS1_3repE0EEENS1_52radix_sort_onesweep_histogram_config_static_selectorELNS0_4arch9wavefront6targetE1EEEvSI_.num_named_barrier, 0
	.set _ZN7rocprim17ROCPRIM_400000_NS6detail17trampoline_kernelINS0_14default_configENS1_35radix_sort_onesweep_config_selectorIiNS0_10empty_typeEEEZNS1_34radix_sort_onesweep_global_offsetsIS3_Lb1EN6thrust23THRUST_200600_302600_NS6detail15normal_iteratorINS9_10device_ptrIiEEEEPS5_jNS0_19identity_decomposerEEE10hipError_tT1_T2_PT3_SK_jT4_jjP12ihipStream_tbEUlT_E_NS1_11comp_targetILNS1_3genE2ELNS1_11target_archE906ELNS1_3gpuE6ELNS1_3repE0EEENS1_52radix_sort_onesweep_histogram_config_static_selectorELNS0_4arch9wavefront6targetE1EEEvSI_.private_seg_size, 0
	.set _ZN7rocprim17ROCPRIM_400000_NS6detail17trampoline_kernelINS0_14default_configENS1_35radix_sort_onesweep_config_selectorIiNS0_10empty_typeEEEZNS1_34radix_sort_onesweep_global_offsetsIS3_Lb1EN6thrust23THRUST_200600_302600_NS6detail15normal_iteratorINS9_10device_ptrIiEEEEPS5_jNS0_19identity_decomposerEEE10hipError_tT1_T2_PT3_SK_jT4_jjP12ihipStream_tbEUlT_E_NS1_11comp_targetILNS1_3genE2ELNS1_11target_archE906ELNS1_3gpuE6ELNS1_3repE0EEENS1_52radix_sort_onesweep_histogram_config_static_selectorELNS0_4arch9wavefront6targetE1EEEvSI_.uses_vcc, 0
	.set _ZN7rocprim17ROCPRIM_400000_NS6detail17trampoline_kernelINS0_14default_configENS1_35radix_sort_onesweep_config_selectorIiNS0_10empty_typeEEEZNS1_34radix_sort_onesweep_global_offsetsIS3_Lb1EN6thrust23THRUST_200600_302600_NS6detail15normal_iteratorINS9_10device_ptrIiEEEEPS5_jNS0_19identity_decomposerEEE10hipError_tT1_T2_PT3_SK_jT4_jjP12ihipStream_tbEUlT_E_NS1_11comp_targetILNS1_3genE2ELNS1_11target_archE906ELNS1_3gpuE6ELNS1_3repE0EEENS1_52radix_sort_onesweep_histogram_config_static_selectorELNS0_4arch9wavefront6targetE1EEEvSI_.uses_flat_scratch, 0
	.set _ZN7rocprim17ROCPRIM_400000_NS6detail17trampoline_kernelINS0_14default_configENS1_35radix_sort_onesweep_config_selectorIiNS0_10empty_typeEEEZNS1_34radix_sort_onesweep_global_offsetsIS3_Lb1EN6thrust23THRUST_200600_302600_NS6detail15normal_iteratorINS9_10device_ptrIiEEEEPS5_jNS0_19identity_decomposerEEE10hipError_tT1_T2_PT3_SK_jT4_jjP12ihipStream_tbEUlT_E_NS1_11comp_targetILNS1_3genE2ELNS1_11target_archE906ELNS1_3gpuE6ELNS1_3repE0EEENS1_52radix_sort_onesweep_histogram_config_static_selectorELNS0_4arch9wavefront6targetE1EEEvSI_.has_dyn_sized_stack, 0
	.set _ZN7rocprim17ROCPRIM_400000_NS6detail17trampoline_kernelINS0_14default_configENS1_35radix_sort_onesweep_config_selectorIiNS0_10empty_typeEEEZNS1_34radix_sort_onesweep_global_offsetsIS3_Lb1EN6thrust23THRUST_200600_302600_NS6detail15normal_iteratorINS9_10device_ptrIiEEEEPS5_jNS0_19identity_decomposerEEE10hipError_tT1_T2_PT3_SK_jT4_jjP12ihipStream_tbEUlT_E_NS1_11comp_targetILNS1_3genE2ELNS1_11target_archE906ELNS1_3gpuE6ELNS1_3repE0EEENS1_52radix_sort_onesweep_histogram_config_static_selectorELNS0_4arch9wavefront6targetE1EEEvSI_.has_recursion, 0
	.set _ZN7rocprim17ROCPRIM_400000_NS6detail17trampoline_kernelINS0_14default_configENS1_35radix_sort_onesweep_config_selectorIiNS0_10empty_typeEEEZNS1_34radix_sort_onesweep_global_offsetsIS3_Lb1EN6thrust23THRUST_200600_302600_NS6detail15normal_iteratorINS9_10device_ptrIiEEEEPS5_jNS0_19identity_decomposerEEE10hipError_tT1_T2_PT3_SK_jT4_jjP12ihipStream_tbEUlT_E_NS1_11comp_targetILNS1_3genE2ELNS1_11target_archE906ELNS1_3gpuE6ELNS1_3repE0EEENS1_52radix_sort_onesweep_histogram_config_static_selectorELNS0_4arch9wavefront6targetE1EEEvSI_.has_indirect_call, 0
	.section	.AMDGPU.csdata,"",@progbits
; Kernel info:
; codeLenInByte = 0
; TotalNumSgprs: 6
; NumVgprs: 0
; NumAgprs: 0
; TotalNumVgprs: 0
; ScratchSize: 0
; MemoryBound: 0
; FloatMode: 240
; IeeeMode: 1
; LDSByteSize: 0 bytes/workgroup (compile time only)
; SGPRBlocks: 0
; VGPRBlocks: 0
; NumSGPRsForWavesPerEU: 6
; NumVGPRsForWavesPerEU: 1
; AccumOffset: 4
; Occupancy: 8
; WaveLimiterHint : 0
; COMPUTE_PGM_RSRC2:SCRATCH_EN: 0
; COMPUTE_PGM_RSRC2:USER_SGPR: 2
; COMPUTE_PGM_RSRC2:TRAP_HANDLER: 0
; COMPUTE_PGM_RSRC2:TGID_X_EN: 1
; COMPUTE_PGM_RSRC2:TGID_Y_EN: 0
; COMPUTE_PGM_RSRC2:TGID_Z_EN: 0
; COMPUTE_PGM_RSRC2:TIDIG_COMP_CNT: 0
; COMPUTE_PGM_RSRC3_GFX90A:ACCUM_OFFSET: 0
; COMPUTE_PGM_RSRC3_GFX90A:TG_SPLIT: 0
	.section	.text._ZN7rocprim17ROCPRIM_400000_NS6detail17trampoline_kernelINS0_14default_configENS1_35radix_sort_onesweep_config_selectorIiNS0_10empty_typeEEEZNS1_34radix_sort_onesweep_global_offsetsIS3_Lb1EN6thrust23THRUST_200600_302600_NS6detail15normal_iteratorINS9_10device_ptrIiEEEEPS5_jNS0_19identity_decomposerEEE10hipError_tT1_T2_PT3_SK_jT4_jjP12ihipStream_tbEUlT_E_NS1_11comp_targetILNS1_3genE4ELNS1_11target_archE910ELNS1_3gpuE8ELNS1_3repE0EEENS1_52radix_sort_onesweep_histogram_config_static_selectorELNS0_4arch9wavefront6targetE1EEEvSI_,"axG",@progbits,_ZN7rocprim17ROCPRIM_400000_NS6detail17trampoline_kernelINS0_14default_configENS1_35radix_sort_onesweep_config_selectorIiNS0_10empty_typeEEEZNS1_34radix_sort_onesweep_global_offsetsIS3_Lb1EN6thrust23THRUST_200600_302600_NS6detail15normal_iteratorINS9_10device_ptrIiEEEEPS5_jNS0_19identity_decomposerEEE10hipError_tT1_T2_PT3_SK_jT4_jjP12ihipStream_tbEUlT_E_NS1_11comp_targetILNS1_3genE4ELNS1_11target_archE910ELNS1_3gpuE8ELNS1_3repE0EEENS1_52radix_sort_onesweep_histogram_config_static_selectorELNS0_4arch9wavefront6targetE1EEEvSI_,comdat
	.protected	_ZN7rocprim17ROCPRIM_400000_NS6detail17trampoline_kernelINS0_14default_configENS1_35radix_sort_onesweep_config_selectorIiNS0_10empty_typeEEEZNS1_34radix_sort_onesweep_global_offsetsIS3_Lb1EN6thrust23THRUST_200600_302600_NS6detail15normal_iteratorINS9_10device_ptrIiEEEEPS5_jNS0_19identity_decomposerEEE10hipError_tT1_T2_PT3_SK_jT4_jjP12ihipStream_tbEUlT_E_NS1_11comp_targetILNS1_3genE4ELNS1_11target_archE910ELNS1_3gpuE8ELNS1_3repE0EEENS1_52radix_sort_onesweep_histogram_config_static_selectorELNS0_4arch9wavefront6targetE1EEEvSI_ ; -- Begin function _ZN7rocprim17ROCPRIM_400000_NS6detail17trampoline_kernelINS0_14default_configENS1_35radix_sort_onesweep_config_selectorIiNS0_10empty_typeEEEZNS1_34radix_sort_onesweep_global_offsetsIS3_Lb1EN6thrust23THRUST_200600_302600_NS6detail15normal_iteratorINS9_10device_ptrIiEEEEPS5_jNS0_19identity_decomposerEEE10hipError_tT1_T2_PT3_SK_jT4_jjP12ihipStream_tbEUlT_E_NS1_11comp_targetILNS1_3genE4ELNS1_11target_archE910ELNS1_3gpuE8ELNS1_3repE0EEENS1_52radix_sort_onesweep_histogram_config_static_selectorELNS0_4arch9wavefront6targetE1EEEvSI_
	.globl	_ZN7rocprim17ROCPRIM_400000_NS6detail17trampoline_kernelINS0_14default_configENS1_35radix_sort_onesweep_config_selectorIiNS0_10empty_typeEEEZNS1_34radix_sort_onesweep_global_offsetsIS3_Lb1EN6thrust23THRUST_200600_302600_NS6detail15normal_iteratorINS9_10device_ptrIiEEEEPS5_jNS0_19identity_decomposerEEE10hipError_tT1_T2_PT3_SK_jT4_jjP12ihipStream_tbEUlT_E_NS1_11comp_targetILNS1_3genE4ELNS1_11target_archE910ELNS1_3gpuE8ELNS1_3repE0EEENS1_52radix_sort_onesweep_histogram_config_static_selectorELNS0_4arch9wavefront6targetE1EEEvSI_
	.p2align	8
	.type	_ZN7rocprim17ROCPRIM_400000_NS6detail17trampoline_kernelINS0_14default_configENS1_35radix_sort_onesweep_config_selectorIiNS0_10empty_typeEEEZNS1_34radix_sort_onesweep_global_offsetsIS3_Lb1EN6thrust23THRUST_200600_302600_NS6detail15normal_iteratorINS9_10device_ptrIiEEEEPS5_jNS0_19identity_decomposerEEE10hipError_tT1_T2_PT3_SK_jT4_jjP12ihipStream_tbEUlT_E_NS1_11comp_targetILNS1_3genE4ELNS1_11target_archE910ELNS1_3gpuE8ELNS1_3repE0EEENS1_52radix_sort_onesweep_histogram_config_static_selectorELNS0_4arch9wavefront6targetE1EEEvSI_,@function
_ZN7rocprim17ROCPRIM_400000_NS6detail17trampoline_kernelINS0_14default_configENS1_35radix_sort_onesweep_config_selectorIiNS0_10empty_typeEEEZNS1_34radix_sort_onesweep_global_offsetsIS3_Lb1EN6thrust23THRUST_200600_302600_NS6detail15normal_iteratorINS9_10device_ptrIiEEEEPS5_jNS0_19identity_decomposerEEE10hipError_tT1_T2_PT3_SK_jT4_jjP12ihipStream_tbEUlT_E_NS1_11comp_targetILNS1_3genE4ELNS1_11target_archE910ELNS1_3gpuE8ELNS1_3repE0EEENS1_52radix_sort_onesweep_histogram_config_static_selectorELNS0_4arch9wavefront6targetE1EEEvSI_: ; @_ZN7rocprim17ROCPRIM_400000_NS6detail17trampoline_kernelINS0_14default_configENS1_35radix_sort_onesweep_config_selectorIiNS0_10empty_typeEEEZNS1_34radix_sort_onesweep_global_offsetsIS3_Lb1EN6thrust23THRUST_200600_302600_NS6detail15normal_iteratorINS9_10device_ptrIiEEEEPS5_jNS0_19identity_decomposerEEE10hipError_tT1_T2_PT3_SK_jT4_jjP12ihipStream_tbEUlT_E_NS1_11comp_targetILNS1_3genE4ELNS1_11target_archE910ELNS1_3gpuE8ELNS1_3repE0EEENS1_52radix_sort_onesweep_histogram_config_static_selectorELNS0_4arch9wavefront6targetE1EEEvSI_
; %bb.0:
	.section	.rodata,"a",@progbits
	.p2align	6, 0x0
	.amdhsa_kernel _ZN7rocprim17ROCPRIM_400000_NS6detail17trampoline_kernelINS0_14default_configENS1_35radix_sort_onesweep_config_selectorIiNS0_10empty_typeEEEZNS1_34radix_sort_onesweep_global_offsetsIS3_Lb1EN6thrust23THRUST_200600_302600_NS6detail15normal_iteratorINS9_10device_ptrIiEEEEPS5_jNS0_19identity_decomposerEEE10hipError_tT1_T2_PT3_SK_jT4_jjP12ihipStream_tbEUlT_E_NS1_11comp_targetILNS1_3genE4ELNS1_11target_archE910ELNS1_3gpuE8ELNS1_3repE0EEENS1_52radix_sort_onesweep_histogram_config_static_selectorELNS0_4arch9wavefront6targetE1EEEvSI_
		.amdhsa_group_segment_fixed_size 0
		.amdhsa_private_segment_fixed_size 0
		.amdhsa_kernarg_size 40
		.amdhsa_user_sgpr_count 2
		.amdhsa_user_sgpr_dispatch_ptr 0
		.amdhsa_user_sgpr_queue_ptr 0
		.amdhsa_user_sgpr_kernarg_segment_ptr 1
		.amdhsa_user_sgpr_dispatch_id 0
		.amdhsa_user_sgpr_kernarg_preload_length 0
		.amdhsa_user_sgpr_kernarg_preload_offset 0
		.amdhsa_user_sgpr_private_segment_size 0
		.amdhsa_uses_dynamic_stack 0
		.amdhsa_enable_private_segment 0
		.amdhsa_system_sgpr_workgroup_id_x 1
		.amdhsa_system_sgpr_workgroup_id_y 0
		.amdhsa_system_sgpr_workgroup_id_z 0
		.amdhsa_system_sgpr_workgroup_info 0
		.amdhsa_system_vgpr_workitem_id 0
		.amdhsa_next_free_vgpr 1
		.amdhsa_next_free_sgpr 0
		.amdhsa_accum_offset 4
		.amdhsa_reserve_vcc 0
		.amdhsa_float_round_mode_32 0
		.amdhsa_float_round_mode_16_64 0
		.amdhsa_float_denorm_mode_32 3
		.amdhsa_float_denorm_mode_16_64 3
		.amdhsa_dx10_clamp 1
		.amdhsa_ieee_mode 1
		.amdhsa_fp16_overflow 0
		.amdhsa_tg_split 0
		.amdhsa_exception_fp_ieee_invalid_op 0
		.amdhsa_exception_fp_denorm_src 0
		.amdhsa_exception_fp_ieee_div_zero 0
		.amdhsa_exception_fp_ieee_overflow 0
		.amdhsa_exception_fp_ieee_underflow 0
		.amdhsa_exception_fp_ieee_inexact 0
		.amdhsa_exception_int_div_zero 0
	.end_amdhsa_kernel
	.section	.text._ZN7rocprim17ROCPRIM_400000_NS6detail17trampoline_kernelINS0_14default_configENS1_35radix_sort_onesweep_config_selectorIiNS0_10empty_typeEEEZNS1_34radix_sort_onesweep_global_offsetsIS3_Lb1EN6thrust23THRUST_200600_302600_NS6detail15normal_iteratorINS9_10device_ptrIiEEEEPS5_jNS0_19identity_decomposerEEE10hipError_tT1_T2_PT3_SK_jT4_jjP12ihipStream_tbEUlT_E_NS1_11comp_targetILNS1_3genE4ELNS1_11target_archE910ELNS1_3gpuE8ELNS1_3repE0EEENS1_52radix_sort_onesweep_histogram_config_static_selectorELNS0_4arch9wavefront6targetE1EEEvSI_,"axG",@progbits,_ZN7rocprim17ROCPRIM_400000_NS6detail17trampoline_kernelINS0_14default_configENS1_35radix_sort_onesweep_config_selectorIiNS0_10empty_typeEEEZNS1_34radix_sort_onesweep_global_offsetsIS3_Lb1EN6thrust23THRUST_200600_302600_NS6detail15normal_iteratorINS9_10device_ptrIiEEEEPS5_jNS0_19identity_decomposerEEE10hipError_tT1_T2_PT3_SK_jT4_jjP12ihipStream_tbEUlT_E_NS1_11comp_targetILNS1_3genE4ELNS1_11target_archE910ELNS1_3gpuE8ELNS1_3repE0EEENS1_52radix_sort_onesweep_histogram_config_static_selectorELNS0_4arch9wavefront6targetE1EEEvSI_,comdat
.Lfunc_end322:
	.size	_ZN7rocprim17ROCPRIM_400000_NS6detail17trampoline_kernelINS0_14default_configENS1_35radix_sort_onesweep_config_selectorIiNS0_10empty_typeEEEZNS1_34radix_sort_onesweep_global_offsetsIS3_Lb1EN6thrust23THRUST_200600_302600_NS6detail15normal_iteratorINS9_10device_ptrIiEEEEPS5_jNS0_19identity_decomposerEEE10hipError_tT1_T2_PT3_SK_jT4_jjP12ihipStream_tbEUlT_E_NS1_11comp_targetILNS1_3genE4ELNS1_11target_archE910ELNS1_3gpuE8ELNS1_3repE0EEENS1_52radix_sort_onesweep_histogram_config_static_selectorELNS0_4arch9wavefront6targetE1EEEvSI_, .Lfunc_end322-_ZN7rocprim17ROCPRIM_400000_NS6detail17trampoline_kernelINS0_14default_configENS1_35radix_sort_onesweep_config_selectorIiNS0_10empty_typeEEEZNS1_34radix_sort_onesweep_global_offsetsIS3_Lb1EN6thrust23THRUST_200600_302600_NS6detail15normal_iteratorINS9_10device_ptrIiEEEEPS5_jNS0_19identity_decomposerEEE10hipError_tT1_T2_PT3_SK_jT4_jjP12ihipStream_tbEUlT_E_NS1_11comp_targetILNS1_3genE4ELNS1_11target_archE910ELNS1_3gpuE8ELNS1_3repE0EEENS1_52radix_sort_onesweep_histogram_config_static_selectorELNS0_4arch9wavefront6targetE1EEEvSI_
                                        ; -- End function
	.set _ZN7rocprim17ROCPRIM_400000_NS6detail17trampoline_kernelINS0_14default_configENS1_35radix_sort_onesweep_config_selectorIiNS0_10empty_typeEEEZNS1_34radix_sort_onesweep_global_offsetsIS3_Lb1EN6thrust23THRUST_200600_302600_NS6detail15normal_iteratorINS9_10device_ptrIiEEEEPS5_jNS0_19identity_decomposerEEE10hipError_tT1_T2_PT3_SK_jT4_jjP12ihipStream_tbEUlT_E_NS1_11comp_targetILNS1_3genE4ELNS1_11target_archE910ELNS1_3gpuE8ELNS1_3repE0EEENS1_52radix_sort_onesweep_histogram_config_static_selectorELNS0_4arch9wavefront6targetE1EEEvSI_.num_vgpr, 0
	.set _ZN7rocprim17ROCPRIM_400000_NS6detail17trampoline_kernelINS0_14default_configENS1_35radix_sort_onesweep_config_selectorIiNS0_10empty_typeEEEZNS1_34radix_sort_onesweep_global_offsetsIS3_Lb1EN6thrust23THRUST_200600_302600_NS6detail15normal_iteratorINS9_10device_ptrIiEEEEPS5_jNS0_19identity_decomposerEEE10hipError_tT1_T2_PT3_SK_jT4_jjP12ihipStream_tbEUlT_E_NS1_11comp_targetILNS1_3genE4ELNS1_11target_archE910ELNS1_3gpuE8ELNS1_3repE0EEENS1_52radix_sort_onesweep_histogram_config_static_selectorELNS0_4arch9wavefront6targetE1EEEvSI_.num_agpr, 0
	.set _ZN7rocprim17ROCPRIM_400000_NS6detail17trampoline_kernelINS0_14default_configENS1_35radix_sort_onesweep_config_selectorIiNS0_10empty_typeEEEZNS1_34radix_sort_onesweep_global_offsetsIS3_Lb1EN6thrust23THRUST_200600_302600_NS6detail15normal_iteratorINS9_10device_ptrIiEEEEPS5_jNS0_19identity_decomposerEEE10hipError_tT1_T2_PT3_SK_jT4_jjP12ihipStream_tbEUlT_E_NS1_11comp_targetILNS1_3genE4ELNS1_11target_archE910ELNS1_3gpuE8ELNS1_3repE0EEENS1_52radix_sort_onesweep_histogram_config_static_selectorELNS0_4arch9wavefront6targetE1EEEvSI_.numbered_sgpr, 0
	.set _ZN7rocprim17ROCPRIM_400000_NS6detail17trampoline_kernelINS0_14default_configENS1_35radix_sort_onesweep_config_selectorIiNS0_10empty_typeEEEZNS1_34radix_sort_onesweep_global_offsetsIS3_Lb1EN6thrust23THRUST_200600_302600_NS6detail15normal_iteratorINS9_10device_ptrIiEEEEPS5_jNS0_19identity_decomposerEEE10hipError_tT1_T2_PT3_SK_jT4_jjP12ihipStream_tbEUlT_E_NS1_11comp_targetILNS1_3genE4ELNS1_11target_archE910ELNS1_3gpuE8ELNS1_3repE0EEENS1_52radix_sort_onesweep_histogram_config_static_selectorELNS0_4arch9wavefront6targetE1EEEvSI_.num_named_barrier, 0
	.set _ZN7rocprim17ROCPRIM_400000_NS6detail17trampoline_kernelINS0_14default_configENS1_35radix_sort_onesweep_config_selectorIiNS0_10empty_typeEEEZNS1_34radix_sort_onesweep_global_offsetsIS3_Lb1EN6thrust23THRUST_200600_302600_NS6detail15normal_iteratorINS9_10device_ptrIiEEEEPS5_jNS0_19identity_decomposerEEE10hipError_tT1_T2_PT3_SK_jT4_jjP12ihipStream_tbEUlT_E_NS1_11comp_targetILNS1_3genE4ELNS1_11target_archE910ELNS1_3gpuE8ELNS1_3repE0EEENS1_52radix_sort_onesweep_histogram_config_static_selectorELNS0_4arch9wavefront6targetE1EEEvSI_.private_seg_size, 0
	.set _ZN7rocprim17ROCPRIM_400000_NS6detail17trampoline_kernelINS0_14default_configENS1_35radix_sort_onesweep_config_selectorIiNS0_10empty_typeEEEZNS1_34radix_sort_onesweep_global_offsetsIS3_Lb1EN6thrust23THRUST_200600_302600_NS6detail15normal_iteratorINS9_10device_ptrIiEEEEPS5_jNS0_19identity_decomposerEEE10hipError_tT1_T2_PT3_SK_jT4_jjP12ihipStream_tbEUlT_E_NS1_11comp_targetILNS1_3genE4ELNS1_11target_archE910ELNS1_3gpuE8ELNS1_3repE0EEENS1_52radix_sort_onesweep_histogram_config_static_selectorELNS0_4arch9wavefront6targetE1EEEvSI_.uses_vcc, 0
	.set _ZN7rocprim17ROCPRIM_400000_NS6detail17trampoline_kernelINS0_14default_configENS1_35radix_sort_onesweep_config_selectorIiNS0_10empty_typeEEEZNS1_34radix_sort_onesweep_global_offsetsIS3_Lb1EN6thrust23THRUST_200600_302600_NS6detail15normal_iteratorINS9_10device_ptrIiEEEEPS5_jNS0_19identity_decomposerEEE10hipError_tT1_T2_PT3_SK_jT4_jjP12ihipStream_tbEUlT_E_NS1_11comp_targetILNS1_3genE4ELNS1_11target_archE910ELNS1_3gpuE8ELNS1_3repE0EEENS1_52radix_sort_onesweep_histogram_config_static_selectorELNS0_4arch9wavefront6targetE1EEEvSI_.uses_flat_scratch, 0
	.set _ZN7rocprim17ROCPRIM_400000_NS6detail17trampoline_kernelINS0_14default_configENS1_35radix_sort_onesweep_config_selectorIiNS0_10empty_typeEEEZNS1_34radix_sort_onesweep_global_offsetsIS3_Lb1EN6thrust23THRUST_200600_302600_NS6detail15normal_iteratorINS9_10device_ptrIiEEEEPS5_jNS0_19identity_decomposerEEE10hipError_tT1_T2_PT3_SK_jT4_jjP12ihipStream_tbEUlT_E_NS1_11comp_targetILNS1_3genE4ELNS1_11target_archE910ELNS1_3gpuE8ELNS1_3repE0EEENS1_52radix_sort_onesweep_histogram_config_static_selectorELNS0_4arch9wavefront6targetE1EEEvSI_.has_dyn_sized_stack, 0
	.set _ZN7rocprim17ROCPRIM_400000_NS6detail17trampoline_kernelINS0_14default_configENS1_35radix_sort_onesweep_config_selectorIiNS0_10empty_typeEEEZNS1_34radix_sort_onesweep_global_offsetsIS3_Lb1EN6thrust23THRUST_200600_302600_NS6detail15normal_iteratorINS9_10device_ptrIiEEEEPS5_jNS0_19identity_decomposerEEE10hipError_tT1_T2_PT3_SK_jT4_jjP12ihipStream_tbEUlT_E_NS1_11comp_targetILNS1_3genE4ELNS1_11target_archE910ELNS1_3gpuE8ELNS1_3repE0EEENS1_52radix_sort_onesweep_histogram_config_static_selectorELNS0_4arch9wavefront6targetE1EEEvSI_.has_recursion, 0
	.set _ZN7rocprim17ROCPRIM_400000_NS6detail17trampoline_kernelINS0_14default_configENS1_35radix_sort_onesweep_config_selectorIiNS0_10empty_typeEEEZNS1_34radix_sort_onesweep_global_offsetsIS3_Lb1EN6thrust23THRUST_200600_302600_NS6detail15normal_iteratorINS9_10device_ptrIiEEEEPS5_jNS0_19identity_decomposerEEE10hipError_tT1_T2_PT3_SK_jT4_jjP12ihipStream_tbEUlT_E_NS1_11comp_targetILNS1_3genE4ELNS1_11target_archE910ELNS1_3gpuE8ELNS1_3repE0EEENS1_52radix_sort_onesweep_histogram_config_static_selectorELNS0_4arch9wavefront6targetE1EEEvSI_.has_indirect_call, 0
	.section	.AMDGPU.csdata,"",@progbits
; Kernel info:
; codeLenInByte = 0
; TotalNumSgprs: 6
; NumVgprs: 0
; NumAgprs: 0
; TotalNumVgprs: 0
; ScratchSize: 0
; MemoryBound: 0
; FloatMode: 240
; IeeeMode: 1
; LDSByteSize: 0 bytes/workgroup (compile time only)
; SGPRBlocks: 0
; VGPRBlocks: 0
; NumSGPRsForWavesPerEU: 6
; NumVGPRsForWavesPerEU: 1
; AccumOffset: 4
; Occupancy: 8
; WaveLimiterHint : 0
; COMPUTE_PGM_RSRC2:SCRATCH_EN: 0
; COMPUTE_PGM_RSRC2:USER_SGPR: 2
; COMPUTE_PGM_RSRC2:TRAP_HANDLER: 0
; COMPUTE_PGM_RSRC2:TGID_X_EN: 1
; COMPUTE_PGM_RSRC2:TGID_Y_EN: 0
; COMPUTE_PGM_RSRC2:TGID_Z_EN: 0
; COMPUTE_PGM_RSRC2:TIDIG_COMP_CNT: 0
; COMPUTE_PGM_RSRC3_GFX90A:ACCUM_OFFSET: 0
; COMPUTE_PGM_RSRC3_GFX90A:TG_SPLIT: 0
	.section	.text._ZN7rocprim17ROCPRIM_400000_NS6detail17trampoline_kernelINS0_14default_configENS1_35radix_sort_onesweep_config_selectorIiNS0_10empty_typeEEEZNS1_34radix_sort_onesweep_global_offsetsIS3_Lb1EN6thrust23THRUST_200600_302600_NS6detail15normal_iteratorINS9_10device_ptrIiEEEEPS5_jNS0_19identity_decomposerEEE10hipError_tT1_T2_PT3_SK_jT4_jjP12ihipStream_tbEUlT_E_NS1_11comp_targetILNS1_3genE3ELNS1_11target_archE908ELNS1_3gpuE7ELNS1_3repE0EEENS1_52radix_sort_onesweep_histogram_config_static_selectorELNS0_4arch9wavefront6targetE1EEEvSI_,"axG",@progbits,_ZN7rocprim17ROCPRIM_400000_NS6detail17trampoline_kernelINS0_14default_configENS1_35radix_sort_onesweep_config_selectorIiNS0_10empty_typeEEEZNS1_34radix_sort_onesweep_global_offsetsIS3_Lb1EN6thrust23THRUST_200600_302600_NS6detail15normal_iteratorINS9_10device_ptrIiEEEEPS5_jNS0_19identity_decomposerEEE10hipError_tT1_T2_PT3_SK_jT4_jjP12ihipStream_tbEUlT_E_NS1_11comp_targetILNS1_3genE3ELNS1_11target_archE908ELNS1_3gpuE7ELNS1_3repE0EEENS1_52radix_sort_onesweep_histogram_config_static_selectorELNS0_4arch9wavefront6targetE1EEEvSI_,comdat
	.protected	_ZN7rocprim17ROCPRIM_400000_NS6detail17trampoline_kernelINS0_14default_configENS1_35radix_sort_onesweep_config_selectorIiNS0_10empty_typeEEEZNS1_34radix_sort_onesweep_global_offsetsIS3_Lb1EN6thrust23THRUST_200600_302600_NS6detail15normal_iteratorINS9_10device_ptrIiEEEEPS5_jNS0_19identity_decomposerEEE10hipError_tT1_T2_PT3_SK_jT4_jjP12ihipStream_tbEUlT_E_NS1_11comp_targetILNS1_3genE3ELNS1_11target_archE908ELNS1_3gpuE7ELNS1_3repE0EEENS1_52radix_sort_onesweep_histogram_config_static_selectorELNS0_4arch9wavefront6targetE1EEEvSI_ ; -- Begin function _ZN7rocprim17ROCPRIM_400000_NS6detail17trampoline_kernelINS0_14default_configENS1_35radix_sort_onesweep_config_selectorIiNS0_10empty_typeEEEZNS1_34radix_sort_onesweep_global_offsetsIS3_Lb1EN6thrust23THRUST_200600_302600_NS6detail15normal_iteratorINS9_10device_ptrIiEEEEPS5_jNS0_19identity_decomposerEEE10hipError_tT1_T2_PT3_SK_jT4_jjP12ihipStream_tbEUlT_E_NS1_11comp_targetILNS1_3genE3ELNS1_11target_archE908ELNS1_3gpuE7ELNS1_3repE0EEENS1_52radix_sort_onesweep_histogram_config_static_selectorELNS0_4arch9wavefront6targetE1EEEvSI_
	.globl	_ZN7rocprim17ROCPRIM_400000_NS6detail17trampoline_kernelINS0_14default_configENS1_35radix_sort_onesweep_config_selectorIiNS0_10empty_typeEEEZNS1_34radix_sort_onesweep_global_offsetsIS3_Lb1EN6thrust23THRUST_200600_302600_NS6detail15normal_iteratorINS9_10device_ptrIiEEEEPS5_jNS0_19identity_decomposerEEE10hipError_tT1_T2_PT3_SK_jT4_jjP12ihipStream_tbEUlT_E_NS1_11comp_targetILNS1_3genE3ELNS1_11target_archE908ELNS1_3gpuE7ELNS1_3repE0EEENS1_52radix_sort_onesweep_histogram_config_static_selectorELNS0_4arch9wavefront6targetE1EEEvSI_
	.p2align	8
	.type	_ZN7rocprim17ROCPRIM_400000_NS6detail17trampoline_kernelINS0_14default_configENS1_35radix_sort_onesweep_config_selectorIiNS0_10empty_typeEEEZNS1_34radix_sort_onesweep_global_offsetsIS3_Lb1EN6thrust23THRUST_200600_302600_NS6detail15normal_iteratorINS9_10device_ptrIiEEEEPS5_jNS0_19identity_decomposerEEE10hipError_tT1_T2_PT3_SK_jT4_jjP12ihipStream_tbEUlT_E_NS1_11comp_targetILNS1_3genE3ELNS1_11target_archE908ELNS1_3gpuE7ELNS1_3repE0EEENS1_52radix_sort_onesweep_histogram_config_static_selectorELNS0_4arch9wavefront6targetE1EEEvSI_,@function
_ZN7rocprim17ROCPRIM_400000_NS6detail17trampoline_kernelINS0_14default_configENS1_35radix_sort_onesweep_config_selectorIiNS0_10empty_typeEEEZNS1_34radix_sort_onesweep_global_offsetsIS3_Lb1EN6thrust23THRUST_200600_302600_NS6detail15normal_iteratorINS9_10device_ptrIiEEEEPS5_jNS0_19identity_decomposerEEE10hipError_tT1_T2_PT3_SK_jT4_jjP12ihipStream_tbEUlT_E_NS1_11comp_targetILNS1_3genE3ELNS1_11target_archE908ELNS1_3gpuE7ELNS1_3repE0EEENS1_52radix_sort_onesweep_histogram_config_static_selectorELNS0_4arch9wavefront6targetE1EEEvSI_: ; @_ZN7rocprim17ROCPRIM_400000_NS6detail17trampoline_kernelINS0_14default_configENS1_35radix_sort_onesweep_config_selectorIiNS0_10empty_typeEEEZNS1_34radix_sort_onesweep_global_offsetsIS3_Lb1EN6thrust23THRUST_200600_302600_NS6detail15normal_iteratorINS9_10device_ptrIiEEEEPS5_jNS0_19identity_decomposerEEE10hipError_tT1_T2_PT3_SK_jT4_jjP12ihipStream_tbEUlT_E_NS1_11comp_targetILNS1_3genE3ELNS1_11target_archE908ELNS1_3gpuE7ELNS1_3repE0EEENS1_52radix_sort_onesweep_histogram_config_static_selectorELNS0_4arch9wavefront6targetE1EEEvSI_
; %bb.0:
	.section	.rodata,"a",@progbits
	.p2align	6, 0x0
	.amdhsa_kernel _ZN7rocprim17ROCPRIM_400000_NS6detail17trampoline_kernelINS0_14default_configENS1_35radix_sort_onesweep_config_selectorIiNS0_10empty_typeEEEZNS1_34radix_sort_onesweep_global_offsetsIS3_Lb1EN6thrust23THRUST_200600_302600_NS6detail15normal_iteratorINS9_10device_ptrIiEEEEPS5_jNS0_19identity_decomposerEEE10hipError_tT1_T2_PT3_SK_jT4_jjP12ihipStream_tbEUlT_E_NS1_11comp_targetILNS1_3genE3ELNS1_11target_archE908ELNS1_3gpuE7ELNS1_3repE0EEENS1_52radix_sort_onesweep_histogram_config_static_selectorELNS0_4arch9wavefront6targetE1EEEvSI_
		.amdhsa_group_segment_fixed_size 0
		.amdhsa_private_segment_fixed_size 0
		.amdhsa_kernarg_size 40
		.amdhsa_user_sgpr_count 2
		.amdhsa_user_sgpr_dispatch_ptr 0
		.amdhsa_user_sgpr_queue_ptr 0
		.amdhsa_user_sgpr_kernarg_segment_ptr 1
		.amdhsa_user_sgpr_dispatch_id 0
		.amdhsa_user_sgpr_kernarg_preload_length 0
		.amdhsa_user_sgpr_kernarg_preload_offset 0
		.amdhsa_user_sgpr_private_segment_size 0
		.amdhsa_uses_dynamic_stack 0
		.amdhsa_enable_private_segment 0
		.amdhsa_system_sgpr_workgroup_id_x 1
		.amdhsa_system_sgpr_workgroup_id_y 0
		.amdhsa_system_sgpr_workgroup_id_z 0
		.amdhsa_system_sgpr_workgroup_info 0
		.amdhsa_system_vgpr_workitem_id 0
		.amdhsa_next_free_vgpr 1
		.amdhsa_next_free_sgpr 0
		.amdhsa_accum_offset 4
		.amdhsa_reserve_vcc 0
		.amdhsa_float_round_mode_32 0
		.amdhsa_float_round_mode_16_64 0
		.amdhsa_float_denorm_mode_32 3
		.amdhsa_float_denorm_mode_16_64 3
		.amdhsa_dx10_clamp 1
		.amdhsa_ieee_mode 1
		.amdhsa_fp16_overflow 0
		.amdhsa_tg_split 0
		.amdhsa_exception_fp_ieee_invalid_op 0
		.amdhsa_exception_fp_denorm_src 0
		.amdhsa_exception_fp_ieee_div_zero 0
		.amdhsa_exception_fp_ieee_overflow 0
		.amdhsa_exception_fp_ieee_underflow 0
		.amdhsa_exception_fp_ieee_inexact 0
		.amdhsa_exception_int_div_zero 0
	.end_amdhsa_kernel
	.section	.text._ZN7rocprim17ROCPRIM_400000_NS6detail17trampoline_kernelINS0_14default_configENS1_35radix_sort_onesweep_config_selectorIiNS0_10empty_typeEEEZNS1_34radix_sort_onesweep_global_offsetsIS3_Lb1EN6thrust23THRUST_200600_302600_NS6detail15normal_iteratorINS9_10device_ptrIiEEEEPS5_jNS0_19identity_decomposerEEE10hipError_tT1_T2_PT3_SK_jT4_jjP12ihipStream_tbEUlT_E_NS1_11comp_targetILNS1_3genE3ELNS1_11target_archE908ELNS1_3gpuE7ELNS1_3repE0EEENS1_52radix_sort_onesweep_histogram_config_static_selectorELNS0_4arch9wavefront6targetE1EEEvSI_,"axG",@progbits,_ZN7rocprim17ROCPRIM_400000_NS6detail17trampoline_kernelINS0_14default_configENS1_35radix_sort_onesweep_config_selectorIiNS0_10empty_typeEEEZNS1_34radix_sort_onesweep_global_offsetsIS3_Lb1EN6thrust23THRUST_200600_302600_NS6detail15normal_iteratorINS9_10device_ptrIiEEEEPS5_jNS0_19identity_decomposerEEE10hipError_tT1_T2_PT3_SK_jT4_jjP12ihipStream_tbEUlT_E_NS1_11comp_targetILNS1_3genE3ELNS1_11target_archE908ELNS1_3gpuE7ELNS1_3repE0EEENS1_52radix_sort_onesweep_histogram_config_static_selectorELNS0_4arch9wavefront6targetE1EEEvSI_,comdat
.Lfunc_end323:
	.size	_ZN7rocprim17ROCPRIM_400000_NS6detail17trampoline_kernelINS0_14default_configENS1_35radix_sort_onesweep_config_selectorIiNS0_10empty_typeEEEZNS1_34radix_sort_onesweep_global_offsetsIS3_Lb1EN6thrust23THRUST_200600_302600_NS6detail15normal_iteratorINS9_10device_ptrIiEEEEPS5_jNS0_19identity_decomposerEEE10hipError_tT1_T2_PT3_SK_jT4_jjP12ihipStream_tbEUlT_E_NS1_11comp_targetILNS1_3genE3ELNS1_11target_archE908ELNS1_3gpuE7ELNS1_3repE0EEENS1_52radix_sort_onesweep_histogram_config_static_selectorELNS0_4arch9wavefront6targetE1EEEvSI_, .Lfunc_end323-_ZN7rocprim17ROCPRIM_400000_NS6detail17trampoline_kernelINS0_14default_configENS1_35radix_sort_onesweep_config_selectorIiNS0_10empty_typeEEEZNS1_34radix_sort_onesweep_global_offsetsIS3_Lb1EN6thrust23THRUST_200600_302600_NS6detail15normal_iteratorINS9_10device_ptrIiEEEEPS5_jNS0_19identity_decomposerEEE10hipError_tT1_T2_PT3_SK_jT4_jjP12ihipStream_tbEUlT_E_NS1_11comp_targetILNS1_3genE3ELNS1_11target_archE908ELNS1_3gpuE7ELNS1_3repE0EEENS1_52radix_sort_onesweep_histogram_config_static_selectorELNS0_4arch9wavefront6targetE1EEEvSI_
                                        ; -- End function
	.set _ZN7rocprim17ROCPRIM_400000_NS6detail17trampoline_kernelINS0_14default_configENS1_35radix_sort_onesweep_config_selectorIiNS0_10empty_typeEEEZNS1_34radix_sort_onesweep_global_offsetsIS3_Lb1EN6thrust23THRUST_200600_302600_NS6detail15normal_iteratorINS9_10device_ptrIiEEEEPS5_jNS0_19identity_decomposerEEE10hipError_tT1_T2_PT3_SK_jT4_jjP12ihipStream_tbEUlT_E_NS1_11comp_targetILNS1_3genE3ELNS1_11target_archE908ELNS1_3gpuE7ELNS1_3repE0EEENS1_52radix_sort_onesweep_histogram_config_static_selectorELNS0_4arch9wavefront6targetE1EEEvSI_.num_vgpr, 0
	.set _ZN7rocprim17ROCPRIM_400000_NS6detail17trampoline_kernelINS0_14default_configENS1_35radix_sort_onesweep_config_selectorIiNS0_10empty_typeEEEZNS1_34radix_sort_onesweep_global_offsetsIS3_Lb1EN6thrust23THRUST_200600_302600_NS6detail15normal_iteratorINS9_10device_ptrIiEEEEPS5_jNS0_19identity_decomposerEEE10hipError_tT1_T2_PT3_SK_jT4_jjP12ihipStream_tbEUlT_E_NS1_11comp_targetILNS1_3genE3ELNS1_11target_archE908ELNS1_3gpuE7ELNS1_3repE0EEENS1_52radix_sort_onesweep_histogram_config_static_selectorELNS0_4arch9wavefront6targetE1EEEvSI_.num_agpr, 0
	.set _ZN7rocprim17ROCPRIM_400000_NS6detail17trampoline_kernelINS0_14default_configENS1_35radix_sort_onesweep_config_selectorIiNS0_10empty_typeEEEZNS1_34radix_sort_onesweep_global_offsetsIS3_Lb1EN6thrust23THRUST_200600_302600_NS6detail15normal_iteratorINS9_10device_ptrIiEEEEPS5_jNS0_19identity_decomposerEEE10hipError_tT1_T2_PT3_SK_jT4_jjP12ihipStream_tbEUlT_E_NS1_11comp_targetILNS1_3genE3ELNS1_11target_archE908ELNS1_3gpuE7ELNS1_3repE0EEENS1_52radix_sort_onesweep_histogram_config_static_selectorELNS0_4arch9wavefront6targetE1EEEvSI_.numbered_sgpr, 0
	.set _ZN7rocprim17ROCPRIM_400000_NS6detail17trampoline_kernelINS0_14default_configENS1_35radix_sort_onesweep_config_selectorIiNS0_10empty_typeEEEZNS1_34radix_sort_onesweep_global_offsetsIS3_Lb1EN6thrust23THRUST_200600_302600_NS6detail15normal_iteratorINS9_10device_ptrIiEEEEPS5_jNS0_19identity_decomposerEEE10hipError_tT1_T2_PT3_SK_jT4_jjP12ihipStream_tbEUlT_E_NS1_11comp_targetILNS1_3genE3ELNS1_11target_archE908ELNS1_3gpuE7ELNS1_3repE0EEENS1_52radix_sort_onesweep_histogram_config_static_selectorELNS0_4arch9wavefront6targetE1EEEvSI_.num_named_barrier, 0
	.set _ZN7rocprim17ROCPRIM_400000_NS6detail17trampoline_kernelINS0_14default_configENS1_35radix_sort_onesweep_config_selectorIiNS0_10empty_typeEEEZNS1_34radix_sort_onesweep_global_offsetsIS3_Lb1EN6thrust23THRUST_200600_302600_NS6detail15normal_iteratorINS9_10device_ptrIiEEEEPS5_jNS0_19identity_decomposerEEE10hipError_tT1_T2_PT3_SK_jT4_jjP12ihipStream_tbEUlT_E_NS1_11comp_targetILNS1_3genE3ELNS1_11target_archE908ELNS1_3gpuE7ELNS1_3repE0EEENS1_52radix_sort_onesweep_histogram_config_static_selectorELNS0_4arch9wavefront6targetE1EEEvSI_.private_seg_size, 0
	.set _ZN7rocprim17ROCPRIM_400000_NS6detail17trampoline_kernelINS0_14default_configENS1_35radix_sort_onesweep_config_selectorIiNS0_10empty_typeEEEZNS1_34radix_sort_onesweep_global_offsetsIS3_Lb1EN6thrust23THRUST_200600_302600_NS6detail15normal_iteratorINS9_10device_ptrIiEEEEPS5_jNS0_19identity_decomposerEEE10hipError_tT1_T2_PT3_SK_jT4_jjP12ihipStream_tbEUlT_E_NS1_11comp_targetILNS1_3genE3ELNS1_11target_archE908ELNS1_3gpuE7ELNS1_3repE0EEENS1_52radix_sort_onesweep_histogram_config_static_selectorELNS0_4arch9wavefront6targetE1EEEvSI_.uses_vcc, 0
	.set _ZN7rocprim17ROCPRIM_400000_NS6detail17trampoline_kernelINS0_14default_configENS1_35radix_sort_onesweep_config_selectorIiNS0_10empty_typeEEEZNS1_34radix_sort_onesweep_global_offsetsIS3_Lb1EN6thrust23THRUST_200600_302600_NS6detail15normal_iteratorINS9_10device_ptrIiEEEEPS5_jNS0_19identity_decomposerEEE10hipError_tT1_T2_PT3_SK_jT4_jjP12ihipStream_tbEUlT_E_NS1_11comp_targetILNS1_3genE3ELNS1_11target_archE908ELNS1_3gpuE7ELNS1_3repE0EEENS1_52radix_sort_onesweep_histogram_config_static_selectorELNS0_4arch9wavefront6targetE1EEEvSI_.uses_flat_scratch, 0
	.set _ZN7rocprim17ROCPRIM_400000_NS6detail17trampoline_kernelINS0_14default_configENS1_35radix_sort_onesweep_config_selectorIiNS0_10empty_typeEEEZNS1_34radix_sort_onesweep_global_offsetsIS3_Lb1EN6thrust23THRUST_200600_302600_NS6detail15normal_iteratorINS9_10device_ptrIiEEEEPS5_jNS0_19identity_decomposerEEE10hipError_tT1_T2_PT3_SK_jT4_jjP12ihipStream_tbEUlT_E_NS1_11comp_targetILNS1_3genE3ELNS1_11target_archE908ELNS1_3gpuE7ELNS1_3repE0EEENS1_52radix_sort_onesweep_histogram_config_static_selectorELNS0_4arch9wavefront6targetE1EEEvSI_.has_dyn_sized_stack, 0
	.set _ZN7rocprim17ROCPRIM_400000_NS6detail17trampoline_kernelINS0_14default_configENS1_35radix_sort_onesweep_config_selectorIiNS0_10empty_typeEEEZNS1_34radix_sort_onesweep_global_offsetsIS3_Lb1EN6thrust23THRUST_200600_302600_NS6detail15normal_iteratorINS9_10device_ptrIiEEEEPS5_jNS0_19identity_decomposerEEE10hipError_tT1_T2_PT3_SK_jT4_jjP12ihipStream_tbEUlT_E_NS1_11comp_targetILNS1_3genE3ELNS1_11target_archE908ELNS1_3gpuE7ELNS1_3repE0EEENS1_52radix_sort_onesweep_histogram_config_static_selectorELNS0_4arch9wavefront6targetE1EEEvSI_.has_recursion, 0
	.set _ZN7rocprim17ROCPRIM_400000_NS6detail17trampoline_kernelINS0_14default_configENS1_35radix_sort_onesweep_config_selectorIiNS0_10empty_typeEEEZNS1_34radix_sort_onesweep_global_offsetsIS3_Lb1EN6thrust23THRUST_200600_302600_NS6detail15normal_iteratorINS9_10device_ptrIiEEEEPS5_jNS0_19identity_decomposerEEE10hipError_tT1_T2_PT3_SK_jT4_jjP12ihipStream_tbEUlT_E_NS1_11comp_targetILNS1_3genE3ELNS1_11target_archE908ELNS1_3gpuE7ELNS1_3repE0EEENS1_52radix_sort_onesweep_histogram_config_static_selectorELNS0_4arch9wavefront6targetE1EEEvSI_.has_indirect_call, 0
	.section	.AMDGPU.csdata,"",@progbits
; Kernel info:
; codeLenInByte = 0
; TotalNumSgprs: 6
; NumVgprs: 0
; NumAgprs: 0
; TotalNumVgprs: 0
; ScratchSize: 0
; MemoryBound: 0
; FloatMode: 240
; IeeeMode: 1
; LDSByteSize: 0 bytes/workgroup (compile time only)
; SGPRBlocks: 0
; VGPRBlocks: 0
; NumSGPRsForWavesPerEU: 6
; NumVGPRsForWavesPerEU: 1
; AccumOffset: 4
; Occupancy: 8
; WaveLimiterHint : 0
; COMPUTE_PGM_RSRC2:SCRATCH_EN: 0
; COMPUTE_PGM_RSRC2:USER_SGPR: 2
; COMPUTE_PGM_RSRC2:TRAP_HANDLER: 0
; COMPUTE_PGM_RSRC2:TGID_X_EN: 1
; COMPUTE_PGM_RSRC2:TGID_Y_EN: 0
; COMPUTE_PGM_RSRC2:TGID_Z_EN: 0
; COMPUTE_PGM_RSRC2:TIDIG_COMP_CNT: 0
; COMPUTE_PGM_RSRC3_GFX90A:ACCUM_OFFSET: 0
; COMPUTE_PGM_RSRC3_GFX90A:TG_SPLIT: 0
	.section	.text._ZN7rocprim17ROCPRIM_400000_NS6detail17trampoline_kernelINS0_14default_configENS1_35radix_sort_onesweep_config_selectorIiNS0_10empty_typeEEEZNS1_34radix_sort_onesweep_global_offsetsIS3_Lb1EN6thrust23THRUST_200600_302600_NS6detail15normal_iteratorINS9_10device_ptrIiEEEEPS5_jNS0_19identity_decomposerEEE10hipError_tT1_T2_PT3_SK_jT4_jjP12ihipStream_tbEUlT_E_NS1_11comp_targetILNS1_3genE10ELNS1_11target_archE1201ELNS1_3gpuE5ELNS1_3repE0EEENS1_52radix_sort_onesweep_histogram_config_static_selectorELNS0_4arch9wavefront6targetE1EEEvSI_,"axG",@progbits,_ZN7rocprim17ROCPRIM_400000_NS6detail17trampoline_kernelINS0_14default_configENS1_35radix_sort_onesweep_config_selectorIiNS0_10empty_typeEEEZNS1_34radix_sort_onesweep_global_offsetsIS3_Lb1EN6thrust23THRUST_200600_302600_NS6detail15normal_iteratorINS9_10device_ptrIiEEEEPS5_jNS0_19identity_decomposerEEE10hipError_tT1_T2_PT3_SK_jT4_jjP12ihipStream_tbEUlT_E_NS1_11comp_targetILNS1_3genE10ELNS1_11target_archE1201ELNS1_3gpuE5ELNS1_3repE0EEENS1_52radix_sort_onesweep_histogram_config_static_selectorELNS0_4arch9wavefront6targetE1EEEvSI_,comdat
	.protected	_ZN7rocprim17ROCPRIM_400000_NS6detail17trampoline_kernelINS0_14default_configENS1_35radix_sort_onesweep_config_selectorIiNS0_10empty_typeEEEZNS1_34radix_sort_onesweep_global_offsetsIS3_Lb1EN6thrust23THRUST_200600_302600_NS6detail15normal_iteratorINS9_10device_ptrIiEEEEPS5_jNS0_19identity_decomposerEEE10hipError_tT1_T2_PT3_SK_jT4_jjP12ihipStream_tbEUlT_E_NS1_11comp_targetILNS1_3genE10ELNS1_11target_archE1201ELNS1_3gpuE5ELNS1_3repE0EEENS1_52radix_sort_onesweep_histogram_config_static_selectorELNS0_4arch9wavefront6targetE1EEEvSI_ ; -- Begin function _ZN7rocprim17ROCPRIM_400000_NS6detail17trampoline_kernelINS0_14default_configENS1_35radix_sort_onesweep_config_selectorIiNS0_10empty_typeEEEZNS1_34radix_sort_onesweep_global_offsetsIS3_Lb1EN6thrust23THRUST_200600_302600_NS6detail15normal_iteratorINS9_10device_ptrIiEEEEPS5_jNS0_19identity_decomposerEEE10hipError_tT1_T2_PT3_SK_jT4_jjP12ihipStream_tbEUlT_E_NS1_11comp_targetILNS1_3genE10ELNS1_11target_archE1201ELNS1_3gpuE5ELNS1_3repE0EEENS1_52radix_sort_onesweep_histogram_config_static_selectorELNS0_4arch9wavefront6targetE1EEEvSI_
	.globl	_ZN7rocprim17ROCPRIM_400000_NS6detail17trampoline_kernelINS0_14default_configENS1_35radix_sort_onesweep_config_selectorIiNS0_10empty_typeEEEZNS1_34radix_sort_onesweep_global_offsetsIS3_Lb1EN6thrust23THRUST_200600_302600_NS6detail15normal_iteratorINS9_10device_ptrIiEEEEPS5_jNS0_19identity_decomposerEEE10hipError_tT1_T2_PT3_SK_jT4_jjP12ihipStream_tbEUlT_E_NS1_11comp_targetILNS1_3genE10ELNS1_11target_archE1201ELNS1_3gpuE5ELNS1_3repE0EEENS1_52radix_sort_onesweep_histogram_config_static_selectorELNS0_4arch9wavefront6targetE1EEEvSI_
	.p2align	8
	.type	_ZN7rocprim17ROCPRIM_400000_NS6detail17trampoline_kernelINS0_14default_configENS1_35radix_sort_onesweep_config_selectorIiNS0_10empty_typeEEEZNS1_34radix_sort_onesweep_global_offsetsIS3_Lb1EN6thrust23THRUST_200600_302600_NS6detail15normal_iteratorINS9_10device_ptrIiEEEEPS5_jNS0_19identity_decomposerEEE10hipError_tT1_T2_PT3_SK_jT4_jjP12ihipStream_tbEUlT_E_NS1_11comp_targetILNS1_3genE10ELNS1_11target_archE1201ELNS1_3gpuE5ELNS1_3repE0EEENS1_52radix_sort_onesweep_histogram_config_static_selectorELNS0_4arch9wavefront6targetE1EEEvSI_,@function
_ZN7rocprim17ROCPRIM_400000_NS6detail17trampoline_kernelINS0_14default_configENS1_35radix_sort_onesweep_config_selectorIiNS0_10empty_typeEEEZNS1_34radix_sort_onesweep_global_offsetsIS3_Lb1EN6thrust23THRUST_200600_302600_NS6detail15normal_iteratorINS9_10device_ptrIiEEEEPS5_jNS0_19identity_decomposerEEE10hipError_tT1_T2_PT3_SK_jT4_jjP12ihipStream_tbEUlT_E_NS1_11comp_targetILNS1_3genE10ELNS1_11target_archE1201ELNS1_3gpuE5ELNS1_3repE0EEENS1_52radix_sort_onesweep_histogram_config_static_selectorELNS0_4arch9wavefront6targetE1EEEvSI_: ; @_ZN7rocprim17ROCPRIM_400000_NS6detail17trampoline_kernelINS0_14default_configENS1_35radix_sort_onesweep_config_selectorIiNS0_10empty_typeEEEZNS1_34radix_sort_onesweep_global_offsetsIS3_Lb1EN6thrust23THRUST_200600_302600_NS6detail15normal_iteratorINS9_10device_ptrIiEEEEPS5_jNS0_19identity_decomposerEEE10hipError_tT1_T2_PT3_SK_jT4_jjP12ihipStream_tbEUlT_E_NS1_11comp_targetILNS1_3genE10ELNS1_11target_archE1201ELNS1_3gpuE5ELNS1_3repE0EEENS1_52radix_sort_onesweep_histogram_config_static_selectorELNS0_4arch9wavefront6targetE1EEEvSI_
; %bb.0:
	.section	.rodata,"a",@progbits
	.p2align	6, 0x0
	.amdhsa_kernel _ZN7rocprim17ROCPRIM_400000_NS6detail17trampoline_kernelINS0_14default_configENS1_35radix_sort_onesweep_config_selectorIiNS0_10empty_typeEEEZNS1_34radix_sort_onesweep_global_offsetsIS3_Lb1EN6thrust23THRUST_200600_302600_NS6detail15normal_iteratorINS9_10device_ptrIiEEEEPS5_jNS0_19identity_decomposerEEE10hipError_tT1_T2_PT3_SK_jT4_jjP12ihipStream_tbEUlT_E_NS1_11comp_targetILNS1_3genE10ELNS1_11target_archE1201ELNS1_3gpuE5ELNS1_3repE0EEENS1_52radix_sort_onesweep_histogram_config_static_selectorELNS0_4arch9wavefront6targetE1EEEvSI_
		.amdhsa_group_segment_fixed_size 0
		.amdhsa_private_segment_fixed_size 0
		.amdhsa_kernarg_size 40
		.amdhsa_user_sgpr_count 2
		.amdhsa_user_sgpr_dispatch_ptr 0
		.amdhsa_user_sgpr_queue_ptr 0
		.amdhsa_user_sgpr_kernarg_segment_ptr 1
		.amdhsa_user_sgpr_dispatch_id 0
		.amdhsa_user_sgpr_kernarg_preload_length 0
		.amdhsa_user_sgpr_kernarg_preload_offset 0
		.amdhsa_user_sgpr_private_segment_size 0
		.amdhsa_uses_dynamic_stack 0
		.amdhsa_enable_private_segment 0
		.amdhsa_system_sgpr_workgroup_id_x 1
		.amdhsa_system_sgpr_workgroup_id_y 0
		.amdhsa_system_sgpr_workgroup_id_z 0
		.amdhsa_system_sgpr_workgroup_info 0
		.amdhsa_system_vgpr_workitem_id 0
		.amdhsa_next_free_vgpr 1
		.amdhsa_next_free_sgpr 0
		.amdhsa_accum_offset 4
		.amdhsa_reserve_vcc 0
		.amdhsa_float_round_mode_32 0
		.amdhsa_float_round_mode_16_64 0
		.amdhsa_float_denorm_mode_32 3
		.amdhsa_float_denorm_mode_16_64 3
		.amdhsa_dx10_clamp 1
		.amdhsa_ieee_mode 1
		.amdhsa_fp16_overflow 0
		.amdhsa_tg_split 0
		.amdhsa_exception_fp_ieee_invalid_op 0
		.amdhsa_exception_fp_denorm_src 0
		.amdhsa_exception_fp_ieee_div_zero 0
		.amdhsa_exception_fp_ieee_overflow 0
		.amdhsa_exception_fp_ieee_underflow 0
		.amdhsa_exception_fp_ieee_inexact 0
		.amdhsa_exception_int_div_zero 0
	.end_amdhsa_kernel
	.section	.text._ZN7rocprim17ROCPRIM_400000_NS6detail17trampoline_kernelINS0_14default_configENS1_35radix_sort_onesweep_config_selectorIiNS0_10empty_typeEEEZNS1_34radix_sort_onesweep_global_offsetsIS3_Lb1EN6thrust23THRUST_200600_302600_NS6detail15normal_iteratorINS9_10device_ptrIiEEEEPS5_jNS0_19identity_decomposerEEE10hipError_tT1_T2_PT3_SK_jT4_jjP12ihipStream_tbEUlT_E_NS1_11comp_targetILNS1_3genE10ELNS1_11target_archE1201ELNS1_3gpuE5ELNS1_3repE0EEENS1_52radix_sort_onesweep_histogram_config_static_selectorELNS0_4arch9wavefront6targetE1EEEvSI_,"axG",@progbits,_ZN7rocprim17ROCPRIM_400000_NS6detail17trampoline_kernelINS0_14default_configENS1_35radix_sort_onesweep_config_selectorIiNS0_10empty_typeEEEZNS1_34radix_sort_onesweep_global_offsetsIS3_Lb1EN6thrust23THRUST_200600_302600_NS6detail15normal_iteratorINS9_10device_ptrIiEEEEPS5_jNS0_19identity_decomposerEEE10hipError_tT1_T2_PT3_SK_jT4_jjP12ihipStream_tbEUlT_E_NS1_11comp_targetILNS1_3genE10ELNS1_11target_archE1201ELNS1_3gpuE5ELNS1_3repE0EEENS1_52radix_sort_onesweep_histogram_config_static_selectorELNS0_4arch9wavefront6targetE1EEEvSI_,comdat
.Lfunc_end324:
	.size	_ZN7rocprim17ROCPRIM_400000_NS6detail17trampoline_kernelINS0_14default_configENS1_35radix_sort_onesweep_config_selectorIiNS0_10empty_typeEEEZNS1_34radix_sort_onesweep_global_offsetsIS3_Lb1EN6thrust23THRUST_200600_302600_NS6detail15normal_iteratorINS9_10device_ptrIiEEEEPS5_jNS0_19identity_decomposerEEE10hipError_tT1_T2_PT3_SK_jT4_jjP12ihipStream_tbEUlT_E_NS1_11comp_targetILNS1_3genE10ELNS1_11target_archE1201ELNS1_3gpuE5ELNS1_3repE0EEENS1_52radix_sort_onesweep_histogram_config_static_selectorELNS0_4arch9wavefront6targetE1EEEvSI_, .Lfunc_end324-_ZN7rocprim17ROCPRIM_400000_NS6detail17trampoline_kernelINS0_14default_configENS1_35radix_sort_onesweep_config_selectorIiNS0_10empty_typeEEEZNS1_34radix_sort_onesweep_global_offsetsIS3_Lb1EN6thrust23THRUST_200600_302600_NS6detail15normal_iteratorINS9_10device_ptrIiEEEEPS5_jNS0_19identity_decomposerEEE10hipError_tT1_T2_PT3_SK_jT4_jjP12ihipStream_tbEUlT_E_NS1_11comp_targetILNS1_3genE10ELNS1_11target_archE1201ELNS1_3gpuE5ELNS1_3repE0EEENS1_52radix_sort_onesweep_histogram_config_static_selectorELNS0_4arch9wavefront6targetE1EEEvSI_
                                        ; -- End function
	.set _ZN7rocprim17ROCPRIM_400000_NS6detail17trampoline_kernelINS0_14default_configENS1_35radix_sort_onesweep_config_selectorIiNS0_10empty_typeEEEZNS1_34radix_sort_onesweep_global_offsetsIS3_Lb1EN6thrust23THRUST_200600_302600_NS6detail15normal_iteratorINS9_10device_ptrIiEEEEPS5_jNS0_19identity_decomposerEEE10hipError_tT1_T2_PT3_SK_jT4_jjP12ihipStream_tbEUlT_E_NS1_11comp_targetILNS1_3genE10ELNS1_11target_archE1201ELNS1_3gpuE5ELNS1_3repE0EEENS1_52radix_sort_onesweep_histogram_config_static_selectorELNS0_4arch9wavefront6targetE1EEEvSI_.num_vgpr, 0
	.set _ZN7rocprim17ROCPRIM_400000_NS6detail17trampoline_kernelINS0_14default_configENS1_35radix_sort_onesweep_config_selectorIiNS0_10empty_typeEEEZNS1_34radix_sort_onesweep_global_offsetsIS3_Lb1EN6thrust23THRUST_200600_302600_NS6detail15normal_iteratorINS9_10device_ptrIiEEEEPS5_jNS0_19identity_decomposerEEE10hipError_tT1_T2_PT3_SK_jT4_jjP12ihipStream_tbEUlT_E_NS1_11comp_targetILNS1_3genE10ELNS1_11target_archE1201ELNS1_3gpuE5ELNS1_3repE0EEENS1_52radix_sort_onesweep_histogram_config_static_selectorELNS0_4arch9wavefront6targetE1EEEvSI_.num_agpr, 0
	.set _ZN7rocprim17ROCPRIM_400000_NS6detail17trampoline_kernelINS0_14default_configENS1_35radix_sort_onesweep_config_selectorIiNS0_10empty_typeEEEZNS1_34radix_sort_onesweep_global_offsetsIS3_Lb1EN6thrust23THRUST_200600_302600_NS6detail15normal_iteratorINS9_10device_ptrIiEEEEPS5_jNS0_19identity_decomposerEEE10hipError_tT1_T2_PT3_SK_jT4_jjP12ihipStream_tbEUlT_E_NS1_11comp_targetILNS1_3genE10ELNS1_11target_archE1201ELNS1_3gpuE5ELNS1_3repE0EEENS1_52radix_sort_onesweep_histogram_config_static_selectorELNS0_4arch9wavefront6targetE1EEEvSI_.numbered_sgpr, 0
	.set _ZN7rocprim17ROCPRIM_400000_NS6detail17trampoline_kernelINS0_14default_configENS1_35radix_sort_onesweep_config_selectorIiNS0_10empty_typeEEEZNS1_34radix_sort_onesweep_global_offsetsIS3_Lb1EN6thrust23THRUST_200600_302600_NS6detail15normal_iteratorINS9_10device_ptrIiEEEEPS5_jNS0_19identity_decomposerEEE10hipError_tT1_T2_PT3_SK_jT4_jjP12ihipStream_tbEUlT_E_NS1_11comp_targetILNS1_3genE10ELNS1_11target_archE1201ELNS1_3gpuE5ELNS1_3repE0EEENS1_52radix_sort_onesweep_histogram_config_static_selectorELNS0_4arch9wavefront6targetE1EEEvSI_.num_named_barrier, 0
	.set _ZN7rocprim17ROCPRIM_400000_NS6detail17trampoline_kernelINS0_14default_configENS1_35radix_sort_onesweep_config_selectorIiNS0_10empty_typeEEEZNS1_34radix_sort_onesweep_global_offsetsIS3_Lb1EN6thrust23THRUST_200600_302600_NS6detail15normal_iteratorINS9_10device_ptrIiEEEEPS5_jNS0_19identity_decomposerEEE10hipError_tT1_T2_PT3_SK_jT4_jjP12ihipStream_tbEUlT_E_NS1_11comp_targetILNS1_3genE10ELNS1_11target_archE1201ELNS1_3gpuE5ELNS1_3repE0EEENS1_52radix_sort_onesweep_histogram_config_static_selectorELNS0_4arch9wavefront6targetE1EEEvSI_.private_seg_size, 0
	.set _ZN7rocprim17ROCPRIM_400000_NS6detail17trampoline_kernelINS0_14default_configENS1_35radix_sort_onesweep_config_selectorIiNS0_10empty_typeEEEZNS1_34radix_sort_onesweep_global_offsetsIS3_Lb1EN6thrust23THRUST_200600_302600_NS6detail15normal_iteratorINS9_10device_ptrIiEEEEPS5_jNS0_19identity_decomposerEEE10hipError_tT1_T2_PT3_SK_jT4_jjP12ihipStream_tbEUlT_E_NS1_11comp_targetILNS1_3genE10ELNS1_11target_archE1201ELNS1_3gpuE5ELNS1_3repE0EEENS1_52radix_sort_onesweep_histogram_config_static_selectorELNS0_4arch9wavefront6targetE1EEEvSI_.uses_vcc, 0
	.set _ZN7rocprim17ROCPRIM_400000_NS6detail17trampoline_kernelINS0_14default_configENS1_35radix_sort_onesweep_config_selectorIiNS0_10empty_typeEEEZNS1_34radix_sort_onesweep_global_offsetsIS3_Lb1EN6thrust23THRUST_200600_302600_NS6detail15normal_iteratorINS9_10device_ptrIiEEEEPS5_jNS0_19identity_decomposerEEE10hipError_tT1_T2_PT3_SK_jT4_jjP12ihipStream_tbEUlT_E_NS1_11comp_targetILNS1_3genE10ELNS1_11target_archE1201ELNS1_3gpuE5ELNS1_3repE0EEENS1_52radix_sort_onesweep_histogram_config_static_selectorELNS0_4arch9wavefront6targetE1EEEvSI_.uses_flat_scratch, 0
	.set _ZN7rocprim17ROCPRIM_400000_NS6detail17trampoline_kernelINS0_14default_configENS1_35radix_sort_onesweep_config_selectorIiNS0_10empty_typeEEEZNS1_34radix_sort_onesweep_global_offsetsIS3_Lb1EN6thrust23THRUST_200600_302600_NS6detail15normal_iteratorINS9_10device_ptrIiEEEEPS5_jNS0_19identity_decomposerEEE10hipError_tT1_T2_PT3_SK_jT4_jjP12ihipStream_tbEUlT_E_NS1_11comp_targetILNS1_3genE10ELNS1_11target_archE1201ELNS1_3gpuE5ELNS1_3repE0EEENS1_52radix_sort_onesweep_histogram_config_static_selectorELNS0_4arch9wavefront6targetE1EEEvSI_.has_dyn_sized_stack, 0
	.set _ZN7rocprim17ROCPRIM_400000_NS6detail17trampoline_kernelINS0_14default_configENS1_35radix_sort_onesweep_config_selectorIiNS0_10empty_typeEEEZNS1_34radix_sort_onesweep_global_offsetsIS3_Lb1EN6thrust23THRUST_200600_302600_NS6detail15normal_iteratorINS9_10device_ptrIiEEEEPS5_jNS0_19identity_decomposerEEE10hipError_tT1_T2_PT3_SK_jT4_jjP12ihipStream_tbEUlT_E_NS1_11comp_targetILNS1_3genE10ELNS1_11target_archE1201ELNS1_3gpuE5ELNS1_3repE0EEENS1_52radix_sort_onesweep_histogram_config_static_selectorELNS0_4arch9wavefront6targetE1EEEvSI_.has_recursion, 0
	.set _ZN7rocprim17ROCPRIM_400000_NS6detail17trampoline_kernelINS0_14default_configENS1_35radix_sort_onesweep_config_selectorIiNS0_10empty_typeEEEZNS1_34radix_sort_onesweep_global_offsetsIS3_Lb1EN6thrust23THRUST_200600_302600_NS6detail15normal_iteratorINS9_10device_ptrIiEEEEPS5_jNS0_19identity_decomposerEEE10hipError_tT1_T2_PT3_SK_jT4_jjP12ihipStream_tbEUlT_E_NS1_11comp_targetILNS1_3genE10ELNS1_11target_archE1201ELNS1_3gpuE5ELNS1_3repE0EEENS1_52radix_sort_onesweep_histogram_config_static_selectorELNS0_4arch9wavefront6targetE1EEEvSI_.has_indirect_call, 0
	.section	.AMDGPU.csdata,"",@progbits
; Kernel info:
; codeLenInByte = 0
; TotalNumSgprs: 6
; NumVgprs: 0
; NumAgprs: 0
; TotalNumVgprs: 0
; ScratchSize: 0
; MemoryBound: 0
; FloatMode: 240
; IeeeMode: 1
; LDSByteSize: 0 bytes/workgroup (compile time only)
; SGPRBlocks: 0
; VGPRBlocks: 0
; NumSGPRsForWavesPerEU: 6
; NumVGPRsForWavesPerEU: 1
; AccumOffset: 4
; Occupancy: 8
; WaveLimiterHint : 0
; COMPUTE_PGM_RSRC2:SCRATCH_EN: 0
; COMPUTE_PGM_RSRC2:USER_SGPR: 2
; COMPUTE_PGM_RSRC2:TRAP_HANDLER: 0
; COMPUTE_PGM_RSRC2:TGID_X_EN: 1
; COMPUTE_PGM_RSRC2:TGID_Y_EN: 0
; COMPUTE_PGM_RSRC2:TGID_Z_EN: 0
; COMPUTE_PGM_RSRC2:TIDIG_COMP_CNT: 0
; COMPUTE_PGM_RSRC3_GFX90A:ACCUM_OFFSET: 0
; COMPUTE_PGM_RSRC3_GFX90A:TG_SPLIT: 0
	.section	.text._ZN7rocprim17ROCPRIM_400000_NS6detail17trampoline_kernelINS0_14default_configENS1_35radix_sort_onesweep_config_selectorIiNS0_10empty_typeEEEZNS1_34radix_sort_onesweep_global_offsetsIS3_Lb1EN6thrust23THRUST_200600_302600_NS6detail15normal_iteratorINS9_10device_ptrIiEEEEPS5_jNS0_19identity_decomposerEEE10hipError_tT1_T2_PT3_SK_jT4_jjP12ihipStream_tbEUlT_E_NS1_11comp_targetILNS1_3genE9ELNS1_11target_archE1100ELNS1_3gpuE3ELNS1_3repE0EEENS1_52radix_sort_onesweep_histogram_config_static_selectorELNS0_4arch9wavefront6targetE1EEEvSI_,"axG",@progbits,_ZN7rocprim17ROCPRIM_400000_NS6detail17trampoline_kernelINS0_14default_configENS1_35radix_sort_onesweep_config_selectorIiNS0_10empty_typeEEEZNS1_34radix_sort_onesweep_global_offsetsIS3_Lb1EN6thrust23THRUST_200600_302600_NS6detail15normal_iteratorINS9_10device_ptrIiEEEEPS5_jNS0_19identity_decomposerEEE10hipError_tT1_T2_PT3_SK_jT4_jjP12ihipStream_tbEUlT_E_NS1_11comp_targetILNS1_3genE9ELNS1_11target_archE1100ELNS1_3gpuE3ELNS1_3repE0EEENS1_52radix_sort_onesweep_histogram_config_static_selectorELNS0_4arch9wavefront6targetE1EEEvSI_,comdat
	.protected	_ZN7rocprim17ROCPRIM_400000_NS6detail17trampoline_kernelINS0_14default_configENS1_35radix_sort_onesweep_config_selectorIiNS0_10empty_typeEEEZNS1_34radix_sort_onesweep_global_offsetsIS3_Lb1EN6thrust23THRUST_200600_302600_NS6detail15normal_iteratorINS9_10device_ptrIiEEEEPS5_jNS0_19identity_decomposerEEE10hipError_tT1_T2_PT3_SK_jT4_jjP12ihipStream_tbEUlT_E_NS1_11comp_targetILNS1_3genE9ELNS1_11target_archE1100ELNS1_3gpuE3ELNS1_3repE0EEENS1_52radix_sort_onesweep_histogram_config_static_selectorELNS0_4arch9wavefront6targetE1EEEvSI_ ; -- Begin function _ZN7rocprim17ROCPRIM_400000_NS6detail17trampoline_kernelINS0_14default_configENS1_35radix_sort_onesweep_config_selectorIiNS0_10empty_typeEEEZNS1_34radix_sort_onesweep_global_offsetsIS3_Lb1EN6thrust23THRUST_200600_302600_NS6detail15normal_iteratorINS9_10device_ptrIiEEEEPS5_jNS0_19identity_decomposerEEE10hipError_tT1_T2_PT3_SK_jT4_jjP12ihipStream_tbEUlT_E_NS1_11comp_targetILNS1_3genE9ELNS1_11target_archE1100ELNS1_3gpuE3ELNS1_3repE0EEENS1_52radix_sort_onesweep_histogram_config_static_selectorELNS0_4arch9wavefront6targetE1EEEvSI_
	.globl	_ZN7rocprim17ROCPRIM_400000_NS6detail17trampoline_kernelINS0_14default_configENS1_35radix_sort_onesweep_config_selectorIiNS0_10empty_typeEEEZNS1_34radix_sort_onesweep_global_offsetsIS3_Lb1EN6thrust23THRUST_200600_302600_NS6detail15normal_iteratorINS9_10device_ptrIiEEEEPS5_jNS0_19identity_decomposerEEE10hipError_tT1_T2_PT3_SK_jT4_jjP12ihipStream_tbEUlT_E_NS1_11comp_targetILNS1_3genE9ELNS1_11target_archE1100ELNS1_3gpuE3ELNS1_3repE0EEENS1_52radix_sort_onesweep_histogram_config_static_selectorELNS0_4arch9wavefront6targetE1EEEvSI_
	.p2align	8
	.type	_ZN7rocprim17ROCPRIM_400000_NS6detail17trampoline_kernelINS0_14default_configENS1_35radix_sort_onesweep_config_selectorIiNS0_10empty_typeEEEZNS1_34radix_sort_onesweep_global_offsetsIS3_Lb1EN6thrust23THRUST_200600_302600_NS6detail15normal_iteratorINS9_10device_ptrIiEEEEPS5_jNS0_19identity_decomposerEEE10hipError_tT1_T2_PT3_SK_jT4_jjP12ihipStream_tbEUlT_E_NS1_11comp_targetILNS1_3genE9ELNS1_11target_archE1100ELNS1_3gpuE3ELNS1_3repE0EEENS1_52radix_sort_onesweep_histogram_config_static_selectorELNS0_4arch9wavefront6targetE1EEEvSI_,@function
_ZN7rocprim17ROCPRIM_400000_NS6detail17trampoline_kernelINS0_14default_configENS1_35radix_sort_onesweep_config_selectorIiNS0_10empty_typeEEEZNS1_34radix_sort_onesweep_global_offsetsIS3_Lb1EN6thrust23THRUST_200600_302600_NS6detail15normal_iteratorINS9_10device_ptrIiEEEEPS5_jNS0_19identity_decomposerEEE10hipError_tT1_T2_PT3_SK_jT4_jjP12ihipStream_tbEUlT_E_NS1_11comp_targetILNS1_3genE9ELNS1_11target_archE1100ELNS1_3gpuE3ELNS1_3repE0EEENS1_52radix_sort_onesweep_histogram_config_static_selectorELNS0_4arch9wavefront6targetE1EEEvSI_: ; @_ZN7rocprim17ROCPRIM_400000_NS6detail17trampoline_kernelINS0_14default_configENS1_35radix_sort_onesweep_config_selectorIiNS0_10empty_typeEEEZNS1_34radix_sort_onesweep_global_offsetsIS3_Lb1EN6thrust23THRUST_200600_302600_NS6detail15normal_iteratorINS9_10device_ptrIiEEEEPS5_jNS0_19identity_decomposerEEE10hipError_tT1_T2_PT3_SK_jT4_jjP12ihipStream_tbEUlT_E_NS1_11comp_targetILNS1_3genE9ELNS1_11target_archE1100ELNS1_3gpuE3ELNS1_3repE0EEENS1_52radix_sort_onesweep_histogram_config_static_selectorELNS0_4arch9wavefront6targetE1EEEvSI_
; %bb.0:
	.section	.rodata,"a",@progbits
	.p2align	6, 0x0
	.amdhsa_kernel _ZN7rocprim17ROCPRIM_400000_NS6detail17trampoline_kernelINS0_14default_configENS1_35radix_sort_onesweep_config_selectorIiNS0_10empty_typeEEEZNS1_34radix_sort_onesweep_global_offsetsIS3_Lb1EN6thrust23THRUST_200600_302600_NS6detail15normal_iteratorINS9_10device_ptrIiEEEEPS5_jNS0_19identity_decomposerEEE10hipError_tT1_T2_PT3_SK_jT4_jjP12ihipStream_tbEUlT_E_NS1_11comp_targetILNS1_3genE9ELNS1_11target_archE1100ELNS1_3gpuE3ELNS1_3repE0EEENS1_52radix_sort_onesweep_histogram_config_static_selectorELNS0_4arch9wavefront6targetE1EEEvSI_
		.amdhsa_group_segment_fixed_size 0
		.amdhsa_private_segment_fixed_size 0
		.amdhsa_kernarg_size 40
		.amdhsa_user_sgpr_count 2
		.amdhsa_user_sgpr_dispatch_ptr 0
		.amdhsa_user_sgpr_queue_ptr 0
		.amdhsa_user_sgpr_kernarg_segment_ptr 1
		.amdhsa_user_sgpr_dispatch_id 0
		.amdhsa_user_sgpr_kernarg_preload_length 0
		.amdhsa_user_sgpr_kernarg_preload_offset 0
		.amdhsa_user_sgpr_private_segment_size 0
		.amdhsa_uses_dynamic_stack 0
		.amdhsa_enable_private_segment 0
		.amdhsa_system_sgpr_workgroup_id_x 1
		.amdhsa_system_sgpr_workgroup_id_y 0
		.amdhsa_system_sgpr_workgroup_id_z 0
		.amdhsa_system_sgpr_workgroup_info 0
		.amdhsa_system_vgpr_workitem_id 0
		.amdhsa_next_free_vgpr 1
		.amdhsa_next_free_sgpr 0
		.amdhsa_accum_offset 4
		.amdhsa_reserve_vcc 0
		.amdhsa_float_round_mode_32 0
		.amdhsa_float_round_mode_16_64 0
		.amdhsa_float_denorm_mode_32 3
		.amdhsa_float_denorm_mode_16_64 3
		.amdhsa_dx10_clamp 1
		.amdhsa_ieee_mode 1
		.amdhsa_fp16_overflow 0
		.amdhsa_tg_split 0
		.amdhsa_exception_fp_ieee_invalid_op 0
		.amdhsa_exception_fp_denorm_src 0
		.amdhsa_exception_fp_ieee_div_zero 0
		.amdhsa_exception_fp_ieee_overflow 0
		.amdhsa_exception_fp_ieee_underflow 0
		.amdhsa_exception_fp_ieee_inexact 0
		.amdhsa_exception_int_div_zero 0
	.end_amdhsa_kernel
	.section	.text._ZN7rocprim17ROCPRIM_400000_NS6detail17trampoline_kernelINS0_14default_configENS1_35radix_sort_onesweep_config_selectorIiNS0_10empty_typeEEEZNS1_34radix_sort_onesweep_global_offsetsIS3_Lb1EN6thrust23THRUST_200600_302600_NS6detail15normal_iteratorINS9_10device_ptrIiEEEEPS5_jNS0_19identity_decomposerEEE10hipError_tT1_T2_PT3_SK_jT4_jjP12ihipStream_tbEUlT_E_NS1_11comp_targetILNS1_3genE9ELNS1_11target_archE1100ELNS1_3gpuE3ELNS1_3repE0EEENS1_52radix_sort_onesweep_histogram_config_static_selectorELNS0_4arch9wavefront6targetE1EEEvSI_,"axG",@progbits,_ZN7rocprim17ROCPRIM_400000_NS6detail17trampoline_kernelINS0_14default_configENS1_35radix_sort_onesweep_config_selectorIiNS0_10empty_typeEEEZNS1_34radix_sort_onesweep_global_offsetsIS3_Lb1EN6thrust23THRUST_200600_302600_NS6detail15normal_iteratorINS9_10device_ptrIiEEEEPS5_jNS0_19identity_decomposerEEE10hipError_tT1_T2_PT3_SK_jT4_jjP12ihipStream_tbEUlT_E_NS1_11comp_targetILNS1_3genE9ELNS1_11target_archE1100ELNS1_3gpuE3ELNS1_3repE0EEENS1_52radix_sort_onesweep_histogram_config_static_selectorELNS0_4arch9wavefront6targetE1EEEvSI_,comdat
.Lfunc_end325:
	.size	_ZN7rocprim17ROCPRIM_400000_NS6detail17trampoline_kernelINS0_14default_configENS1_35radix_sort_onesweep_config_selectorIiNS0_10empty_typeEEEZNS1_34radix_sort_onesweep_global_offsetsIS3_Lb1EN6thrust23THRUST_200600_302600_NS6detail15normal_iteratorINS9_10device_ptrIiEEEEPS5_jNS0_19identity_decomposerEEE10hipError_tT1_T2_PT3_SK_jT4_jjP12ihipStream_tbEUlT_E_NS1_11comp_targetILNS1_3genE9ELNS1_11target_archE1100ELNS1_3gpuE3ELNS1_3repE0EEENS1_52radix_sort_onesweep_histogram_config_static_selectorELNS0_4arch9wavefront6targetE1EEEvSI_, .Lfunc_end325-_ZN7rocprim17ROCPRIM_400000_NS6detail17trampoline_kernelINS0_14default_configENS1_35radix_sort_onesweep_config_selectorIiNS0_10empty_typeEEEZNS1_34radix_sort_onesweep_global_offsetsIS3_Lb1EN6thrust23THRUST_200600_302600_NS6detail15normal_iteratorINS9_10device_ptrIiEEEEPS5_jNS0_19identity_decomposerEEE10hipError_tT1_T2_PT3_SK_jT4_jjP12ihipStream_tbEUlT_E_NS1_11comp_targetILNS1_3genE9ELNS1_11target_archE1100ELNS1_3gpuE3ELNS1_3repE0EEENS1_52radix_sort_onesweep_histogram_config_static_selectorELNS0_4arch9wavefront6targetE1EEEvSI_
                                        ; -- End function
	.set _ZN7rocprim17ROCPRIM_400000_NS6detail17trampoline_kernelINS0_14default_configENS1_35radix_sort_onesweep_config_selectorIiNS0_10empty_typeEEEZNS1_34radix_sort_onesweep_global_offsetsIS3_Lb1EN6thrust23THRUST_200600_302600_NS6detail15normal_iteratorINS9_10device_ptrIiEEEEPS5_jNS0_19identity_decomposerEEE10hipError_tT1_T2_PT3_SK_jT4_jjP12ihipStream_tbEUlT_E_NS1_11comp_targetILNS1_3genE9ELNS1_11target_archE1100ELNS1_3gpuE3ELNS1_3repE0EEENS1_52radix_sort_onesweep_histogram_config_static_selectorELNS0_4arch9wavefront6targetE1EEEvSI_.num_vgpr, 0
	.set _ZN7rocprim17ROCPRIM_400000_NS6detail17trampoline_kernelINS0_14default_configENS1_35radix_sort_onesweep_config_selectorIiNS0_10empty_typeEEEZNS1_34radix_sort_onesweep_global_offsetsIS3_Lb1EN6thrust23THRUST_200600_302600_NS6detail15normal_iteratorINS9_10device_ptrIiEEEEPS5_jNS0_19identity_decomposerEEE10hipError_tT1_T2_PT3_SK_jT4_jjP12ihipStream_tbEUlT_E_NS1_11comp_targetILNS1_3genE9ELNS1_11target_archE1100ELNS1_3gpuE3ELNS1_3repE0EEENS1_52radix_sort_onesweep_histogram_config_static_selectorELNS0_4arch9wavefront6targetE1EEEvSI_.num_agpr, 0
	.set _ZN7rocprim17ROCPRIM_400000_NS6detail17trampoline_kernelINS0_14default_configENS1_35radix_sort_onesweep_config_selectorIiNS0_10empty_typeEEEZNS1_34radix_sort_onesweep_global_offsetsIS3_Lb1EN6thrust23THRUST_200600_302600_NS6detail15normal_iteratorINS9_10device_ptrIiEEEEPS5_jNS0_19identity_decomposerEEE10hipError_tT1_T2_PT3_SK_jT4_jjP12ihipStream_tbEUlT_E_NS1_11comp_targetILNS1_3genE9ELNS1_11target_archE1100ELNS1_3gpuE3ELNS1_3repE0EEENS1_52radix_sort_onesweep_histogram_config_static_selectorELNS0_4arch9wavefront6targetE1EEEvSI_.numbered_sgpr, 0
	.set _ZN7rocprim17ROCPRIM_400000_NS6detail17trampoline_kernelINS0_14default_configENS1_35radix_sort_onesweep_config_selectorIiNS0_10empty_typeEEEZNS1_34radix_sort_onesweep_global_offsetsIS3_Lb1EN6thrust23THRUST_200600_302600_NS6detail15normal_iteratorINS9_10device_ptrIiEEEEPS5_jNS0_19identity_decomposerEEE10hipError_tT1_T2_PT3_SK_jT4_jjP12ihipStream_tbEUlT_E_NS1_11comp_targetILNS1_3genE9ELNS1_11target_archE1100ELNS1_3gpuE3ELNS1_3repE0EEENS1_52radix_sort_onesweep_histogram_config_static_selectorELNS0_4arch9wavefront6targetE1EEEvSI_.num_named_barrier, 0
	.set _ZN7rocprim17ROCPRIM_400000_NS6detail17trampoline_kernelINS0_14default_configENS1_35radix_sort_onesweep_config_selectorIiNS0_10empty_typeEEEZNS1_34radix_sort_onesweep_global_offsetsIS3_Lb1EN6thrust23THRUST_200600_302600_NS6detail15normal_iteratorINS9_10device_ptrIiEEEEPS5_jNS0_19identity_decomposerEEE10hipError_tT1_T2_PT3_SK_jT4_jjP12ihipStream_tbEUlT_E_NS1_11comp_targetILNS1_3genE9ELNS1_11target_archE1100ELNS1_3gpuE3ELNS1_3repE0EEENS1_52radix_sort_onesweep_histogram_config_static_selectorELNS0_4arch9wavefront6targetE1EEEvSI_.private_seg_size, 0
	.set _ZN7rocprim17ROCPRIM_400000_NS6detail17trampoline_kernelINS0_14default_configENS1_35radix_sort_onesweep_config_selectorIiNS0_10empty_typeEEEZNS1_34radix_sort_onesweep_global_offsetsIS3_Lb1EN6thrust23THRUST_200600_302600_NS6detail15normal_iteratorINS9_10device_ptrIiEEEEPS5_jNS0_19identity_decomposerEEE10hipError_tT1_T2_PT3_SK_jT4_jjP12ihipStream_tbEUlT_E_NS1_11comp_targetILNS1_3genE9ELNS1_11target_archE1100ELNS1_3gpuE3ELNS1_3repE0EEENS1_52radix_sort_onesweep_histogram_config_static_selectorELNS0_4arch9wavefront6targetE1EEEvSI_.uses_vcc, 0
	.set _ZN7rocprim17ROCPRIM_400000_NS6detail17trampoline_kernelINS0_14default_configENS1_35radix_sort_onesweep_config_selectorIiNS0_10empty_typeEEEZNS1_34radix_sort_onesweep_global_offsetsIS3_Lb1EN6thrust23THRUST_200600_302600_NS6detail15normal_iteratorINS9_10device_ptrIiEEEEPS5_jNS0_19identity_decomposerEEE10hipError_tT1_T2_PT3_SK_jT4_jjP12ihipStream_tbEUlT_E_NS1_11comp_targetILNS1_3genE9ELNS1_11target_archE1100ELNS1_3gpuE3ELNS1_3repE0EEENS1_52radix_sort_onesweep_histogram_config_static_selectorELNS0_4arch9wavefront6targetE1EEEvSI_.uses_flat_scratch, 0
	.set _ZN7rocprim17ROCPRIM_400000_NS6detail17trampoline_kernelINS0_14default_configENS1_35radix_sort_onesweep_config_selectorIiNS0_10empty_typeEEEZNS1_34radix_sort_onesweep_global_offsetsIS3_Lb1EN6thrust23THRUST_200600_302600_NS6detail15normal_iteratorINS9_10device_ptrIiEEEEPS5_jNS0_19identity_decomposerEEE10hipError_tT1_T2_PT3_SK_jT4_jjP12ihipStream_tbEUlT_E_NS1_11comp_targetILNS1_3genE9ELNS1_11target_archE1100ELNS1_3gpuE3ELNS1_3repE0EEENS1_52radix_sort_onesweep_histogram_config_static_selectorELNS0_4arch9wavefront6targetE1EEEvSI_.has_dyn_sized_stack, 0
	.set _ZN7rocprim17ROCPRIM_400000_NS6detail17trampoline_kernelINS0_14default_configENS1_35radix_sort_onesweep_config_selectorIiNS0_10empty_typeEEEZNS1_34radix_sort_onesweep_global_offsetsIS3_Lb1EN6thrust23THRUST_200600_302600_NS6detail15normal_iteratorINS9_10device_ptrIiEEEEPS5_jNS0_19identity_decomposerEEE10hipError_tT1_T2_PT3_SK_jT4_jjP12ihipStream_tbEUlT_E_NS1_11comp_targetILNS1_3genE9ELNS1_11target_archE1100ELNS1_3gpuE3ELNS1_3repE0EEENS1_52radix_sort_onesweep_histogram_config_static_selectorELNS0_4arch9wavefront6targetE1EEEvSI_.has_recursion, 0
	.set _ZN7rocprim17ROCPRIM_400000_NS6detail17trampoline_kernelINS0_14default_configENS1_35radix_sort_onesweep_config_selectorIiNS0_10empty_typeEEEZNS1_34radix_sort_onesweep_global_offsetsIS3_Lb1EN6thrust23THRUST_200600_302600_NS6detail15normal_iteratorINS9_10device_ptrIiEEEEPS5_jNS0_19identity_decomposerEEE10hipError_tT1_T2_PT3_SK_jT4_jjP12ihipStream_tbEUlT_E_NS1_11comp_targetILNS1_3genE9ELNS1_11target_archE1100ELNS1_3gpuE3ELNS1_3repE0EEENS1_52radix_sort_onesweep_histogram_config_static_selectorELNS0_4arch9wavefront6targetE1EEEvSI_.has_indirect_call, 0
	.section	.AMDGPU.csdata,"",@progbits
; Kernel info:
; codeLenInByte = 0
; TotalNumSgprs: 6
; NumVgprs: 0
; NumAgprs: 0
; TotalNumVgprs: 0
; ScratchSize: 0
; MemoryBound: 0
; FloatMode: 240
; IeeeMode: 1
; LDSByteSize: 0 bytes/workgroup (compile time only)
; SGPRBlocks: 0
; VGPRBlocks: 0
; NumSGPRsForWavesPerEU: 6
; NumVGPRsForWavesPerEU: 1
; AccumOffset: 4
; Occupancy: 8
; WaveLimiterHint : 0
; COMPUTE_PGM_RSRC2:SCRATCH_EN: 0
; COMPUTE_PGM_RSRC2:USER_SGPR: 2
; COMPUTE_PGM_RSRC2:TRAP_HANDLER: 0
; COMPUTE_PGM_RSRC2:TGID_X_EN: 1
; COMPUTE_PGM_RSRC2:TGID_Y_EN: 0
; COMPUTE_PGM_RSRC2:TGID_Z_EN: 0
; COMPUTE_PGM_RSRC2:TIDIG_COMP_CNT: 0
; COMPUTE_PGM_RSRC3_GFX90A:ACCUM_OFFSET: 0
; COMPUTE_PGM_RSRC3_GFX90A:TG_SPLIT: 0
	.section	.text._ZN7rocprim17ROCPRIM_400000_NS6detail17trampoline_kernelINS0_14default_configENS1_35radix_sort_onesweep_config_selectorIiNS0_10empty_typeEEEZNS1_34radix_sort_onesweep_global_offsetsIS3_Lb1EN6thrust23THRUST_200600_302600_NS6detail15normal_iteratorINS9_10device_ptrIiEEEEPS5_jNS0_19identity_decomposerEEE10hipError_tT1_T2_PT3_SK_jT4_jjP12ihipStream_tbEUlT_E_NS1_11comp_targetILNS1_3genE8ELNS1_11target_archE1030ELNS1_3gpuE2ELNS1_3repE0EEENS1_52radix_sort_onesweep_histogram_config_static_selectorELNS0_4arch9wavefront6targetE1EEEvSI_,"axG",@progbits,_ZN7rocprim17ROCPRIM_400000_NS6detail17trampoline_kernelINS0_14default_configENS1_35radix_sort_onesweep_config_selectorIiNS0_10empty_typeEEEZNS1_34radix_sort_onesweep_global_offsetsIS3_Lb1EN6thrust23THRUST_200600_302600_NS6detail15normal_iteratorINS9_10device_ptrIiEEEEPS5_jNS0_19identity_decomposerEEE10hipError_tT1_T2_PT3_SK_jT4_jjP12ihipStream_tbEUlT_E_NS1_11comp_targetILNS1_3genE8ELNS1_11target_archE1030ELNS1_3gpuE2ELNS1_3repE0EEENS1_52radix_sort_onesweep_histogram_config_static_selectorELNS0_4arch9wavefront6targetE1EEEvSI_,comdat
	.protected	_ZN7rocprim17ROCPRIM_400000_NS6detail17trampoline_kernelINS0_14default_configENS1_35radix_sort_onesweep_config_selectorIiNS0_10empty_typeEEEZNS1_34radix_sort_onesweep_global_offsetsIS3_Lb1EN6thrust23THRUST_200600_302600_NS6detail15normal_iteratorINS9_10device_ptrIiEEEEPS5_jNS0_19identity_decomposerEEE10hipError_tT1_T2_PT3_SK_jT4_jjP12ihipStream_tbEUlT_E_NS1_11comp_targetILNS1_3genE8ELNS1_11target_archE1030ELNS1_3gpuE2ELNS1_3repE0EEENS1_52radix_sort_onesweep_histogram_config_static_selectorELNS0_4arch9wavefront6targetE1EEEvSI_ ; -- Begin function _ZN7rocprim17ROCPRIM_400000_NS6detail17trampoline_kernelINS0_14default_configENS1_35radix_sort_onesweep_config_selectorIiNS0_10empty_typeEEEZNS1_34radix_sort_onesweep_global_offsetsIS3_Lb1EN6thrust23THRUST_200600_302600_NS6detail15normal_iteratorINS9_10device_ptrIiEEEEPS5_jNS0_19identity_decomposerEEE10hipError_tT1_T2_PT3_SK_jT4_jjP12ihipStream_tbEUlT_E_NS1_11comp_targetILNS1_3genE8ELNS1_11target_archE1030ELNS1_3gpuE2ELNS1_3repE0EEENS1_52radix_sort_onesweep_histogram_config_static_selectorELNS0_4arch9wavefront6targetE1EEEvSI_
	.globl	_ZN7rocprim17ROCPRIM_400000_NS6detail17trampoline_kernelINS0_14default_configENS1_35radix_sort_onesweep_config_selectorIiNS0_10empty_typeEEEZNS1_34radix_sort_onesweep_global_offsetsIS3_Lb1EN6thrust23THRUST_200600_302600_NS6detail15normal_iteratorINS9_10device_ptrIiEEEEPS5_jNS0_19identity_decomposerEEE10hipError_tT1_T2_PT3_SK_jT4_jjP12ihipStream_tbEUlT_E_NS1_11comp_targetILNS1_3genE8ELNS1_11target_archE1030ELNS1_3gpuE2ELNS1_3repE0EEENS1_52radix_sort_onesweep_histogram_config_static_selectorELNS0_4arch9wavefront6targetE1EEEvSI_
	.p2align	8
	.type	_ZN7rocprim17ROCPRIM_400000_NS6detail17trampoline_kernelINS0_14default_configENS1_35radix_sort_onesweep_config_selectorIiNS0_10empty_typeEEEZNS1_34radix_sort_onesweep_global_offsetsIS3_Lb1EN6thrust23THRUST_200600_302600_NS6detail15normal_iteratorINS9_10device_ptrIiEEEEPS5_jNS0_19identity_decomposerEEE10hipError_tT1_T2_PT3_SK_jT4_jjP12ihipStream_tbEUlT_E_NS1_11comp_targetILNS1_3genE8ELNS1_11target_archE1030ELNS1_3gpuE2ELNS1_3repE0EEENS1_52radix_sort_onesweep_histogram_config_static_selectorELNS0_4arch9wavefront6targetE1EEEvSI_,@function
_ZN7rocprim17ROCPRIM_400000_NS6detail17trampoline_kernelINS0_14default_configENS1_35radix_sort_onesweep_config_selectorIiNS0_10empty_typeEEEZNS1_34radix_sort_onesweep_global_offsetsIS3_Lb1EN6thrust23THRUST_200600_302600_NS6detail15normal_iteratorINS9_10device_ptrIiEEEEPS5_jNS0_19identity_decomposerEEE10hipError_tT1_T2_PT3_SK_jT4_jjP12ihipStream_tbEUlT_E_NS1_11comp_targetILNS1_3genE8ELNS1_11target_archE1030ELNS1_3gpuE2ELNS1_3repE0EEENS1_52radix_sort_onesweep_histogram_config_static_selectorELNS0_4arch9wavefront6targetE1EEEvSI_: ; @_ZN7rocprim17ROCPRIM_400000_NS6detail17trampoline_kernelINS0_14default_configENS1_35radix_sort_onesweep_config_selectorIiNS0_10empty_typeEEEZNS1_34radix_sort_onesweep_global_offsetsIS3_Lb1EN6thrust23THRUST_200600_302600_NS6detail15normal_iteratorINS9_10device_ptrIiEEEEPS5_jNS0_19identity_decomposerEEE10hipError_tT1_T2_PT3_SK_jT4_jjP12ihipStream_tbEUlT_E_NS1_11comp_targetILNS1_3genE8ELNS1_11target_archE1030ELNS1_3gpuE2ELNS1_3repE0EEENS1_52radix_sort_onesweep_histogram_config_static_selectorELNS0_4arch9wavefront6targetE1EEEvSI_
; %bb.0:
	.section	.rodata,"a",@progbits
	.p2align	6, 0x0
	.amdhsa_kernel _ZN7rocprim17ROCPRIM_400000_NS6detail17trampoline_kernelINS0_14default_configENS1_35radix_sort_onesweep_config_selectorIiNS0_10empty_typeEEEZNS1_34radix_sort_onesweep_global_offsetsIS3_Lb1EN6thrust23THRUST_200600_302600_NS6detail15normal_iteratorINS9_10device_ptrIiEEEEPS5_jNS0_19identity_decomposerEEE10hipError_tT1_T2_PT3_SK_jT4_jjP12ihipStream_tbEUlT_E_NS1_11comp_targetILNS1_3genE8ELNS1_11target_archE1030ELNS1_3gpuE2ELNS1_3repE0EEENS1_52radix_sort_onesweep_histogram_config_static_selectorELNS0_4arch9wavefront6targetE1EEEvSI_
		.amdhsa_group_segment_fixed_size 0
		.amdhsa_private_segment_fixed_size 0
		.amdhsa_kernarg_size 40
		.amdhsa_user_sgpr_count 2
		.amdhsa_user_sgpr_dispatch_ptr 0
		.amdhsa_user_sgpr_queue_ptr 0
		.amdhsa_user_sgpr_kernarg_segment_ptr 1
		.amdhsa_user_sgpr_dispatch_id 0
		.amdhsa_user_sgpr_kernarg_preload_length 0
		.amdhsa_user_sgpr_kernarg_preload_offset 0
		.amdhsa_user_sgpr_private_segment_size 0
		.amdhsa_uses_dynamic_stack 0
		.amdhsa_enable_private_segment 0
		.amdhsa_system_sgpr_workgroup_id_x 1
		.amdhsa_system_sgpr_workgroup_id_y 0
		.amdhsa_system_sgpr_workgroup_id_z 0
		.amdhsa_system_sgpr_workgroup_info 0
		.amdhsa_system_vgpr_workitem_id 0
		.amdhsa_next_free_vgpr 1
		.amdhsa_next_free_sgpr 0
		.amdhsa_accum_offset 4
		.amdhsa_reserve_vcc 0
		.amdhsa_float_round_mode_32 0
		.amdhsa_float_round_mode_16_64 0
		.amdhsa_float_denorm_mode_32 3
		.amdhsa_float_denorm_mode_16_64 3
		.amdhsa_dx10_clamp 1
		.amdhsa_ieee_mode 1
		.amdhsa_fp16_overflow 0
		.amdhsa_tg_split 0
		.amdhsa_exception_fp_ieee_invalid_op 0
		.amdhsa_exception_fp_denorm_src 0
		.amdhsa_exception_fp_ieee_div_zero 0
		.amdhsa_exception_fp_ieee_overflow 0
		.amdhsa_exception_fp_ieee_underflow 0
		.amdhsa_exception_fp_ieee_inexact 0
		.amdhsa_exception_int_div_zero 0
	.end_amdhsa_kernel
	.section	.text._ZN7rocprim17ROCPRIM_400000_NS6detail17trampoline_kernelINS0_14default_configENS1_35radix_sort_onesweep_config_selectorIiNS0_10empty_typeEEEZNS1_34radix_sort_onesweep_global_offsetsIS3_Lb1EN6thrust23THRUST_200600_302600_NS6detail15normal_iteratorINS9_10device_ptrIiEEEEPS5_jNS0_19identity_decomposerEEE10hipError_tT1_T2_PT3_SK_jT4_jjP12ihipStream_tbEUlT_E_NS1_11comp_targetILNS1_3genE8ELNS1_11target_archE1030ELNS1_3gpuE2ELNS1_3repE0EEENS1_52radix_sort_onesweep_histogram_config_static_selectorELNS0_4arch9wavefront6targetE1EEEvSI_,"axG",@progbits,_ZN7rocprim17ROCPRIM_400000_NS6detail17trampoline_kernelINS0_14default_configENS1_35radix_sort_onesweep_config_selectorIiNS0_10empty_typeEEEZNS1_34radix_sort_onesweep_global_offsetsIS3_Lb1EN6thrust23THRUST_200600_302600_NS6detail15normal_iteratorINS9_10device_ptrIiEEEEPS5_jNS0_19identity_decomposerEEE10hipError_tT1_T2_PT3_SK_jT4_jjP12ihipStream_tbEUlT_E_NS1_11comp_targetILNS1_3genE8ELNS1_11target_archE1030ELNS1_3gpuE2ELNS1_3repE0EEENS1_52radix_sort_onesweep_histogram_config_static_selectorELNS0_4arch9wavefront6targetE1EEEvSI_,comdat
.Lfunc_end326:
	.size	_ZN7rocprim17ROCPRIM_400000_NS6detail17trampoline_kernelINS0_14default_configENS1_35radix_sort_onesweep_config_selectorIiNS0_10empty_typeEEEZNS1_34radix_sort_onesweep_global_offsetsIS3_Lb1EN6thrust23THRUST_200600_302600_NS6detail15normal_iteratorINS9_10device_ptrIiEEEEPS5_jNS0_19identity_decomposerEEE10hipError_tT1_T2_PT3_SK_jT4_jjP12ihipStream_tbEUlT_E_NS1_11comp_targetILNS1_3genE8ELNS1_11target_archE1030ELNS1_3gpuE2ELNS1_3repE0EEENS1_52radix_sort_onesweep_histogram_config_static_selectorELNS0_4arch9wavefront6targetE1EEEvSI_, .Lfunc_end326-_ZN7rocprim17ROCPRIM_400000_NS6detail17trampoline_kernelINS0_14default_configENS1_35radix_sort_onesweep_config_selectorIiNS0_10empty_typeEEEZNS1_34radix_sort_onesweep_global_offsetsIS3_Lb1EN6thrust23THRUST_200600_302600_NS6detail15normal_iteratorINS9_10device_ptrIiEEEEPS5_jNS0_19identity_decomposerEEE10hipError_tT1_T2_PT3_SK_jT4_jjP12ihipStream_tbEUlT_E_NS1_11comp_targetILNS1_3genE8ELNS1_11target_archE1030ELNS1_3gpuE2ELNS1_3repE0EEENS1_52radix_sort_onesweep_histogram_config_static_selectorELNS0_4arch9wavefront6targetE1EEEvSI_
                                        ; -- End function
	.set _ZN7rocprim17ROCPRIM_400000_NS6detail17trampoline_kernelINS0_14default_configENS1_35radix_sort_onesweep_config_selectorIiNS0_10empty_typeEEEZNS1_34radix_sort_onesweep_global_offsetsIS3_Lb1EN6thrust23THRUST_200600_302600_NS6detail15normal_iteratorINS9_10device_ptrIiEEEEPS5_jNS0_19identity_decomposerEEE10hipError_tT1_T2_PT3_SK_jT4_jjP12ihipStream_tbEUlT_E_NS1_11comp_targetILNS1_3genE8ELNS1_11target_archE1030ELNS1_3gpuE2ELNS1_3repE0EEENS1_52radix_sort_onesweep_histogram_config_static_selectorELNS0_4arch9wavefront6targetE1EEEvSI_.num_vgpr, 0
	.set _ZN7rocprim17ROCPRIM_400000_NS6detail17trampoline_kernelINS0_14default_configENS1_35radix_sort_onesweep_config_selectorIiNS0_10empty_typeEEEZNS1_34radix_sort_onesweep_global_offsetsIS3_Lb1EN6thrust23THRUST_200600_302600_NS6detail15normal_iteratorINS9_10device_ptrIiEEEEPS5_jNS0_19identity_decomposerEEE10hipError_tT1_T2_PT3_SK_jT4_jjP12ihipStream_tbEUlT_E_NS1_11comp_targetILNS1_3genE8ELNS1_11target_archE1030ELNS1_3gpuE2ELNS1_3repE0EEENS1_52radix_sort_onesweep_histogram_config_static_selectorELNS0_4arch9wavefront6targetE1EEEvSI_.num_agpr, 0
	.set _ZN7rocprim17ROCPRIM_400000_NS6detail17trampoline_kernelINS0_14default_configENS1_35radix_sort_onesweep_config_selectorIiNS0_10empty_typeEEEZNS1_34radix_sort_onesweep_global_offsetsIS3_Lb1EN6thrust23THRUST_200600_302600_NS6detail15normal_iteratorINS9_10device_ptrIiEEEEPS5_jNS0_19identity_decomposerEEE10hipError_tT1_T2_PT3_SK_jT4_jjP12ihipStream_tbEUlT_E_NS1_11comp_targetILNS1_3genE8ELNS1_11target_archE1030ELNS1_3gpuE2ELNS1_3repE0EEENS1_52radix_sort_onesweep_histogram_config_static_selectorELNS0_4arch9wavefront6targetE1EEEvSI_.numbered_sgpr, 0
	.set _ZN7rocprim17ROCPRIM_400000_NS6detail17trampoline_kernelINS0_14default_configENS1_35radix_sort_onesweep_config_selectorIiNS0_10empty_typeEEEZNS1_34radix_sort_onesweep_global_offsetsIS3_Lb1EN6thrust23THRUST_200600_302600_NS6detail15normal_iteratorINS9_10device_ptrIiEEEEPS5_jNS0_19identity_decomposerEEE10hipError_tT1_T2_PT3_SK_jT4_jjP12ihipStream_tbEUlT_E_NS1_11comp_targetILNS1_3genE8ELNS1_11target_archE1030ELNS1_3gpuE2ELNS1_3repE0EEENS1_52radix_sort_onesweep_histogram_config_static_selectorELNS0_4arch9wavefront6targetE1EEEvSI_.num_named_barrier, 0
	.set _ZN7rocprim17ROCPRIM_400000_NS6detail17trampoline_kernelINS0_14default_configENS1_35radix_sort_onesweep_config_selectorIiNS0_10empty_typeEEEZNS1_34radix_sort_onesweep_global_offsetsIS3_Lb1EN6thrust23THRUST_200600_302600_NS6detail15normal_iteratorINS9_10device_ptrIiEEEEPS5_jNS0_19identity_decomposerEEE10hipError_tT1_T2_PT3_SK_jT4_jjP12ihipStream_tbEUlT_E_NS1_11comp_targetILNS1_3genE8ELNS1_11target_archE1030ELNS1_3gpuE2ELNS1_3repE0EEENS1_52radix_sort_onesweep_histogram_config_static_selectorELNS0_4arch9wavefront6targetE1EEEvSI_.private_seg_size, 0
	.set _ZN7rocprim17ROCPRIM_400000_NS6detail17trampoline_kernelINS0_14default_configENS1_35radix_sort_onesweep_config_selectorIiNS0_10empty_typeEEEZNS1_34radix_sort_onesweep_global_offsetsIS3_Lb1EN6thrust23THRUST_200600_302600_NS6detail15normal_iteratorINS9_10device_ptrIiEEEEPS5_jNS0_19identity_decomposerEEE10hipError_tT1_T2_PT3_SK_jT4_jjP12ihipStream_tbEUlT_E_NS1_11comp_targetILNS1_3genE8ELNS1_11target_archE1030ELNS1_3gpuE2ELNS1_3repE0EEENS1_52radix_sort_onesweep_histogram_config_static_selectorELNS0_4arch9wavefront6targetE1EEEvSI_.uses_vcc, 0
	.set _ZN7rocprim17ROCPRIM_400000_NS6detail17trampoline_kernelINS0_14default_configENS1_35radix_sort_onesweep_config_selectorIiNS0_10empty_typeEEEZNS1_34radix_sort_onesweep_global_offsetsIS3_Lb1EN6thrust23THRUST_200600_302600_NS6detail15normal_iteratorINS9_10device_ptrIiEEEEPS5_jNS0_19identity_decomposerEEE10hipError_tT1_T2_PT3_SK_jT4_jjP12ihipStream_tbEUlT_E_NS1_11comp_targetILNS1_3genE8ELNS1_11target_archE1030ELNS1_3gpuE2ELNS1_3repE0EEENS1_52radix_sort_onesweep_histogram_config_static_selectorELNS0_4arch9wavefront6targetE1EEEvSI_.uses_flat_scratch, 0
	.set _ZN7rocprim17ROCPRIM_400000_NS6detail17trampoline_kernelINS0_14default_configENS1_35radix_sort_onesweep_config_selectorIiNS0_10empty_typeEEEZNS1_34radix_sort_onesweep_global_offsetsIS3_Lb1EN6thrust23THRUST_200600_302600_NS6detail15normal_iteratorINS9_10device_ptrIiEEEEPS5_jNS0_19identity_decomposerEEE10hipError_tT1_T2_PT3_SK_jT4_jjP12ihipStream_tbEUlT_E_NS1_11comp_targetILNS1_3genE8ELNS1_11target_archE1030ELNS1_3gpuE2ELNS1_3repE0EEENS1_52radix_sort_onesweep_histogram_config_static_selectorELNS0_4arch9wavefront6targetE1EEEvSI_.has_dyn_sized_stack, 0
	.set _ZN7rocprim17ROCPRIM_400000_NS6detail17trampoline_kernelINS0_14default_configENS1_35radix_sort_onesweep_config_selectorIiNS0_10empty_typeEEEZNS1_34radix_sort_onesweep_global_offsetsIS3_Lb1EN6thrust23THRUST_200600_302600_NS6detail15normal_iteratorINS9_10device_ptrIiEEEEPS5_jNS0_19identity_decomposerEEE10hipError_tT1_T2_PT3_SK_jT4_jjP12ihipStream_tbEUlT_E_NS1_11comp_targetILNS1_3genE8ELNS1_11target_archE1030ELNS1_3gpuE2ELNS1_3repE0EEENS1_52radix_sort_onesweep_histogram_config_static_selectorELNS0_4arch9wavefront6targetE1EEEvSI_.has_recursion, 0
	.set _ZN7rocprim17ROCPRIM_400000_NS6detail17trampoline_kernelINS0_14default_configENS1_35radix_sort_onesweep_config_selectorIiNS0_10empty_typeEEEZNS1_34radix_sort_onesweep_global_offsetsIS3_Lb1EN6thrust23THRUST_200600_302600_NS6detail15normal_iteratorINS9_10device_ptrIiEEEEPS5_jNS0_19identity_decomposerEEE10hipError_tT1_T2_PT3_SK_jT4_jjP12ihipStream_tbEUlT_E_NS1_11comp_targetILNS1_3genE8ELNS1_11target_archE1030ELNS1_3gpuE2ELNS1_3repE0EEENS1_52radix_sort_onesweep_histogram_config_static_selectorELNS0_4arch9wavefront6targetE1EEEvSI_.has_indirect_call, 0
	.section	.AMDGPU.csdata,"",@progbits
; Kernel info:
; codeLenInByte = 0
; TotalNumSgprs: 6
; NumVgprs: 0
; NumAgprs: 0
; TotalNumVgprs: 0
; ScratchSize: 0
; MemoryBound: 0
; FloatMode: 240
; IeeeMode: 1
; LDSByteSize: 0 bytes/workgroup (compile time only)
; SGPRBlocks: 0
; VGPRBlocks: 0
; NumSGPRsForWavesPerEU: 6
; NumVGPRsForWavesPerEU: 1
; AccumOffset: 4
; Occupancy: 8
; WaveLimiterHint : 0
; COMPUTE_PGM_RSRC2:SCRATCH_EN: 0
; COMPUTE_PGM_RSRC2:USER_SGPR: 2
; COMPUTE_PGM_RSRC2:TRAP_HANDLER: 0
; COMPUTE_PGM_RSRC2:TGID_X_EN: 1
; COMPUTE_PGM_RSRC2:TGID_Y_EN: 0
; COMPUTE_PGM_RSRC2:TGID_Z_EN: 0
; COMPUTE_PGM_RSRC2:TIDIG_COMP_CNT: 0
; COMPUTE_PGM_RSRC3_GFX90A:ACCUM_OFFSET: 0
; COMPUTE_PGM_RSRC3_GFX90A:TG_SPLIT: 0
	.section	.text._ZN7rocprim17ROCPRIM_400000_NS6detail17trampoline_kernelINS0_14default_configENS1_35radix_sort_onesweep_config_selectorIiNS0_10empty_typeEEEZNS1_34radix_sort_onesweep_global_offsetsIS3_Lb1EN6thrust23THRUST_200600_302600_NS6detail15normal_iteratorINS9_10device_ptrIiEEEEPS5_jNS0_19identity_decomposerEEE10hipError_tT1_T2_PT3_SK_jT4_jjP12ihipStream_tbEUlT_E0_NS1_11comp_targetILNS1_3genE0ELNS1_11target_archE4294967295ELNS1_3gpuE0ELNS1_3repE0EEENS1_52radix_sort_onesweep_histogram_config_static_selectorELNS0_4arch9wavefront6targetE1EEEvSI_,"axG",@progbits,_ZN7rocprim17ROCPRIM_400000_NS6detail17trampoline_kernelINS0_14default_configENS1_35radix_sort_onesweep_config_selectorIiNS0_10empty_typeEEEZNS1_34radix_sort_onesweep_global_offsetsIS3_Lb1EN6thrust23THRUST_200600_302600_NS6detail15normal_iteratorINS9_10device_ptrIiEEEEPS5_jNS0_19identity_decomposerEEE10hipError_tT1_T2_PT3_SK_jT4_jjP12ihipStream_tbEUlT_E0_NS1_11comp_targetILNS1_3genE0ELNS1_11target_archE4294967295ELNS1_3gpuE0ELNS1_3repE0EEENS1_52radix_sort_onesweep_histogram_config_static_selectorELNS0_4arch9wavefront6targetE1EEEvSI_,comdat
	.protected	_ZN7rocprim17ROCPRIM_400000_NS6detail17trampoline_kernelINS0_14default_configENS1_35radix_sort_onesweep_config_selectorIiNS0_10empty_typeEEEZNS1_34radix_sort_onesweep_global_offsetsIS3_Lb1EN6thrust23THRUST_200600_302600_NS6detail15normal_iteratorINS9_10device_ptrIiEEEEPS5_jNS0_19identity_decomposerEEE10hipError_tT1_T2_PT3_SK_jT4_jjP12ihipStream_tbEUlT_E0_NS1_11comp_targetILNS1_3genE0ELNS1_11target_archE4294967295ELNS1_3gpuE0ELNS1_3repE0EEENS1_52radix_sort_onesweep_histogram_config_static_selectorELNS0_4arch9wavefront6targetE1EEEvSI_ ; -- Begin function _ZN7rocprim17ROCPRIM_400000_NS6detail17trampoline_kernelINS0_14default_configENS1_35radix_sort_onesweep_config_selectorIiNS0_10empty_typeEEEZNS1_34radix_sort_onesweep_global_offsetsIS3_Lb1EN6thrust23THRUST_200600_302600_NS6detail15normal_iteratorINS9_10device_ptrIiEEEEPS5_jNS0_19identity_decomposerEEE10hipError_tT1_T2_PT3_SK_jT4_jjP12ihipStream_tbEUlT_E0_NS1_11comp_targetILNS1_3genE0ELNS1_11target_archE4294967295ELNS1_3gpuE0ELNS1_3repE0EEENS1_52radix_sort_onesweep_histogram_config_static_selectorELNS0_4arch9wavefront6targetE1EEEvSI_
	.globl	_ZN7rocprim17ROCPRIM_400000_NS6detail17trampoline_kernelINS0_14default_configENS1_35radix_sort_onesweep_config_selectorIiNS0_10empty_typeEEEZNS1_34radix_sort_onesweep_global_offsetsIS3_Lb1EN6thrust23THRUST_200600_302600_NS6detail15normal_iteratorINS9_10device_ptrIiEEEEPS5_jNS0_19identity_decomposerEEE10hipError_tT1_T2_PT3_SK_jT4_jjP12ihipStream_tbEUlT_E0_NS1_11comp_targetILNS1_3genE0ELNS1_11target_archE4294967295ELNS1_3gpuE0ELNS1_3repE0EEENS1_52radix_sort_onesweep_histogram_config_static_selectorELNS0_4arch9wavefront6targetE1EEEvSI_
	.p2align	8
	.type	_ZN7rocprim17ROCPRIM_400000_NS6detail17trampoline_kernelINS0_14default_configENS1_35radix_sort_onesweep_config_selectorIiNS0_10empty_typeEEEZNS1_34radix_sort_onesweep_global_offsetsIS3_Lb1EN6thrust23THRUST_200600_302600_NS6detail15normal_iteratorINS9_10device_ptrIiEEEEPS5_jNS0_19identity_decomposerEEE10hipError_tT1_T2_PT3_SK_jT4_jjP12ihipStream_tbEUlT_E0_NS1_11comp_targetILNS1_3genE0ELNS1_11target_archE4294967295ELNS1_3gpuE0ELNS1_3repE0EEENS1_52radix_sort_onesweep_histogram_config_static_selectorELNS0_4arch9wavefront6targetE1EEEvSI_,@function
_ZN7rocprim17ROCPRIM_400000_NS6detail17trampoline_kernelINS0_14default_configENS1_35radix_sort_onesweep_config_selectorIiNS0_10empty_typeEEEZNS1_34radix_sort_onesweep_global_offsetsIS3_Lb1EN6thrust23THRUST_200600_302600_NS6detail15normal_iteratorINS9_10device_ptrIiEEEEPS5_jNS0_19identity_decomposerEEE10hipError_tT1_T2_PT3_SK_jT4_jjP12ihipStream_tbEUlT_E0_NS1_11comp_targetILNS1_3genE0ELNS1_11target_archE4294967295ELNS1_3gpuE0ELNS1_3repE0EEENS1_52radix_sort_onesweep_histogram_config_static_selectorELNS0_4arch9wavefront6targetE1EEEvSI_: ; @_ZN7rocprim17ROCPRIM_400000_NS6detail17trampoline_kernelINS0_14default_configENS1_35radix_sort_onesweep_config_selectorIiNS0_10empty_typeEEEZNS1_34radix_sort_onesweep_global_offsetsIS3_Lb1EN6thrust23THRUST_200600_302600_NS6detail15normal_iteratorINS9_10device_ptrIiEEEEPS5_jNS0_19identity_decomposerEEE10hipError_tT1_T2_PT3_SK_jT4_jjP12ihipStream_tbEUlT_E0_NS1_11comp_targetILNS1_3genE0ELNS1_11target_archE4294967295ELNS1_3gpuE0ELNS1_3repE0EEENS1_52radix_sort_onesweep_histogram_config_static_selectorELNS0_4arch9wavefront6targetE1EEEvSI_
; %bb.0:
	.section	.rodata,"a",@progbits
	.p2align	6, 0x0
	.amdhsa_kernel _ZN7rocprim17ROCPRIM_400000_NS6detail17trampoline_kernelINS0_14default_configENS1_35radix_sort_onesweep_config_selectorIiNS0_10empty_typeEEEZNS1_34radix_sort_onesweep_global_offsetsIS3_Lb1EN6thrust23THRUST_200600_302600_NS6detail15normal_iteratorINS9_10device_ptrIiEEEEPS5_jNS0_19identity_decomposerEEE10hipError_tT1_T2_PT3_SK_jT4_jjP12ihipStream_tbEUlT_E0_NS1_11comp_targetILNS1_3genE0ELNS1_11target_archE4294967295ELNS1_3gpuE0ELNS1_3repE0EEENS1_52radix_sort_onesweep_histogram_config_static_selectorELNS0_4arch9wavefront6targetE1EEEvSI_
		.amdhsa_group_segment_fixed_size 0
		.amdhsa_private_segment_fixed_size 0
		.amdhsa_kernarg_size 8
		.amdhsa_user_sgpr_count 2
		.amdhsa_user_sgpr_dispatch_ptr 0
		.amdhsa_user_sgpr_queue_ptr 0
		.amdhsa_user_sgpr_kernarg_segment_ptr 1
		.amdhsa_user_sgpr_dispatch_id 0
		.amdhsa_user_sgpr_kernarg_preload_length 0
		.amdhsa_user_sgpr_kernarg_preload_offset 0
		.amdhsa_user_sgpr_private_segment_size 0
		.amdhsa_uses_dynamic_stack 0
		.amdhsa_enable_private_segment 0
		.amdhsa_system_sgpr_workgroup_id_x 1
		.amdhsa_system_sgpr_workgroup_id_y 0
		.amdhsa_system_sgpr_workgroup_id_z 0
		.amdhsa_system_sgpr_workgroup_info 0
		.amdhsa_system_vgpr_workitem_id 0
		.amdhsa_next_free_vgpr 1
		.amdhsa_next_free_sgpr 0
		.amdhsa_accum_offset 4
		.amdhsa_reserve_vcc 0
		.amdhsa_float_round_mode_32 0
		.amdhsa_float_round_mode_16_64 0
		.amdhsa_float_denorm_mode_32 3
		.amdhsa_float_denorm_mode_16_64 3
		.amdhsa_dx10_clamp 1
		.amdhsa_ieee_mode 1
		.amdhsa_fp16_overflow 0
		.amdhsa_tg_split 0
		.amdhsa_exception_fp_ieee_invalid_op 0
		.amdhsa_exception_fp_denorm_src 0
		.amdhsa_exception_fp_ieee_div_zero 0
		.amdhsa_exception_fp_ieee_overflow 0
		.amdhsa_exception_fp_ieee_underflow 0
		.amdhsa_exception_fp_ieee_inexact 0
		.amdhsa_exception_int_div_zero 0
	.end_amdhsa_kernel
	.section	.text._ZN7rocprim17ROCPRIM_400000_NS6detail17trampoline_kernelINS0_14default_configENS1_35radix_sort_onesweep_config_selectorIiNS0_10empty_typeEEEZNS1_34radix_sort_onesweep_global_offsetsIS3_Lb1EN6thrust23THRUST_200600_302600_NS6detail15normal_iteratorINS9_10device_ptrIiEEEEPS5_jNS0_19identity_decomposerEEE10hipError_tT1_T2_PT3_SK_jT4_jjP12ihipStream_tbEUlT_E0_NS1_11comp_targetILNS1_3genE0ELNS1_11target_archE4294967295ELNS1_3gpuE0ELNS1_3repE0EEENS1_52radix_sort_onesweep_histogram_config_static_selectorELNS0_4arch9wavefront6targetE1EEEvSI_,"axG",@progbits,_ZN7rocprim17ROCPRIM_400000_NS6detail17trampoline_kernelINS0_14default_configENS1_35radix_sort_onesweep_config_selectorIiNS0_10empty_typeEEEZNS1_34radix_sort_onesweep_global_offsetsIS3_Lb1EN6thrust23THRUST_200600_302600_NS6detail15normal_iteratorINS9_10device_ptrIiEEEEPS5_jNS0_19identity_decomposerEEE10hipError_tT1_T2_PT3_SK_jT4_jjP12ihipStream_tbEUlT_E0_NS1_11comp_targetILNS1_3genE0ELNS1_11target_archE4294967295ELNS1_3gpuE0ELNS1_3repE0EEENS1_52radix_sort_onesweep_histogram_config_static_selectorELNS0_4arch9wavefront6targetE1EEEvSI_,comdat
.Lfunc_end327:
	.size	_ZN7rocprim17ROCPRIM_400000_NS6detail17trampoline_kernelINS0_14default_configENS1_35radix_sort_onesweep_config_selectorIiNS0_10empty_typeEEEZNS1_34radix_sort_onesweep_global_offsetsIS3_Lb1EN6thrust23THRUST_200600_302600_NS6detail15normal_iteratorINS9_10device_ptrIiEEEEPS5_jNS0_19identity_decomposerEEE10hipError_tT1_T2_PT3_SK_jT4_jjP12ihipStream_tbEUlT_E0_NS1_11comp_targetILNS1_3genE0ELNS1_11target_archE4294967295ELNS1_3gpuE0ELNS1_3repE0EEENS1_52radix_sort_onesweep_histogram_config_static_selectorELNS0_4arch9wavefront6targetE1EEEvSI_, .Lfunc_end327-_ZN7rocprim17ROCPRIM_400000_NS6detail17trampoline_kernelINS0_14default_configENS1_35radix_sort_onesweep_config_selectorIiNS0_10empty_typeEEEZNS1_34radix_sort_onesweep_global_offsetsIS3_Lb1EN6thrust23THRUST_200600_302600_NS6detail15normal_iteratorINS9_10device_ptrIiEEEEPS5_jNS0_19identity_decomposerEEE10hipError_tT1_T2_PT3_SK_jT4_jjP12ihipStream_tbEUlT_E0_NS1_11comp_targetILNS1_3genE0ELNS1_11target_archE4294967295ELNS1_3gpuE0ELNS1_3repE0EEENS1_52radix_sort_onesweep_histogram_config_static_selectorELNS0_4arch9wavefront6targetE1EEEvSI_
                                        ; -- End function
	.set _ZN7rocprim17ROCPRIM_400000_NS6detail17trampoline_kernelINS0_14default_configENS1_35radix_sort_onesweep_config_selectorIiNS0_10empty_typeEEEZNS1_34radix_sort_onesweep_global_offsetsIS3_Lb1EN6thrust23THRUST_200600_302600_NS6detail15normal_iteratorINS9_10device_ptrIiEEEEPS5_jNS0_19identity_decomposerEEE10hipError_tT1_T2_PT3_SK_jT4_jjP12ihipStream_tbEUlT_E0_NS1_11comp_targetILNS1_3genE0ELNS1_11target_archE4294967295ELNS1_3gpuE0ELNS1_3repE0EEENS1_52radix_sort_onesweep_histogram_config_static_selectorELNS0_4arch9wavefront6targetE1EEEvSI_.num_vgpr, 0
	.set _ZN7rocprim17ROCPRIM_400000_NS6detail17trampoline_kernelINS0_14default_configENS1_35radix_sort_onesweep_config_selectorIiNS0_10empty_typeEEEZNS1_34radix_sort_onesweep_global_offsetsIS3_Lb1EN6thrust23THRUST_200600_302600_NS6detail15normal_iteratorINS9_10device_ptrIiEEEEPS5_jNS0_19identity_decomposerEEE10hipError_tT1_T2_PT3_SK_jT4_jjP12ihipStream_tbEUlT_E0_NS1_11comp_targetILNS1_3genE0ELNS1_11target_archE4294967295ELNS1_3gpuE0ELNS1_3repE0EEENS1_52radix_sort_onesweep_histogram_config_static_selectorELNS0_4arch9wavefront6targetE1EEEvSI_.num_agpr, 0
	.set _ZN7rocprim17ROCPRIM_400000_NS6detail17trampoline_kernelINS0_14default_configENS1_35radix_sort_onesweep_config_selectorIiNS0_10empty_typeEEEZNS1_34radix_sort_onesweep_global_offsetsIS3_Lb1EN6thrust23THRUST_200600_302600_NS6detail15normal_iteratorINS9_10device_ptrIiEEEEPS5_jNS0_19identity_decomposerEEE10hipError_tT1_T2_PT3_SK_jT4_jjP12ihipStream_tbEUlT_E0_NS1_11comp_targetILNS1_3genE0ELNS1_11target_archE4294967295ELNS1_3gpuE0ELNS1_3repE0EEENS1_52radix_sort_onesweep_histogram_config_static_selectorELNS0_4arch9wavefront6targetE1EEEvSI_.numbered_sgpr, 0
	.set _ZN7rocprim17ROCPRIM_400000_NS6detail17trampoline_kernelINS0_14default_configENS1_35radix_sort_onesweep_config_selectorIiNS0_10empty_typeEEEZNS1_34radix_sort_onesweep_global_offsetsIS3_Lb1EN6thrust23THRUST_200600_302600_NS6detail15normal_iteratorINS9_10device_ptrIiEEEEPS5_jNS0_19identity_decomposerEEE10hipError_tT1_T2_PT3_SK_jT4_jjP12ihipStream_tbEUlT_E0_NS1_11comp_targetILNS1_3genE0ELNS1_11target_archE4294967295ELNS1_3gpuE0ELNS1_3repE0EEENS1_52radix_sort_onesweep_histogram_config_static_selectorELNS0_4arch9wavefront6targetE1EEEvSI_.num_named_barrier, 0
	.set _ZN7rocprim17ROCPRIM_400000_NS6detail17trampoline_kernelINS0_14default_configENS1_35radix_sort_onesweep_config_selectorIiNS0_10empty_typeEEEZNS1_34radix_sort_onesweep_global_offsetsIS3_Lb1EN6thrust23THRUST_200600_302600_NS6detail15normal_iteratorINS9_10device_ptrIiEEEEPS5_jNS0_19identity_decomposerEEE10hipError_tT1_T2_PT3_SK_jT4_jjP12ihipStream_tbEUlT_E0_NS1_11comp_targetILNS1_3genE0ELNS1_11target_archE4294967295ELNS1_3gpuE0ELNS1_3repE0EEENS1_52radix_sort_onesweep_histogram_config_static_selectorELNS0_4arch9wavefront6targetE1EEEvSI_.private_seg_size, 0
	.set _ZN7rocprim17ROCPRIM_400000_NS6detail17trampoline_kernelINS0_14default_configENS1_35radix_sort_onesweep_config_selectorIiNS0_10empty_typeEEEZNS1_34radix_sort_onesweep_global_offsetsIS3_Lb1EN6thrust23THRUST_200600_302600_NS6detail15normal_iteratorINS9_10device_ptrIiEEEEPS5_jNS0_19identity_decomposerEEE10hipError_tT1_T2_PT3_SK_jT4_jjP12ihipStream_tbEUlT_E0_NS1_11comp_targetILNS1_3genE0ELNS1_11target_archE4294967295ELNS1_3gpuE0ELNS1_3repE0EEENS1_52radix_sort_onesweep_histogram_config_static_selectorELNS0_4arch9wavefront6targetE1EEEvSI_.uses_vcc, 0
	.set _ZN7rocprim17ROCPRIM_400000_NS6detail17trampoline_kernelINS0_14default_configENS1_35radix_sort_onesweep_config_selectorIiNS0_10empty_typeEEEZNS1_34radix_sort_onesweep_global_offsetsIS3_Lb1EN6thrust23THRUST_200600_302600_NS6detail15normal_iteratorINS9_10device_ptrIiEEEEPS5_jNS0_19identity_decomposerEEE10hipError_tT1_T2_PT3_SK_jT4_jjP12ihipStream_tbEUlT_E0_NS1_11comp_targetILNS1_3genE0ELNS1_11target_archE4294967295ELNS1_3gpuE0ELNS1_3repE0EEENS1_52radix_sort_onesweep_histogram_config_static_selectorELNS0_4arch9wavefront6targetE1EEEvSI_.uses_flat_scratch, 0
	.set _ZN7rocprim17ROCPRIM_400000_NS6detail17trampoline_kernelINS0_14default_configENS1_35radix_sort_onesweep_config_selectorIiNS0_10empty_typeEEEZNS1_34radix_sort_onesweep_global_offsetsIS3_Lb1EN6thrust23THRUST_200600_302600_NS6detail15normal_iteratorINS9_10device_ptrIiEEEEPS5_jNS0_19identity_decomposerEEE10hipError_tT1_T2_PT3_SK_jT4_jjP12ihipStream_tbEUlT_E0_NS1_11comp_targetILNS1_3genE0ELNS1_11target_archE4294967295ELNS1_3gpuE0ELNS1_3repE0EEENS1_52radix_sort_onesweep_histogram_config_static_selectorELNS0_4arch9wavefront6targetE1EEEvSI_.has_dyn_sized_stack, 0
	.set _ZN7rocprim17ROCPRIM_400000_NS6detail17trampoline_kernelINS0_14default_configENS1_35radix_sort_onesweep_config_selectorIiNS0_10empty_typeEEEZNS1_34radix_sort_onesweep_global_offsetsIS3_Lb1EN6thrust23THRUST_200600_302600_NS6detail15normal_iteratorINS9_10device_ptrIiEEEEPS5_jNS0_19identity_decomposerEEE10hipError_tT1_T2_PT3_SK_jT4_jjP12ihipStream_tbEUlT_E0_NS1_11comp_targetILNS1_3genE0ELNS1_11target_archE4294967295ELNS1_3gpuE0ELNS1_3repE0EEENS1_52radix_sort_onesweep_histogram_config_static_selectorELNS0_4arch9wavefront6targetE1EEEvSI_.has_recursion, 0
	.set _ZN7rocprim17ROCPRIM_400000_NS6detail17trampoline_kernelINS0_14default_configENS1_35radix_sort_onesweep_config_selectorIiNS0_10empty_typeEEEZNS1_34radix_sort_onesweep_global_offsetsIS3_Lb1EN6thrust23THRUST_200600_302600_NS6detail15normal_iteratorINS9_10device_ptrIiEEEEPS5_jNS0_19identity_decomposerEEE10hipError_tT1_T2_PT3_SK_jT4_jjP12ihipStream_tbEUlT_E0_NS1_11comp_targetILNS1_3genE0ELNS1_11target_archE4294967295ELNS1_3gpuE0ELNS1_3repE0EEENS1_52radix_sort_onesweep_histogram_config_static_selectorELNS0_4arch9wavefront6targetE1EEEvSI_.has_indirect_call, 0
	.section	.AMDGPU.csdata,"",@progbits
; Kernel info:
; codeLenInByte = 0
; TotalNumSgprs: 6
; NumVgprs: 0
; NumAgprs: 0
; TotalNumVgprs: 0
; ScratchSize: 0
; MemoryBound: 0
; FloatMode: 240
; IeeeMode: 1
; LDSByteSize: 0 bytes/workgroup (compile time only)
; SGPRBlocks: 0
; VGPRBlocks: 0
; NumSGPRsForWavesPerEU: 6
; NumVGPRsForWavesPerEU: 1
; AccumOffset: 4
; Occupancy: 8
; WaveLimiterHint : 0
; COMPUTE_PGM_RSRC2:SCRATCH_EN: 0
; COMPUTE_PGM_RSRC2:USER_SGPR: 2
; COMPUTE_PGM_RSRC2:TRAP_HANDLER: 0
; COMPUTE_PGM_RSRC2:TGID_X_EN: 1
; COMPUTE_PGM_RSRC2:TGID_Y_EN: 0
; COMPUTE_PGM_RSRC2:TGID_Z_EN: 0
; COMPUTE_PGM_RSRC2:TIDIG_COMP_CNT: 0
; COMPUTE_PGM_RSRC3_GFX90A:ACCUM_OFFSET: 0
; COMPUTE_PGM_RSRC3_GFX90A:TG_SPLIT: 0
	.section	.text._ZN7rocprim17ROCPRIM_400000_NS6detail17trampoline_kernelINS0_14default_configENS1_35radix_sort_onesweep_config_selectorIiNS0_10empty_typeEEEZNS1_34radix_sort_onesweep_global_offsetsIS3_Lb1EN6thrust23THRUST_200600_302600_NS6detail15normal_iteratorINS9_10device_ptrIiEEEEPS5_jNS0_19identity_decomposerEEE10hipError_tT1_T2_PT3_SK_jT4_jjP12ihipStream_tbEUlT_E0_NS1_11comp_targetILNS1_3genE6ELNS1_11target_archE950ELNS1_3gpuE13ELNS1_3repE0EEENS1_52radix_sort_onesweep_histogram_config_static_selectorELNS0_4arch9wavefront6targetE1EEEvSI_,"axG",@progbits,_ZN7rocprim17ROCPRIM_400000_NS6detail17trampoline_kernelINS0_14default_configENS1_35radix_sort_onesweep_config_selectorIiNS0_10empty_typeEEEZNS1_34radix_sort_onesweep_global_offsetsIS3_Lb1EN6thrust23THRUST_200600_302600_NS6detail15normal_iteratorINS9_10device_ptrIiEEEEPS5_jNS0_19identity_decomposerEEE10hipError_tT1_T2_PT3_SK_jT4_jjP12ihipStream_tbEUlT_E0_NS1_11comp_targetILNS1_3genE6ELNS1_11target_archE950ELNS1_3gpuE13ELNS1_3repE0EEENS1_52radix_sort_onesweep_histogram_config_static_selectorELNS0_4arch9wavefront6targetE1EEEvSI_,comdat
	.protected	_ZN7rocprim17ROCPRIM_400000_NS6detail17trampoline_kernelINS0_14default_configENS1_35radix_sort_onesweep_config_selectorIiNS0_10empty_typeEEEZNS1_34radix_sort_onesweep_global_offsetsIS3_Lb1EN6thrust23THRUST_200600_302600_NS6detail15normal_iteratorINS9_10device_ptrIiEEEEPS5_jNS0_19identity_decomposerEEE10hipError_tT1_T2_PT3_SK_jT4_jjP12ihipStream_tbEUlT_E0_NS1_11comp_targetILNS1_3genE6ELNS1_11target_archE950ELNS1_3gpuE13ELNS1_3repE0EEENS1_52radix_sort_onesweep_histogram_config_static_selectorELNS0_4arch9wavefront6targetE1EEEvSI_ ; -- Begin function _ZN7rocprim17ROCPRIM_400000_NS6detail17trampoline_kernelINS0_14default_configENS1_35radix_sort_onesweep_config_selectorIiNS0_10empty_typeEEEZNS1_34radix_sort_onesweep_global_offsetsIS3_Lb1EN6thrust23THRUST_200600_302600_NS6detail15normal_iteratorINS9_10device_ptrIiEEEEPS5_jNS0_19identity_decomposerEEE10hipError_tT1_T2_PT3_SK_jT4_jjP12ihipStream_tbEUlT_E0_NS1_11comp_targetILNS1_3genE6ELNS1_11target_archE950ELNS1_3gpuE13ELNS1_3repE0EEENS1_52radix_sort_onesweep_histogram_config_static_selectorELNS0_4arch9wavefront6targetE1EEEvSI_
	.globl	_ZN7rocprim17ROCPRIM_400000_NS6detail17trampoline_kernelINS0_14default_configENS1_35radix_sort_onesweep_config_selectorIiNS0_10empty_typeEEEZNS1_34radix_sort_onesweep_global_offsetsIS3_Lb1EN6thrust23THRUST_200600_302600_NS6detail15normal_iteratorINS9_10device_ptrIiEEEEPS5_jNS0_19identity_decomposerEEE10hipError_tT1_T2_PT3_SK_jT4_jjP12ihipStream_tbEUlT_E0_NS1_11comp_targetILNS1_3genE6ELNS1_11target_archE950ELNS1_3gpuE13ELNS1_3repE0EEENS1_52radix_sort_onesweep_histogram_config_static_selectorELNS0_4arch9wavefront6targetE1EEEvSI_
	.p2align	8
	.type	_ZN7rocprim17ROCPRIM_400000_NS6detail17trampoline_kernelINS0_14default_configENS1_35radix_sort_onesweep_config_selectorIiNS0_10empty_typeEEEZNS1_34radix_sort_onesweep_global_offsetsIS3_Lb1EN6thrust23THRUST_200600_302600_NS6detail15normal_iteratorINS9_10device_ptrIiEEEEPS5_jNS0_19identity_decomposerEEE10hipError_tT1_T2_PT3_SK_jT4_jjP12ihipStream_tbEUlT_E0_NS1_11comp_targetILNS1_3genE6ELNS1_11target_archE950ELNS1_3gpuE13ELNS1_3repE0EEENS1_52radix_sort_onesweep_histogram_config_static_selectorELNS0_4arch9wavefront6targetE1EEEvSI_,@function
_ZN7rocprim17ROCPRIM_400000_NS6detail17trampoline_kernelINS0_14default_configENS1_35radix_sort_onesweep_config_selectorIiNS0_10empty_typeEEEZNS1_34radix_sort_onesweep_global_offsetsIS3_Lb1EN6thrust23THRUST_200600_302600_NS6detail15normal_iteratorINS9_10device_ptrIiEEEEPS5_jNS0_19identity_decomposerEEE10hipError_tT1_T2_PT3_SK_jT4_jjP12ihipStream_tbEUlT_E0_NS1_11comp_targetILNS1_3genE6ELNS1_11target_archE950ELNS1_3gpuE13ELNS1_3repE0EEENS1_52radix_sort_onesweep_histogram_config_static_selectorELNS0_4arch9wavefront6targetE1EEEvSI_: ; @_ZN7rocprim17ROCPRIM_400000_NS6detail17trampoline_kernelINS0_14default_configENS1_35radix_sort_onesweep_config_selectorIiNS0_10empty_typeEEEZNS1_34radix_sort_onesweep_global_offsetsIS3_Lb1EN6thrust23THRUST_200600_302600_NS6detail15normal_iteratorINS9_10device_ptrIiEEEEPS5_jNS0_19identity_decomposerEEE10hipError_tT1_T2_PT3_SK_jT4_jjP12ihipStream_tbEUlT_E0_NS1_11comp_targetILNS1_3genE6ELNS1_11target_archE950ELNS1_3gpuE13ELNS1_3repE0EEENS1_52radix_sort_onesweep_histogram_config_static_selectorELNS0_4arch9wavefront6targetE1EEEvSI_
; %bb.0:
	s_load_dwordx2 s[0:1], s[0:1], 0x0
	s_lshl_b32 s2, s2, 8
	s_mov_b32 s3, 0
	s_lshl_b64 s[2:3], s[2:3], 2
	v_lshlrev_b32_e32 v1, 2, v0
	s_waitcnt lgkmcnt(0)
	s_add_u32 s10, s0, s2
	s_movk_i32 s0, 0x100
	s_addc_u32 s11, s1, s3
	v_cmp_gt_u32_e32 vcc, s0, v0
                                        ; implicit-def: $vgpr3
	s_and_saveexec_b64 s[0:1], vcc
	s_cbranch_execz .LBB328_2
; %bb.1:
	global_load_dword v3, v1, s[10:11]
.LBB328_2:
	s_or_b64 exec, exec, s[0:1]
	v_mbcnt_lo_u32_b32 v2, -1, 0
	v_mbcnt_hi_u32_b32 v2, -1, v2
	v_and_b32_e32 v4, 15, v2
	s_waitcnt vmcnt(0)
	v_mov_b32_dpp v5, v3 row_shr:1 row_mask:0xf bank_mask:0xf
	v_cmp_eq_u32_e64 s[0:1], 0, v4
	v_cmp_lt_u32_e64 s[2:3], 1, v4
	v_cmp_lt_u32_e64 s[4:5], 3, v4
	v_cndmask_b32_e64 v5, v5, 0, s[0:1]
	v_add_u32_e32 v3, v5, v3
	v_cmp_lt_u32_e64 s[6:7], 7, v4
	v_cmp_lt_u32_e64 s[8:9], 31, v2
	v_mov_b32_dpp v5, v3 row_shr:2 row_mask:0xf bank_mask:0xf
	v_cndmask_b32_e64 v5, 0, v5, s[2:3]
	v_add_u32_e32 v3, v3, v5
	s_nop 1
	v_mov_b32_dpp v5, v3 row_shr:4 row_mask:0xf bank_mask:0xf
	v_cndmask_b32_e64 v5, 0, v5, s[4:5]
	v_add_u32_e32 v3, v3, v5
	s_nop 1
	v_mov_b32_dpp v5, v3 row_shr:8 row_mask:0xf bank_mask:0xf
	v_cndmask_b32_e64 v4, 0, v5, s[6:7]
	v_add_u32_e32 v3, v3, v4
	v_bfe_i32 v5, v2, 4, 1
	s_nop 0
	v_mov_b32_dpp v4, v3 row_bcast:15 row_mask:0xf bank_mask:0xf
	v_and_b32_e32 v4, v5, v4
	v_add_u32_e32 v3, v3, v4
	v_and_b32_e32 v5, 63, v0
	s_nop 0
	v_mov_b32_dpp v4, v3 row_bcast:31 row_mask:0xf bank_mask:0xf
	v_cndmask_b32_e64 v4, 0, v4, s[8:9]
	v_add_u32_e32 v3, v3, v4
	v_lshrrev_b32_e32 v4, 6, v0
	v_cmp_eq_u32_e64 s[8:9], 63, v5
	s_and_saveexec_b64 s[12:13], s[8:9]
; %bb.3:
	v_lshlrev_b32_e32 v5, 2, v4
	ds_write_b32 v5, v3
; %bb.4:
	s_or_b64 exec, exec, s[12:13]
	v_cmp_gt_u32_e64 s[8:9], 16, v0
	s_waitcnt lgkmcnt(0)
	s_barrier
	s_and_saveexec_b64 s[12:13], s[8:9]
	s_cbranch_execz .LBB328_6
; %bb.5:
	ds_read_b32 v5, v1
	s_waitcnt lgkmcnt(0)
	s_nop 0
	v_mov_b32_dpp v6, v5 row_shr:1 row_mask:0xf bank_mask:0xf
	v_cndmask_b32_e64 v6, v6, 0, s[0:1]
	v_add_u32_e32 v5, v6, v5
	s_nop 1
	v_mov_b32_dpp v6, v5 row_shr:2 row_mask:0xf bank_mask:0xf
	v_cndmask_b32_e64 v6, 0, v6, s[2:3]
	v_add_u32_e32 v5, v5, v6
	;; [unrolled: 4-line block ×4, first 2 shown]
	ds_write_b32 v1, v5
.LBB328_6:
	s_or_b64 exec, exec, s[12:13]
	v_cmp_lt_u32_e64 s[0:1], 63, v0
	v_mov_b32_e32 v0, 0
	s_waitcnt lgkmcnt(0)
	s_barrier
	s_and_saveexec_b64 s[2:3], s[0:1]
; %bb.7:
	v_lshl_add_u32 v0, v4, 2, -4
	ds_read_b32 v0, v0
; %bb.8:
	s_or_b64 exec, exec, s[2:3]
	v_add_u32_e32 v4, -1, v2
	v_and_b32_e32 v5, 64, v2
	v_cmp_lt_i32_e64 s[0:1], v4, v5
	s_waitcnt lgkmcnt(0)
	v_add_u32_e32 v3, v0, v3
	v_cndmask_b32_e64 v4, v4, v2, s[0:1]
	v_lshlrev_b32_e32 v4, 2, v4
	ds_bpermute_b32 v3, v4, v3
	s_and_saveexec_b64 s[0:1], vcc
	s_cbranch_execz .LBB328_10
; %bb.9:
	v_cmp_eq_u32_e32 vcc, 0, v2
	s_waitcnt lgkmcnt(0)
	s_nop 0
	v_cndmask_b32_e32 v0, v3, v0, vcc
	global_store_dword v1, v0, s[10:11]
.LBB328_10:
	s_endpgm
	.section	.rodata,"a",@progbits
	.p2align	6, 0x0
	.amdhsa_kernel _ZN7rocprim17ROCPRIM_400000_NS6detail17trampoline_kernelINS0_14default_configENS1_35radix_sort_onesweep_config_selectorIiNS0_10empty_typeEEEZNS1_34radix_sort_onesweep_global_offsetsIS3_Lb1EN6thrust23THRUST_200600_302600_NS6detail15normal_iteratorINS9_10device_ptrIiEEEEPS5_jNS0_19identity_decomposerEEE10hipError_tT1_T2_PT3_SK_jT4_jjP12ihipStream_tbEUlT_E0_NS1_11comp_targetILNS1_3genE6ELNS1_11target_archE950ELNS1_3gpuE13ELNS1_3repE0EEENS1_52radix_sort_onesweep_histogram_config_static_selectorELNS0_4arch9wavefront6targetE1EEEvSI_
		.amdhsa_group_segment_fixed_size 64
		.amdhsa_private_segment_fixed_size 0
		.amdhsa_kernarg_size 8
		.amdhsa_user_sgpr_count 2
		.amdhsa_user_sgpr_dispatch_ptr 0
		.amdhsa_user_sgpr_queue_ptr 0
		.amdhsa_user_sgpr_kernarg_segment_ptr 1
		.amdhsa_user_sgpr_dispatch_id 0
		.amdhsa_user_sgpr_kernarg_preload_length 0
		.amdhsa_user_sgpr_kernarg_preload_offset 0
		.amdhsa_user_sgpr_private_segment_size 0
		.amdhsa_uses_dynamic_stack 0
		.amdhsa_enable_private_segment 0
		.amdhsa_system_sgpr_workgroup_id_x 1
		.amdhsa_system_sgpr_workgroup_id_y 0
		.amdhsa_system_sgpr_workgroup_id_z 0
		.amdhsa_system_sgpr_workgroup_info 0
		.amdhsa_system_vgpr_workitem_id 0
		.amdhsa_next_free_vgpr 7
		.amdhsa_next_free_sgpr 14
		.amdhsa_accum_offset 8
		.amdhsa_reserve_vcc 1
		.amdhsa_float_round_mode_32 0
		.amdhsa_float_round_mode_16_64 0
		.amdhsa_float_denorm_mode_32 3
		.amdhsa_float_denorm_mode_16_64 3
		.amdhsa_dx10_clamp 1
		.amdhsa_ieee_mode 1
		.amdhsa_fp16_overflow 0
		.amdhsa_tg_split 0
		.amdhsa_exception_fp_ieee_invalid_op 0
		.amdhsa_exception_fp_denorm_src 0
		.amdhsa_exception_fp_ieee_div_zero 0
		.amdhsa_exception_fp_ieee_overflow 0
		.amdhsa_exception_fp_ieee_underflow 0
		.amdhsa_exception_fp_ieee_inexact 0
		.amdhsa_exception_int_div_zero 0
	.end_amdhsa_kernel
	.section	.text._ZN7rocprim17ROCPRIM_400000_NS6detail17trampoline_kernelINS0_14default_configENS1_35radix_sort_onesweep_config_selectorIiNS0_10empty_typeEEEZNS1_34radix_sort_onesweep_global_offsetsIS3_Lb1EN6thrust23THRUST_200600_302600_NS6detail15normal_iteratorINS9_10device_ptrIiEEEEPS5_jNS0_19identity_decomposerEEE10hipError_tT1_T2_PT3_SK_jT4_jjP12ihipStream_tbEUlT_E0_NS1_11comp_targetILNS1_3genE6ELNS1_11target_archE950ELNS1_3gpuE13ELNS1_3repE0EEENS1_52radix_sort_onesweep_histogram_config_static_selectorELNS0_4arch9wavefront6targetE1EEEvSI_,"axG",@progbits,_ZN7rocprim17ROCPRIM_400000_NS6detail17trampoline_kernelINS0_14default_configENS1_35radix_sort_onesweep_config_selectorIiNS0_10empty_typeEEEZNS1_34radix_sort_onesweep_global_offsetsIS3_Lb1EN6thrust23THRUST_200600_302600_NS6detail15normal_iteratorINS9_10device_ptrIiEEEEPS5_jNS0_19identity_decomposerEEE10hipError_tT1_T2_PT3_SK_jT4_jjP12ihipStream_tbEUlT_E0_NS1_11comp_targetILNS1_3genE6ELNS1_11target_archE950ELNS1_3gpuE13ELNS1_3repE0EEENS1_52radix_sort_onesweep_histogram_config_static_selectorELNS0_4arch9wavefront6targetE1EEEvSI_,comdat
.Lfunc_end328:
	.size	_ZN7rocprim17ROCPRIM_400000_NS6detail17trampoline_kernelINS0_14default_configENS1_35radix_sort_onesweep_config_selectorIiNS0_10empty_typeEEEZNS1_34radix_sort_onesweep_global_offsetsIS3_Lb1EN6thrust23THRUST_200600_302600_NS6detail15normal_iteratorINS9_10device_ptrIiEEEEPS5_jNS0_19identity_decomposerEEE10hipError_tT1_T2_PT3_SK_jT4_jjP12ihipStream_tbEUlT_E0_NS1_11comp_targetILNS1_3genE6ELNS1_11target_archE950ELNS1_3gpuE13ELNS1_3repE0EEENS1_52radix_sort_onesweep_histogram_config_static_selectorELNS0_4arch9wavefront6targetE1EEEvSI_, .Lfunc_end328-_ZN7rocprim17ROCPRIM_400000_NS6detail17trampoline_kernelINS0_14default_configENS1_35radix_sort_onesweep_config_selectorIiNS0_10empty_typeEEEZNS1_34radix_sort_onesweep_global_offsetsIS3_Lb1EN6thrust23THRUST_200600_302600_NS6detail15normal_iteratorINS9_10device_ptrIiEEEEPS5_jNS0_19identity_decomposerEEE10hipError_tT1_T2_PT3_SK_jT4_jjP12ihipStream_tbEUlT_E0_NS1_11comp_targetILNS1_3genE6ELNS1_11target_archE950ELNS1_3gpuE13ELNS1_3repE0EEENS1_52radix_sort_onesweep_histogram_config_static_selectorELNS0_4arch9wavefront6targetE1EEEvSI_
                                        ; -- End function
	.set _ZN7rocprim17ROCPRIM_400000_NS6detail17trampoline_kernelINS0_14default_configENS1_35radix_sort_onesweep_config_selectorIiNS0_10empty_typeEEEZNS1_34radix_sort_onesweep_global_offsetsIS3_Lb1EN6thrust23THRUST_200600_302600_NS6detail15normal_iteratorINS9_10device_ptrIiEEEEPS5_jNS0_19identity_decomposerEEE10hipError_tT1_T2_PT3_SK_jT4_jjP12ihipStream_tbEUlT_E0_NS1_11comp_targetILNS1_3genE6ELNS1_11target_archE950ELNS1_3gpuE13ELNS1_3repE0EEENS1_52radix_sort_onesweep_histogram_config_static_selectorELNS0_4arch9wavefront6targetE1EEEvSI_.num_vgpr, 7
	.set _ZN7rocprim17ROCPRIM_400000_NS6detail17trampoline_kernelINS0_14default_configENS1_35radix_sort_onesweep_config_selectorIiNS0_10empty_typeEEEZNS1_34radix_sort_onesweep_global_offsetsIS3_Lb1EN6thrust23THRUST_200600_302600_NS6detail15normal_iteratorINS9_10device_ptrIiEEEEPS5_jNS0_19identity_decomposerEEE10hipError_tT1_T2_PT3_SK_jT4_jjP12ihipStream_tbEUlT_E0_NS1_11comp_targetILNS1_3genE6ELNS1_11target_archE950ELNS1_3gpuE13ELNS1_3repE0EEENS1_52radix_sort_onesweep_histogram_config_static_selectorELNS0_4arch9wavefront6targetE1EEEvSI_.num_agpr, 0
	.set _ZN7rocprim17ROCPRIM_400000_NS6detail17trampoline_kernelINS0_14default_configENS1_35radix_sort_onesweep_config_selectorIiNS0_10empty_typeEEEZNS1_34radix_sort_onesweep_global_offsetsIS3_Lb1EN6thrust23THRUST_200600_302600_NS6detail15normal_iteratorINS9_10device_ptrIiEEEEPS5_jNS0_19identity_decomposerEEE10hipError_tT1_T2_PT3_SK_jT4_jjP12ihipStream_tbEUlT_E0_NS1_11comp_targetILNS1_3genE6ELNS1_11target_archE950ELNS1_3gpuE13ELNS1_3repE0EEENS1_52radix_sort_onesweep_histogram_config_static_selectorELNS0_4arch9wavefront6targetE1EEEvSI_.numbered_sgpr, 14
	.set _ZN7rocprim17ROCPRIM_400000_NS6detail17trampoline_kernelINS0_14default_configENS1_35radix_sort_onesweep_config_selectorIiNS0_10empty_typeEEEZNS1_34radix_sort_onesweep_global_offsetsIS3_Lb1EN6thrust23THRUST_200600_302600_NS6detail15normal_iteratorINS9_10device_ptrIiEEEEPS5_jNS0_19identity_decomposerEEE10hipError_tT1_T2_PT3_SK_jT4_jjP12ihipStream_tbEUlT_E0_NS1_11comp_targetILNS1_3genE6ELNS1_11target_archE950ELNS1_3gpuE13ELNS1_3repE0EEENS1_52radix_sort_onesweep_histogram_config_static_selectorELNS0_4arch9wavefront6targetE1EEEvSI_.num_named_barrier, 0
	.set _ZN7rocprim17ROCPRIM_400000_NS6detail17trampoline_kernelINS0_14default_configENS1_35radix_sort_onesweep_config_selectorIiNS0_10empty_typeEEEZNS1_34radix_sort_onesweep_global_offsetsIS3_Lb1EN6thrust23THRUST_200600_302600_NS6detail15normal_iteratorINS9_10device_ptrIiEEEEPS5_jNS0_19identity_decomposerEEE10hipError_tT1_T2_PT3_SK_jT4_jjP12ihipStream_tbEUlT_E0_NS1_11comp_targetILNS1_3genE6ELNS1_11target_archE950ELNS1_3gpuE13ELNS1_3repE0EEENS1_52radix_sort_onesweep_histogram_config_static_selectorELNS0_4arch9wavefront6targetE1EEEvSI_.private_seg_size, 0
	.set _ZN7rocprim17ROCPRIM_400000_NS6detail17trampoline_kernelINS0_14default_configENS1_35radix_sort_onesweep_config_selectorIiNS0_10empty_typeEEEZNS1_34radix_sort_onesweep_global_offsetsIS3_Lb1EN6thrust23THRUST_200600_302600_NS6detail15normal_iteratorINS9_10device_ptrIiEEEEPS5_jNS0_19identity_decomposerEEE10hipError_tT1_T2_PT3_SK_jT4_jjP12ihipStream_tbEUlT_E0_NS1_11comp_targetILNS1_3genE6ELNS1_11target_archE950ELNS1_3gpuE13ELNS1_3repE0EEENS1_52radix_sort_onesweep_histogram_config_static_selectorELNS0_4arch9wavefront6targetE1EEEvSI_.uses_vcc, 1
	.set _ZN7rocprim17ROCPRIM_400000_NS6detail17trampoline_kernelINS0_14default_configENS1_35radix_sort_onesweep_config_selectorIiNS0_10empty_typeEEEZNS1_34radix_sort_onesweep_global_offsetsIS3_Lb1EN6thrust23THRUST_200600_302600_NS6detail15normal_iteratorINS9_10device_ptrIiEEEEPS5_jNS0_19identity_decomposerEEE10hipError_tT1_T2_PT3_SK_jT4_jjP12ihipStream_tbEUlT_E0_NS1_11comp_targetILNS1_3genE6ELNS1_11target_archE950ELNS1_3gpuE13ELNS1_3repE0EEENS1_52radix_sort_onesweep_histogram_config_static_selectorELNS0_4arch9wavefront6targetE1EEEvSI_.uses_flat_scratch, 0
	.set _ZN7rocprim17ROCPRIM_400000_NS6detail17trampoline_kernelINS0_14default_configENS1_35radix_sort_onesweep_config_selectorIiNS0_10empty_typeEEEZNS1_34radix_sort_onesweep_global_offsetsIS3_Lb1EN6thrust23THRUST_200600_302600_NS6detail15normal_iteratorINS9_10device_ptrIiEEEEPS5_jNS0_19identity_decomposerEEE10hipError_tT1_T2_PT3_SK_jT4_jjP12ihipStream_tbEUlT_E0_NS1_11comp_targetILNS1_3genE6ELNS1_11target_archE950ELNS1_3gpuE13ELNS1_3repE0EEENS1_52radix_sort_onesweep_histogram_config_static_selectorELNS0_4arch9wavefront6targetE1EEEvSI_.has_dyn_sized_stack, 0
	.set _ZN7rocprim17ROCPRIM_400000_NS6detail17trampoline_kernelINS0_14default_configENS1_35radix_sort_onesweep_config_selectorIiNS0_10empty_typeEEEZNS1_34radix_sort_onesweep_global_offsetsIS3_Lb1EN6thrust23THRUST_200600_302600_NS6detail15normal_iteratorINS9_10device_ptrIiEEEEPS5_jNS0_19identity_decomposerEEE10hipError_tT1_T2_PT3_SK_jT4_jjP12ihipStream_tbEUlT_E0_NS1_11comp_targetILNS1_3genE6ELNS1_11target_archE950ELNS1_3gpuE13ELNS1_3repE0EEENS1_52radix_sort_onesweep_histogram_config_static_selectorELNS0_4arch9wavefront6targetE1EEEvSI_.has_recursion, 0
	.set _ZN7rocprim17ROCPRIM_400000_NS6detail17trampoline_kernelINS0_14default_configENS1_35radix_sort_onesweep_config_selectorIiNS0_10empty_typeEEEZNS1_34radix_sort_onesweep_global_offsetsIS3_Lb1EN6thrust23THRUST_200600_302600_NS6detail15normal_iteratorINS9_10device_ptrIiEEEEPS5_jNS0_19identity_decomposerEEE10hipError_tT1_T2_PT3_SK_jT4_jjP12ihipStream_tbEUlT_E0_NS1_11comp_targetILNS1_3genE6ELNS1_11target_archE950ELNS1_3gpuE13ELNS1_3repE0EEENS1_52radix_sort_onesweep_histogram_config_static_selectorELNS0_4arch9wavefront6targetE1EEEvSI_.has_indirect_call, 0
	.section	.AMDGPU.csdata,"",@progbits
; Kernel info:
; codeLenInByte = 572
; TotalNumSgprs: 20
; NumVgprs: 7
; NumAgprs: 0
; TotalNumVgprs: 7
; ScratchSize: 0
; MemoryBound: 0
; FloatMode: 240
; IeeeMode: 1
; LDSByteSize: 64 bytes/workgroup (compile time only)
; SGPRBlocks: 2
; VGPRBlocks: 0
; NumSGPRsForWavesPerEU: 20
; NumVGPRsForWavesPerEU: 7
; AccumOffset: 8
; Occupancy: 8
; WaveLimiterHint : 0
; COMPUTE_PGM_RSRC2:SCRATCH_EN: 0
; COMPUTE_PGM_RSRC2:USER_SGPR: 2
; COMPUTE_PGM_RSRC2:TRAP_HANDLER: 0
; COMPUTE_PGM_RSRC2:TGID_X_EN: 1
; COMPUTE_PGM_RSRC2:TGID_Y_EN: 0
; COMPUTE_PGM_RSRC2:TGID_Z_EN: 0
; COMPUTE_PGM_RSRC2:TIDIG_COMP_CNT: 0
; COMPUTE_PGM_RSRC3_GFX90A:ACCUM_OFFSET: 1
; COMPUTE_PGM_RSRC3_GFX90A:TG_SPLIT: 0
	.section	.text._ZN7rocprim17ROCPRIM_400000_NS6detail17trampoline_kernelINS0_14default_configENS1_35radix_sort_onesweep_config_selectorIiNS0_10empty_typeEEEZNS1_34radix_sort_onesweep_global_offsetsIS3_Lb1EN6thrust23THRUST_200600_302600_NS6detail15normal_iteratorINS9_10device_ptrIiEEEEPS5_jNS0_19identity_decomposerEEE10hipError_tT1_T2_PT3_SK_jT4_jjP12ihipStream_tbEUlT_E0_NS1_11comp_targetILNS1_3genE5ELNS1_11target_archE942ELNS1_3gpuE9ELNS1_3repE0EEENS1_52radix_sort_onesweep_histogram_config_static_selectorELNS0_4arch9wavefront6targetE1EEEvSI_,"axG",@progbits,_ZN7rocprim17ROCPRIM_400000_NS6detail17trampoline_kernelINS0_14default_configENS1_35radix_sort_onesweep_config_selectorIiNS0_10empty_typeEEEZNS1_34radix_sort_onesweep_global_offsetsIS3_Lb1EN6thrust23THRUST_200600_302600_NS6detail15normal_iteratorINS9_10device_ptrIiEEEEPS5_jNS0_19identity_decomposerEEE10hipError_tT1_T2_PT3_SK_jT4_jjP12ihipStream_tbEUlT_E0_NS1_11comp_targetILNS1_3genE5ELNS1_11target_archE942ELNS1_3gpuE9ELNS1_3repE0EEENS1_52radix_sort_onesweep_histogram_config_static_selectorELNS0_4arch9wavefront6targetE1EEEvSI_,comdat
	.protected	_ZN7rocprim17ROCPRIM_400000_NS6detail17trampoline_kernelINS0_14default_configENS1_35radix_sort_onesweep_config_selectorIiNS0_10empty_typeEEEZNS1_34radix_sort_onesweep_global_offsetsIS3_Lb1EN6thrust23THRUST_200600_302600_NS6detail15normal_iteratorINS9_10device_ptrIiEEEEPS5_jNS0_19identity_decomposerEEE10hipError_tT1_T2_PT3_SK_jT4_jjP12ihipStream_tbEUlT_E0_NS1_11comp_targetILNS1_3genE5ELNS1_11target_archE942ELNS1_3gpuE9ELNS1_3repE0EEENS1_52radix_sort_onesweep_histogram_config_static_selectorELNS0_4arch9wavefront6targetE1EEEvSI_ ; -- Begin function _ZN7rocprim17ROCPRIM_400000_NS6detail17trampoline_kernelINS0_14default_configENS1_35radix_sort_onesweep_config_selectorIiNS0_10empty_typeEEEZNS1_34radix_sort_onesweep_global_offsetsIS3_Lb1EN6thrust23THRUST_200600_302600_NS6detail15normal_iteratorINS9_10device_ptrIiEEEEPS5_jNS0_19identity_decomposerEEE10hipError_tT1_T2_PT3_SK_jT4_jjP12ihipStream_tbEUlT_E0_NS1_11comp_targetILNS1_3genE5ELNS1_11target_archE942ELNS1_3gpuE9ELNS1_3repE0EEENS1_52radix_sort_onesweep_histogram_config_static_selectorELNS0_4arch9wavefront6targetE1EEEvSI_
	.globl	_ZN7rocprim17ROCPRIM_400000_NS6detail17trampoline_kernelINS0_14default_configENS1_35radix_sort_onesweep_config_selectorIiNS0_10empty_typeEEEZNS1_34radix_sort_onesweep_global_offsetsIS3_Lb1EN6thrust23THRUST_200600_302600_NS6detail15normal_iteratorINS9_10device_ptrIiEEEEPS5_jNS0_19identity_decomposerEEE10hipError_tT1_T2_PT3_SK_jT4_jjP12ihipStream_tbEUlT_E0_NS1_11comp_targetILNS1_3genE5ELNS1_11target_archE942ELNS1_3gpuE9ELNS1_3repE0EEENS1_52radix_sort_onesweep_histogram_config_static_selectorELNS0_4arch9wavefront6targetE1EEEvSI_
	.p2align	8
	.type	_ZN7rocprim17ROCPRIM_400000_NS6detail17trampoline_kernelINS0_14default_configENS1_35radix_sort_onesweep_config_selectorIiNS0_10empty_typeEEEZNS1_34radix_sort_onesweep_global_offsetsIS3_Lb1EN6thrust23THRUST_200600_302600_NS6detail15normal_iteratorINS9_10device_ptrIiEEEEPS5_jNS0_19identity_decomposerEEE10hipError_tT1_T2_PT3_SK_jT4_jjP12ihipStream_tbEUlT_E0_NS1_11comp_targetILNS1_3genE5ELNS1_11target_archE942ELNS1_3gpuE9ELNS1_3repE0EEENS1_52radix_sort_onesweep_histogram_config_static_selectorELNS0_4arch9wavefront6targetE1EEEvSI_,@function
_ZN7rocprim17ROCPRIM_400000_NS6detail17trampoline_kernelINS0_14default_configENS1_35radix_sort_onesweep_config_selectorIiNS0_10empty_typeEEEZNS1_34radix_sort_onesweep_global_offsetsIS3_Lb1EN6thrust23THRUST_200600_302600_NS6detail15normal_iteratorINS9_10device_ptrIiEEEEPS5_jNS0_19identity_decomposerEEE10hipError_tT1_T2_PT3_SK_jT4_jjP12ihipStream_tbEUlT_E0_NS1_11comp_targetILNS1_3genE5ELNS1_11target_archE942ELNS1_3gpuE9ELNS1_3repE0EEENS1_52radix_sort_onesweep_histogram_config_static_selectorELNS0_4arch9wavefront6targetE1EEEvSI_: ; @_ZN7rocprim17ROCPRIM_400000_NS6detail17trampoline_kernelINS0_14default_configENS1_35radix_sort_onesweep_config_selectorIiNS0_10empty_typeEEEZNS1_34radix_sort_onesweep_global_offsetsIS3_Lb1EN6thrust23THRUST_200600_302600_NS6detail15normal_iteratorINS9_10device_ptrIiEEEEPS5_jNS0_19identity_decomposerEEE10hipError_tT1_T2_PT3_SK_jT4_jjP12ihipStream_tbEUlT_E0_NS1_11comp_targetILNS1_3genE5ELNS1_11target_archE942ELNS1_3gpuE9ELNS1_3repE0EEENS1_52radix_sort_onesweep_histogram_config_static_selectorELNS0_4arch9wavefront6targetE1EEEvSI_
; %bb.0:
	.section	.rodata,"a",@progbits
	.p2align	6, 0x0
	.amdhsa_kernel _ZN7rocprim17ROCPRIM_400000_NS6detail17trampoline_kernelINS0_14default_configENS1_35radix_sort_onesweep_config_selectorIiNS0_10empty_typeEEEZNS1_34radix_sort_onesweep_global_offsetsIS3_Lb1EN6thrust23THRUST_200600_302600_NS6detail15normal_iteratorINS9_10device_ptrIiEEEEPS5_jNS0_19identity_decomposerEEE10hipError_tT1_T2_PT3_SK_jT4_jjP12ihipStream_tbEUlT_E0_NS1_11comp_targetILNS1_3genE5ELNS1_11target_archE942ELNS1_3gpuE9ELNS1_3repE0EEENS1_52radix_sort_onesweep_histogram_config_static_selectorELNS0_4arch9wavefront6targetE1EEEvSI_
		.amdhsa_group_segment_fixed_size 0
		.amdhsa_private_segment_fixed_size 0
		.amdhsa_kernarg_size 8
		.amdhsa_user_sgpr_count 2
		.amdhsa_user_sgpr_dispatch_ptr 0
		.amdhsa_user_sgpr_queue_ptr 0
		.amdhsa_user_sgpr_kernarg_segment_ptr 1
		.amdhsa_user_sgpr_dispatch_id 0
		.amdhsa_user_sgpr_kernarg_preload_length 0
		.amdhsa_user_sgpr_kernarg_preload_offset 0
		.amdhsa_user_sgpr_private_segment_size 0
		.amdhsa_uses_dynamic_stack 0
		.amdhsa_enable_private_segment 0
		.amdhsa_system_sgpr_workgroup_id_x 1
		.amdhsa_system_sgpr_workgroup_id_y 0
		.amdhsa_system_sgpr_workgroup_id_z 0
		.amdhsa_system_sgpr_workgroup_info 0
		.amdhsa_system_vgpr_workitem_id 0
		.amdhsa_next_free_vgpr 1
		.amdhsa_next_free_sgpr 0
		.amdhsa_accum_offset 4
		.amdhsa_reserve_vcc 0
		.amdhsa_float_round_mode_32 0
		.amdhsa_float_round_mode_16_64 0
		.amdhsa_float_denorm_mode_32 3
		.amdhsa_float_denorm_mode_16_64 3
		.amdhsa_dx10_clamp 1
		.amdhsa_ieee_mode 1
		.amdhsa_fp16_overflow 0
		.amdhsa_tg_split 0
		.amdhsa_exception_fp_ieee_invalid_op 0
		.amdhsa_exception_fp_denorm_src 0
		.amdhsa_exception_fp_ieee_div_zero 0
		.amdhsa_exception_fp_ieee_overflow 0
		.amdhsa_exception_fp_ieee_underflow 0
		.amdhsa_exception_fp_ieee_inexact 0
		.amdhsa_exception_int_div_zero 0
	.end_amdhsa_kernel
	.section	.text._ZN7rocprim17ROCPRIM_400000_NS6detail17trampoline_kernelINS0_14default_configENS1_35radix_sort_onesweep_config_selectorIiNS0_10empty_typeEEEZNS1_34radix_sort_onesweep_global_offsetsIS3_Lb1EN6thrust23THRUST_200600_302600_NS6detail15normal_iteratorINS9_10device_ptrIiEEEEPS5_jNS0_19identity_decomposerEEE10hipError_tT1_T2_PT3_SK_jT4_jjP12ihipStream_tbEUlT_E0_NS1_11comp_targetILNS1_3genE5ELNS1_11target_archE942ELNS1_3gpuE9ELNS1_3repE0EEENS1_52radix_sort_onesweep_histogram_config_static_selectorELNS0_4arch9wavefront6targetE1EEEvSI_,"axG",@progbits,_ZN7rocprim17ROCPRIM_400000_NS6detail17trampoline_kernelINS0_14default_configENS1_35radix_sort_onesweep_config_selectorIiNS0_10empty_typeEEEZNS1_34radix_sort_onesweep_global_offsetsIS3_Lb1EN6thrust23THRUST_200600_302600_NS6detail15normal_iteratorINS9_10device_ptrIiEEEEPS5_jNS0_19identity_decomposerEEE10hipError_tT1_T2_PT3_SK_jT4_jjP12ihipStream_tbEUlT_E0_NS1_11comp_targetILNS1_3genE5ELNS1_11target_archE942ELNS1_3gpuE9ELNS1_3repE0EEENS1_52radix_sort_onesweep_histogram_config_static_selectorELNS0_4arch9wavefront6targetE1EEEvSI_,comdat
.Lfunc_end329:
	.size	_ZN7rocprim17ROCPRIM_400000_NS6detail17trampoline_kernelINS0_14default_configENS1_35radix_sort_onesweep_config_selectorIiNS0_10empty_typeEEEZNS1_34radix_sort_onesweep_global_offsetsIS3_Lb1EN6thrust23THRUST_200600_302600_NS6detail15normal_iteratorINS9_10device_ptrIiEEEEPS5_jNS0_19identity_decomposerEEE10hipError_tT1_T2_PT3_SK_jT4_jjP12ihipStream_tbEUlT_E0_NS1_11comp_targetILNS1_3genE5ELNS1_11target_archE942ELNS1_3gpuE9ELNS1_3repE0EEENS1_52radix_sort_onesweep_histogram_config_static_selectorELNS0_4arch9wavefront6targetE1EEEvSI_, .Lfunc_end329-_ZN7rocprim17ROCPRIM_400000_NS6detail17trampoline_kernelINS0_14default_configENS1_35radix_sort_onesweep_config_selectorIiNS0_10empty_typeEEEZNS1_34radix_sort_onesweep_global_offsetsIS3_Lb1EN6thrust23THRUST_200600_302600_NS6detail15normal_iteratorINS9_10device_ptrIiEEEEPS5_jNS0_19identity_decomposerEEE10hipError_tT1_T2_PT3_SK_jT4_jjP12ihipStream_tbEUlT_E0_NS1_11comp_targetILNS1_3genE5ELNS1_11target_archE942ELNS1_3gpuE9ELNS1_3repE0EEENS1_52radix_sort_onesweep_histogram_config_static_selectorELNS0_4arch9wavefront6targetE1EEEvSI_
                                        ; -- End function
	.set _ZN7rocprim17ROCPRIM_400000_NS6detail17trampoline_kernelINS0_14default_configENS1_35radix_sort_onesweep_config_selectorIiNS0_10empty_typeEEEZNS1_34radix_sort_onesweep_global_offsetsIS3_Lb1EN6thrust23THRUST_200600_302600_NS6detail15normal_iteratorINS9_10device_ptrIiEEEEPS5_jNS0_19identity_decomposerEEE10hipError_tT1_T2_PT3_SK_jT4_jjP12ihipStream_tbEUlT_E0_NS1_11comp_targetILNS1_3genE5ELNS1_11target_archE942ELNS1_3gpuE9ELNS1_3repE0EEENS1_52radix_sort_onesweep_histogram_config_static_selectorELNS0_4arch9wavefront6targetE1EEEvSI_.num_vgpr, 0
	.set _ZN7rocprim17ROCPRIM_400000_NS6detail17trampoline_kernelINS0_14default_configENS1_35radix_sort_onesweep_config_selectorIiNS0_10empty_typeEEEZNS1_34radix_sort_onesweep_global_offsetsIS3_Lb1EN6thrust23THRUST_200600_302600_NS6detail15normal_iteratorINS9_10device_ptrIiEEEEPS5_jNS0_19identity_decomposerEEE10hipError_tT1_T2_PT3_SK_jT4_jjP12ihipStream_tbEUlT_E0_NS1_11comp_targetILNS1_3genE5ELNS1_11target_archE942ELNS1_3gpuE9ELNS1_3repE0EEENS1_52radix_sort_onesweep_histogram_config_static_selectorELNS0_4arch9wavefront6targetE1EEEvSI_.num_agpr, 0
	.set _ZN7rocprim17ROCPRIM_400000_NS6detail17trampoline_kernelINS0_14default_configENS1_35radix_sort_onesweep_config_selectorIiNS0_10empty_typeEEEZNS1_34radix_sort_onesweep_global_offsetsIS3_Lb1EN6thrust23THRUST_200600_302600_NS6detail15normal_iteratorINS9_10device_ptrIiEEEEPS5_jNS0_19identity_decomposerEEE10hipError_tT1_T2_PT3_SK_jT4_jjP12ihipStream_tbEUlT_E0_NS1_11comp_targetILNS1_3genE5ELNS1_11target_archE942ELNS1_3gpuE9ELNS1_3repE0EEENS1_52radix_sort_onesweep_histogram_config_static_selectorELNS0_4arch9wavefront6targetE1EEEvSI_.numbered_sgpr, 0
	.set _ZN7rocprim17ROCPRIM_400000_NS6detail17trampoline_kernelINS0_14default_configENS1_35radix_sort_onesweep_config_selectorIiNS0_10empty_typeEEEZNS1_34radix_sort_onesweep_global_offsetsIS3_Lb1EN6thrust23THRUST_200600_302600_NS6detail15normal_iteratorINS9_10device_ptrIiEEEEPS5_jNS0_19identity_decomposerEEE10hipError_tT1_T2_PT3_SK_jT4_jjP12ihipStream_tbEUlT_E0_NS1_11comp_targetILNS1_3genE5ELNS1_11target_archE942ELNS1_3gpuE9ELNS1_3repE0EEENS1_52radix_sort_onesweep_histogram_config_static_selectorELNS0_4arch9wavefront6targetE1EEEvSI_.num_named_barrier, 0
	.set _ZN7rocprim17ROCPRIM_400000_NS6detail17trampoline_kernelINS0_14default_configENS1_35radix_sort_onesweep_config_selectorIiNS0_10empty_typeEEEZNS1_34radix_sort_onesweep_global_offsetsIS3_Lb1EN6thrust23THRUST_200600_302600_NS6detail15normal_iteratorINS9_10device_ptrIiEEEEPS5_jNS0_19identity_decomposerEEE10hipError_tT1_T2_PT3_SK_jT4_jjP12ihipStream_tbEUlT_E0_NS1_11comp_targetILNS1_3genE5ELNS1_11target_archE942ELNS1_3gpuE9ELNS1_3repE0EEENS1_52radix_sort_onesweep_histogram_config_static_selectorELNS0_4arch9wavefront6targetE1EEEvSI_.private_seg_size, 0
	.set _ZN7rocprim17ROCPRIM_400000_NS6detail17trampoline_kernelINS0_14default_configENS1_35radix_sort_onesweep_config_selectorIiNS0_10empty_typeEEEZNS1_34radix_sort_onesweep_global_offsetsIS3_Lb1EN6thrust23THRUST_200600_302600_NS6detail15normal_iteratorINS9_10device_ptrIiEEEEPS5_jNS0_19identity_decomposerEEE10hipError_tT1_T2_PT3_SK_jT4_jjP12ihipStream_tbEUlT_E0_NS1_11comp_targetILNS1_3genE5ELNS1_11target_archE942ELNS1_3gpuE9ELNS1_3repE0EEENS1_52radix_sort_onesweep_histogram_config_static_selectorELNS0_4arch9wavefront6targetE1EEEvSI_.uses_vcc, 0
	.set _ZN7rocprim17ROCPRIM_400000_NS6detail17trampoline_kernelINS0_14default_configENS1_35radix_sort_onesweep_config_selectorIiNS0_10empty_typeEEEZNS1_34radix_sort_onesweep_global_offsetsIS3_Lb1EN6thrust23THRUST_200600_302600_NS6detail15normal_iteratorINS9_10device_ptrIiEEEEPS5_jNS0_19identity_decomposerEEE10hipError_tT1_T2_PT3_SK_jT4_jjP12ihipStream_tbEUlT_E0_NS1_11comp_targetILNS1_3genE5ELNS1_11target_archE942ELNS1_3gpuE9ELNS1_3repE0EEENS1_52radix_sort_onesweep_histogram_config_static_selectorELNS0_4arch9wavefront6targetE1EEEvSI_.uses_flat_scratch, 0
	.set _ZN7rocprim17ROCPRIM_400000_NS6detail17trampoline_kernelINS0_14default_configENS1_35radix_sort_onesweep_config_selectorIiNS0_10empty_typeEEEZNS1_34radix_sort_onesweep_global_offsetsIS3_Lb1EN6thrust23THRUST_200600_302600_NS6detail15normal_iteratorINS9_10device_ptrIiEEEEPS5_jNS0_19identity_decomposerEEE10hipError_tT1_T2_PT3_SK_jT4_jjP12ihipStream_tbEUlT_E0_NS1_11comp_targetILNS1_3genE5ELNS1_11target_archE942ELNS1_3gpuE9ELNS1_3repE0EEENS1_52radix_sort_onesweep_histogram_config_static_selectorELNS0_4arch9wavefront6targetE1EEEvSI_.has_dyn_sized_stack, 0
	.set _ZN7rocprim17ROCPRIM_400000_NS6detail17trampoline_kernelINS0_14default_configENS1_35radix_sort_onesweep_config_selectorIiNS0_10empty_typeEEEZNS1_34radix_sort_onesweep_global_offsetsIS3_Lb1EN6thrust23THRUST_200600_302600_NS6detail15normal_iteratorINS9_10device_ptrIiEEEEPS5_jNS0_19identity_decomposerEEE10hipError_tT1_T2_PT3_SK_jT4_jjP12ihipStream_tbEUlT_E0_NS1_11comp_targetILNS1_3genE5ELNS1_11target_archE942ELNS1_3gpuE9ELNS1_3repE0EEENS1_52radix_sort_onesweep_histogram_config_static_selectorELNS0_4arch9wavefront6targetE1EEEvSI_.has_recursion, 0
	.set _ZN7rocprim17ROCPRIM_400000_NS6detail17trampoline_kernelINS0_14default_configENS1_35radix_sort_onesweep_config_selectorIiNS0_10empty_typeEEEZNS1_34radix_sort_onesweep_global_offsetsIS3_Lb1EN6thrust23THRUST_200600_302600_NS6detail15normal_iteratorINS9_10device_ptrIiEEEEPS5_jNS0_19identity_decomposerEEE10hipError_tT1_T2_PT3_SK_jT4_jjP12ihipStream_tbEUlT_E0_NS1_11comp_targetILNS1_3genE5ELNS1_11target_archE942ELNS1_3gpuE9ELNS1_3repE0EEENS1_52radix_sort_onesweep_histogram_config_static_selectorELNS0_4arch9wavefront6targetE1EEEvSI_.has_indirect_call, 0
	.section	.AMDGPU.csdata,"",@progbits
; Kernel info:
; codeLenInByte = 0
; TotalNumSgprs: 6
; NumVgprs: 0
; NumAgprs: 0
; TotalNumVgprs: 0
; ScratchSize: 0
; MemoryBound: 0
; FloatMode: 240
; IeeeMode: 1
; LDSByteSize: 0 bytes/workgroup (compile time only)
; SGPRBlocks: 0
; VGPRBlocks: 0
; NumSGPRsForWavesPerEU: 6
; NumVGPRsForWavesPerEU: 1
; AccumOffset: 4
; Occupancy: 8
; WaveLimiterHint : 0
; COMPUTE_PGM_RSRC2:SCRATCH_EN: 0
; COMPUTE_PGM_RSRC2:USER_SGPR: 2
; COMPUTE_PGM_RSRC2:TRAP_HANDLER: 0
; COMPUTE_PGM_RSRC2:TGID_X_EN: 1
; COMPUTE_PGM_RSRC2:TGID_Y_EN: 0
; COMPUTE_PGM_RSRC2:TGID_Z_EN: 0
; COMPUTE_PGM_RSRC2:TIDIG_COMP_CNT: 0
; COMPUTE_PGM_RSRC3_GFX90A:ACCUM_OFFSET: 0
; COMPUTE_PGM_RSRC3_GFX90A:TG_SPLIT: 0
	.section	.text._ZN7rocprim17ROCPRIM_400000_NS6detail17trampoline_kernelINS0_14default_configENS1_35radix_sort_onesweep_config_selectorIiNS0_10empty_typeEEEZNS1_34radix_sort_onesweep_global_offsetsIS3_Lb1EN6thrust23THRUST_200600_302600_NS6detail15normal_iteratorINS9_10device_ptrIiEEEEPS5_jNS0_19identity_decomposerEEE10hipError_tT1_T2_PT3_SK_jT4_jjP12ihipStream_tbEUlT_E0_NS1_11comp_targetILNS1_3genE2ELNS1_11target_archE906ELNS1_3gpuE6ELNS1_3repE0EEENS1_52radix_sort_onesweep_histogram_config_static_selectorELNS0_4arch9wavefront6targetE1EEEvSI_,"axG",@progbits,_ZN7rocprim17ROCPRIM_400000_NS6detail17trampoline_kernelINS0_14default_configENS1_35radix_sort_onesweep_config_selectorIiNS0_10empty_typeEEEZNS1_34radix_sort_onesweep_global_offsetsIS3_Lb1EN6thrust23THRUST_200600_302600_NS6detail15normal_iteratorINS9_10device_ptrIiEEEEPS5_jNS0_19identity_decomposerEEE10hipError_tT1_T2_PT3_SK_jT4_jjP12ihipStream_tbEUlT_E0_NS1_11comp_targetILNS1_3genE2ELNS1_11target_archE906ELNS1_3gpuE6ELNS1_3repE0EEENS1_52radix_sort_onesweep_histogram_config_static_selectorELNS0_4arch9wavefront6targetE1EEEvSI_,comdat
	.protected	_ZN7rocprim17ROCPRIM_400000_NS6detail17trampoline_kernelINS0_14default_configENS1_35radix_sort_onesweep_config_selectorIiNS0_10empty_typeEEEZNS1_34radix_sort_onesweep_global_offsetsIS3_Lb1EN6thrust23THRUST_200600_302600_NS6detail15normal_iteratorINS9_10device_ptrIiEEEEPS5_jNS0_19identity_decomposerEEE10hipError_tT1_T2_PT3_SK_jT4_jjP12ihipStream_tbEUlT_E0_NS1_11comp_targetILNS1_3genE2ELNS1_11target_archE906ELNS1_3gpuE6ELNS1_3repE0EEENS1_52radix_sort_onesweep_histogram_config_static_selectorELNS0_4arch9wavefront6targetE1EEEvSI_ ; -- Begin function _ZN7rocprim17ROCPRIM_400000_NS6detail17trampoline_kernelINS0_14default_configENS1_35radix_sort_onesweep_config_selectorIiNS0_10empty_typeEEEZNS1_34radix_sort_onesweep_global_offsetsIS3_Lb1EN6thrust23THRUST_200600_302600_NS6detail15normal_iteratorINS9_10device_ptrIiEEEEPS5_jNS0_19identity_decomposerEEE10hipError_tT1_T2_PT3_SK_jT4_jjP12ihipStream_tbEUlT_E0_NS1_11comp_targetILNS1_3genE2ELNS1_11target_archE906ELNS1_3gpuE6ELNS1_3repE0EEENS1_52radix_sort_onesweep_histogram_config_static_selectorELNS0_4arch9wavefront6targetE1EEEvSI_
	.globl	_ZN7rocprim17ROCPRIM_400000_NS6detail17trampoline_kernelINS0_14default_configENS1_35radix_sort_onesweep_config_selectorIiNS0_10empty_typeEEEZNS1_34radix_sort_onesweep_global_offsetsIS3_Lb1EN6thrust23THRUST_200600_302600_NS6detail15normal_iteratorINS9_10device_ptrIiEEEEPS5_jNS0_19identity_decomposerEEE10hipError_tT1_T2_PT3_SK_jT4_jjP12ihipStream_tbEUlT_E0_NS1_11comp_targetILNS1_3genE2ELNS1_11target_archE906ELNS1_3gpuE6ELNS1_3repE0EEENS1_52radix_sort_onesweep_histogram_config_static_selectorELNS0_4arch9wavefront6targetE1EEEvSI_
	.p2align	8
	.type	_ZN7rocprim17ROCPRIM_400000_NS6detail17trampoline_kernelINS0_14default_configENS1_35radix_sort_onesweep_config_selectorIiNS0_10empty_typeEEEZNS1_34radix_sort_onesweep_global_offsetsIS3_Lb1EN6thrust23THRUST_200600_302600_NS6detail15normal_iteratorINS9_10device_ptrIiEEEEPS5_jNS0_19identity_decomposerEEE10hipError_tT1_T2_PT3_SK_jT4_jjP12ihipStream_tbEUlT_E0_NS1_11comp_targetILNS1_3genE2ELNS1_11target_archE906ELNS1_3gpuE6ELNS1_3repE0EEENS1_52radix_sort_onesweep_histogram_config_static_selectorELNS0_4arch9wavefront6targetE1EEEvSI_,@function
_ZN7rocprim17ROCPRIM_400000_NS6detail17trampoline_kernelINS0_14default_configENS1_35radix_sort_onesweep_config_selectorIiNS0_10empty_typeEEEZNS1_34radix_sort_onesweep_global_offsetsIS3_Lb1EN6thrust23THRUST_200600_302600_NS6detail15normal_iteratorINS9_10device_ptrIiEEEEPS5_jNS0_19identity_decomposerEEE10hipError_tT1_T2_PT3_SK_jT4_jjP12ihipStream_tbEUlT_E0_NS1_11comp_targetILNS1_3genE2ELNS1_11target_archE906ELNS1_3gpuE6ELNS1_3repE0EEENS1_52radix_sort_onesweep_histogram_config_static_selectorELNS0_4arch9wavefront6targetE1EEEvSI_: ; @_ZN7rocprim17ROCPRIM_400000_NS6detail17trampoline_kernelINS0_14default_configENS1_35radix_sort_onesweep_config_selectorIiNS0_10empty_typeEEEZNS1_34radix_sort_onesweep_global_offsetsIS3_Lb1EN6thrust23THRUST_200600_302600_NS6detail15normal_iteratorINS9_10device_ptrIiEEEEPS5_jNS0_19identity_decomposerEEE10hipError_tT1_T2_PT3_SK_jT4_jjP12ihipStream_tbEUlT_E0_NS1_11comp_targetILNS1_3genE2ELNS1_11target_archE906ELNS1_3gpuE6ELNS1_3repE0EEENS1_52radix_sort_onesweep_histogram_config_static_selectorELNS0_4arch9wavefront6targetE1EEEvSI_
; %bb.0:
	.section	.rodata,"a",@progbits
	.p2align	6, 0x0
	.amdhsa_kernel _ZN7rocprim17ROCPRIM_400000_NS6detail17trampoline_kernelINS0_14default_configENS1_35radix_sort_onesweep_config_selectorIiNS0_10empty_typeEEEZNS1_34radix_sort_onesweep_global_offsetsIS3_Lb1EN6thrust23THRUST_200600_302600_NS6detail15normal_iteratorINS9_10device_ptrIiEEEEPS5_jNS0_19identity_decomposerEEE10hipError_tT1_T2_PT3_SK_jT4_jjP12ihipStream_tbEUlT_E0_NS1_11comp_targetILNS1_3genE2ELNS1_11target_archE906ELNS1_3gpuE6ELNS1_3repE0EEENS1_52radix_sort_onesweep_histogram_config_static_selectorELNS0_4arch9wavefront6targetE1EEEvSI_
		.amdhsa_group_segment_fixed_size 0
		.amdhsa_private_segment_fixed_size 0
		.amdhsa_kernarg_size 8
		.amdhsa_user_sgpr_count 2
		.amdhsa_user_sgpr_dispatch_ptr 0
		.amdhsa_user_sgpr_queue_ptr 0
		.amdhsa_user_sgpr_kernarg_segment_ptr 1
		.amdhsa_user_sgpr_dispatch_id 0
		.amdhsa_user_sgpr_kernarg_preload_length 0
		.amdhsa_user_sgpr_kernarg_preload_offset 0
		.amdhsa_user_sgpr_private_segment_size 0
		.amdhsa_uses_dynamic_stack 0
		.amdhsa_enable_private_segment 0
		.amdhsa_system_sgpr_workgroup_id_x 1
		.amdhsa_system_sgpr_workgroup_id_y 0
		.amdhsa_system_sgpr_workgroup_id_z 0
		.amdhsa_system_sgpr_workgroup_info 0
		.amdhsa_system_vgpr_workitem_id 0
		.amdhsa_next_free_vgpr 1
		.amdhsa_next_free_sgpr 0
		.amdhsa_accum_offset 4
		.amdhsa_reserve_vcc 0
		.amdhsa_float_round_mode_32 0
		.amdhsa_float_round_mode_16_64 0
		.amdhsa_float_denorm_mode_32 3
		.amdhsa_float_denorm_mode_16_64 3
		.amdhsa_dx10_clamp 1
		.amdhsa_ieee_mode 1
		.amdhsa_fp16_overflow 0
		.amdhsa_tg_split 0
		.amdhsa_exception_fp_ieee_invalid_op 0
		.amdhsa_exception_fp_denorm_src 0
		.amdhsa_exception_fp_ieee_div_zero 0
		.amdhsa_exception_fp_ieee_overflow 0
		.amdhsa_exception_fp_ieee_underflow 0
		.amdhsa_exception_fp_ieee_inexact 0
		.amdhsa_exception_int_div_zero 0
	.end_amdhsa_kernel
	.section	.text._ZN7rocprim17ROCPRIM_400000_NS6detail17trampoline_kernelINS0_14default_configENS1_35radix_sort_onesweep_config_selectorIiNS0_10empty_typeEEEZNS1_34radix_sort_onesweep_global_offsetsIS3_Lb1EN6thrust23THRUST_200600_302600_NS6detail15normal_iteratorINS9_10device_ptrIiEEEEPS5_jNS0_19identity_decomposerEEE10hipError_tT1_T2_PT3_SK_jT4_jjP12ihipStream_tbEUlT_E0_NS1_11comp_targetILNS1_3genE2ELNS1_11target_archE906ELNS1_3gpuE6ELNS1_3repE0EEENS1_52radix_sort_onesweep_histogram_config_static_selectorELNS0_4arch9wavefront6targetE1EEEvSI_,"axG",@progbits,_ZN7rocprim17ROCPRIM_400000_NS6detail17trampoline_kernelINS0_14default_configENS1_35radix_sort_onesweep_config_selectorIiNS0_10empty_typeEEEZNS1_34radix_sort_onesweep_global_offsetsIS3_Lb1EN6thrust23THRUST_200600_302600_NS6detail15normal_iteratorINS9_10device_ptrIiEEEEPS5_jNS0_19identity_decomposerEEE10hipError_tT1_T2_PT3_SK_jT4_jjP12ihipStream_tbEUlT_E0_NS1_11comp_targetILNS1_3genE2ELNS1_11target_archE906ELNS1_3gpuE6ELNS1_3repE0EEENS1_52radix_sort_onesweep_histogram_config_static_selectorELNS0_4arch9wavefront6targetE1EEEvSI_,comdat
.Lfunc_end330:
	.size	_ZN7rocprim17ROCPRIM_400000_NS6detail17trampoline_kernelINS0_14default_configENS1_35radix_sort_onesweep_config_selectorIiNS0_10empty_typeEEEZNS1_34radix_sort_onesweep_global_offsetsIS3_Lb1EN6thrust23THRUST_200600_302600_NS6detail15normal_iteratorINS9_10device_ptrIiEEEEPS5_jNS0_19identity_decomposerEEE10hipError_tT1_T2_PT3_SK_jT4_jjP12ihipStream_tbEUlT_E0_NS1_11comp_targetILNS1_3genE2ELNS1_11target_archE906ELNS1_3gpuE6ELNS1_3repE0EEENS1_52radix_sort_onesweep_histogram_config_static_selectorELNS0_4arch9wavefront6targetE1EEEvSI_, .Lfunc_end330-_ZN7rocprim17ROCPRIM_400000_NS6detail17trampoline_kernelINS0_14default_configENS1_35radix_sort_onesweep_config_selectorIiNS0_10empty_typeEEEZNS1_34radix_sort_onesweep_global_offsetsIS3_Lb1EN6thrust23THRUST_200600_302600_NS6detail15normal_iteratorINS9_10device_ptrIiEEEEPS5_jNS0_19identity_decomposerEEE10hipError_tT1_T2_PT3_SK_jT4_jjP12ihipStream_tbEUlT_E0_NS1_11comp_targetILNS1_3genE2ELNS1_11target_archE906ELNS1_3gpuE6ELNS1_3repE0EEENS1_52radix_sort_onesweep_histogram_config_static_selectorELNS0_4arch9wavefront6targetE1EEEvSI_
                                        ; -- End function
	.set _ZN7rocprim17ROCPRIM_400000_NS6detail17trampoline_kernelINS0_14default_configENS1_35radix_sort_onesweep_config_selectorIiNS0_10empty_typeEEEZNS1_34radix_sort_onesweep_global_offsetsIS3_Lb1EN6thrust23THRUST_200600_302600_NS6detail15normal_iteratorINS9_10device_ptrIiEEEEPS5_jNS0_19identity_decomposerEEE10hipError_tT1_T2_PT3_SK_jT4_jjP12ihipStream_tbEUlT_E0_NS1_11comp_targetILNS1_3genE2ELNS1_11target_archE906ELNS1_3gpuE6ELNS1_3repE0EEENS1_52radix_sort_onesweep_histogram_config_static_selectorELNS0_4arch9wavefront6targetE1EEEvSI_.num_vgpr, 0
	.set _ZN7rocprim17ROCPRIM_400000_NS6detail17trampoline_kernelINS0_14default_configENS1_35radix_sort_onesweep_config_selectorIiNS0_10empty_typeEEEZNS1_34radix_sort_onesweep_global_offsetsIS3_Lb1EN6thrust23THRUST_200600_302600_NS6detail15normal_iteratorINS9_10device_ptrIiEEEEPS5_jNS0_19identity_decomposerEEE10hipError_tT1_T2_PT3_SK_jT4_jjP12ihipStream_tbEUlT_E0_NS1_11comp_targetILNS1_3genE2ELNS1_11target_archE906ELNS1_3gpuE6ELNS1_3repE0EEENS1_52radix_sort_onesweep_histogram_config_static_selectorELNS0_4arch9wavefront6targetE1EEEvSI_.num_agpr, 0
	.set _ZN7rocprim17ROCPRIM_400000_NS6detail17trampoline_kernelINS0_14default_configENS1_35radix_sort_onesweep_config_selectorIiNS0_10empty_typeEEEZNS1_34radix_sort_onesweep_global_offsetsIS3_Lb1EN6thrust23THRUST_200600_302600_NS6detail15normal_iteratorINS9_10device_ptrIiEEEEPS5_jNS0_19identity_decomposerEEE10hipError_tT1_T2_PT3_SK_jT4_jjP12ihipStream_tbEUlT_E0_NS1_11comp_targetILNS1_3genE2ELNS1_11target_archE906ELNS1_3gpuE6ELNS1_3repE0EEENS1_52radix_sort_onesweep_histogram_config_static_selectorELNS0_4arch9wavefront6targetE1EEEvSI_.numbered_sgpr, 0
	.set _ZN7rocprim17ROCPRIM_400000_NS6detail17trampoline_kernelINS0_14default_configENS1_35radix_sort_onesweep_config_selectorIiNS0_10empty_typeEEEZNS1_34radix_sort_onesweep_global_offsetsIS3_Lb1EN6thrust23THRUST_200600_302600_NS6detail15normal_iteratorINS9_10device_ptrIiEEEEPS5_jNS0_19identity_decomposerEEE10hipError_tT1_T2_PT3_SK_jT4_jjP12ihipStream_tbEUlT_E0_NS1_11comp_targetILNS1_3genE2ELNS1_11target_archE906ELNS1_3gpuE6ELNS1_3repE0EEENS1_52radix_sort_onesweep_histogram_config_static_selectorELNS0_4arch9wavefront6targetE1EEEvSI_.num_named_barrier, 0
	.set _ZN7rocprim17ROCPRIM_400000_NS6detail17trampoline_kernelINS0_14default_configENS1_35radix_sort_onesweep_config_selectorIiNS0_10empty_typeEEEZNS1_34radix_sort_onesweep_global_offsetsIS3_Lb1EN6thrust23THRUST_200600_302600_NS6detail15normal_iteratorINS9_10device_ptrIiEEEEPS5_jNS0_19identity_decomposerEEE10hipError_tT1_T2_PT3_SK_jT4_jjP12ihipStream_tbEUlT_E0_NS1_11comp_targetILNS1_3genE2ELNS1_11target_archE906ELNS1_3gpuE6ELNS1_3repE0EEENS1_52radix_sort_onesweep_histogram_config_static_selectorELNS0_4arch9wavefront6targetE1EEEvSI_.private_seg_size, 0
	.set _ZN7rocprim17ROCPRIM_400000_NS6detail17trampoline_kernelINS0_14default_configENS1_35radix_sort_onesweep_config_selectorIiNS0_10empty_typeEEEZNS1_34radix_sort_onesweep_global_offsetsIS3_Lb1EN6thrust23THRUST_200600_302600_NS6detail15normal_iteratorINS9_10device_ptrIiEEEEPS5_jNS0_19identity_decomposerEEE10hipError_tT1_T2_PT3_SK_jT4_jjP12ihipStream_tbEUlT_E0_NS1_11comp_targetILNS1_3genE2ELNS1_11target_archE906ELNS1_3gpuE6ELNS1_3repE0EEENS1_52radix_sort_onesweep_histogram_config_static_selectorELNS0_4arch9wavefront6targetE1EEEvSI_.uses_vcc, 0
	.set _ZN7rocprim17ROCPRIM_400000_NS6detail17trampoline_kernelINS0_14default_configENS1_35radix_sort_onesweep_config_selectorIiNS0_10empty_typeEEEZNS1_34radix_sort_onesweep_global_offsetsIS3_Lb1EN6thrust23THRUST_200600_302600_NS6detail15normal_iteratorINS9_10device_ptrIiEEEEPS5_jNS0_19identity_decomposerEEE10hipError_tT1_T2_PT3_SK_jT4_jjP12ihipStream_tbEUlT_E0_NS1_11comp_targetILNS1_3genE2ELNS1_11target_archE906ELNS1_3gpuE6ELNS1_3repE0EEENS1_52radix_sort_onesweep_histogram_config_static_selectorELNS0_4arch9wavefront6targetE1EEEvSI_.uses_flat_scratch, 0
	.set _ZN7rocprim17ROCPRIM_400000_NS6detail17trampoline_kernelINS0_14default_configENS1_35radix_sort_onesweep_config_selectorIiNS0_10empty_typeEEEZNS1_34radix_sort_onesweep_global_offsetsIS3_Lb1EN6thrust23THRUST_200600_302600_NS6detail15normal_iteratorINS9_10device_ptrIiEEEEPS5_jNS0_19identity_decomposerEEE10hipError_tT1_T2_PT3_SK_jT4_jjP12ihipStream_tbEUlT_E0_NS1_11comp_targetILNS1_3genE2ELNS1_11target_archE906ELNS1_3gpuE6ELNS1_3repE0EEENS1_52radix_sort_onesweep_histogram_config_static_selectorELNS0_4arch9wavefront6targetE1EEEvSI_.has_dyn_sized_stack, 0
	.set _ZN7rocprim17ROCPRIM_400000_NS6detail17trampoline_kernelINS0_14default_configENS1_35radix_sort_onesweep_config_selectorIiNS0_10empty_typeEEEZNS1_34radix_sort_onesweep_global_offsetsIS3_Lb1EN6thrust23THRUST_200600_302600_NS6detail15normal_iteratorINS9_10device_ptrIiEEEEPS5_jNS0_19identity_decomposerEEE10hipError_tT1_T2_PT3_SK_jT4_jjP12ihipStream_tbEUlT_E0_NS1_11comp_targetILNS1_3genE2ELNS1_11target_archE906ELNS1_3gpuE6ELNS1_3repE0EEENS1_52radix_sort_onesweep_histogram_config_static_selectorELNS0_4arch9wavefront6targetE1EEEvSI_.has_recursion, 0
	.set _ZN7rocprim17ROCPRIM_400000_NS6detail17trampoline_kernelINS0_14default_configENS1_35radix_sort_onesweep_config_selectorIiNS0_10empty_typeEEEZNS1_34radix_sort_onesweep_global_offsetsIS3_Lb1EN6thrust23THRUST_200600_302600_NS6detail15normal_iteratorINS9_10device_ptrIiEEEEPS5_jNS0_19identity_decomposerEEE10hipError_tT1_T2_PT3_SK_jT4_jjP12ihipStream_tbEUlT_E0_NS1_11comp_targetILNS1_3genE2ELNS1_11target_archE906ELNS1_3gpuE6ELNS1_3repE0EEENS1_52radix_sort_onesweep_histogram_config_static_selectorELNS0_4arch9wavefront6targetE1EEEvSI_.has_indirect_call, 0
	.section	.AMDGPU.csdata,"",@progbits
; Kernel info:
; codeLenInByte = 0
; TotalNumSgprs: 6
; NumVgprs: 0
; NumAgprs: 0
; TotalNumVgprs: 0
; ScratchSize: 0
; MemoryBound: 0
; FloatMode: 240
; IeeeMode: 1
; LDSByteSize: 0 bytes/workgroup (compile time only)
; SGPRBlocks: 0
; VGPRBlocks: 0
; NumSGPRsForWavesPerEU: 6
; NumVGPRsForWavesPerEU: 1
; AccumOffset: 4
; Occupancy: 8
; WaveLimiterHint : 0
; COMPUTE_PGM_RSRC2:SCRATCH_EN: 0
; COMPUTE_PGM_RSRC2:USER_SGPR: 2
; COMPUTE_PGM_RSRC2:TRAP_HANDLER: 0
; COMPUTE_PGM_RSRC2:TGID_X_EN: 1
; COMPUTE_PGM_RSRC2:TGID_Y_EN: 0
; COMPUTE_PGM_RSRC2:TGID_Z_EN: 0
; COMPUTE_PGM_RSRC2:TIDIG_COMP_CNT: 0
; COMPUTE_PGM_RSRC3_GFX90A:ACCUM_OFFSET: 0
; COMPUTE_PGM_RSRC3_GFX90A:TG_SPLIT: 0
	.section	.text._ZN7rocprim17ROCPRIM_400000_NS6detail17trampoline_kernelINS0_14default_configENS1_35radix_sort_onesweep_config_selectorIiNS0_10empty_typeEEEZNS1_34radix_sort_onesweep_global_offsetsIS3_Lb1EN6thrust23THRUST_200600_302600_NS6detail15normal_iteratorINS9_10device_ptrIiEEEEPS5_jNS0_19identity_decomposerEEE10hipError_tT1_T2_PT3_SK_jT4_jjP12ihipStream_tbEUlT_E0_NS1_11comp_targetILNS1_3genE4ELNS1_11target_archE910ELNS1_3gpuE8ELNS1_3repE0EEENS1_52radix_sort_onesweep_histogram_config_static_selectorELNS0_4arch9wavefront6targetE1EEEvSI_,"axG",@progbits,_ZN7rocprim17ROCPRIM_400000_NS6detail17trampoline_kernelINS0_14default_configENS1_35radix_sort_onesweep_config_selectorIiNS0_10empty_typeEEEZNS1_34radix_sort_onesweep_global_offsetsIS3_Lb1EN6thrust23THRUST_200600_302600_NS6detail15normal_iteratorINS9_10device_ptrIiEEEEPS5_jNS0_19identity_decomposerEEE10hipError_tT1_T2_PT3_SK_jT4_jjP12ihipStream_tbEUlT_E0_NS1_11comp_targetILNS1_3genE4ELNS1_11target_archE910ELNS1_3gpuE8ELNS1_3repE0EEENS1_52radix_sort_onesweep_histogram_config_static_selectorELNS0_4arch9wavefront6targetE1EEEvSI_,comdat
	.protected	_ZN7rocprim17ROCPRIM_400000_NS6detail17trampoline_kernelINS0_14default_configENS1_35radix_sort_onesweep_config_selectorIiNS0_10empty_typeEEEZNS1_34radix_sort_onesweep_global_offsetsIS3_Lb1EN6thrust23THRUST_200600_302600_NS6detail15normal_iteratorINS9_10device_ptrIiEEEEPS5_jNS0_19identity_decomposerEEE10hipError_tT1_T2_PT3_SK_jT4_jjP12ihipStream_tbEUlT_E0_NS1_11comp_targetILNS1_3genE4ELNS1_11target_archE910ELNS1_3gpuE8ELNS1_3repE0EEENS1_52radix_sort_onesweep_histogram_config_static_selectorELNS0_4arch9wavefront6targetE1EEEvSI_ ; -- Begin function _ZN7rocprim17ROCPRIM_400000_NS6detail17trampoline_kernelINS0_14default_configENS1_35radix_sort_onesweep_config_selectorIiNS0_10empty_typeEEEZNS1_34radix_sort_onesweep_global_offsetsIS3_Lb1EN6thrust23THRUST_200600_302600_NS6detail15normal_iteratorINS9_10device_ptrIiEEEEPS5_jNS0_19identity_decomposerEEE10hipError_tT1_T2_PT3_SK_jT4_jjP12ihipStream_tbEUlT_E0_NS1_11comp_targetILNS1_3genE4ELNS1_11target_archE910ELNS1_3gpuE8ELNS1_3repE0EEENS1_52radix_sort_onesweep_histogram_config_static_selectorELNS0_4arch9wavefront6targetE1EEEvSI_
	.globl	_ZN7rocprim17ROCPRIM_400000_NS6detail17trampoline_kernelINS0_14default_configENS1_35radix_sort_onesweep_config_selectorIiNS0_10empty_typeEEEZNS1_34radix_sort_onesweep_global_offsetsIS3_Lb1EN6thrust23THRUST_200600_302600_NS6detail15normal_iteratorINS9_10device_ptrIiEEEEPS5_jNS0_19identity_decomposerEEE10hipError_tT1_T2_PT3_SK_jT4_jjP12ihipStream_tbEUlT_E0_NS1_11comp_targetILNS1_3genE4ELNS1_11target_archE910ELNS1_3gpuE8ELNS1_3repE0EEENS1_52radix_sort_onesweep_histogram_config_static_selectorELNS0_4arch9wavefront6targetE1EEEvSI_
	.p2align	8
	.type	_ZN7rocprim17ROCPRIM_400000_NS6detail17trampoline_kernelINS0_14default_configENS1_35radix_sort_onesweep_config_selectorIiNS0_10empty_typeEEEZNS1_34radix_sort_onesweep_global_offsetsIS3_Lb1EN6thrust23THRUST_200600_302600_NS6detail15normal_iteratorINS9_10device_ptrIiEEEEPS5_jNS0_19identity_decomposerEEE10hipError_tT1_T2_PT3_SK_jT4_jjP12ihipStream_tbEUlT_E0_NS1_11comp_targetILNS1_3genE4ELNS1_11target_archE910ELNS1_3gpuE8ELNS1_3repE0EEENS1_52radix_sort_onesweep_histogram_config_static_selectorELNS0_4arch9wavefront6targetE1EEEvSI_,@function
_ZN7rocprim17ROCPRIM_400000_NS6detail17trampoline_kernelINS0_14default_configENS1_35radix_sort_onesweep_config_selectorIiNS0_10empty_typeEEEZNS1_34radix_sort_onesweep_global_offsetsIS3_Lb1EN6thrust23THRUST_200600_302600_NS6detail15normal_iteratorINS9_10device_ptrIiEEEEPS5_jNS0_19identity_decomposerEEE10hipError_tT1_T2_PT3_SK_jT4_jjP12ihipStream_tbEUlT_E0_NS1_11comp_targetILNS1_3genE4ELNS1_11target_archE910ELNS1_3gpuE8ELNS1_3repE0EEENS1_52radix_sort_onesweep_histogram_config_static_selectorELNS0_4arch9wavefront6targetE1EEEvSI_: ; @_ZN7rocprim17ROCPRIM_400000_NS6detail17trampoline_kernelINS0_14default_configENS1_35radix_sort_onesweep_config_selectorIiNS0_10empty_typeEEEZNS1_34radix_sort_onesweep_global_offsetsIS3_Lb1EN6thrust23THRUST_200600_302600_NS6detail15normal_iteratorINS9_10device_ptrIiEEEEPS5_jNS0_19identity_decomposerEEE10hipError_tT1_T2_PT3_SK_jT4_jjP12ihipStream_tbEUlT_E0_NS1_11comp_targetILNS1_3genE4ELNS1_11target_archE910ELNS1_3gpuE8ELNS1_3repE0EEENS1_52radix_sort_onesweep_histogram_config_static_selectorELNS0_4arch9wavefront6targetE1EEEvSI_
; %bb.0:
	.section	.rodata,"a",@progbits
	.p2align	6, 0x0
	.amdhsa_kernel _ZN7rocprim17ROCPRIM_400000_NS6detail17trampoline_kernelINS0_14default_configENS1_35radix_sort_onesweep_config_selectorIiNS0_10empty_typeEEEZNS1_34radix_sort_onesweep_global_offsetsIS3_Lb1EN6thrust23THRUST_200600_302600_NS6detail15normal_iteratorINS9_10device_ptrIiEEEEPS5_jNS0_19identity_decomposerEEE10hipError_tT1_T2_PT3_SK_jT4_jjP12ihipStream_tbEUlT_E0_NS1_11comp_targetILNS1_3genE4ELNS1_11target_archE910ELNS1_3gpuE8ELNS1_3repE0EEENS1_52radix_sort_onesweep_histogram_config_static_selectorELNS0_4arch9wavefront6targetE1EEEvSI_
		.amdhsa_group_segment_fixed_size 0
		.amdhsa_private_segment_fixed_size 0
		.amdhsa_kernarg_size 8
		.amdhsa_user_sgpr_count 2
		.amdhsa_user_sgpr_dispatch_ptr 0
		.amdhsa_user_sgpr_queue_ptr 0
		.amdhsa_user_sgpr_kernarg_segment_ptr 1
		.amdhsa_user_sgpr_dispatch_id 0
		.amdhsa_user_sgpr_kernarg_preload_length 0
		.amdhsa_user_sgpr_kernarg_preload_offset 0
		.amdhsa_user_sgpr_private_segment_size 0
		.amdhsa_uses_dynamic_stack 0
		.amdhsa_enable_private_segment 0
		.amdhsa_system_sgpr_workgroup_id_x 1
		.amdhsa_system_sgpr_workgroup_id_y 0
		.amdhsa_system_sgpr_workgroup_id_z 0
		.amdhsa_system_sgpr_workgroup_info 0
		.amdhsa_system_vgpr_workitem_id 0
		.amdhsa_next_free_vgpr 1
		.amdhsa_next_free_sgpr 0
		.amdhsa_accum_offset 4
		.amdhsa_reserve_vcc 0
		.amdhsa_float_round_mode_32 0
		.amdhsa_float_round_mode_16_64 0
		.amdhsa_float_denorm_mode_32 3
		.amdhsa_float_denorm_mode_16_64 3
		.amdhsa_dx10_clamp 1
		.amdhsa_ieee_mode 1
		.amdhsa_fp16_overflow 0
		.amdhsa_tg_split 0
		.amdhsa_exception_fp_ieee_invalid_op 0
		.amdhsa_exception_fp_denorm_src 0
		.amdhsa_exception_fp_ieee_div_zero 0
		.amdhsa_exception_fp_ieee_overflow 0
		.amdhsa_exception_fp_ieee_underflow 0
		.amdhsa_exception_fp_ieee_inexact 0
		.amdhsa_exception_int_div_zero 0
	.end_amdhsa_kernel
	.section	.text._ZN7rocprim17ROCPRIM_400000_NS6detail17trampoline_kernelINS0_14default_configENS1_35radix_sort_onesweep_config_selectorIiNS0_10empty_typeEEEZNS1_34radix_sort_onesweep_global_offsetsIS3_Lb1EN6thrust23THRUST_200600_302600_NS6detail15normal_iteratorINS9_10device_ptrIiEEEEPS5_jNS0_19identity_decomposerEEE10hipError_tT1_T2_PT3_SK_jT4_jjP12ihipStream_tbEUlT_E0_NS1_11comp_targetILNS1_3genE4ELNS1_11target_archE910ELNS1_3gpuE8ELNS1_3repE0EEENS1_52radix_sort_onesweep_histogram_config_static_selectorELNS0_4arch9wavefront6targetE1EEEvSI_,"axG",@progbits,_ZN7rocprim17ROCPRIM_400000_NS6detail17trampoline_kernelINS0_14default_configENS1_35radix_sort_onesweep_config_selectorIiNS0_10empty_typeEEEZNS1_34radix_sort_onesweep_global_offsetsIS3_Lb1EN6thrust23THRUST_200600_302600_NS6detail15normal_iteratorINS9_10device_ptrIiEEEEPS5_jNS0_19identity_decomposerEEE10hipError_tT1_T2_PT3_SK_jT4_jjP12ihipStream_tbEUlT_E0_NS1_11comp_targetILNS1_3genE4ELNS1_11target_archE910ELNS1_3gpuE8ELNS1_3repE0EEENS1_52radix_sort_onesweep_histogram_config_static_selectorELNS0_4arch9wavefront6targetE1EEEvSI_,comdat
.Lfunc_end331:
	.size	_ZN7rocprim17ROCPRIM_400000_NS6detail17trampoline_kernelINS0_14default_configENS1_35radix_sort_onesweep_config_selectorIiNS0_10empty_typeEEEZNS1_34radix_sort_onesweep_global_offsetsIS3_Lb1EN6thrust23THRUST_200600_302600_NS6detail15normal_iteratorINS9_10device_ptrIiEEEEPS5_jNS0_19identity_decomposerEEE10hipError_tT1_T2_PT3_SK_jT4_jjP12ihipStream_tbEUlT_E0_NS1_11comp_targetILNS1_3genE4ELNS1_11target_archE910ELNS1_3gpuE8ELNS1_3repE0EEENS1_52radix_sort_onesweep_histogram_config_static_selectorELNS0_4arch9wavefront6targetE1EEEvSI_, .Lfunc_end331-_ZN7rocprim17ROCPRIM_400000_NS6detail17trampoline_kernelINS0_14default_configENS1_35radix_sort_onesweep_config_selectorIiNS0_10empty_typeEEEZNS1_34radix_sort_onesweep_global_offsetsIS3_Lb1EN6thrust23THRUST_200600_302600_NS6detail15normal_iteratorINS9_10device_ptrIiEEEEPS5_jNS0_19identity_decomposerEEE10hipError_tT1_T2_PT3_SK_jT4_jjP12ihipStream_tbEUlT_E0_NS1_11comp_targetILNS1_3genE4ELNS1_11target_archE910ELNS1_3gpuE8ELNS1_3repE0EEENS1_52radix_sort_onesweep_histogram_config_static_selectorELNS0_4arch9wavefront6targetE1EEEvSI_
                                        ; -- End function
	.set _ZN7rocprim17ROCPRIM_400000_NS6detail17trampoline_kernelINS0_14default_configENS1_35radix_sort_onesweep_config_selectorIiNS0_10empty_typeEEEZNS1_34radix_sort_onesweep_global_offsetsIS3_Lb1EN6thrust23THRUST_200600_302600_NS6detail15normal_iteratorINS9_10device_ptrIiEEEEPS5_jNS0_19identity_decomposerEEE10hipError_tT1_T2_PT3_SK_jT4_jjP12ihipStream_tbEUlT_E0_NS1_11comp_targetILNS1_3genE4ELNS1_11target_archE910ELNS1_3gpuE8ELNS1_3repE0EEENS1_52radix_sort_onesweep_histogram_config_static_selectorELNS0_4arch9wavefront6targetE1EEEvSI_.num_vgpr, 0
	.set _ZN7rocprim17ROCPRIM_400000_NS6detail17trampoline_kernelINS0_14default_configENS1_35radix_sort_onesweep_config_selectorIiNS0_10empty_typeEEEZNS1_34radix_sort_onesweep_global_offsetsIS3_Lb1EN6thrust23THRUST_200600_302600_NS6detail15normal_iteratorINS9_10device_ptrIiEEEEPS5_jNS0_19identity_decomposerEEE10hipError_tT1_T2_PT3_SK_jT4_jjP12ihipStream_tbEUlT_E0_NS1_11comp_targetILNS1_3genE4ELNS1_11target_archE910ELNS1_3gpuE8ELNS1_3repE0EEENS1_52radix_sort_onesweep_histogram_config_static_selectorELNS0_4arch9wavefront6targetE1EEEvSI_.num_agpr, 0
	.set _ZN7rocprim17ROCPRIM_400000_NS6detail17trampoline_kernelINS0_14default_configENS1_35radix_sort_onesweep_config_selectorIiNS0_10empty_typeEEEZNS1_34radix_sort_onesweep_global_offsetsIS3_Lb1EN6thrust23THRUST_200600_302600_NS6detail15normal_iteratorINS9_10device_ptrIiEEEEPS5_jNS0_19identity_decomposerEEE10hipError_tT1_T2_PT3_SK_jT4_jjP12ihipStream_tbEUlT_E0_NS1_11comp_targetILNS1_3genE4ELNS1_11target_archE910ELNS1_3gpuE8ELNS1_3repE0EEENS1_52radix_sort_onesweep_histogram_config_static_selectorELNS0_4arch9wavefront6targetE1EEEvSI_.numbered_sgpr, 0
	.set _ZN7rocprim17ROCPRIM_400000_NS6detail17trampoline_kernelINS0_14default_configENS1_35radix_sort_onesweep_config_selectorIiNS0_10empty_typeEEEZNS1_34radix_sort_onesweep_global_offsetsIS3_Lb1EN6thrust23THRUST_200600_302600_NS6detail15normal_iteratorINS9_10device_ptrIiEEEEPS5_jNS0_19identity_decomposerEEE10hipError_tT1_T2_PT3_SK_jT4_jjP12ihipStream_tbEUlT_E0_NS1_11comp_targetILNS1_3genE4ELNS1_11target_archE910ELNS1_3gpuE8ELNS1_3repE0EEENS1_52radix_sort_onesweep_histogram_config_static_selectorELNS0_4arch9wavefront6targetE1EEEvSI_.num_named_barrier, 0
	.set _ZN7rocprim17ROCPRIM_400000_NS6detail17trampoline_kernelINS0_14default_configENS1_35radix_sort_onesweep_config_selectorIiNS0_10empty_typeEEEZNS1_34radix_sort_onesweep_global_offsetsIS3_Lb1EN6thrust23THRUST_200600_302600_NS6detail15normal_iteratorINS9_10device_ptrIiEEEEPS5_jNS0_19identity_decomposerEEE10hipError_tT1_T2_PT3_SK_jT4_jjP12ihipStream_tbEUlT_E0_NS1_11comp_targetILNS1_3genE4ELNS1_11target_archE910ELNS1_3gpuE8ELNS1_3repE0EEENS1_52radix_sort_onesweep_histogram_config_static_selectorELNS0_4arch9wavefront6targetE1EEEvSI_.private_seg_size, 0
	.set _ZN7rocprim17ROCPRIM_400000_NS6detail17trampoline_kernelINS0_14default_configENS1_35radix_sort_onesweep_config_selectorIiNS0_10empty_typeEEEZNS1_34radix_sort_onesweep_global_offsetsIS3_Lb1EN6thrust23THRUST_200600_302600_NS6detail15normal_iteratorINS9_10device_ptrIiEEEEPS5_jNS0_19identity_decomposerEEE10hipError_tT1_T2_PT3_SK_jT4_jjP12ihipStream_tbEUlT_E0_NS1_11comp_targetILNS1_3genE4ELNS1_11target_archE910ELNS1_3gpuE8ELNS1_3repE0EEENS1_52radix_sort_onesweep_histogram_config_static_selectorELNS0_4arch9wavefront6targetE1EEEvSI_.uses_vcc, 0
	.set _ZN7rocprim17ROCPRIM_400000_NS6detail17trampoline_kernelINS0_14default_configENS1_35radix_sort_onesweep_config_selectorIiNS0_10empty_typeEEEZNS1_34radix_sort_onesweep_global_offsetsIS3_Lb1EN6thrust23THRUST_200600_302600_NS6detail15normal_iteratorINS9_10device_ptrIiEEEEPS5_jNS0_19identity_decomposerEEE10hipError_tT1_T2_PT3_SK_jT4_jjP12ihipStream_tbEUlT_E0_NS1_11comp_targetILNS1_3genE4ELNS1_11target_archE910ELNS1_3gpuE8ELNS1_3repE0EEENS1_52radix_sort_onesweep_histogram_config_static_selectorELNS0_4arch9wavefront6targetE1EEEvSI_.uses_flat_scratch, 0
	.set _ZN7rocprim17ROCPRIM_400000_NS6detail17trampoline_kernelINS0_14default_configENS1_35radix_sort_onesweep_config_selectorIiNS0_10empty_typeEEEZNS1_34radix_sort_onesweep_global_offsetsIS3_Lb1EN6thrust23THRUST_200600_302600_NS6detail15normal_iteratorINS9_10device_ptrIiEEEEPS5_jNS0_19identity_decomposerEEE10hipError_tT1_T2_PT3_SK_jT4_jjP12ihipStream_tbEUlT_E0_NS1_11comp_targetILNS1_3genE4ELNS1_11target_archE910ELNS1_3gpuE8ELNS1_3repE0EEENS1_52radix_sort_onesweep_histogram_config_static_selectorELNS0_4arch9wavefront6targetE1EEEvSI_.has_dyn_sized_stack, 0
	.set _ZN7rocprim17ROCPRIM_400000_NS6detail17trampoline_kernelINS0_14default_configENS1_35radix_sort_onesweep_config_selectorIiNS0_10empty_typeEEEZNS1_34radix_sort_onesweep_global_offsetsIS3_Lb1EN6thrust23THRUST_200600_302600_NS6detail15normal_iteratorINS9_10device_ptrIiEEEEPS5_jNS0_19identity_decomposerEEE10hipError_tT1_T2_PT3_SK_jT4_jjP12ihipStream_tbEUlT_E0_NS1_11comp_targetILNS1_3genE4ELNS1_11target_archE910ELNS1_3gpuE8ELNS1_3repE0EEENS1_52radix_sort_onesweep_histogram_config_static_selectorELNS0_4arch9wavefront6targetE1EEEvSI_.has_recursion, 0
	.set _ZN7rocprim17ROCPRIM_400000_NS6detail17trampoline_kernelINS0_14default_configENS1_35radix_sort_onesweep_config_selectorIiNS0_10empty_typeEEEZNS1_34radix_sort_onesweep_global_offsetsIS3_Lb1EN6thrust23THRUST_200600_302600_NS6detail15normal_iteratorINS9_10device_ptrIiEEEEPS5_jNS0_19identity_decomposerEEE10hipError_tT1_T2_PT3_SK_jT4_jjP12ihipStream_tbEUlT_E0_NS1_11comp_targetILNS1_3genE4ELNS1_11target_archE910ELNS1_3gpuE8ELNS1_3repE0EEENS1_52radix_sort_onesweep_histogram_config_static_selectorELNS0_4arch9wavefront6targetE1EEEvSI_.has_indirect_call, 0
	.section	.AMDGPU.csdata,"",@progbits
; Kernel info:
; codeLenInByte = 0
; TotalNumSgprs: 6
; NumVgprs: 0
; NumAgprs: 0
; TotalNumVgprs: 0
; ScratchSize: 0
; MemoryBound: 0
; FloatMode: 240
; IeeeMode: 1
; LDSByteSize: 0 bytes/workgroup (compile time only)
; SGPRBlocks: 0
; VGPRBlocks: 0
; NumSGPRsForWavesPerEU: 6
; NumVGPRsForWavesPerEU: 1
; AccumOffset: 4
; Occupancy: 8
; WaveLimiterHint : 0
; COMPUTE_PGM_RSRC2:SCRATCH_EN: 0
; COMPUTE_PGM_RSRC2:USER_SGPR: 2
; COMPUTE_PGM_RSRC2:TRAP_HANDLER: 0
; COMPUTE_PGM_RSRC2:TGID_X_EN: 1
; COMPUTE_PGM_RSRC2:TGID_Y_EN: 0
; COMPUTE_PGM_RSRC2:TGID_Z_EN: 0
; COMPUTE_PGM_RSRC2:TIDIG_COMP_CNT: 0
; COMPUTE_PGM_RSRC3_GFX90A:ACCUM_OFFSET: 0
; COMPUTE_PGM_RSRC3_GFX90A:TG_SPLIT: 0
	.section	.text._ZN7rocprim17ROCPRIM_400000_NS6detail17trampoline_kernelINS0_14default_configENS1_35radix_sort_onesweep_config_selectorIiNS0_10empty_typeEEEZNS1_34radix_sort_onesweep_global_offsetsIS3_Lb1EN6thrust23THRUST_200600_302600_NS6detail15normal_iteratorINS9_10device_ptrIiEEEEPS5_jNS0_19identity_decomposerEEE10hipError_tT1_T2_PT3_SK_jT4_jjP12ihipStream_tbEUlT_E0_NS1_11comp_targetILNS1_3genE3ELNS1_11target_archE908ELNS1_3gpuE7ELNS1_3repE0EEENS1_52radix_sort_onesweep_histogram_config_static_selectorELNS0_4arch9wavefront6targetE1EEEvSI_,"axG",@progbits,_ZN7rocprim17ROCPRIM_400000_NS6detail17trampoline_kernelINS0_14default_configENS1_35radix_sort_onesweep_config_selectorIiNS0_10empty_typeEEEZNS1_34radix_sort_onesweep_global_offsetsIS3_Lb1EN6thrust23THRUST_200600_302600_NS6detail15normal_iteratorINS9_10device_ptrIiEEEEPS5_jNS0_19identity_decomposerEEE10hipError_tT1_T2_PT3_SK_jT4_jjP12ihipStream_tbEUlT_E0_NS1_11comp_targetILNS1_3genE3ELNS1_11target_archE908ELNS1_3gpuE7ELNS1_3repE0EEENS1_52radix_sort_onesweep_histogram_config_static_selectorELNS0_4arch9wavefront6targetE1EEEvSI_,comdat
	.protected	_ZN7rocprim17ROCPRIM_400000_NS6detail17trampoline_kernelINS0_14default_configENS1_35radix_sort_onesweep_config_selectorIiNS0_10empty_typeEEEZNS1_34radix_sort_onesweep_global_offsetsIS3_Lb1EN6thrust23THRUST_200600_302600_NS6detail15normal_iteratorINS9_10device_ptrIiEEEEPS5_jNS0_19identity_decomposerEEE10hipError_tT1_T2_PT3_SK_jT4_jjP12ihipStream_tbEUlT_E0_NS1_11comp_targetILNS1_3genE3ELNS1_11target_archE908ELNS1_3gpuE7ELNS1_3repE0EEENS1_52radix_sort_onesweep_histogram_config_static_selectorELNS0_4arch9wavefront6targetE1EEEvSI_ ; -- Begin function _ZN7rocprim17ROCPRIM_400000_NS6detail17trampoline_kernelINS0_14default_configENS1_35radix_sort_onesweep_config_selectorIiNS0_10empty_typeEEEZNS1_34radix_sort_onesweep_global_offsetsIS3_Lb1EN6thrust23THRUST_200600_302600_NS6detail15normal_iteratorINS9_10device_ptrIiEEEEPS5_jNS0_19identity_decomposerEEE10hipError_tT1_T2_PT3_SK_jT4_jjP12ihipStream_tbEUlT_E0_NS1_11comp_targetILNS1_3genE3ELNS1_11target_archE908ELNS1_3gpuE7ELNS1_3repE0EEENS1_52radix_sort_onesweep_histogram_config_static_selectorELNS0_4arch9wavefront6targetE1EEEvSI_
	.globl	_ZN7rocprim17ROCPRIM_400000_NS6detail17trampoline_kernelINS0_14default_configENS1_35radix_sort_onesweep_config_selectorIiNS0_10empty_typeEEEZNS1_34radix_sort_onesweep_global_offsetsIS3_Lb1EN6thrust23THRUST_200600_302600_NS6detail15normal_iteratorINS9_10device_ptrIiEEEEPS5_jNS0_19identity_decomposerEEE10hipError_tT1_T2_PT3_SK_jT4_jjP12ihipStream_tbEUlT_E0_NS1_11comp_targetILNS1_3genE3ELNS1_11target_archE908ELNS1_3gpuE7ELNS1_3repE0EEENS1_52radix_sort_onesweep_histogram_config_static_selectorELNS0_4arch9wavefront6targetE1EEEvSI_
	.p2align	8
	.type	_ZN7rocprim17ROCPRIM_400000_NS6detail17trampoline_kernelINS0_14default_configENS1_35radix_sort_onesweep_config_selectorIiNS0_10empty_typeEEEZNS1_34radix_sort_onesweep_global_offsetsIS3_Lb1EN6thrust23THRUST_200600_302600_NS6detail15normal_iteratorINS9_10device_ptrIiEEEEPS5_jNS0_19identity_decomposerEEE10hipError_tT1_T2_PT3_SK_jT4_jjP12ihipStream_tbEUlT_E0_NS1_11comp_targetILNS1_3genE3ELNS1_11target_archE908ELNS1_3gpuE7ELNS1_3repE0EEENS1_52radix_sort_onesweep_histogram_config_static_selectorELNS0_4arch9wavefront6targetE1EEEvSI_,@function
_ZN7rocprim17ROCPRIM_400000_NS6detail17trampoline_kernelINS0_14default_configENS1_35radix_sort_onesweep_config_selectorIiNS0_10empty_typeEEEZNS1_34radix_sort_onesweep_global_offsetsIS3_Lb1EN6thrust23THRUST_200600_302600_NS6detail15normal_iteratorINS9_10device_ptrIiEEEEPS5_jNS0_19identity_decomposerEEE10hipError_tT1_T2_PT3_SK_jT4_jjP12ihipStream_tbEUlT_E0_NS1_11comp_targetILNS1_3genE3ELNS1_11target_archE908ELNS1_3gpuE7ELNS1_3repE0EEENS1_52radix_sort_onesweep_histogram_config_static_selectorELNS0_4arch9wavefront6targetE1EEEvSI_: ; @_ZN7rocprim17ROCPRIM_400000_NS6detail17trampoline_kernelINS0_14default_configENS1_35radix_sort_onesweep_config_selectorIiNS0_10empty_typeEEEZNS1_34radix_sort_onesweep_global_offsetsIS3_Lb1EN6thrust23THRUST_200600_302600_NS6detail15normal_iteratorINS9_10device_ptrIiEEEEPS5_jNS0_19identity_decomposerEEE10hipError_tT1_T2_PT3_SK_jT4_jjP12ihipStream_tbEUlT_E0_NS1_11comp_targetILNS1_3genE3ELNS1_11target_archE908ELNS1_3gpuE7ELNS1_3repE0EEENS1_52radix_sort_onesweep_histogram_config_static_selectorELNS0_4arch9wavefront6targetE1EEEvSI_
; %bb.0:
	.section	.rodata,"a",@progbits
	.p2align	6, 0x0
	.amdhsa_kernel _ZN7rocprim17ROCPRIM_400000_NS6detail17trampoline_kernelINS0_14default_configENS1_35radix_sort_onesweep_config_selectorIiNS0_10empty_typeEEEZNS1_34radix_sort_onesweep_global_offsetsIS3_Lb1EN6thrust23THRUST_200600_302600_NS6detail15normal_iteratorINS9_10device_ptrIiEEEEPS5_jNS0_19identity_decomposerEEE10hipError_tT1_T2_PT3_SK_jT4_jjP12ihipStream_tbEUlT_E0_NS1_11comp_targetILNS1_3genE3ELNS1_11target_archE908ELNS1_3gpuE7ELNS1_3repE0EEENS1_52radix_sort_onesweep_histogram_config_static_selectorELNS0_4arch9wavefront6targetE1EEEvSI_
		.amdhsa_group_segment_fixed_size 0
		.amdhsa_private_segment_fixed_size 0
		.amdhsa_kernarg_size 8
		.amdhsa_user_sgpr_count 2
		.amdhsa_user_sgpr_dispatch_ptr 0
		.amdhsa_user_sgpr_queue_ptr 0
		.amdhsa_user_sgpr_kernarg_segment_ptr 1
		.amdhsa_user_sgpr_dispatch_id 0
		.amdhsa_user_sgpr_kernarg_preload_length 0
		.amdhsa_user_sgpr_kernarg_preload_offset 0
		.amdhsa_user_sgpr_private_segment_size 0
		.amdhsa_uses_dynamic_stack 0
		.amdhsa_enable_private_segment 0
		.amdhsa_system_sgpr_workgroup_id_x 1
		.amdhsa_system_sgpr_workgroup_id_y 0
		.amdhsa_system_sgpr_workgroup_id_z 0
		.amdhsa_system_sgpr_workgroup_info 0
		.amdhsa_system_vgpr_workitem_id 0
		.amdhsa_next_free_vgpr 1
		.amdhsa_next_free_sgpr 0
		.amdhsa_accum_offset 4
		.amdhsa_reserve_vcc 0
		.amdhsa_float_round_mode_32 0
		.amdhsa_float_round_mode_16_64 0
		.amdhsa_float_denorm_mode_32 3
		.amdhsa_float_denorm_mode_16_64 3
		.amdhsa_dx10_clamp 1
		.amdhsa_ieee_mode 1
		.amdhsa_fp16_overflow 0
		.amdhsa_tg_split 0
		.amdhsa_exception_fp_ieee_invalid_op 0
		.amdhsa_exception_fp_denorm_src 0
		.amdhsa_exception_fp_ieee_div_zero 0
		.amdhsa_exception_fp_ieee_overflow 0
		.amdhsa_exception_fp_ieee_underflow 0
		.amdhsa_exception_fp_ieee_inexact 0
		.amdhsa_exception_int_div_zero 0
	.end_amdhsa_kernel
	.section	.text._ZN7rocprim17ROCPRIM_400000_NS6detail17trampoline_kernelINS0_14default_configENS1_35radix_sort_onesweep_config_selectorIiNS0_10empty_typeEEEZNS1_34radix_sort_onesweep_global_offsetsIS3_Lb1EN6thrust23THRUST_200600_302600_NS6detail15normal_iteratorINS9_10device_ptrIiEEEEPS5_jNS0_19identity_decomposerEEE10hipError_tT1_T2_PT3_SK_jT4_jjP12ihipStream_tbEUlT_E0_NS1_11comp_targetILNS1_3genE3ELNS1_11target_archE908ELNS1_3gpuE7ELNS1_3repE0EEENS1_52radix_sort_onesweep_histogram_config_static_selectorELNS0_4arch9wavefront6targetE1EEEvSI_,"axG",@progbits,_ZN7rocprim17ROCPRIM_400000_NS6detail17trampoline_kernelINS0_14default_configENS1_35radix_sort_onesweep_config_selectorIiNS0_10empty_typeEEEZNS1_34radix_sort_onesweep_global_offsetsIS3_Lb1EN6thrust23THRUST_200600_302600_NS6detail15normal_iteratorINS9_10device_ptrIiEEEEPS5_jNS0_19identity_decomposerEEE10hipError_tT1_T2_PT3_SK_jT4_jjP12ihipStream_tbEUlT_E0_NS1_11comp_targetILNS1_3genE3ELNS1_11target_archE908ELNS1_3gpuE7ELNS1_3repE0EEENS1_52radix_sort_onesweep_histogram_config_static_selectorELNS0_4arch9wavefront6targetE1EEEvSI_,comdat
.Lfunc_end332:
	.size	_ZN7rocprim17ROCPRIM_400000_NS6detail17trampoline_kernelINS0_14default_configENS1_35radix_sort_onesweep_config_selectorIiNS0_10empty_typeEEEZNS1_34radix_sort_onesweep_global_offsetsIS3_Lb1EN6thrust23THRUST_200600_302600_NS6detail15normal_iteratorINS9_10device_ptrIiEEEEPS5_jNS0_19identity_decomposerEEE10hipError_tT1_T2_PT3_SK_jT4_jjP12ihipStream_tbEUlT_E0_NS1_11comp_targetILNS1_3genE3ELNS1_11target_archE908ELNS1_3gpuE7ELNS1_3repE0EEENS1_52radix_sort_onesweep_histogram_config_static_selectorELNS0_4arch9wavefront6targetE1EEEvSI_, .Lfunc_end332-_ZN7rocprim17ROCPRIM_400000_NS6detail17trampoline_kernelINS0_14default_configENS1_35radix_sort_onesweep_config_selectorIiNS0_10empty_typeEEEZNS1_34radix_sort_onesweep_global_offsetsIS3_Lb1EN6thrust23THRUST_200600_302600_NS6detail15normal_iteratorINS9_10device_ptrIiEEEEPS5_jNS0_19identity_decomposerEEE10hipError_tT1_T2_PT3_SK_jT4_jjP12ihipStream_tbEUlT_E0_NS1_11comp_targetILNS1_3genE3ELNS1_11target_archE908ELNS1_3gpuE7ELNS1_3repE0EEENS1_52radix_sort_onesweep_histogram_config_static_selectorELNS0_4arch9wavefront6targetE1EEEvSI_
                                        ; -- End function
	.set _ZN7rocprim17ROCPRIM_400000_NS6detail17trampoline_kernelINS0_14default_configENS1_35radix_sort_onesweep_config_selectorIiNS0_10empty_typeEEEZNS1_34radix_sort_onesweep_global_offsetsIS3_Lb1EN6thrust23THRUST_200600_302600_NS6detail15normal_iteratorINS9_10device_ptrIiEEEEPS5_jNS0_19identity_decomposerEEE10hipError_tT1_T2_PT3_SK_jT4_jjP12ihipStream_tbEUlT_E0_NS1_11comp_targetILNS1_3genE3ELNS1_11target_archE908ELNS1_3gpuE7ELNS1_3repE0EEENS1_52radix_sort_onesweep_histogram_config_static_selectorELNS0_4arch9wavefront6targetE1EEEvSI_.num_vgpr, 0
	.set _ZN7rocprim17ROCPRIM_400000_NS6detail17trampoline_kernelINS0_14default_configENS1_35radix_sort_onesweep_config_selectorIiNS0_10empty_typeEEEZNS1_34radix_sort_onesweep_global_offsetsIS3_Lb1EN6thrust23THRUST_200600_302600_NS6detail15normal_iteratorINS9_10device_ptrIiEEEEPS5_jNS0_19identity_decomposerEEE10hipError_tT1_T2_PT3_SK_jT4_jjP12ihipStream_tbEUlT_E0_NS1_11comp_targetILNS1_3genE3ELNS1_11target_archE908ELNS1_3gpuE7ELNS1_3repE0EEENS1_52radix_sort_onesweep_histogram_config_static_selectorELNS0_4arch9wavefront6targetE1EEEvSI_.num_agpr, 0
	.set _ZN7rocprim17ROCPRIM_400000_NS6detail17trampoline_kernelINS0_14default_configENS1_35radix_sort_onesweep_config_selectorIiNS0_10empty_typeEEEZNS1_34radix_sort_onesweep_global_offsetsIS3_Lb1EN6thrust23THRUST_200600_302600_NS6detail15normal_iteratorINS9_10device_ptrIiEEEEPS5_jNS0_19identity_decomposerEEE10hipError_tT1_T2_PT3_SK_jT4_jjP12ihipStream_tbEUlT_E0_NS1_11comp_targetILNS1_3genE3ELNS1_11target_archE908ELNS1_3gpuE7ELNS1_3repE0EEENS1_52radix_sort_onesweep_histogram_config_static_selectorELNS0_4arch9wavefront6targetE1EEEvSI_.numbered_sgpr, 0
	.set _ZN7rocprim17ROCPRIM_400000_NS6detail17trampoline_kernelINS0_14default_configENS1_35radix_sort_onesweep_config_selectorIiNS0_10empty_typeEEEZNS1_34radix_sort_onesweep_global_offsetsIS3_Lb1EN6thrust23THRUST_200600_302600_NS6detail15normal_iteratorINS9_10device_ptrIiEEEEPS5_jNS0_19identity_decomposerEEE10hipError_tT1_T2_PT3_SK_jT4_jjP12ihipStream_tbEUlT_E0_NS1_11comp_targetILNS1_3genE3ELNS1_11target_archE908ELNS1_3gpuE7ELNS1_3repE0EEENS1_52radix_sort_onesweep_histogram_config_static_selectorELNS0_4arch9wavefront6targetE1EEEvSI_.num_named_barrier, 0
	.set _ZN7rocprim17ROCPRIM_400000_NS6detail17trampoline_kernelINS0_14default_configENS1_35radix_sort_onesweep_config_selectorIiNS0_10empty_typeEEEZNS1_34radix_sort_onesweep_global_offsetsIS3_Lb1EN6thrust23THRUST_200600_302600_NS6detail15normal_iteratorINS9_10device_ptrIiEEEEPS5_jNS0_19identity_decomposerEEE10hipError_tT1_T2_PT3_SK_jT4_jjP12ihipStream_tbEUlT_E0_NS1_11comp_targetILNS1_3genE3ELNS1_11target_archE908ELNS1_3gpuE7ELNS1_3repE0EEENS1_52radix_sort_onesweep_histogram_config_static_selectorELNS0_4arch9wavefront6targetE1EEEvSI_.private_seg_size, 0
	.set _ZN7rocprim17ROCPRIM_400000_NS6detail17trampoline_kernelINS0_14default_configENS1_35radix_sort_onesweep_config_selectorIiNS0_10empty_typeEEEZNS1_34radix_sort_onesweep_global_offsetsIS3_Lb1EN6thrust23THRUST_200600_302600_NS6detail15normal_iteratorINS9_10device_ptrIiEEEEPS5_jNS0_19identity_decomposerEEE10hipError_tT1_T2_PT3_SK_jT4_jjP12ihipStream_tbEUlT_E0_NS1_11comp_targetILNS1_3genE3ELNS1_11target_archE908ELNS1_3gpuE7ELNS1_3repE0EEENS1_52radix_sort_onesweep_histogram_config_static_selectorELNS0_4arch9wavefront6targetE1EEEvSI_.uses_vcc, 0
	.set _ZN7rocprim17ROCPRIM_400000_NS6detail17trampoline_kernelINS0_14default_configENS1_35radix_sort_onesweep_config_selectorIiNS0_10empty_typeEEEZNS1_34radix_sort_onesweep_global_offsetsIS3_Lb1EN6thrust23THRUST_200600_302600_NS6detail15normal_iteratorINS9_10device_ptrIiEEEEPS5_jNS0_19identity_decomposerEEE10hipError_tT1_T2_PT3_SK_jT4_jjP12ihipStream_tbEUlT_E0_NS1_11comp_targetILNS1_3genE3ELNS1_11target_archE908ELNS1_3gpuE7ELNS1_3repE0EEENS1_52radix_sort_onesweep_histogram_config_static_selectorELNS0_4arch9wavefront6targetE1EEEvSI_.uses_flat_scratch, 0
	.set _ZN7rocprim17ROCPRIM_400000_NS6detail17trampoline_kernelINS0_14default_configENS1_35radix_sort_onesweep_config_selectorIiNS0_10empty_typeEEEZNS1_34radix_sort_onesweep_global_offsetsIS3_Lb1EN6thrust23THRUST_200600_302600_NS6detail15normal_iteratorINS9_10device_ptrIiEEEEPS5_jNS0_19identity_decomposerEEE10hipError_tT1_T2_PT3_SK_jT4_jjP12ihipStream_tbEUlT_E0_NS1_11comp_targetILNS1_3genE3ELNS1_11target_archE908ELNS1_3gpuE7ELNS1_3repE0EEENS1_52radix_sort_onesweep_histogram_config_static_selectorELNS0_4arch9wavefront6targetE1EEEvSI_.has_dyn_sized_stack, 0
	.set _ZN7rocprim17ROCPRIM_400000_NS6detail17trampoline_kernelINS0_14default_configENS1_35radix_sort_onesweep_config_selectorIiNS0_10empty_typeEEEZNS1_34radix_sort_onesweep_global_offsetsIS3_Lb1EN6thrust23THRUST_200600_302600_NS6detail15normal_iteratorINS9_10device_ptrIiEEEEPS5_jNS0_19identity_decomposerEEE10hipError_tT1_T2_PT3_SK_jT4_jjP12ihipStream_tbEUlT_E0_NS1_11comp_targetILNS1_3genE3ELNS1_11target_archE908ELNS1_3gpuE7ELNS1_3repE0EEENS1_52radix_sort_onesweep_histogram_config_static_selectorELNS0_4arch9wavefront6targetE1EEEvSI_.has_recursion, 0
	.set _ZN7rocprim17ROCPRIM_400000_NS6detail17trampoline_kernelINS0_14default_configENS1_35radix_sort_onesweep_config_selectorIiNS0_10empty_typeEEEZNS1_34radix_sort_onesweep_global_offsetsIS3_Lb1EN6thrust23THRUST_200600_302600_NS6detail15normal_iteratorINS9_10device_ptrIiEEEEPS5_jNS0_19identity_decomposerEEE10hipError_tT1_T2_PT3_SK_jT4_jjP12ihipStream_tbEUlT_E0_NS1_11comp_targetILNS1_3genE3ELNS1_11target_archE908ELNS1_3gpuE7ELNS1_3repE0EEENS1_52radix_sort_onesweep_histogram_config_static_selectorELNS0_4arch9wavefront6targetE1EEEvSI_.has_indirect_call, 0
	.section	.AMDGPU.csdata,"",@progbits
; Kernel info:
; codeLenInByte = 0
; TotalNumSgprs: 6
; NumVgprs: 0
; NumAgprs: 0
; TotalNumVgprs: 0
; ScratchSize: 0
; MemoryBound: 0
; FloatMode: 240
; IeeeMode: 1
; LDSByteSize: 0 bytes/workgroup (compile time only)
; SGPRBlocks: 0
; VGPRBlocks: 0
; NumSGPRsForWavesPerEU: 6
; NumVGPRsForWavesPerEU: 1
; AccumOffset: 4
; Occupancy: 8
; WaveLimiterHint : 0
; COMPUTE_PGM_RSRC2:SCRATCH_EN: 0
; COMPUTE_PGM_RSRC2:USER_SGPR: 2
; COMPUTE_PGM_RSRC2:TRAP_HANDLER: 0
; COMPUTE_PGM_RSRC2:TGID_X_EN: 1
; COMPUTE_PGM_RSRC2:TGID_Y_EN: 0
; COMPUTE_PGM_RSRC2:TGID_Z_EN: 0
; COMPUTE_PGM_RSRC2:TIDIG_COMP_CNT: 0
; COMPUTE_PGM_RSRC3_GFX90A:ACCUM_OFFSET: 0
; COMPUTE_PGM_RSRC3_GFX90A:TG_SPLIT: 0
	.section	.text._ZN7rocprim17ROCPRIM_400000_NS6detail17trampoline_kernelINS0_14default_configENS1_35radix_sort_onesweep_config_selectorIiNS0_10empty_typeEEEZNS1_34radix_sort_onesweep_global_offsetsIS3_Lb1EN6thrust23THRUST_200600_302600_NS6detail15normal_iteratorINS9_10device_ptrIiEEEEPS5_jNS0_19identity_decomposerEEE10hipError_tT1_T2_PT3_SK_jT4_jjP12ihipStream_tbEUlT_E0_NS1_11comp_targetILNS1_3genE10ELNS1_11target_archE1201ELNS1_3gpuE5ELNS1_3repE0EEENS1_52radix_sort_onesweep_histogram_config_static_selectorELNS0_4arch9wavefront6targetE1EEEvSI_,"axG",@progbits,_ZN7rocprim17ROCPRIM_400000_NS6detail17trampoline_kernelINS0_14default_configENS1_35radix_sort_onesweep_config_selectorIiNS0_10empty_typeEEEZNS1_34radix_sort_onesweep_global_offsetsIS3_Lb1EN6thrust23THRUST_200600_302600_NS6detail15normal_iteratorINS9_10device_ptrIiEEEEPS5_jNS0_19identity_decomposerEEE10hipError_tT1_T2_PT3_SK_jT4_jjP12ihipStream_tbEUlT_E0_NS1_11comp_targetILNS1_3genE10ELNS1_11target_archE1201ELNS1_3gpuE5ELNS1_3repE0EEENS1_52radix_sort_onesweep_histogram_config_static_selectorELNS0_4arch9wavefront6targetE1EEEvSI_,comdat
	.protected	_ZN7rocprim17ROCPRIM_400000_NS6detail17trampoline_kernelINS0_14default_configENS1_35radix_sort_onesweep_config_selectorIiNS0_10empty_typeEEEZNS1_34radix_sort_onesweep_global_offsetsIS3_Lb1EN6thrust23THRUST_200600_302600_NS6detail15normal_iteratorINS9_10device_ptrIiEEEEPS5_jNS0_19identity_decomposerEEE10hipError_tT1_T2_PT3_SK_jT4_jjP12ihipStream_tbEUlT_E0_NS1_11comp_targetILNS1_3genE10ELNS1_11target_archE1201ELNS1_3gpuE5ELNS1_3repE0EEENS1_52radix_sort_onesweep_histogram_config_static_selectorELNS0_4arch9wavefront6targetE1EEEvSI_ ; -- Begin function _ZN7rocprim17ROCPRIM_400000_NS6detail17trampoline_kernelINS0_14default_configENS1_35radix_sort_onesweep_config_selectorIiNS0_10empty_typeEEEZNS1_34radix_sort_onesweep_global_offsetsIS3_Lb1EN6thrust23THRUST_200600_302600_NS6detail15normal_iteratorINS9_10device_ptrIiEEEEPS5_jNS0_19identity_decomposerEEE10hipError_tT1_T2_PT3_SK_jT4_jjP12ihipStream_tbEUlT_E0_NS1_11comp_targetILNS1_3genE10ELNS1_11target_archE1201ELNS1_3gpuE5ELNS1_3repE0EEENS1_52radix_sort_onesweep_histogram_config_static_selectorELNS0_4arch9wavefront6targetE1EEEvSI_
	.globl	_ZN7rocprim17ROCPRIM_400000_NS6detail17trampoline_kernelINS0_14default_configENS1_35radix_sort_onesweep_config_selectorIiNS0_10empty_typeEEEZNS1_34radix_sort_onesweep_global_offsetsIS3_Lb1EN6thrust23THRUST_200600_302600_NS6detail15normal_iteratorINS9_10device_ptrIiEEEEPS5_jNS0_19identity_decomposerEEE10hipError_tT1_T2_PT3_SK_jT4_jjP12ihipStream_tbEUlT_E0_NS1_11comp_targetILNS1_3genE10ELNS1_11target_archE1201ELNS1_3gpuE5ELNS1_3repE0EEENS1_52radix_sort_onesweep_histogram_config_static_selectorELNS0_4arch9wavefront6targetE1EEEvSI_
	.p2align	8
	.type	_ZN7rocprim17ROCPRIM_400000_NS6detail17trampoline_kernelINS0_14default_configENS1_35radix_sort_onesweep_config_selectorIiNS0_10empty_typeEEEZNS1_34radix_sort_onesweep_global_offsetsIS3_Lb1EN6thrust23THRUST_200600_302600_NS6detail15normal_iteratorINS9_10device_ptrIiEEEEPS5_jNS0_19identity_decomposerEEE10hipError_tT1_T2_PT3_SK_jT4_jjP12ihipStream_tbEUlT_E0_NS1_11comp_targetILNS1_3genE10ELNS1_11target_archE1201ELNS1_3gpuE5ELNS1_3repE0EEENS1_52radix_sort_onesweep_histogram_config_static_selectorELNS0_4arch9wavefront6targetE1EEEvSI_,@function
_ZN7rocprim17ROCPRIM_400000_NS6detail17trampoline_kernelINS0_14default_configENS1_35radix_sort_onesweep_config_selectorIiNS0_10empty_typeEEEZNS1_34radix_sort_onesweep_global_offsetsIS3_Lb1EN6thrust23THRUST_200600_302600_NS6detail15normal_iteratorINS9_10device_ptrIiEEEEPS5_jNS0_19identity_decomposerEEE10hipError_tT1_T2_PT3_SK_jT4_jjP12ihipStream_tbEUlT_E0_NS1_11comp_targetILNS1_3genE10ELNS1_11target_archE1201ELNS1_3gpuE5ELNS1_3repE0EEENS1_52radix_sort_onesweep_histogram_config_static_selectorELNS0_4arch9wavefront6targetE1EEEvSI_: ; @_ZN7rocprim17ROCPRIM_400000_NS6detail17trampoline_kernelINS0_14default_configENS1_35radix_sort_onesweep_config_selectorIiNS0_10empty_typeEEEZNS1_34radix_sort_onesweep_global_offsetsIS3_Lb1EN6thrust23THRUST_200600_302600_NS6detail15normal_iteratorINS9_10device_ptrIiEEEEPS5_jNS0_19identity_decomposerEEE10hipError_tT1_T2_PT3_SK_jT4_jjP12ihipStream_tbEUlT_E0_NS1_11comp_targetILNS1_3genE10ELNS1_11target_archE1201ELNS1_3gpuE5ELNS1_3repE0EEENS1_52radix_sort_onesweep_histogram_config_static_selectorELNS0_4arch9wavefront6targetE1EEEvSI_
; %bb.0:
	.section	.rodata,"a",@progbits
	.p2align	6, 0x0
	.amdhsa_kernel _ZN7rocprim17ROCPRIM_400000_NS6detail17trampoline_kernelINS0_14default_configENS1_35radix_sort_onesweep_config_selectorIiNS0_10empty_typeEEEZNS1_34radix_sort_onesweep_global_offsetsIS3_Lb1EN6thrust23THRUST_200600_302600_NS6detail15normal_iteratorINS9_10device_ptrIiEEEEPS5_jNS0_19identity_decomposerEEE10hipError_tT1_T2_PT3_SK_jT4_jjP12ihipStream_tbEUlT_E0_NS1_11comp_targetILNS1_3genE10ELNS1_11target_archE1201ELNS1_3gpuE5ELNS1_3repE0EEENS1_52radix_sort_onesweep_histogram_config_static_selectorELNS0_4arch9wavefront6targetE1EEEvSI_
		.amdhsa_group_segment_fixed_size 0
		.amdhsa_private_segment_fixed_size 0
		.amdhsa_kernarg_size 8
		.amdhsa_user_sgpr_count 2
		.amdhsa_user_sgpr_dispatch_ptr 0
		.amdhsa_user_sgpr_queue_ptr 0
		.amdhsa_user_sgpr_kernarg_segment_ptr 1
		.amdhsa_user_sgpr_dispatch_id 0
		.amdhsa_user_sgpr_kernarg_preload_length 0
		.amdhsa_user_sgpr_kernarg_preload_offset 0
		.amdhsa_user_sgpr_private_segment_size 0
		.amdhsa_uses_dynamic_stack 0
		.amdhsa_enable_private_segment 0
		.amdhsa_system_sgpr_workgroup_id_x 1
		.amdhsa_system_sgpr_workgroup_id_y 0
		.amdhsa_system_sgpr_workgroup_id_z 0
		.amdhsa_system_sgpr_workgroup_info 0
		.amdhsa_system_vgpr_workitem_id 0
		.amdhsa_next_free_vgpr 1
		.amdhsa_next_free_sgpr 0
		.amdhsa_accum_offset 4
		.amdhsa_reserve_vcc 0
		.amdhsa_float_round_mode_32 0
		.amdhsa_float_round_mode_16_64 0
		.amdhsa_float_denorm_mode_32 3
		.amdhsa_float_denorm_mode_16_64 3
		.amdhsa_dx10_clamp 1
		.amdhsa_ieee_mode 1
		.amdhsa_fp16_overflow 0
		.amdhsa_tg_split 0
		.amdhsa_exception_fp_ieee_invalid_op 0
		.amdhsa_exception_fp_denorm_src 0
		.amdhsa_exception_fp_ieee_div_zero 0
		.amdhsa_exception_fp_ieee_overflow 0
		.amdhsa_exception_fp_ieee_underflow 0
		.amdhsa_exception_fp_ieee_inexact 0
		.amdhsa_exception_int_div_zero 0
	.end_amdhsa_kernel
	.section	.text._ZN7rocprim17ROCPRIM_400000_NS6detail17trampoline_kernelINS0_14default_configENS1_35radix_sort_onesweep_config_selectorIiNS0_10empty_typeEEEZNS1_34radix_sort_onesweep_global_offsetsIS3_Lb1EN6thrust23THRUST_200600_302600_NS6detail15normal_iteratorINS9_10device_ptrIiEEEEPS5_jNS0_19identity_decomposerEEE10hipError_tT1_T2_PT3_SK_jT4_jjP12ihipStream_tbEUlT_E0_NS1_11comp_targetILNS1_3genE10ELNS1_11target_archE1201ELNS1_3gpuE5ELNS1_3repE0EEENS1_52radix_sort_onesweep_histogram_config_static_selectorELNS0_4arch9wavefront6targetE1EEEvSI_,"axG",@progbits,_ZN7rocprim17ROCPRIM_400000_NS6detail17trampoline_kernelINS0_14default_configENS1_35radix_sort_onesweep_config_selectorIiNS0_10empty_typeEEEZNS1_34radix_sort_onesweep_global_offsetsIS3_Lb1EN6thrust23THRUST_200600_302600_NS6detail15normal_iteratorINS9_10device_ptrIiEEEEPS5_jNS0_19identity_decomposerEEE10hipError_tT1_T2_PT3_SK_jT4_jjP12ihipStream_tbEUlT_E0_NS1_11comp_targetILNS1_3genE10ELNS1_11target_archE1201ELNS1_3gpuE5ELNS1_3repE0EEENS1_52radix_sort_onesweep_histogram_config_static_selectorELNS0_4arch9wavefront6targetE1EEEvSI_,comdat
.Lfunc_end333:
	.size	_ZN7rocprim17ROCPRIM_400000_NS6detail17trampoline_kernelINS0_14default_configENS1_35radix_sort_onesweep_config_selectorIiNS0_10empty_typeEEEZNS1_34radix_sort_onesweep_global_offsetsIS3_Lb1EN6thrust23THRUST_200600_302600_NS6detail15normal_iteratorINS9_10device_ptrIiEEEEPS5_jNS0_19identity_decomposerEEE10hipError_tT1_T2_PT3_SK_jT4_jjP12ihipStream_tbEUlT_E0_NS1_11comp_targetILNS1_3genE10ELNS1_11target_archE1201ELNS1_3gpuE5ELNS1_3repE0EEENS1_52radix_sort_onesweep_histogram_config_static_selectorELNS0_4arch9wavefront6targetE1EEEvSI_, .Lfunc_end333-_ZN7rocprim17ROCPRIM_400000_NS6detail17trampoline_kernelINS0_14default_configENS1_35radix_sort_onesweep_config_selectorIiNS0_10empty_typeEEEZNS1_34radix_sort_onesweep_global_offsetsIS3_Lb1EN6thrust23THRUST_200600_302600_NS6detail15normal_iteratorINS9_10device_ptrIiEEEEPS5_jNS0_19identity_decomposerEEE10hipError_tT1_T2_PT3_SK_jT4_jjP12ihipStream_tbEUlT_E0_NS1_11comp_targetILNS1_3genE10ELNS1_11target_archE1201ELNS1_3gpuE5ELNS1_3repE0EEENS1_52radix_sort_onesweep_histogram_config_static_selectorELNS0_4arch9wavefront6targetE1EEEvSI_
                                        ; -- End function
	.set _ZN7rocprim17ROCPRIM_400000_NS6detail17trampoline_kernelINS0_14default_configENS1_35radix_sort_onesweep_config_selectorIiNS0_10empty_typeEEEZNS1_34radix_sort_onesweep_global_offsetsIS3_Lb1EN6thrust23THRUST_200600_302600_NS6detail15normal_iteratorINS9_10device_ptrIiEEEEPS5_jNS0_19identity_decomposerEEE10hipError_tT1_T2_PT3_SK_jT4_jjP12ihipStream_tbEUlT_E0_NS1_11comp_targetILNS1_3genE10ELNS1_11target_archE1201ELNS1_3gpuE5ELNS1_3repE0EEENS1_52radix_sort_onesweep_histogram_config_static_selectorELNS0_4arch9wavefront6targetE1EEEvSI_.num_vgpr, 0
	.set _ZN7rocprim17ROCPRIM_400000_NS6detail17trampoline_kernelINS0_14default_configENS1_35radix_sort_onesweep_config_selectorIiNS0_10empty_typeEEEZNS1_34radix_sort_onesweep_global_offsetsIS3_Lb1EN6thrust23THRUST_200600_302600_NS6detail15normal_iteratorINS9_10device_ptrIiEEEEPS5_jNS0_19identity_decomposerEEE10hipError_tT1_T2_PT3_SK_jT4_jjP12ihipStream_tbEUlT_E0_NS1_11comp_targetILNS1_3genE10ELNS1_11target_archE1201ELNS1_3gpuE5ELNS1_3repE0EEENS1_52radix_sort_onesweep_histogram_config_static_selectorELNS0_4arch9wavefront6targetE1EEEvSI_.num_agpr, 0
	.set _ZN7rocprim17ROCPRIM_400000_NS6detail17trampoline_kernelINS0_14default_configENS1_35radix_sort_onesweep_config_selectorIiNS0_10empty_typeEEEZNS1_34radix_sort_onesweep_global_offsetsIS3_Lb1EN6thrust23THRUST_200600_302600_NS6detail15normal_iteratorINS9_10device_ptrIiEEEEPS5_jNS0_19identity_decomposerEEE10hipError_tT1_T2_PT3_SK_jT4_jjP12ihipStream_tbEUlT_E0_NS1_11comp_targetILNS1_3genE10ELNS1_11target_archE1201ELNS1_3gpuE5ELNS1_3repE0EEENS1_52radix_sort_onesweep_histogram_config_static_selectorELNS0_4arch9wavefront6targetE1EEEvSI_.numbered_sgpr, 0
	.set _ZN7rocprim17ROCPRIM_400000_NS6detail17trampoline_kernelINS0_14default_configENS1_35radix_sort_onesweep_config_selectorIiNS0_10empty_typeEEEZNS1_34radix_sort_onesweep_global_offsetsIS3_Lb1EN6thrust23THRUST_200600_302600_NS6detail15normal_iteratorINS9_10device_ptrIiEEEEPS5_jNS0_19identity_decomposerEEE10hipError_tT1_T2_PT3_SK_jT4_jjP12ihipStream_tbEUlT_E0_NS1_11comp_targetILNS1_3genE10ELNS1_11target_archE1201ELNS1_3gpuE5ELNS1_3repE0EEENS1_52radix_sort_onesweep_histogram_config_static_selectorELNS0_4arch9wavefront6targetE1EEEvSI_.num_named_barrier, 0
	.set _ZN7rocprim17ROCPRIM_400000_NS6detail17trampoline_kernelINS0_14default_configENS1_35radix_sort_onesweep_config_selectorIiNS0_10empty_typeEEEZNS1_34radix_sort_onesweep_global_offsetsIS3_Lb1EN6thrust23THRUST_200600_302600_NS6detail15normal_iteratorINS9_10device_ptrIiEEEEPS5_jNS0_19identity_decomposerEEE10hipError_tT1_T2_PT3_SK_jT4_jjP12ihipStream_tbEUlT_E0_NS1_11comp_targetILNS1_3genE10ELNS1_11target_archE1201ELNS1_3gpuE5ELNS1_3repE0EEENS1_52radix_sort_onesweep_histogram_config_static_selectorELNS0_4arch9wavefront6targetE1EEEvSI_.private_seg_size, 0
	.set _ZN7rocprim17ROCPRIM_400000_NS6detail17trampoline_kernelINS0_14default_configENS1_35radix_sort_onesweep_config_selectorIiNS0_10empty_typeEEEZNS1_34radix_sort_onesweep_global_offsetsIS3_Lb1EN6thrust23THRUST_200600_302600_NS6detail15normal_iteratorINS9_10device_ptrIiEEEEPS5_jNS0_19identity_decomposerEEE10hipError_tT1_T2_PT3_SK_jT4_jjP12ihipStream_tbEUlT_E0_NS1_11comp_targetILNS1_3genE10ELNS1_11target_archE1201ELNS1_3gpuE5ELNS1_3repE0EEENS1_52radix_sort_onesweep_histogram_config_static_selectorELNS0_4arch9wavefront6targetE1EEEvSI_.uses_vcc, 0
	.set _ZN7rocprim17ROCPRIM_400000_NS6detail17trampoline_kernelINS0_14default_configENS1_35radix_sort_onesweep_config_selectorIiNS0_10empty_typeEEEZNS1_34radix_sort_onesweep_global_offsetsIS3_Lb1EN6thrust23THRUST_200600_302600_NS6detail15normal_iteratorINS9_10device_ptrIiEEEEPS5_jNS0_19identity_decomposerEEE10hipError_tT1_T2_PT3_SK_jT4_jjP12ihipStream_tbEUlT_E0_NS1_11comp_targetILNS1_3genE10ELNS1_11target_archE1201ELNS1_3gpuE5ELNS1_3repE0EEENS1_52radix_sort_onesweep_histogram_config_static_selectorELNS0_4arch9wavefront6targetE1EEEvSI_.uses_flat_scratch, 0
	.set _ZN7rocprim17ROCPRIM_400000_NS6detail17trampoline_kernelINS0_14default_configENS1_35radix_sort_onesweep_config_selectorIiNS0_10empty_typeEEEZNS1_34radix_sort_onesweep_global_offsetsIS3_Lb1EN6thrust23THRUST_200600_302600_NS6detail15normal_iteratorINS9_10device_ptrIiEEEEPS5_jNS0_19identity_decomposerEEE10hipError_tT1_T2_PT3_SK_jT4_jjP12ihipStream_tbEUlT_E0_NS1_11comp_targetILNS1_3genE10ELNS1_11target_archE1201ELNS1_3gpuE5ELNS1_3repE0EEENS1_52radix_sort_onesweep_histogram_config_static_selectorELNS0_4arch9wavefront6targetE1EEEvSI_.has_dyn_sized_stack, 0
	.set _ZN7rocprim17ROCPRIM_400000_NS6detail17trampoline_kernelINS0_14default_configENS1_35radix_sort_onesweep_config_selectorIiNS0_10empty_typeEEEZNS1_34radix_sort_onesweep_global_offsetsIS3_Lb1EN6thrust23THRUST_200600_302600_NS6detail15normal_iteratorINS9_10device_ptrIiEEEEPS5_jNS0_19identity_decomposerEEE10hipError_tT1_T2_PT3_SK_jT4_jjP12ihipStream_tbEUlT_E0_NS1_11comp_targetILNS1_3genE10ELNS1_11target_archE1201ELNS1_3gpuE5ELNS1_3repE0EEENS1_52radix_sort_onesweep_histogram_config_static_selectorELNS0_4arch9wavefront6targetE1EEEvSI_.has_recursion, 0
	.set _ZN7rocprim17ROCPRIM_400000_NS6detail17trampoline_kernelINS0_14default_configENS1_35radix_sort_onesweep_config_selectorIiNS0_10empty_typeEEEZNS1_34radix_sort_onesweep_global_offsetsIS3_Lb1EN6thrust23THRUST_200600_302600_NS6detail15normal_iteratorINS9_10device_ptrIiEEEEPS5_jNS0_19identity_decomposerEEE10hipError_tT1_T2_PT3_SK_jT4_jjP12ihipStream_tbEUlT_E0_NS1_11comp_targetILNS1_3genE10ELNS1_11target_archE1201ELNS1_3gpuE5ELNS1_3repE0EEENS1_52radix_sort_onesweep_histogram_config_static_selectorELNS0_4arch9wavefront6targetE1EEEvSI_.has_indirect_call, 0
	.section	.AMDGPU.csdata,"",@progbits
; Kernel info:
; codeLenInByte = 0
; TotalNumSgprs: 6
; NumVgprs: 0
; NumAgprs: 0
; TotalNumVgprs: 0
; ScratchSize: 0
; MemoryBound: 0
; FloatMode: 240
; IeeeMode: 1
; LDSByteSize: 0 bytes/workgroup (compile time only)
; SGPRBlocks: 0
; VGPRBlocks: 0
; NumSGPRsForWavesPerEU: 6
; NumVGPRsForWavesPerEU: 1
; AccumOffset: 4
; Occupancy: 8
; WaveLimiterHint : 0
; COMPUTE_PGM_RSRC2:SCRATCH_EN: 0
; COMPUTE_PGM_RSRC2:USER_SGPR: 2
; COMPUTE_PGM_RSRC2:TRAP_HANDLER: 0
; COMPUTE_PGM_RSRC2:TGID_X_EN: 1
; COMPUTE_PGM_RSRC2:TGID_Y_EN: 0
; COMPUTE_PGM_RSRC2:TGID_Z_EN: 0
; COMPUTE_PGM_RSRC2:TIDIG_COMP_CNT: 0
; COMPUTE_PGM_RSRC3_GFX90A:ACCUM_OFFSET: 0
; COMPUTE_PGM_RSRC3_GFX90A:TG_SPLIT: 0
	.section	.text._ZN7rocprim17ROCPRIM_400000_NS6detail17trampoline_kernelINS0_14default_configENS1_35radix_sort_onesweep_config_selectorIiNS0_10empty_typeEEEZNS1_34radix_sort_onesweep_global_offsetsIS3_Lb1EN6thrust23THRUST_200600_302600_NS6detail15normal_iteratorINS9_10device_ptrIiEEEEPS5_jNS0_19identity_decomposerEEE10hipError_tT1_T2_PT3_SK_jT4_jjP12ihipStream_tbEUlT_E0_NS1_11comp_targetILNS1_3genE9ELNS1_11target_archE1100ELNS1_3gpuE3ELNS1_3repE0EEENS1_52radix_sort_onesweep_histogram_config_static_selectorELNS0_4arch9wavefront6targetE1EEEvSI_,"axG",@progbits,_ZN7rocprim17ROCPRIM_400000_NS6detail17trampoline_kernelINS0_14default_configENS1_35radix_sort_onesweep_config_selectorIiNS0_10empty_typeEEEZNS1_34radix_sort_onesweep_global_offsetsIS3_Lb1EN6thrust23THRUST_200600_302600_NS6detail15normal_iteratorINS9_10device_ptrIiEEEEPS5_jNS0_19identity_decomposerEEE10hipError_tT1_T2_PT3_SK_jT4_jjP12ihipStream_tbEUlT_E0_NS1_11comp_targetILNS1_3genE9ELNS1_11target_archE1100ELNS1_3gpuE3ELNS1_3repE0EEENS1_52radix_sort_onesweep_histogram_config_static_selectorELNS0_4arch9wavefront6targetE1EEEvSI_,comdat
	.protected	_ZN7rocprim17ROCPRIM_400000_NS6detail17trampoline_kernelINS0_14default_configENS1_35radix_sort_onesweep_config_selectorIiNS0_10empty_typeEEEZNS1_34radix_sort_onesweep_global_offsetsIS3_Lb1EN6thrust23THRUST_200600_302600_NS6detail15normal_iteratorINS9_10device_ptrIiEEEEPS5_jNS0_19identity_decomposerEEE10hipError_tT1_T2_PT3_SK_jT4_jjP12ihipStream_tbEUlT_E0_NS1_11comp_targetILNS1_3genE9ELNS1_11target_archE1100ELNS1_3gpuE3ELNS1_3repE0EEENS1_52radix_sort_onesweep_histogram_config_static_selectorELNS0_4arch9wavefront6targetE1EEEvSI_ ; -- Begin function _ZN7rocprim17ROCPRIM_400000_NS6detail17trampoline_kernelINS0_14default_configENS1_35radix_sort_onesweep_config_selectorIiNS0_10empty_typeEEEZNS1_34radix_sort_onesweep_global_offsetsIS3_Lb1EN6thrust23THRUST_200600_302600_NS6detail15normal_iteratorINS9_10device_ptrIiEEEEPS5_jNS0_19identity_decomposerEEE10hipError_tT1_T2_PT3_SK_jT4_jjP12ihipStream_tbEUlT_E0_NS1_11comp_targetILNS1_3genE9ELNS1_11target_archE1100ELNS1_3gpuE3ELNS1_3repE0EEENS1_52radix_sort_onesweep_histogram_config_static_selectorELNS0_4arch9wavefront6targetE1EEEvSI_
	.globl	_ZN7rocprim17ROCPRIM_400000_NS6detail17trampoline_kernelINS0_14default_configENS1_35radix_sort_onesweep_config_selectorIiNS0_10empty_typeEEEZNS1_34radix_sort_onesweep_global_offsetsIS3_Lb1EN6thrust23THRUST_200600_302600_NS6detail15normal_iteratorINS9_10device_ptrIiEEEEPS5_jNS0_19identity_decomposerEEE10hipError_tT1_T2_PT3_SK_jT4_jjP12ihipStream_tbEUlT_E0_NS1_11comp_targetILNS1_3genE9ELNS1_11target_archE1100ELNS1_3gpuE3ELNS1_3repE0EEENS1_52radix_sort_onesweep_histogram_config_static_selectorELNS0_4arch9wavefront6targetE1EEEvSI_
	.p2align	8
	.type	_ZN7rocprim17ROCPRIM_400000_NS6detail17trampoline_kernelINS0_14default_configENS1_35radix_sort_onesweep_config_selectorIiNS0_10empty_typeEEEZNS1_34radix_sort_onesweep_global_offsetsIS3_Lb1EN6thrust23THRUST_200600_302600_NS6detail15normal_iteratorINS9_10device_ptrIiEEEEPS5_jNS0_19identity_decomposerEEE10hipError_tT1_T2_PT3_SK_jT4_jjP12ihipStream_tbEUlT_E0_NS1_11comp_targetILNS1_3genE9ELNS1_11target_archE1100ELNS1_3gpuE3ELNS1_3repE0EEENS1_52radix_sort_onesweep_histogram_config_static_selectorELNS0_4arch9wavefront6targetE1EEEvSI_,@function
_ZN7rocprim17ROCPRIM_400000_NS6detail17trampoline_kernelINS0_14default_configENS1_35radix_sort_onesweep_config_selectorIiNS0_10empty_typeEEEZNS1_34radix_sort_onesweep_global_offsetsIS3_Lb1EN6thrust23THRUST_200600_302600_NS6detail15normal_iteratorINS9_10device_ptrIiEEEEPS5_jNS0_19identity_decomposerEEE10hipError_tT1_T2_PT3_SK_jT4_jjP12ihipStream_tbEUlT_E0_NS1_11comp_targetILNS1_3genE9ELNS1_11target_archE1100ELNS1_3gpuE3ELNS1_3repE0EEENS1_52radix_sort_onesweep_histogram_config_static_selectorELNS0_4arch9wavefront6targetE1EEEvSI_: ; @_ZN7rocprim17ROCPRIM_400000_NS6detail17trampoline_kernelINS0_14default_configENS1_35radix_sort_onesweep_config_selectorIiNS0_10empty_typeEEEZNS1_34radix_sort_onesweep_global_offsetsIS3_Lb1EN6thrust23THRUST_200600_302600_NS6detail15normal_iteratorINS9_10device_ptrIiEEEEPS5_jNS0_19identity_decomposerEEE10hipError_tT1_T2_PT3_SK_jT4_jjP12ihipStream_tbEUlT_E0_NS1_11comp_targetILNS1_3genE9ELNS1_11target_archE1100ELNS1_3gpuE3ELNS1_3repE0EEENS1_52radix_sort_onesweep_histogram_config_static_selectorELNS0_4arch9wavefront6targetE1EEEvSI_
; %bb.0:
	.section	.rodata,"a",@progbits
	.p2align	6, 0x0
	.amdhsa_kernel _ZN7rocprim17ROCPRIM_400000_NS6detail17trampoline_kernelINS0_14default_configENS1_35radix_sort_onesweep_config_selectorIiNS0_10empty_typeEEEZNS1_34radix_sort_onesweep_global_offsetsIS3_Lb1EN6thrust23THRUST_200600_302600_NS6detail15normal_iteratorINS9_10device_ptrIiEEEEPS5_jNS0_19identity_decomposerEEE10hipError_tT1_T2_PT3_SK_jT4_jjP12ihipStream_tbEUlT_E0_NS1_11comp_targetILNS1_3genE9ELNS1_11target_archE1100ELNS1_3gpuE3ELNS1_3repE0EEENS1_52radix_sort_onesweep_histogram_config_static_selectorELNS0_4arch9wavefront6targetE1EEEvSI_
		.amdhsa_group_segment_fixed_size 0
		.amdhsa_private_segment_fixed_size 0
		.amdhsa_kernarg_size 8
		.amdhsa_user_sgpr_count 2
		.amdhsa_user_sgpr_dispatch_ptr 0
		.amdhsa_user_sgpr_queue_ptr 0
		.amdhsa_user_sgpr_kernarg_segment_ptr 1
		.amdhsa_user_sgpr_dispatch_id 0
		.amdhsa_user_sgpr_kernarg_preload_length 0
		.amdhsa_user_sgpr_kernarg_preload_offset 0
		.amdhsa_user_sgpr_private_segment_size 0
		.amdhsa_uses_dynamic_stack 0
		.amdhsa_enable_private_segment 0
		.amdhsa_system_sgpr_workgroup_id_x 1
		.amdhsa_system_sgpr_workgroup_id_y 0
		.amdhsa_system_sgpr_workgroup_id_z 0
		.amdhsa_system_sgpr_workgroup_info 0
		.amdhsa_system_vgpr_workitem_id 0
		.amdhsa_next_free_vgpr 1
		.amdhsa_next_free_sgpr 0
		.amdhsa_accum_offset 4
		.amdhsa_reserve_vcc 0
		.amdhsa_float_round_mode_32 0
		.amdhsa_float_round_mode_16_64 0
		.amdhsa_float_denorm_mode_32 3
		.amdhsa_float_denorm_mode_16_64 3
		.amdhsa_dx10_clamp 1
		.amdhsa_ieee_mode 1
		.amdhsa_fp16_overflow 0
		.amdhsa_tg_split 0
		.amdhsa_exception_fp_ieee_invalid_op 0
		.amdhsa_exception_fp_denorm_src 0
		.amdhsa_exception_fp_ieee_div_zero 0
		.amdhsa_exception_fp_ieee_overflow 0
		.amdhsa_exception_fp_ieee_underflow 0
		.amdhsa_exception_fp_ieee_inexact 0
		.amdhsa_exception_int_div_zero 0
	.end_amdhsa_kernel
	.section	.text._ZN7rocprim17ROCPRIM_400000_NS6detail17trampoline_kernelINS0_14default_configENS1_35radix_sort_onesweep_config_selectorIiNS0_10empty_typeEEEZNS1_34radix_sort_onesweep_global_offsetsIS3_Lb1EN6thrust23THRUST_200600_302600_NS6detail15normal_iteratorINS9_10device_ptrIiEEEEPS5_jNS0_19identity_decomposerEEE10hipError_tT1_T2_PT3_SK_jT4_jjP12ihipStream_tbEUlT_E0_NS1_11comp_targetILNS1_3genE9ELNS1_11target_archE1100ELNS1_3gpuE3ELNS1_3repE0EEENS1_52radix_sort_onesweep_histogram_config_static_selectorELNS0_4arch9wavefront6targetE1EEEvSI_,"axG",@progbits,_ZN7rocprim17ROCPRIM_400000_NS6detail17trampoline_kernelINS0_14default_configENS1_35radix_sort_onesweep_config_selectorIiNS0_10empty_typeEEEZNS1_34radix_sort_onesweep_global_offsetsIS3_Lb1EN6thrust23THRUST_200600_302600_NS6detail15normal_iteratorINS9_10device_ptrIiEEEEPS5_jNS0_19identity_decomposerEEE10hipError_tT1_T2_PT3_SK_jT4_jjP12ihipStream_tbEUlT_E0_NS1_11comp_targetILNS1_3genE9ELNS1_11target_archE1100ELNS1_3gpuE3ELNS1_3repE0EEENS1_52radix_sort_onesweep_histogram_config_static_selectorELNS0_4arch9wavefront6targetE1EEEvSI_,comdat
.Lfunc_end334:
	.size	_ZN7rocprim17ROCPRIM_400000_NS6detail17trampoline_kernelINS0_14default_configENS1_35radix_sort_onesweep_config_selectorIiNS0_10empty_typeEEEZNS1_34radix_sort_onesweep_global_offsetsIS3_Lb1EN6thrust23THRUST_200600_302600_NS6detail15normal_iteratorINS9_10device_ptrIiEEEEPS5_jNS0_19identity_decomposerEEE10hipError_tT1_T2_PT3_SK_jT4_jjP12ihipStream_tbEUlT_E0_NS1_11comp_targetILNS1_3genE9ELNS1_11target_archE1100ELNS1_3gpuE3ELNS1_3repE0EEENS1_52radix_sort_onesweep_histogram_config_static_selectorELNS0_4arch9wavefront6targetE1EEEvSI_, .Lfunc_end334-_ZN7rocprim17ROCPRIM_400000_NS6detail17trampoline_kernelINS0_14default_configENS1_35radix_sort_onesweep_config_selectorIiNS0_10empty_typeEEEZNS1_34radix_sort_onesweep_global_offsetsIS3_Lb1EN6thrust23THRUST_200600_302600_NS6detail15normal_iteratorINS9_10device_ptrIiEEEEPS5_jNS0_19identity_decomposerEEE10hipError_tT1_T2_PT3_SK_jT4_jjP12ihipStream_tbEUlT_E0_NS1_11comp_targetILNS1_3genE9ELNS1_11target_archE1100ELNS1_3gpuE3ELNS1_3repE0EEENS1_52radix_sort_onesweep_histogram_config_static_selectorELNS0_4arch9wavefront6targetE1EEEvSI_
                                        ; -- End function
	.set _ZN7rocprim17ROCPRIM_400000_NS6detail17trampoline_kernelINS0_14default_configENS1_35radix_sort_onesweep_config_selectorIiNS0_10empty_typeEEEZNS1_34radix_sort_onesweep_global_offsetsIS3_Lb1EN6thrust23THRUST_200600_302600_NS6detail15normal_iteratorINS9_10device_ptrIiEEEEPS5_jNS0_19identity_decomposerEEE10hipError_tT1_T2_PT3_SK_jT4_jjP12ihipStream_tbEUlT_E0_NS1_11comp_targetILNS1_3genE9ELNS1_11target_archE1100ELNS1_3gpuE3ELNS1_3repE0EEENS1_52radix_sort_onesweep_histogram_config_static_selectorELNS0_4arch9wavefront6targetE1EEEvSI_.num_vgpr, 0
	.set _ZN7rocprim17ROCPRIM_400000_NS6detail17trampoline_kernelINS0_14default_configENS1_35radix_sort_onesweep_config_selectorIiNS0_10empty_typeEEEZNS1_34radix_sort_onesweep_global_offsetsIS3_Lb1EN6thrust23THRUST_200600_302600_NS6detail15normal_iteratorINS9_10device_ptrIiEEEEPS5_jNS0_19identity_decomposerEEE10hipError_tT1_T2_PT3_SK_jT4_jjP12ihipStream_tbEUlT_E0_NS1_11comp_targetILNS1_3genE9ELNS1_11target_archE1100ELNS1_3gpuE3ELNS1_3repE0EEENS1_52radix_sort_onesweep_histogram_config_static_selectorELNS0_4arch9wavefront6targetE1EEEvSI_.num_agpr, 0
	.set _ZN7rocprim17ROCPRIM_400000_NS6detail17trampoline_kernelINS0_14default_configENS1_35radix_sort_onesweep_config_selectorIiNS0_10empty_typeEEEZNS1_34radix_sort_onesweep_global_offsetsIS3_Lb1EN6thrust23THRUST_200600_302600_NS6detail15normal_iteratorINS9_10device_ptrIiEEEEPS5_jNS0_19identity_decomposerEEE10hipError_tT1_T2_PT3_SK_jT4_jjP12ihipStream_tbEUlT_E0_NS1_11comp_targetILNS1_3genE9ELNS1_11target_archE1100ELNS1_3gpuE3ELNS1_3repE0EEENS1_52radix_sort_onesweep_histogram_config_static_selectorELNS0_4arch9wavefront6targetE1EEEvSI_.numbered_sgpr, 0
	.set _ZN7rocprim17ROCPRIM_400000_NS6detail17trampoline_kernelINS0_14default_configENS1_35radix_sort_onesweep_config_selectorIiNS0_10empty_typeEEEZNS1_34radix_sort_onesweep_global_offsetsIS3_Lb1EN6thrust23THRUST_200600_302600_NS6detail15normal_iteratorINS9_10device_ptrIiEEEEPS5_jNS0_19identity_decomposerEEE10hipError_tT1_T2_PT3_SK_jT4_jjP12ihipStream_tbEUlT_E0_NS1_11comp_targetILNS1_3genE9ELNS1_11target_archE1100ELNS1_3gpuE3ELNS1_3repE0EEENS1_52radix_sort_onesweep_histogram_config_static_selectorELNS0_4arch9wavefront6targetE1EEEvSI_.num_named_barrier, 0
	.set _ZN7rocprim17ROCPRIM_400000_NS6detail17trampoline_kernelINS0_14default_configENS1_35radix_sort_onesweep_config_selectorIiNS0_10empty_typeEEEZNS1_34radix_sort_onesweep_global_offsetsIS3_Lb1EN6thrust23THRUST_200600_302600_NS6detail15normal_iteratorINS9_10device_ptrIiEEEEPS5_jNS0_19identity_decomposerEEE10hipError_tT1_T2_PT3_SK_jT4_jjP12ihipStream_tbEUlT_E0_NS1_11comp_targetILNS1_3genE9ELNS1_11target_archE1100ELNS1_3gpuE3ELNS1_3repE0EEENS1_52radix_sort_onesweep_histogram_config_static_selectorELNS0_4arch9wavefront6targetE1EEEvSI_.private_seg_size, 0
	.set _ZN7rocprim17ROCPRIM_400000_NS6detail17trampoline_kernelINS0_14default_configENS1_35radix_sort_onesweep_config_selectorIiNS0_10empty_typeEEEZNS1_34radix_sort_onesweep_global_offsetsIS3_Lb1EN6thrust23THRUST_200600_302600_NS6detail15normal_iteratorINS9_10device_ptrIiEEEEPS5_jNS0_19identity_decomposerEEE10hipError_tT1_T2_PT3_SK_jT4_jjP12ihipStream_tbEUlT_E0_NS1_11comp_targetILNS1_3genE9ELNS1_11target_archE1100ELNS1_3gpuE3ELNS1_3repE0EEENS1_52radix_sort_onesweep_histogram_config_static_selectorELNS0_4arch9wavefront6targetE1EEEvSI_.uses_vcc, 0
	.set _ZN7rocprim17ROCPRIM_400000_NS6detail17trampoline_kernelINS0_14default_configENS1_35radix_sort_onesweep_config_selectorIiNS0_10empty_typeEEEZNS1_34radix_sort_onesweep_global_offsetsIS3_Lb1EN6thrust23THRUST_200600_302600_NS6detail15normal_iteratorINS9_10device_ptrIiEEEEPS5_jNS0_19identity_decomposerEEE10hipError_tT1_T2_PT3_SK_jT4_jjP12ihipStream_tbEUlT_E0_NS1_11comp_targetILNS1_3genE9ELNS1_11target_archE1100ELNS1_3gpuE3ELNS1_3repE0EEENS1_52radix_sort_onesweep_histogram_config_static_selectorELNS0_4arch9wavefront6targetE1EEEvSI_.uses_flat_scratch, 0
	.set _ZN7rocprim17ROCPRIM_400000_NS6detail17trampoline_kernelINS0_14default_configENS1_35radix_sort_onesweep_config_selectorIiNS0_10empty_typeEEEZNS1_34radix_sort_onesweep_global_offsetsIS3_Lb1EN6thrust23THRUST_200600_302600_NS6detail15normal_iteratorINS9_10device_ptrIiEEEEPS5_jNS0_19identity_decomposerEEE10hipError_tT1_T2_PT3_SK_jT4_jjP12ihipStream_tbEUlT_E0_NS1_11comp_targetILNS1_3genE9ELNS1_11target_archE1100ELNS1_3gpuE3ELNS1_3repE0EEENS1_52radix_sort_onesweep_histogram_config_static_selectorELNS0_4arch9wavefront6targetE1EEEvSI_.has_dyn_sized_stack, 0
	.set _ZN7rocprim17ROCPRIM_400000_NS6detail17trampoline_kernelINS0_14default_configENS1_35radix_sort_onesweep_config_selectorIiNS0_10empty_typeEEEZNS1_34radix_sort_onesweep_global_offsetsIS3_Lb1EN6thrust23THRUST_200600_302600_NS6detail15normal_iteratorINS9_10device_ptrIiEEEEPS5_jNS0_19identity_decomposerEEE10hipError_tT1_T2_PT3_SK_jT4_jjP12ihipStream_tbEUlT_E0_NS1_11comp_targetILNS1_3genE9ELNS1_11target_archE1100ELNS1_3gpuE3ELNS1_3repE0EEENS1_52radix_sort_onesweep_histogram_config_static_selectorELNS0_4arch9wavefront6targetE1EEEvSI_.has_recursion, 0
	.set _ZN7rocprim17ROCPRIM_400000_NS6detail17trampoline_kernelINS0_14default_configENS1_35radix_sort_onesweep_config_selectorIiNS0_10empty_typeEEEZNS1_34radix_sort_onesweep_global_offsetsIS3_Lb1EN6thrust23THRUST_200600_302600_NS6detail15normal_iteratorINS9_10device_ptrIiEEEEPS5_jNS0_19identity_decomposerEEE10hipError_tT1_T2_PT3_SK_jT4_jjP12ihipStream_tbEUlT_E0_NS1_11comp_targetILNS1_3genE9ELNS1_11target_archE1100ELNS1_3gpuE3ELNS1_3repE0EEENS1_52radix_sort_onesweep_histogram_config_static_selectorELNS0_4arch9wavefront6targetE1EEEvSI_.has_indirect_call, 0
	.section	.AMDGPU.csdata,"",@progbits
; Kernel info:
; codeLenInByte = 0
; TotalNumSgprs: 6
; NumVgprs: 0
; NumAgprs: 0
; TotalNumVgprs: 0
; ScratchSize: 0
; MemoryBound: 0
; FloatMode: 240
; IeeeMode: 1
; LDSByteSize: 0 bytes/workgroup (compile time only)
; SGPRBlocks: 0
; VGPRBlocks: 0
; NumSGPRsForWavesPerEU: 6
; NumVGPRsForWavesPerEU: 1
; AccumOffset: 4
; Occupancy: 8
; WaveLimiterHint : 0
; COMPUTE_PGM_RSRC2:SCRATCH_EN: 0
; COMPUTE_PGM_RSRC2:USER_SGPR: 2
; COMPUTE_PGM_RSRC2:TRAP_HANDLER: 0
; COMPUTE_PGM_RSRC2:TGID_X_EN: 1
; COMPUTE_PGM_RSRC2:TGID_Y_EN: 0
; COMPUTE_PGM_RSRC2:TGID_Z_EN: 0
; COMPUTE_PGM_RSRC2:TIDIG_COMP_CNT: 0
; COMPUTE_PGM_RSRC3_GFX90A:ACCUM_OFFSET: 0
; COMPUTE_PGM_RSRC3_GFX90A:TG_SPLIT: 0
	.section	.text._ZN7rocprim17ROCPRIM_400000_NS6detail17trampoline_kernelINS0_14default_configENS1_35radix_sort_onesweep_config_selectorIiNS0_10empty_typeEEEZNS1_34radix_sort_onesweep_global_offsetsIS3_Lb1EN6thrust23THRUST_200600_302600_NS6detail15normal_iteratorINS9_10device_ptrIiEEEEPS5_jNS0_19identity_decomposerEEE10hipError_tT1_T2_PT3_SK_jT4_jjP12ihipStream_tbEUlT_E0_NS1_11comp_targetILNS1_3genE8ELNS1_11target_archE1030ELNS1_3gpuE2ELNS1_3repE0EEENS1_52radix_sort_onesweep_histogram_config_static_selectorELNS0_4arch9wavefront6targetE1EEEvSI_,"axG",@progbits,_ZN7rocprim17ROCPRIM_400000_NS6detail17trampoline_kernelINS0_14default_configENS1_35radix_sort_onesweep_config_selectorIiNS0_10empty_typeEEEZNS1_34radix_sort_onesweep_global_offsetsIS3_Lb1EN6thrust23THRUST_200600_302600_NS6detail15normal_iteratorINS9_10device_ptrIiEEEEPS5_jNS0_19identity_decomposerEEE10hipError_tT1_T2_PT3_SK_jT4_jjP12ihipStream_tbEUlT_E0_NS1_11comp_targetILNS1_3genE8ELNS1_11target_archE1030ELNS1_3gpuE2ELNS1_3repE0EEENS1_52radix_sort_onesweep_histogram_config_static_selectorELNS0_4arch9wavefront6targetE1EEEvSI_,comdat
	.protected	_ZN7rocprim17ROCPRIM_400000_NS6detail17trampoline_kernelINS0_14default_configENS1_35radix_sort_onesweep_config_selectorIiNS0_10empty_typeEEEZNS1_34radix_sort_onesweep_global_offsetsIS3_Lb1EN6thrust23THRUST_200600_302600_NS6detail15normal_iteratorINS9_10device_ptrIiEEEEPS5_jNS0_19identity_decomposerEEE10hipError_tT1_T2_PT3_SK_jT4_jjP12ihipStream_tbEUlT_E0_NS1_11comp_targetILNS1_3genE8ELNS1_11target_archE1030ELNS1_3gpuE2ELNS1_3repE0EEENS1_52radix_sort_onesweep_histogram_config_static_selectorELNS0_4arch9wavefront6targetE1EEEvSI_ ; -- Begin function _ZN7rocprim17ROCPRIM_400000_NS6detail17trampoline_kernelINS0_14default_configENS1_35radix_sort_onesweep_config_selectorIiNS0_10empty_typeEEEZNS1_34radix_sort_onesweep_global_offsetsIS3_Lb1EN6thrust23THRUST_200600_302600_NS6detail15normal_iteratorINS9_10device_ptrIiEEEEPS5_jNS0_19identity_decomposerEEE10hipError_tT1_T2_PT3_SK_jT4_jjP12ihipStream_tbEUlT_E0_NS1_11comp_targetILNS1_3genE8ELNS1_11target_archE1030ELNS1_3gpuE2ELNS1_3repE0EEENS1_52radix_sort_onesweep_histogram_config_static_selectorELNS0_4arch9wavefront6targetE1EEEvSI_
	.globl	_ZN7rocprim17ROCPRIM_400000_NS6detail17trampoline_kernelINS0_14default_configENS1_35radix_sort_onesweep_config_selectorIiNS0_10empty_typeEEEZNS1_34radix_sort_onesweep_global_offsetsIS3_Lb1EN6thrust23THRUST_200600_302600_NS6detail15normal_iteratorINS9_10device_ptrIiEEEEPS5_jNS0_19identity_decomposerEEE10hipError_tT1_T2_PT3_SK_jT4_jjP12ihipStream_tbEUlT_E0_NS1_11comp_targetILNS1_3genE8ELNS1_11target_archE1030ELNS1_3gpuE2ELNS1_3repE0EEENS1_52radix_sort_onesweep_histogram_config_static_selectorELNS0_4arch9wavefront6targetE1EEEvSI_
	.p2align	8
	.type	_ZN7rocprim17ROCPRIM_400000_NS6detail17trampoline_kernelINS0_14default_configENS1_35radix_sort_onesweep_config_selectorIiNS0_10empty_typeEEEZNS1_34radix_sort_onesweep_global_offsetsIS3_Lb1EN6thrust23THRUST_200600_302600_NS6detail15normal_iteratorINS9_10device_ptrIiEEEEPS5_jNS0_19identity_decomposerEEE10hipError_tT1_T2_PT3_SK_jT4_jjP12ihipStream_tbEUlT_E0_NS1_11comp_targetILNS1_3genE8ELNS1_11target_archE1030ELNS1_3gpuE2ELNS1_3repE0EEENS1_52radix_sort_onesweep_histogram_config_static_selectorELNS0_4arch9wavefront6targetE1EEEvSI_,@function
_ZN7rocprim17ROCPRIM_400000_NS6detail17trampoline_kernelINS0_14default_configENS1_35radix_sort_onesweep_config_selectorIiNS0_10empty_typeEEEZNS1_34radix_sort_onesweep_global_offsetsIS3_Lb1EN6thrust23THRUST_200600_302600_NS6detail15normal_iteratorINS9_10device_ptrIiEEEEPS5_jNS0_19identity_decomposerEEE10hipError_tT1_T2_PT3_SK_jT4_jjP12ihipStream_tbEUlT_E0_NS1_11comp_targetILNS1_3genE8ELNS1_11target_archE1030ELNS1_3gpuE2ELNS1_3repE0EEENS1_52radix_sort_onesweep_histogram_config_static_selectorELNS0_4arch9wavefront6targetE1EEEvSI_: ; @_ZN7rocprim17ROCPRIM_400000_NS6detail17trampoline_kernelINS0_14default_configENS1_35radix_sort_onesweep_config_selectorIiNS0_10empty_typeEEEZNS1_34radix_sort_onesweep_global_offsetsIS3_Lb1EN6thrust23THRUST_200600_302600_NS6detail15normal_iteratorINS9_10device_ptrIiEEEEPS5_jNS0_19identity_decomposerEEE10hipError_tT1_T2_PT3_SK_jT4_jjP12ihipStream_tbEUlT_E0_NS1_11comp_targetILNS1_3genE8ELNS1_11target_archE1030ELNS1_3gpuE2ELNS1_3repE0EEENS1_52radix_sort_onesweep_histogram_config_static_selectorELNS0_4arch9wavefront6targetE1EEEvSI_
; %bb.0:
	.section	.rodata,"a",@progbits
	.p2align	6, 0x0
	.amdhsa_kernel _ZN7rocprim17ROCPRIM_400000_NS6detail17trampoline_kernelINS0_14default_configENS1_35radix_sort_onesweep_config_selectorIiNS0_10empty_typeEEEZNS1_34radix_sort_onesweep_global_offsetsIS3_Lb1EN6thrust23THRUST_200600_302600_NS6detail15normal_iteratorINS9_10device_ptrIiEEEEPS5_jNS0_19identity_decomposerEEE10hipError_tT1_T2_PT3_SK_jT4_jjP12ihipStream_tbEUlT_E0_NS1_11comp_targetILNS1_3genE8ELNS1_11target_archE1030ELNS1_3gpuE2ELNS1_3repE0EEENS1_52radix_sort_onesweep_histogram_config_static_selectorELNS0_4arch9wavefront6targetE1EEEvSI_
		.amdhsa_group_segment_fixed_size 0
		.amdhsa_private_segment_fixed_size 0
		.amdhsa_kernarg_size 8
		.amdhsa_user_sgpr_count 2
		.amdhsa_user_sgpr_dispatch_ptr 0
		.amdhsa_user_sgpr_queue_ptr 0
		.amdhsa_user_sgpr_kernarg_segment_ptr 1
		.amdhsa_user_sgpr_dispatch_id 0
		.amdhsa_user_sgpr_kernarg_preload_length 0
		.amdhsa_user_sgpr_kernarg_preload_offset 0
		.amdhsa_user_sgpr_private_segment_size 0
		.amdhsa_uses_dynamic_stack 0
		.amdhsa_enable_private_segment 0
		.amdhsa_system_sgpr_workgroup_id_x 1
		.amdhsa_system_sgpr_workgroup_id_y 0
		.amdhsa_system_sgpr_workgroup_id_z 0
		.amdhsa_system_sgpr_workgroup_info 0
		.amdhsa_system_vgpr_workitem_id 0
		.amdhsa_next_free_vgpr 1
		.amdhsa_next_free_sgpr 0
		.amdhsa_accum_offset 4
		.amdhsa_reserve_vcc 0
		.amdhsa_float_round_mode_32 0
		.amdhsa_float_round_mode_16_64 0
		.amdhsa_float_denorm_mode_32 3
		.amdhsa_float_denorm_mode_16_64 3
		.amdhsa_dx10_clamp 1
		.amdhsa_ieee_mode 1
		.amdhsa_fp16_overflow 0
		.amdhsa_tg_split 0
		.amdhsa_exception_fp_ieee_invalid_op 0
		.amdhsa_exception_fp_denorm_src 0
		.amdhsa_exception_fp_ieee_div_zero 0
		.amdhsa_exception_fp_ieee_overflow 0
		.amdhsa_exception_fp_ieee_underflow 0
		.amdhsa_exception_fp_ieee_inexact 0
		.amdhsa_exception_int_div_zero 0
	.end_amdhsa_kernel
	.section	.text._ZN7rocprim17ROCPRIM_400000_NS6detail17trampoline_kernelINS0_14default_configENS1_35radix_sort_onesweep_config_selectorIiNS0_10empty_typeEEEZNS1_34radix_sort_onesweep_global_offsetsIS3_Lb1EN6thrust23THRUST_200600_302600_NS6detail15normal_iteratorINS9_10device_ptrIiEEEEPS5_jNS0_19identity_decomposerEEE10hipError_tT1_T2_PT3_SK_jT4_jjP12ihipStream_tbEUlT_E0_NS1_11comp_targetILNS1_3genE8ELNS1_11target_archE1030ELNS1_3gpuE2ELNS1_3repE0EEENS1_52radix_sort_onesweep_histogram_config_static_selectorELNS0_4arch9wavefront6targetE1EEEvSI_,"axG",@progbits,_ZN7rocprim17ROCPRIM_400000_NS6detail17trampoline_kernelINS0_14default_configENS1_35radix_sort_onesweep_config_selectorIiNS0_10empty_typeEEEZNS1_34radix_sort_onesweep_global_offsetsIS3_Lb1EN6thrust23THRUST_200600_302600_NS6detail15normal_iteratorINS9_10device_ptrIiEEEEPS5_jNS0_19identity_decomposerEEE10hipError_tT1_T2_PT3_SK_jT4_jjP12ihipStream_tbEUlT_E0_NS1_11comp_targetILNS1_3genE8ELNS1_11target_archE1030ELNS1_3gpuE2ELNS1_3repE0EEENS1_52radix_sort_onesweep_histogram_config_static_selectorELNS0_4arch9wavefront6targetE1EEEvSI_,comdat
.Lfunc_end335:
	.size	_ZN7rocprim17ROCPRIM_400000_NS6detail17trampoline_kernelINS0_14default_configENS1_35radix_sort_onesweep_config_selectorIiNS0_10empty_typeEEEZNS1_34radix_sort_onesweep_global_offsetsIS3_Lb1EN6thrust23THRUST_200600_302600_NS6detail15normal_iteratorINS9_10device_ptrIiEEEEPS5_jNS0_19identity_decomposerEEE10hipError_tT1_T2_PT3_SK_jT4_jjP12ihipStream_tbEUlT_E0_NS1_11comp_targetILNS1_3genE8ELNS1_11target_archE1030ELNS1_3gpuE2ELNS1_3repE0EEENS1_52radix_sort_onesweep_histogram_config_static_selectorELNS0_4arch9wavefront6targetE1EEEvSI_, .Lfunc_end335-_ZN7rocprim17ROCPRIM_400000_NS6detail17trampoline_kernelINS0_14default_configENS1_35radix_sort_onesweep_config_selectorIiNS0_10empty_typeEEEZNS1_34radix_sort_onesweep_global_offsetsIS3_Lb1EN6thrust23THRUST_200600_302600_NS6detail15normal_iteratorINS9_10device_ptrIiEEEEPS5_jNS0_19identity_decomposerEEE10hipError_tT1_T2_PT3_SK_jT4_jjP12ihipStream_tbEUlT_E0_NS1_11comp_targetILNS1_3genE8ELNS1_11target_archE1030ELNS1_3gpuE2ELNS1_3repE0EEENS1_52radix_sort_onesweep_histogram_config_static_selectorELNS0_4arch9wavefront6targetE1EEEvSI_
                                        ; -- End function
	.set _ZN7rocprim17ROCPRIM_400000_NS6detail17trampoline_kernelINS0_14default_configENS1_35radix_sort_onesweep_config_selectorIiNS0_10empty_typeEEEZNS1_34radix_sort_onesweep_global_offsetsIS3_Lb1EN6thrust23THRUST_200600_302600_NS6detail15normal_iteratorINS9_10device_ptrIiEEEEPS5_jNS0_19identity_decomposerEEE10hipError_tT1_T2_PT3_SK_jT4_jjP12ihipStream_tbEUlT_E0_NS1_11comp_targetILNS1_3genE8ELNS1_11target_archE1030ELNS1_3gpuE2ELNS1_3repE0EEENS1_52radix_sort_onesweep_histogram_config_static_selectorELNS0_4arch9wavefront6targetE1EEEvSI_.num_vgpr, 0
	.set _ZN7rocprim17ROCPRIM_400000_NS6detail17trampoline_kernelINS0_14default_configENS1_35radix_sort_onesweep_config_selectorIiNS0_10empty_typeEEEZNS1_34radix_sort_onesweep_global_offsetsIS3_Lb1EN6thrust23THRUST_200600_302600_NS6detail15normal_iteratorINS9_10device_ptrIiEEEEPS5_jNS0_19identity_decomposerEEE10hipError_tT1_T2_PT3_SK_jT4_jjP12ihipStream_tbEUlT_E0_NS1_11comp_targetILNS1_3genE8ELNS1_11target_archE1030ELNS1_3gpuE2ELNS1_3repE0EEENS1_52radix_sort_onesweep_histogram_config_static_selectorELNS0_4arch9wavefront6targetE1EEEvSI_.num_agpr, 0
	.set _ZN7rocprim17ROCPRIM_400000_NS6detail17trampoline_kernelINS0_14default_configENS1_35radix_sort_onesweep_config_selectorIiNS0_10empty_typeEEEZNS1_34radix_sort_onesweep_global_offsetsIS3_Lb1EN6thrust23THRUST_200600_302600_NS6detail15normal_iteratorINS9_10device_ptrIiEEEEPS5_jNS0_19identity_decomposerEEE10hipError_tT1_T2_PT3_SK_jT4_jjP12ihipStream_tbEUlT_E0_NS1_11comp_targetILNS1_3genE8ELNS1_11target_archE1030ELNS1_3gpuE2ELNS1_3repE0EEENS1_52radix_sort_onesweep_histogram_config_static_selectorELNS0_4arch9wavefront6targetE1EEEvSI_.numbered_sgpr, 0
	.set _ZN7rocprim17ROCPRIM_400000_NS6detail17trampoline_kernelINS0_14default_configENS1_35radix_sort_onesweep_config_selectorIiNS0_10empty_typeEEEZNS1_34radix_sort_onesweep_global_offsetsIS3_Lb1EN6thrust23THRUST_200600_302600_NS6detail15normal_iteratorINS9_10device_ptrIiEEEEPS5_jNS0_19identity_decomposerEEE10hipError_tT1_T2_PT3_SK_jT4_jjP12ihipStream_tbEUlT_E0_NS1_11comp_targetILNS1_3genE8ELNS1_11target_archE1030ELNS1_3gpuE2ELNS1_3repE0EEENS1_52radix_sort_onesweep_histogram_config_static_selectorELNS0_4arch9wavefront6targetE1EEEvSI_.num_named_barrier, 0
	.set _ZN7rocprim17ROCPRIM_400000_NS6detail17trampoline_kernelINS0_14default_configENS1_35radix_sort_onesweep_config_selectorIiNS0_10empty_typeEEEZNS1_34radix_sort_onesweep_global_offsetsIS3_Lb1EN6thrust23THRUST_200600_302600_NS6detail15normal_iteratorINS9_10device_ptrIiEEEEPS5_jNS0_19identity_decomposerEEE10hipError_tT1_T2_PT3_SK_jT4_jjP12ihipStream_tbEUlT_E0_NS1_11comp_targetILNS1_3genE8ELNS1_11target_archE1030ELNS1_3gpuE2ELNS1_3repE0EEENS1_52radix_sort_onesweep_histogram_config_static_selectorELNS0_4arch9wavefront6targetE1EEEvSI_.private_seg_size, 0
	.set _ZN7rocprim17ROCPRIM_400000_NS6detail17trampoline_kernelINS0_14default_configENS1_35radix_sort_onesweep_config_selectorIiNS0_10empty_typeEEEZNS1_34radix_sort_onesweep_global_offsetsIS3_Lb1EN6thrust23THRUST_200600_302600_NS6detail15normal_iteratorINS9_10device_ptrIiEEEEPS5_jNS0_19identity_decomposerEEE10hipError_tT1_T2_PT3_SK_jT4_jjP12ihipStream_tbEUlT_E0_NS1_11comp_targetILNS1_3genE8ELNS1_11target_archE1030ELNS1_3gpuE2ELNS1_3repE0EEENS1_52radix_sort_onesweep_histogram_config_static_selectorELNS0_4arch9wavefront6targetE1EEEvSI_.uses_vcc, 0
	.set _ZN7rocprim17ROCPRIM_400000_NS6detail17trampoline_kernelINS0_14default_configENS1_35radix_sort_onesweep_config_selectorIiNS0_10empty_typeEEEZNS1_34radix_sort_onesweep_global_offsetsIS3_Lb1EN6thrust23THRUST_200600_302600_NS6detail15normal_iteratorINS9_10device_ptrIiEEEEPS5_jNS0_19identity_decomposerEEE10hipError_tT1_T2_PT3_SK_jT4_jjP12ihipStream_tbEUlT_E0_NS1_11comp_targetILNS1_3genE8ELNS1_11target_archE1030ELNS1_3gpuE2ELNS1_3repE0EEENS1_52radix_sort_onesweep_histogram_config_static_selectorELNS0_4arch9wavefront6targetE1EEEvSI_.uses_flat_scratch, 0
	.set _ZN7rocprim17ROCPRIM_400000_NS6detail17trampoline_kernelINS0_14default_configENS1_35radix_sort_onesweep_config_selectorIiNS0_10empty_typeEEEZNS1_34radix_sort_onesweep_global_offsetsIS3_Lb1EN6thrust23THRUST_200600_302600_NS6detail15normal_iteratorINS9_10device_ptrIiEEEEPS5_jNS0_19identity_decomposerEEE10hipError_tT1_T2_PT3_SK_jT4_jjP12ihipStream_tbEUlT_E0_NS1_11comp_targetILNS1_3genE8ELNS1_11target_archE1030ELNS1_3gpuE2ELNS1_3repE0EEENS1_52radix_sort_onesweep_histogram_config_static_selectorELNS0_4arch9wavefront6targetE1EEEvSI_.has_dyn_sized_stack, 0
	.set _ZN7rocprim17ROCPRIM_400000_NS6detail17trampoline_kernelINS0_14default_configENS1_35radix_sort_onesweep_config_selectorIiNS0_10empty_typeEEEZNS1_34radix_sort_onesweep_global_offsetsIS3_Lb1EN6thrust23THRUST_200600_302600_NS6detail15normal_iteratorINS9_10device_ptrIiEEEEPS5_jNS0_19identity_decomposerEEE10hipError_tT1_T2_PT3_SK_jT4_jjP12ihipStream_tbEUlT_E0_NS1_11comp_targetILNS1_3genE8ELNS1_11target_archE1030ELNS1_3gpuE2ELNS1_3repE0EEENS1_52radix_sort_onesweep_histogram_config_static_selectorELNS0_4arch9wavefront6targetE1EEEvSI_.has_recursion, 0
	.set _ZN7rocprim17ROCPRIM_400000_NS6detail17trampoline_kernelINS0_14default_configENS1_35radix_sort_onesweep_config_selectorIiNS0_10empty_typeEEEZNS1_34radix_sort_onesweep_global_offsetsIS3_Lb1EN6thrust23THRUST_200600_302600_NS6detail15normal_iteratorINS9_10device_ptrIiEEEEPS5_jNS0_19identity_decomposerEEE10hipError_tT1_T2_PT3_SK_jT4_jjP12ihipStream_tbEUlT_E0_NS1_11comp_targetILNS1_3genE8ELNS1_11target_archE1030ELNS1_3gpuE2ELNS1_3repE0EEENS1_52radix_sort_onesweep_histogram_config_static_selectorELNS0_4arch9wavefront6targetE1EEEvSI_.has_indirect_call, 0
	.section	.AMDGPU.csdata,"",@progbits
; Kernel info:
; codeLenInByte = 0
; TotalNumSgprs: 6
; NumVgprs: 0
; NumAgprs: 0
; TotalNumVgprs: 0
; ScratchSize: 0
; MemoryBound: 0
; FloatMode: 240
; IeeeMode: 1
; LDSByteSize: 0 bytes/workgroup (compile time only)
; SGPRBlocks: 0
; VGPRBlocks: 0
; NumSGPRsForWavesPerEU: 6
; NumVGPRsForWavesPerEU: 1
; AccumOffset: 4
; Occupancy: 8
; WaveLimiterHint : 0
; COMPUTE_PGM_RSRC2:SCRATCH_EN: 0
; COMPUTE_PGM_RSRC2:USER_SGPR: 2
; COMPUTE_PGM_RSRC2:TRAP_HANDLER: 0
; COMPUTE_PGM_RSRC2:TGID_X_EN: 1
; COMPUTE_PGM_RSRC2:TGID_Y_EN: 0
; COMPUTE_PGM_RSRC2:TGID_Z_EN: 0
; COMPUTE_PGM_RSRC2:TIDIG_COMP_CNT: 0
; COMPUTE_PGM_RSRC3_GFX90A:ACCUM_OFFSET: 0
; COMPUTE_PGM_RSRC3_GFX90A:TG_SPLIT: 0
	.section	.text._ZN7rocprim17ROCPRIM_400000_NS6detail17trampoline_kernelINS0_14default_configENS1_35radix_sort_onesweep_config_selectorIiNS0_10empty_typeEEEZZNS1_29radix_sort_onesweep_iterationIS3_Lb1EN6thrust23THRUST_200600_302600_NS6detail15normal_iteratorINS9_10device_ptrIiEEEESE_PS5_SF_jNS0_19identity_decomposerENS1_16block_id_wrapperIjLb1EEEEE10hipError_tT1_PNSt15iterator_traitsISK_E10value_typeET2_T3_PNSL_ISQ_E10value_typeET4_T5_PSV_SW_PNS1_23onesweep_lookback_stateEbbT6_jjT7_P12ihipStream_tbENKUlT_T0_SK_SP_E_clISE_SE_SF_SF_EEDaS13_S14_SK_SP_EUlS13_E_NS1_11comp_targetILNS1_3genE0ELNS1_11target_archE4294967295ELNS1_3gpuE0ELNS1_3repE0EEENS1_47radix_sort_onesweep_sort_config_static_selectorELNS0_4arch9wavefront6targetE1EEEvSK_,"axG",@progbits,_ZN7rocprim17ROCPRIM_400000_NS6detail17trampoline_kernelINS0_14default_configENS1_35radix_sort_onesweep_config_selectorIiNS0_10empty_typeEEEZZNS1_29radix_sort_onesweep_iterationIS3_Lb1EN6thrust23THRUST_200600_302600_NS6detail15normal_iteratorINS9_10device_ptrIiEEEESE_PS5_SF_jNS0_19identity_decomposerENS1_16block_id_wrapperIjLb1EEEEE10hipError_tT1_PNSt15iterator_traitsISK_E10value_typeET2_T3_PNSL_ISQ_E10value_typeET4_T5_PSV_SW_PNS1_23onesweep_lookback_stateEbbT6_jjT7_P12ihipStream_tbENKUlT_T0_SK_SP_E_clISE_SE_SF_SF_EEDaS13_S14_SK_SP_EUlS13_E_NS1_11comp_targetILNS1_3genE0ELNS1_11target_archE4294967295ELNS1_3gpuE0ELNS1_3repE0EEENS1_47radix_sort_onesweep_sort_config_static_selectorELNS0_4arch9wavefront6targetE1EEEvSK_,comdat
	.protected	_ZN7rocprim17ROCPRIM_400000_NS6detail17trampoline_kernelINS0_14default_configENS1_35radix_sort_onesweep_config_selectorIiNS0_10empty_typeEEEZZNS1_29radix_sort_onesweep_iterationIS3_Lb1EN6thrust23THRUST_200600_302600_NS6detail15normal_iteratorINS9_10device_ptrIiEEEESE_PS5_SF_jNS0_19identity_decomposerENS1_16block_id_wrapperIjLb1EEEEE10hipError_tT1_PNSt15iterator_traitsISK_E10value_typeET2_T3_PNSL_ISQ_E10value_typeET4_T5_PSV_SW_PNS1_23onesweep_lookback_stateEbbT6_jjT7_P12ihipStream_tbENKUlT_T0_SK_SP_E_clISE_SE_SF_SF_EEDaS13_S14_SK_SP_EUlS13_E_NS1_11comp_targetILNS1_3genE0ELNS1_11target_archE4294967295ELNS1_3gpuE0ELNS1_3repE0EEENS1_47radix_sort_onesweep_sort_config_static_selectorELNS0_4arch9wavefront6targetE1EEEvSK_ ; -- Begin function _ZN7rocprim17ROCPRIM_400000_NS6detail17trampoline_kernelINS0_14default_configENS1_35radix_sort_onesweep_config_selectorIiNS0_10empty_typeEEEZZNS1_29radix_sort_onesweep_iterationIS3_Lb1EN6thrust23THRUST_200600_302600_NS6detail15normal_iteratorINS9_10device_ptrIiEEEESE_PS5_SF_jNS0_19identity_decomposerENS1_16block_id_wrapperIjLb1EEEEE10hipError_tT1_PNSt15iterator_traitsISK_E10value_typeET2_T3_PNSL_ISQ_E10value_typeET4_T5_PSV_SW_PNS1_23onesweep_lookback_stateEbbT6_jjT7_P12ihipStream_tbENKUlT_T0_SK_SP_E_clISE_SE_SF_SF_EEDaS13_S14_SK_SP_EUlS13_E_NS1_11comp_targetILNS1_3genE0ELNS1_11target_archE4294967295ELNS1_3gpuE0ELNS1_3repE0EEENS1_47radix_sort_onesweep_sort_config_static_selectorELNS0_4arch9wavefront6targetE1EEEvSK_
	.globl	_ZN7rocprim17ROCPRIM_400000_NS6detail17trampoline_kernelINS0_14default_configENS1_35radix_sort_onesweep_config_selectorIiNS0_10empty_typeEEEZZNS1_29radix_sort_onesweep_iterationIS3_Lb1EN6thrust23THRUST_200600_302600_NS6detail15normal_iteratorINS9_10device_ptrIiEEEESE_PS5_SF_jNS0_19identity_decomposerENS1_16block_id_wrapperIjLb1EEEEE10hipError_tT1_PNSt15iterator_traitsISK_E10value_typeET2_T3_PNSL_ISQ_E10value_typeET4_T5_PSV_SW_PNS1_23onesweep_lookback_stateEbbT6_jjT7_P12ihipStream_tbENKUlT_T0_SK_SP_E_clISE_SE_SF_SF_EEDaS13_S14_SK_SP_EUlS13_E_NS1_11comp_targetILNS1_3genE0ELNS1_11target_archE4294967295ELNS1_3gpuE0ELNS1_3repE0EEENS1_47radix_sort_onesweep_sort_config_static_selectorELNS0_4arch9wavefront6targetE1EEEvSK_
	.p2align	8
	.type	_ZN7rocprim17ROCPRIM_400000_NS6detail17trampoline_kernelINS0_14default_configENS1_35radix_sort_onesweep_config_selectorIiNS0_10empty_typeEEEZZNS1_29radix_sort_onesweep_iterationIS3_Lb1EN6thrust23THRUST_200600_302600_NS6detail15normal_iteratorINS9_10device_ptrIiEEEESE_PS5_SF_jNS0_19identity_decomposerENS1_16block_id_wrapperIjLb1EEEEE10hipError_tT1_PNSt15iterator_traitsISK_E10value_typeET2_T3_PNSL_ISQ_E10value_typeET4_T5_PSV_SW_PNS1_23onesweep_lookback_stateEbbT6_jjT7_P12ihipStream_tbENKUlT_T0_SK_SP_E_clISE_SE_SF_SF_EEDaS13_S14_SK_SP_EUlS13_E_NS1_11comp_targetILNS1_3genE0ELNS1_11target_archE4294967295ELNS1_3gpuE0ELNS1_3repE0EEENS1_47radix_sort_onesweep_sort_config_static_selectorELNS0_4arch9wavefront6targetE1EEEvSK_,@function
_ZN7rocprim17ROCPRIM_400000_NS6detail17trampoline_kernelINS0_14default_configENS1_35radix_sort_onesweep_config_selectorIiNS0_10empty_typeEEEZZNS1_29radix_sort_onesweep_iterationIS3_Lb1EN6thrust23THRUST_200600_302600_NS6detail15normal_iteratorINS9_10device_ptrIiEEEESE_PS5_SF_jNS0_19identity_decomposerENS1_16block_id_wrapperIjLb1EEEEE10hipError_tT1_PNSt15iterator_traitsISK_E10value_typeET2_T3_PNSL_ISQ_E10value_typeET4_T5_PSV_SW_PNS1_23onesweep_lookback_stateEbbT6_jjT7_P12ihipStream_tbENKUlT_T0_SK_SP_E_clISE_SE_SF_SF_EEDaS13_S14_SK_SP_EUlS13_E_NS1_11comp_targetILNS1_3genE0ELNS1_11target_archE4294967295ELNS1_3gpuE0ELNS1_3repE0EEENS1_47radix_sort_onesweep_sort_config_static_selectorELNS0_4arch9wavefront6targetE1EEEvSK_: ; @_ZN7rocprim17ROCPRIM_400000_NS6detail17trampoline_kernelINS0_14default_configENS1_35radix_sort_onesweep_config_selectorIiNS0_10empty_typeEEEZZNS1_29radix_sort_onesweep_iterationIS3_Lb1EN6thrust23THRUST_200600_302600_NS6detail15normal_iteratorINS9_10device_ptrIiEEEESE_PS5_SF_jNS0_19identity_decomposerENS1_16block_id_wrapperIjLb1EEEEE10hipError_tT1_PNSt15iterator_traitsISK_E10value_typeET2_T3_PNSL_ISQ_E10value_typeET4_T5_PSV_SW_PNS1_23onesweep_lookback_stateEbbT6_jjT7_P12ihipStream_tbENKUlT_T0_SK_SP_E_clISE_SE_SF_SF_EEDaS13_S14_SK_SP_EUlS13_E_NS1_11comp_targetILNS1_3genE0ELNS1_11target_archE4294967295ELNS1_3gpuE0ELNS1_3repE0EEENS1_47radix_sort_onesweep_sort_config_static_selectorELNS0_4arch9wavefront6targetE1EEEvSK_
; %bb.0:
	.section	.rodata,"a",@progbits
	.p2align	6, 0x0
	.amdhsa_kernel _ZN7rocprim17ROCPRIM_400000_NS6detail17trampoline_kernelINS0_14default_configENS1_35radix_sort_onesweep_config_selectorIiNS0_10empty_typeEEEZZNS1_29radix_sort_onesweep_iterationIS3_Lb1EN6thrust23THRUST_200600_302600_NS6detail15normal_iteratorINS9_10device_ptrIiEEEESE_PS5_SF_jNS0_19identity_decomposerENS1_16block_id_wrapperIjLb1EEEEE10hipError_tT1_PNSt15iterator_traitsISK_E10value_typeET2_T3_PNSL_ISQ_E10value_typeET4_T5_PSV_SW_PNS1_23onesweep_lookback_stateEbbT6_jjT7_P12ihipStream_tbENKUlT_T0_SK_SP_E_clISE_SE_SF_SF_EEDaS13_S14_SK_SP_EUlS13_E_NS1_11comp_targetILNS1_3genE0ELNS1_11target_archE4294967295ELNS1_3gpuE0ELNS1_3repE0EEENS1_47radix_sort_onesweep_sort_config_static_selectorELNS0_4arch9wavefront6targetE1EEEvSK_
		.amdhsa_group_segment_fixed_size 0
		.amdhsa_private_segment_fixed_size 0
		.amdhsa_kernarg_size 88
		.amdhsa_user_sgpr_count 2
		.amdhsa_user_sgpr_dispatch_ptr 0
		.amdhsa_user_sgpr_queue_ptr 0
		.amdhsa_user_sgpr_kernarg_segment_ptr 1
		.amdhsa_user_sgpr_dispatch_id 0
		.amdhsa_user_sgpr_kernarg_preload_length 0
		.amdhsa_user_sgpr_kernarg_preload_offset 0
		.amdhsa_user_sgpr_private_segment_size 0
		.amdhsa_uses_dynamic_stack 0
		.amdhsa_enable_private_segment 0
		.amdhsa_system_sgpr_workgroup_id_x 1
		.amdhsa_system_sgpr_workgroup_id_y 0
		.amdhsa_system_sgpr_workgroup_id_z 0
		.amdhsa_system_sgpr_workgroup_info 0
		.amdhsa_system_vgpr_workitem_id 0
		.amdhsa_next_free_vgpr 1
		.amdhsa_next_free_sgpr 0
		.amdhsa_accum_offset 4
		.amdhsa_reserve_vcc 0
		.amdhsa_float_round_mode_32 0
		.amdhsa_float_round_mode_16_64 0
		.amdhsa_float_denorm_mode_32 3
		.amdhsa_float_denorm_mode_16_64 3
		.amdhsa_dx10_clamp 1
		.amdhsa_ieee_mode 1
		.amdhsa_fp16_overflow 0
		.amdhsa_tg_split 0
		.amdhsa_exception_fp_ieee_invalid_op 0
		.amdhsa_exception_fp_denorm_src 0
		.amdhsa_exception_fp_ieee_div_zero 0
		.amdhsa_exception_fp_ieee_overflow 0
		.amdhsa_exception_fp_ieee_underflow 0
		.amdhsa_exception_fp_ieee_inexact 0
		.amdhsa_exception_int_div_zero 0
	.end_amdhsa_kernel
	.section	.text._ZN7rocprim17ROCPRIM_400000_NS6detail17trampoline_kernelINS0_14default_configENS1_35radix_sort_onesweep_config_selectorIiNS0_10empty_typeEEEZZNS1_29radix_sort_onesweep_iterationIS3_Lb1EN6thrust23THRUST_200600_302600_NS6detail15normal_iteratorINS9_10device_ptrIiEEEESE_PS5_SF_jNS0_19identity_decomposerENS1_16block_id_wrapperIjLb1EEEEE10hipError_tT1_PNSt15iterator_traitsISK_E10value_typeET2_T3_PNSL_ISQ_E10value_typeET4_T5_PSV_SW_PNS1_23onesweep_lookback_stateEbbT6_jjT7_P12ihipStream_tbENKUlT_T0_SK_SP_E_clISE_SE_SF_SF_EEDaS13_S14_SK_SP_EUlS13_E_NS1_11comp_targetILNS1_3genE0ELNS1_11target_archE4294967295ELNS1_3gpuE0ELNS1_3repE0EEENS1_47radix_sort_onesweep_sort_config_static_selectorELNS0_4arch9wavefront6targetE1EEEvSK_,"axG",@progbits,_ZN7rocprim17ROCPRIM_400000_NS6detail17trampoline_kernelINS0_14default_configENS1_35radix_sort_onesweep_config_selectorIiNS0_10empty_typeEEEZZNS1_29radix_sort_onesweep_iterationIS3_Lb1EN6thrust23THRUST_200600_302600_NS6detail15normal_iteratorINS9_10device_ptrIiEEEESE_PS5_SF_jNS0_19identity_decomposerENS1_16block_id_wrapperIjLb1EEEEE10hipError_tT1_PNSt15iterator_traitsISK_E10value_typeET2_T3_PNSL_ISQ_E10value_typeET4_T5_PSV_SW_PNS1_23onesweep_lookback_stateEbbT6_jjT7_P12ihipStream_tbENKUlT_T0_SK_SP_E_clISE_SE_SF_SF_EEDaS13_S14_SK_SP_EUlS13_E_NS1_11comp_targetILNS1_3genE0ELNS1_11target_archE4294967295ELNS1_3gpuE0ELNS1_3repE0EEENS1_47radix_sort_onesweep_sort_config_static_selectorELNS0_4arch9wavefront6targetE1EEEvSK_,comdat
.Lfunc_end336:
	.size	_ZN7rocprim17ROCPRIM_400000_NS6detail17trampoline_kernelINS0_14default_configENS1_35radix_sort_onesweep_config_selectorIiNS0_10empty_typeEEEZZNS1_29radix_sort_onesweep_iterationIS3_Lb1EN6thrust23THRUST_200600_302600_NS6detail15normal_iteratorINS9_10device_ptrIiEEEESE_PS5_SF_jNS0_19identity_decomposerENS1_16block_id_wrapperIjLb1EEEEE10hipError_tT1_PNSt15iterator_traitsISK_E10value_typeET2_T3_PNSL_ISQ_E10value_typeET4_T5_PSV_SW_PNS1_23onesweep_lookback_stateEbbT6_jjT7_P12ihipStream_tbENKUlT_T0_SK_SP_E_clISE_SE_SF_SF_EEDaS13_S14_SK_SP_EUlS13_E_NS1_11comp_targetILNS1_3genE0ELNS1_11target_archE4294967295ELNS1_3gpuE0ELNS1_3repE0EEENS1_47radix_sort_onesweep_sort_config_static_selectorELNS0_4arch9wavefront6targetE1EEEvSK_, .Lfunc_end336-_ZN7rocprim17ROCPRIM_400000_NS6detail17trampoline_kernelINS0_14default_configENS1_35radix_sort_onesweep_config_selectorIiNS0_10empty_typeEEEZZNS1_29radix_sort_onesweep_iterationIS3_Lb1EN6thrust23THRUST_200600_302600_NS6detail15normal_iteratorINS9_10device_ptrIiEEEESE_PS5_SF_jNS0_19identity_decomposerENS1_16block_id_wrapperIjLb1EEEEE10hipError_tT1_PNSt15iterator_traitsISK_E10value_typeET2_T3_PNSL_ISQ_E10value_typeET4_T5_PSV_SW_PNS1_23onesweep_lookback_stateEbbT6_jjT7_P12ihipStream_tbENKUlT_T0_SK_SP_E_clISE_SE_SF_SF_EEDaS13_S14_SK_SP_EUlS13_E_NS1_11comp_targetILNS1_3genE0ELNS1_11target_archE4294967295ELNS1_3gpuE0ELNS1_3repE0EEENS1_47radix_sort_onesweep_sort_config_static_selectorELNS0_4arch9wavefront6targetE1EEEvSK_
                                        ; -- End function
	.set _ZN7rocprim17ROCPRIM_400000_NS6detail17trampoline_kernelINS0_14default_configENS1_35radix_sort_onesweep_config_selectorIiNS0_10empty_typeEEEZZNS1_29radix_sort_onesweep_iterationIS3_Lb1EN6thrust23THRUST_200600_302600_NS6detail15normal_iteratorINS9_10device_ptrIiEEEESE_PS5_SF_jNS0_19identity_decomposerENS1_16block_id_wrapperIjLb1EEEEE10hipError_tT1_PNSt15iterator_traitsISK_E10value_typeET2_T3_PNSL_ISQ_E10value_typeET4_T5_PSV_SW_PNS1_23onesweep_lookback_stateEbbT6_jjT7_P12ihipStream_tbENKUlT_T0_SK_SP_E_clISE_SE_SF_SF_EEDaS13_S14_SK_SP_EUlS13_E_NS1_11comp_targetILNS1_3genE0ELNS1_11target_archE4294967295ELNS1_3gpuE0ELNS1_3repE0EEENS1_47radix_sort_onesweep_sort_config_static_selectorELNS0_4arch9wavefront6targetE1EEEvSK_.num_vgpr, 0
	.set _ZN7rocprim17ROCPRIM_400000_NS6detail17trampoline_kernelINS0_14default_configENS1_35radix_sort_onesweep_config_selectorIiNS0_10empty_typeEEEZZNS1_29radix_sort_onesweep_iterationIS3_Lb1EN6thrust23THRUST_200600_302600_NS6detail15normal_iteratorINS9_10device_ptrIiEEEESE_PS5_SF_jNS0_19identity_decomposerENS1_16block_id_wrapperIjLb1EEEEE10hipError_tT1_PNSt15iterator_traitsISK_E10value_typeET2_T3_PNSL_ISQ_E10value_typeET4_T5_PSV_SW_PNS1_23onesweep_lookback_stateEbbT6_jjT7_P12ihipStream_tbENKUlT_T0_SK_SP_E_clISE_SE_SF_SF_EEDaS13_S14_SK_SP_EUlS13_E_NS1_11comp_targetILNS1_3genE0ELNS1_11target_archE4294967295ELNS1_3gpuE0ELNS1_3repE0EEENS1_47radix_sort_onesweep_sort_config_static_selectorELNS0_4arch9wavefront6targetE1EEEvSK_.num_agpr, 0
	.set _ZN7rocprim17ROCPRIM_400000_NS6detail17trampoline_kernelINS0_14default_configENS1_35radix_sort_onesweep_config_selectorIiNS0_10empty_typeEEEZZNS1_29radix_sort_onesweep_iterationIS3_Lb1EN6thrust23THRUST_200600_302600_NS6detail15normal_iteratorINS9_10device_ptrIiEEEESE_PS5_SF_jNS0_19identity_decomposerENS1_16block_id_wrapperIjLb1EEEEE10hipError_tT1_PNSt15iterator_traitsISK_E10value_typeET2_T3_PNSL_ISQ_E10value_typeET4_T5_PSV_SW_PNS1_23onesweep_lookback_stateEbbT6_jjT7_P12ihipStream_tbENKUlT_T0_SK_SP_E_clISE_SE_SF_SF_EEDaS13_S14_SK_SP_EUlS13_E_NS1_11comp_targetILNS1_3genE0ELNS1_11target_archE4294967295ELNS1_3gpuE0ELNS1_3repE0EEENS1_47radix_sort_onesweep_sort_config_static_selectorELNS0_4arch9wavefront6targetE1EEEvSK_.numbered_sgpr, 0
	.set _ZN7rocprim17ROCPRIM_400000_NS6detail17trampoline_kernelINS0_14default_configENS1_35radix_sort_onesweep_config_selectorIiNS0_10empty_typeEEEZZNS1_29radix_sort_onesweep_iterationIS3_Lb1EN6thrust23THRUST_200600_302600_NS6detail15normal_iteratorINS9_10device_ptrIiEEEESE_PS5_SF_jNS0_19identity_decomposerENS1_16block_id_wrapperIjLb1EEEEE10hipError_tT1_PNSt15iterator_traitsISK_E10value_typeET2_T3_PNSL_ISQ_E10value_typeET4_T5_PSV_SW_PNS1_23onesweep_lookback_stateEbbT6_jjT7_P12ihipStream_tbENKUlT_T0_SK_SP_E_clISE_SE_SF_SF_EEDaS13_S14_SK_SP_EUlS13_E_NS1_11comp_targetILNS1_3genE0ELNS1_11target_archE4294967295ELNS1_3gpuE0ELNS1_3repE0EEENS1_47radix_sort_onesweep_sort_config_static_selectorELNS0_4arch9wavefront6targetE1EEEvSK_.num_named_barrier, 0
	.set _ZN7rocprim17ROCPRIM_400000_NS6detail17trampoline_kernelINS0_14default_configENS1_35radix_sort_onesweep_config_selectorIiNS0_10empty_typeEEEZZNS1_29radix_sort_onesweep_iterationIS3_Lb1EN6thrust23THRUST_200600_302600_NS6detail15normal_iteratorINS9_10device_ptrIiEEEESE_PS5_SF_jNS0_19identity_decomposerENS1_16block_id_wrapperIjLb1EEEEE10hipError_tT1_PNSt15iterator_traitsISK_E10value_typeET2_T3_PNSL_ISQ_E10value_typeET4_T5_PSV_SW_PNS1_23onesweep_lookback_stateEbbT6_jjT7_P12ihipStream_tbENKUlT_T0_SK_SP_E_clISE_SE_SF_SF_EEDaS13_S14_SK_SP_EUlS13_E_NS1_11comp_targetILNS1_3genE0ELNS1_11target_archE4294967295ELNS1_3gpuE0ELNS1_3repE0EEENS1_47radix_sort_onesweep_sort_config_static_selectorELNS0_4arch9wavefront6targetE1EEEvSK_.private_seg_size, 0
	.set _ZN7rocprim17ROCPRIM_400000_NS6detail17trampoline_kernelINS0_14default_configENS1_35radix_sort_onesweep_config_selectorIiNS0_10empty_typeEEEZZNS1_29radix_sort_onesweep_iterationIS3_Lb1EN6thrust23THRUST_200600_302600_NS6detail15normal_iteratorINS9_10device_ptrIiEEEESE_PS5_SF_jNS0_19identity_decomposerENS1_16block_id_wrapperIjLb1EEEEE10hipError_tT1_PNSt15iterator_traitsISK_E10value_typeET2_T3_PNSL_ISQ_E10value_typeET4_T5_PSV_SW_PNS1_23onesweep_lookback_stateEbbT6_jjT7_P12ihipStream_tbENKUlT_T0_SK_SP_E_clISE_SE_SF_SF_EEDaS13_S14_SK_SP_EUlS13_E_NS1_11comp_targetILNS1_3genE0ELNS1_11target_archE4294967295ELNS1_3gpuE0ELNS1_3repE0EEENS1_47radix_sort_onesweep_sort_config_static_selectorELNS0_4arch9wavefront6targetE1EEEvSK_.uses_vcc, 0
	.set _ZN7rocprim17ROCPRIM_400000_NS6detail17trampoline_kernelINS0_14default_configENS1_35radix_sort_onesweep_config_selectorIiNS0_10empty_typeEEEZZNS1_29radix_sort_onesweep_iterationIS3_Lb1EN6thrust23THRUST_200600_302600_NS6detail15normal_iteratorINS9_10device_ptrIiEEEESE_PS5_SF_jNS0_19identity_decomposerENS1_16block_id_wrapperIjLb1EEEEE10hipError_tT1_PNSt15iterator_traitsISK_E10value_typeET2_T3_PNSL_ISQ_E10value_typeET4_T5_PSV_SW_PNS1_23onesweep_lookback_stateEbbT6_jjT7_P12ihipStream_tbENKUlT_T0_SK_SP_E_clISE_SE_SF_SF_EEDaS13_S14_SK_SP_EUlS13_E_NS1_11comp_targetILNS1_3genE0ELNS1_11target_archE4294967295ELNS1_3gpuE0ELNS1_3repE0EEENS1_47radix_sort_onesweep_sort_config_static_selectorELNS0_4arch9wavefront6targetE1EEEvSK_.uses_flat_scratch, 0
	.set _ZN7rocprim17ROCPRIM_400000_NS6detail17trampoline_kernelINS0_14default_configENS1_35radix_sort_onesweep_config_selectorIiNS0_10empty_typeEEEZZNS1_29radix_sort_onesweep_iterationIS3_Lb1EN6thrust23THRUST_200600_302600_NS6detail15normal_iteratorINS9_10device_ptrIiEEEESE_PS5_SF_jNS0_19identity_decomposerENS1_16block_id_wrapperIjLb1EEEEE10hipError_tT1_PNSt15iterator_traitsISK_E10value_typeET2_T3_PNSL_ISQ_E10value_typeET4_T5_PSV_SW_PNS1_23onesweep_lookback_stateEbbT6_jjT7_P12ihipStream_tbENKUlT_T0_SK_SP_E_clISE_SE_SF_SF_EEDaS13_S14_SK_SP_EUlS13_E_NS1_11comp_targetILNS1_3genE0ELNS1_11target_archE4294967295ELNS1_3gpuE0ELNS1_3repE0EEENS1_47radix_sort_onesweep_sort_config_static_selectorELNS0_4arch9wavefront6targetE1EEEvSK_.has_dyn_sized_stack, 0
	.set _ZN7rocprim17ROCPRIM_400000_NS6detail17trampoline_kernelINS0_14default_configENS1_35radix_sort_onesweep_config_selectorIiNS0_10empty_typeEEEZZNS1_29radix_sort_onesweep_iterationIS3_Lb1EN6thrust23THRUST_200600_302600_NS6detail15normal_iteratorINS9_10device_ptrIiEEEESE_PS5_SF_jNS0_19identity_decomposerENS1_16block_id_wrapperIjLb1EEEEE10hipError_tT1_PNSt15iterator_traitsISK_E10value_typeET2_T3_PNSL_ISQ_E10value_typeET4_T5_PSV_SW_PNS1_23onesweep_lookback_stateEbbT6_jjT7_P12ihipStream_tbENKUlT_T0_SK_SP_E_clISE_SE_SF_SF_EEDaS13_S14_SK_SP_EUlS13_E_NS1_11comp_targetILNS1_3genE0ELNS1_11target_archE4294967295ELNS1_3gpuE0ELNS1_3repE0EEENS1_47radix_sort_onesweep_sort_config_static_selectorELNS0_4arch9wavefront6targetE1EEEvSK_.has_recursion, 0
	.set _ZN7rocprim17ROCPRIM_400000_NS6detail17trampoline_kernelINS0_14default_configENS1_35radix_sort_onesweep_config_selectorIiNS0_10empty_typeEEEZZNS1_29radix_sort_onesweep_iterationIS3_Lb1EN6thrust23THRUST_200600_302600_NS6detail15normal_iteratorINS9_10device_ptrIiEEEESE_PS5_SF_jNS0_19identity_decomposerENS1_16block_id_wrapperIjLb1EEEEE10hipError_tT1_PNSt15iterator_traitsISK_E10value_typeET2_T3_PNSL_ISQ_E10value_typeET4_T5_PSV_SW_PNS1_23onesweep_lookback_stateEbbT6_jjT7_P12ihipStream_tbENKUlT_T0_SK_SP_E_clISE_SE_SF_SF_EEDaS13_S14_SK_SP_EUlS13_E_NS1_11comp_targetILNS1_3genE0ELNS1_11target_archE4294967295ELNS1_3gpuE0ELNS1_3repE0EEENS1_47radix_sort_onesweep_sort_config_static_selectorELNS0_4arch9wavefront6targetE1EEEvSK_.has_indirect_call, 0
	.section	.AMDGPU.csdata,"",@progbits
; Kernel info:
; codeLenInByte = 0
; TotalNumSgprs: 6
; NumVgprs: 0
; NumAgprs: 0
; TotalNumVgprs: 0
; ScratchSize: 0
; MemoryBound: 0
; FloatMode: 240
; IeeeMode: 1
; LDSByteSize: 0 bytes/workgroup (compile time only)
; SGPRBlocks: 0
; VGPRBlocks: 0
; NumSGPRsForWavesPerEU: 6
; NumVGPRsForWavesPerEU: 1
; AccumOffset: 4
; Occupancy: 8
; WaveLimiterHint : 0
; COMPUTE_PGM_RSRC2:SCRATCH_EN: 0
; COMPUTE_PGM_RSRC2:USER_SGPR: 2
; COMPUTE_PGM_RSRC2:TRAP_HANDLER: 0
; COMPUTE_PGM_RSRC2:TGID_X_EN: 1
; COMPUTE_PGM_RSRC2:TGID_Y_EN: 0
; COMPUTE_PGM_RSRC2:TGID_Z_EN: 0
; COMPUTE_PGM_RSRC2:TIDIG_COMP_CNT: 0
; COMPUTE_PGM_RSRC3_GFX90A:ACCUM_OFFSET: 0
; COMPUTE_PGM_RSRC3_GFX90A:TG_SPLIT: 0
	.section	.text._ZN7rocprim17ROCPRIM_400000_NS6detail17trampoline_kernelINS0_14default_configENS1_35radix_sort_onesweep_config_selectorIiNS0_10empty_typeEEEZZNS1_29radix_sort_onesweep_iterationIS3_Lb1EN6thrust23THRUST_200600_302600_NS6detail15normal_iteratorINS9_10device_ptrIiEEEESE_PS5_SF_jNS0_19identity_decomposerENS1_16block_id_wrapperIjLb1EEEEE10hipError_tT1_PNSt15iterator_traitsISK_E10value_typeET2_T3_PNSL_ISQ_E10value_typeET4_T5_PSV_SW_PNS1_23onesweep_lookback_stateEbbT6_jjT7_P12ihipStream_tbENKUlT_T0_SK_SP_E_clISE_SE_SF_SF_EEDaS13_S14_SK_SP_EUlS13_E_NS1_11comp_targetILNS1_3genE6ELNS1_11target_archE950ELNS1_3gpuE13ELNS1_3repE0EEENS1_47radix_sort_onesweep_sort_config_static_selectorELNS0_4arch9wavefront6targetE1EEEvSK_,"axG",@progbits,_ZN7rocprim17ROCPRIM_400000_NS6detail17trampoline_kernelINS0_14default_configENS1_35radix_sort_onesweep_config_selectorIiNS0_10empty_typeEEEZZNS1_29radix_sort_onesweep_iterationIS3_Lb1EN6thrust23THRUST_200600_302600_NS6detail15normal_iteratorINS9_10device_ptrIiEEEESE_PS5_SF_jNS0_19identity_decomposerENS1_16block_id_wrapperIjLb1EEEEE10hipError_tT1_PNSt15iterator_traitsISK_E10value_typeET2_T3_PNSL_ISQ_E10value_typeET4_T5_PSV_SW_PNS1_23onesweep_lookback_stateEbbT6_jjT7_P12ihipStream_tbENKUlT_T0_SK_SP_E_clISE_SE_SF_SF_EEDaS13_S14_SK_SP_EUlS13_E_NS1_11comp_targetILNS1_3genE6ELNS1_11target_archE950ELNS1_3gpuE13ELNS1_3repE0EEENS1_47radix_sort_onesweep_sort_config_static_selectorELNS0_4arch9wavefront6targetE1EEEvSK_,comdat
	.protected	_ZN7rocprim17ROCPRIM_400000_NS6detail17trampoline_kernelINS0_14default_configENS1_35radix_sort_onesweep_config_selectorIiNS0_10empty_typeEEEZZNS1_29radix_sort_onesweep_iterationIS3_Lb1EN6thrust23THRUST_200600_302600_NS6detail15normal_iteratorINS9_10device_ptrIiEEEESE_PS5_SF_jNS0_19identity_decomposerENS1_16block_id_wrapperIjLb1EEEEE10hipError_tT1_PNSt15iterator_traitsISK_E10value_typeET2_T3_PNSL_ISQ_E10value_typeET4_T5_PSV_SW_PNS1_23onesweep_lookback_stateEbbT6_jjT7_P12ihipStream_tbENKUlT_T0_SK_SP_E_clISE_SE_SF_SF_EEDaS13_S14_SK_SP_EUlS13_E_NS1_11comp_targetILNS1_3genE6ELNS1_11target_archE950ELNS1_3gpuE13ELNS1_3repE0EEENS1_47radix_sort_onesweep_sort_config_static_selectorELNS0_4arch9wavefront6targetE1EEEvSK_ ; -- Begin function _ZN7rocprim17ROCPRIM_400000_NS6detail17trampoline_kernelINS0_14default_configENS1_35radix_sort_onesweep_config_selectorIiNS0_10empty_typeEEEZZNS1_29radix_sort_onesweep_iterationIS3_Lb1EN6thrust23THRUST_200600_302600_NS6detail15normal_iteratorINS9_10device_ptrIiEEEESE_PS5_SF_jNS0_19identity_decomposerENS1_16block_id_wrapperIjLb1EEEEE10hipError_tT1_PNSt15iterator_traitsISK_E10value_typeET2_T3_PNSL_ISQ_E10value_typeET4_T5_PSV_SW_PNS1_23onesweep_lookback_stateEbbT6_jjT7_P12ihipStream_tbENKUlT_T0_SK_SP_E_clISE_SE_SF_SF_EEDaS13_S14_SK_SP_EUlS13_E_NS1_11comp_targetILNS1_3genE6ELNS1_11target_archE950ELNS1_3gpuE13ELNS1_3repE0EEENS1_47radix_sort_onesweep_sort_config_static_selectorELNS0_4arch9wavefront6targetE1EEEvSK_
	.globl	_ZN7rocprim17ROCPRIM_400000_NS6detail17trampoline_kernelINS0_14default_configENS1_35radix_sort_onesweep_config_selectorIiNS0_10empty_typeEEEZZNS1_29radix_sort_onesweep_iterationIS3_Lb1EN6thrust23THRUST_200600_302600_NS6detail15normal_iteratorINS9_10device_ptrIiEEEESE_PS5_SF_jNS0_19identity_decomposerENS1_16block_id_wrapperIjLb1EEEEE10hipError_tT1_PNSt15iterator_traitsISK_E10value_typeET2_T3_PNSL_ISQ_E10value_typeET4_T5_PSV_SW_PNS1_23onesweep_lookback_stateEbbT6_jjT7_P12ihipStream_tbENKUlT_T0_SK_SP_E_clISE_SE_SF_SF_EEDaS13_S14_SK_SP_EUlS13_E_NS1_11comp_targetILNS1_3genE6ELNS1_11target_archE950ELNS1_3gpuE13ELNS1_3repE0EEENS1_47radix_sort_onesweep_sort_config_static_selectorELNS0_4arch9wavefront6targetE1EEEvSK_
	.p2align	8
	.type	_ZN7rocprim17ROCPRIM_400000_NS6detail17trampoline_kernelINS0_14default_configENS1_35radix_sort_onesweep_config_selectorIiNS0_10empty_typeEEEZZNS1_29radix_sort_onesweep_iterationIS3_Lb1EN6thrust23THRUST_200600_302600_NS6detail15normal_iteratorINS9_10device_ptrIiEEEESE_PS5_SF_jNS0_19identity_decomposerENS1_16block_id_wrapperIjLb1EEEEE10hipError_tT1_PNSt15iterator_traitsISK_E10value_typeET2_T3_PNSL_ISQ_E10value_typeET4_T5_PSV_SW_PNS1_23onesweep_lookback_stateEbbT6_jjT7_P12ihipStream_tbENKUlT_T0_SK_SP_E_clISE_SE_SF_SF_EEDaS13_S14_SK_SP_EUlS13_E_NS1_11comp_targetILNS1_3genE6ELNS1_11target_archE950ELNS1_3gpuE13ELNS1_3repE0EEENS1_47radix_sort_onesweep_sort_config_static_selectorELNS0_4arch9wavefront6targetE1EEEvSK_,@function
_ZN7rocprim17ROCPRIM_400000_NS6detail17trampoline_kernelINS0_14default_configENS1_35radix_sort_onesweep_config_selectorIiNS0_10empty_typeEEEZZNS1_29radix_sort_onesweep_iterationIS3_Lb1EN6thrust23THRUST_200600_302600_NS6detail15normal_iteratorINS9_10device_ptrIiEEEESE_PS5_SF_jNS0_19identity_decomposerENS1_16block_id_wrapperIjLb1EEEEE10hipError_tT1_PNSt15iterator_traitsISK_E10value_typeET2_T3_PNSL_ISQ_E10value_typeET4_T5_PSV_SW_PNS1_23onesweep_lookback_stateEbbT6_jjT7_P12ihipStream_tbENKUlT_T0_SK_SP_E_clISE_SE_SF_SF_EEDaS13_S14_SK_SP_EUlS13_E_NS1_11comp_targetILNS1_3genE6ELNS1_11target_archE950ELNS1_3gpuE13ELNS1_3repE0EEENS1_47radix_sort_onesweep_sort_config_static_selectorELNS0_4arch9wavefront6targetE1EEEvSK_: ; @_ZN7rocprim17ROCPRIM_400000_NS6detail17trampoline_kernelINS0_14default_configENS1_35radix_sort_onesweep_config_selectorIiNS0_10empty_typeEEEZZNS1_29radix_sort_onesweep_iterationIS3_Lb1EN6thrust23THRUST_200600_302600_NS6detail15normal_iteratorINS9_10device_ptrIiEEEESE_PS5_SF_jNS0_19identity_decomposerENS1_16block_id_wrapperIjLb1EEEEE10hipError_tT1_PNSt15iterator_traitsISK_E10value_typeET2_T3_PNSL_ISQ_E10value_typeET4_T5_PSV_SW_PNS1_23onesweep_lookback_stateEbbT6_jjT7_P12ihipStream_tbENKUlT_T0_SK_SP_E_clISE_SE_SF_SF_EEDaS13_S14_SK_SP_EUlS13_E_NS1_11comp_targetILNS1_3genE6ELNS1_11target_archE950ELNS1_3gpuE13ELNS1_3repE0EEENS1_47radix_sort_onesweep_sort_config_static_selectorELNS0_4arch9wavefront6targetE1EEEvSK_
; %bb.0:
	s_load_dwordx4 s[20:23], s[0:1], 0x28
	s_load_dwordx2 s[18:19], s[0:1], 0x38
	s_load_dwordx4 s[24:27], s[0:1], 0x44
	v_and_b32_e32 v10, 0x3ff, v0
	v_cmp_eq_u32_e64 s[10:11], 0, v10
	s_and_saveexec_b64 s[4:5], s[10:11]
	s_cbranch_execz .LBB337_4
; %bb.1:
	s_mov_b64 s[8:9], exec
	v_mbcnt_lo_u32_b32 v1, s8, 0
	v_mbcnt_hi_u32_b32 v1, s9, v1
	v_cmp_eq_u32_e32 vcc, 0, v1
                                        ; implicit-def: $vgpr2
	s_and_saveexec_b64 s[6:7], vcc
	s_cbranch_execz .LBB337_3
; %bb.2:
	s_load_dwordx2 s[12:13], s[0:1], 0x50
	s_bcnt1_i32_b64 s3, s[8:9]
	v_mov_b32_e32 v2, 0
	v_mov_b32_e32 v3, s3
	s_waitcnt lgkmcnt(0)
	global_atomic_add v2, v2, v3, s[12:13] sc0
.LBB337_3:
	s_or_b64 exec, exec, s[6:7]
	s_waitcnt vmcnt(0)
	v_readfirstlane_b32 s3, v2
	v_mov_b32_e32 v2, 0
	s_nop 0
	v_add_u32_e32 v1, s3, v1
	ds_write_b32 v2, v1 offset:20544
.LBB337_4:
	s_or_b64 exec, exec, s[4:5]
	v_mov_b32_e32 v3, 0
	s_load_dwordx4 s[28:31], s[0:1], 0x0
	s_load_dword s3, s[0:1], 0x20
	s_waitcnt lgkmcnt(0)
	s_barrier
	ds_read_b32 v1, v3 offset:20544
	s_mov_b64 s[4:5], -1
	s_waitcnt lgkmcnt(0)
	s_barrier
	v_cmp_le_u32_e32 vcc, s26, v1
	v_readfirstlane_b32 s27, v1
	v_mbcnt_lo_u32_b32 v1, -1, 0
	s_cbranch_vccz .LBB337_86
; %bb.5:
	s_lshl_b32 s4, s26, 13
	s_sub_i32 s3, s3, s4
	s_lshl_b32 s4, s27, 13
	s_mov_b32 s5, 0
	s_lshl_b64 s[4:5], s[4:5], 2
	v_mbcnt_hi_u32_b32 v16, -1, v1
	s_add_u32 s4, s28, s4
	v_and_b32_e32 v6, 63, v16
	v_lshlrev_b32_e32 v2, 3, v10
	s_addc_u32 s5, s29, s5
	v_and_b32_e32 v7, 0x1e00, v2
	v_lshlrev_b32_e32 v2, 2, v6
	v_lshl_add_u64 v[4:5], s[4:5], 0, v[2:3]
	v_lshlrev_b32_e32 v2, 2, v7
	v_lshl_add_u64 v[12:13], v[4:5], 0, v[2:3]
	v_or_b32_e32 v11, v6, v7
	v_bfrev_b32_e32 v2, 1
	v_cmp_gt_u32_e32 vcc, s3, v11
	v_mov_b32_e32 v3, v2
	v_mov_b32_e32 v4, v2
	;; [unrolled: 1-line block ×7, first 2 shown]
	s_and_saveexec_b64 s[4:5], vcc
	s_cbranch_execz .LBB337_7
; %bb.6:
	global_load_dword v18, v[12:13], off
	v_mov_b32_e32 v19, v2
	v_mov_b32_e32 v20, v2
	;; [unrolled: 1-line block ×7, first 2 shown]
	s_waitcnt vmcnt(0)
	v_mov_b64_e32 v[2:3], v[18:19]
	v_mov_b64_e32 v[4:5], v[20:21]
	;; [unrolled: 1-line block ×4, first 2 shown]
.LBB337_7:
	s_or_b64 exec, exec, s[4:5]
	v_or_b32_e32 v14, 64, v11
	v_cmp_gt_u32_e32 vcc, s3, v14
	s_and_saveexec_b64 s[4:5], vcc
	s_cbranch_execz .LBB337_9
; %bb.8:
	global_load_dword v3, v[12:13], off offset:256
.LBB337_9:
	s_or_b64 exec, exec, s[4:5]
	v_or_b32_e32 v14, 0x80, v11
	v_cmp_gt_u32_e32 vcc, s3, v14
	s_and_saveexec_b64 s[4:5], vcc
	s_cbranch_execz .LBB337_11
; %bb.10:
	global_load_dword v4, v[12:13], off offset:512
.LBB337_11:
	;; [unrolled: 8-line block ×7, first 2 shown]
	s_or_b64 exec, exec, s[4:5]
	s_load_dword s4, s[0:1], 0x64
	s_load_dword s26, s[0:1], 0x58
	s_add_u32 s5, s0, 0x58
	s_addc_u32 s6, s1, 0
	v_mov_b32_e32 v13, 0
	s_waitcnt lgkmcnt(0)
	s_lshr_b32 s7, s4, 16
	s_cmp_lt_u32 s2, s26
	s_cselect_b32 s4, 12, 18
	s_add_u32 s4, s5, s4
	s_addc_u32 s5, s6, 0
	global_load_ushort v30, v13, s[4:5]
	v_xor_b32_e32 v11, 0x7fffffff, v2
	v_lshrrev_b32_e32 v15, s24, v11
	s_lshl_b32 s4, -1, s25
	v_bfe_u32 v2, v0, 10, 10
	v_bfe_u32 v12, v0, 20, 10
	v_bitop3_b32 v31, v15, s4, v15 bitop3:0x30
	v_mad_u32_u24 v2, v12, s7, v2
	v_and_b32_e32 v12, 1, v31
	v_lshlrev_b32_e32 v15, 30, v31
	v_mov_b32_e32 v14, v13
	v_mov_b32_e32 v20, v13
	v_lshlrev_b32_e32 v19, 29, v31
	v_lshlrev_b32_e32 v21, 28, v31
	v_lshl_add_u64 v[28:29], v[12:13], 0, -1
	v_cmp_ne_u32_e32 vcc, 0, v12
	v_not_b32_e32 v12, v15
	v_mov_b32_e32 v18, v13
	v_mov_b32_e32 v22, v13
	s_not_b32 s33, s4
	v_lshlrev_b32_e32 v23, 27, v31
	v_cmp_gt_i64_e64 s[4:5], 0, v[14:15]
	v_not_b32_e32 v14, v19
	v_cmp_gt_i64_e64 s[8:9], 0, v[20:21]
	v_not_b32_e32 v15, v21
	v_xor_b32_e32 v21, vcc_hi, v29
	v_ashrrev_i32_e32 v12, 31, v12
	v_mov_b32_e32 v24, v13
	v_lshlrev_b32_e32 v25, 26, v31
	v_cmp_gt_i64_e64 s[6:7], 0, v[18:19]
	v_cmp_gt_i64_e64 s[12:13], 0, v[22:23]
	v_not_b32_e32 v18, v23
	v_xor_b32_e32 v22, vcc_lo, v28
	v_ashrrev_i32_e32 v14, 31, v14
	v_and_b32_e32 v21, exec_hi, v21
	v_xor_b32_e32 v23, s5, v12
	v_cmp_gt_i64_e64 s[14:15], 0, v[24:25]
	v_ashrrev_i32_e32 v15, 31, v15
	v_and_b32_e32 v22, exec_lo, v22
	v_xor_b32_e32 v12, s4, v12
	v_xor_b32_e32 v24, s7, v14
	v_and_b32_e32 v21, v21, v23
	v_mov_b32_e32 v26, v13
	v_lshlrev_b32_e32 v27, 25, v31
	v_not_b32_e32 v19, v25
	v_ashrrev_i32_e32 v18, 31, v18
	v_xor_b32_e32 v14, s6, v14
	v_xor_b32_e32 v25, s9, v15
	v_and_b32_e32 v12, v22, v12
	v_and_b32_e32 v21, v21, v24
	v_cmp_gt_i64_e64 s[16:17], 0, v[26:27]
	v_not_b32_e32 v20, v27
	v_ashrrev_i32_e32 v19, 31, v19
	v_xor_b32_e32 v26, s13, v18
	v_and_b32_e32 v12, v12, v14
	v_and_b32_e32 v14, v21, v25
	v_ashrrev_i32_e32 v20, 31, v20
	v_xor_b32_e32 v15, s8, v15
	v_xor_b32_e32 v27, s15, v19
	v_and_b32_e32 v14, v14, v26
	v_xor_b32_e32 v18, s12, v18
	v_xor_b32_e32 v28, s17, v20
	v_and_b32_e32 v12, v12, v15
	v_and_b32_e32 v14, v14, v27
	;; [unrolled: 1-line block ×4, first 2 shown]
	v_xor_b32_e32 v19, s14, v19
	v_xor_b32_e32 v20, s16, v20
	v_and_b32_e32 v12, v12, v19
	v_and_b32_e32 v12, v12, v20
	s_movk_i32 s34, 0x44
	v_mul_lo_u32 v32, v31, s34
	v_mul_u32_u24_e32 v17, 20, v10
	ds_write2_b32 v17, v13, v13 offset0:16 offset1:17
	ds_write2_b32 v17, v13, v13 offset0:18 offset1:19
	ds_write_b32 v17, v13 offset:80
	s_waitcnt lgkmcnt(0)
	s_barrier
	s_waitcnt vmcnt(0)
	; wave barrier
	v_mad_u64_u32 v[14:15], s[4:5], v2, v30, v[10:11]
	v_lshrrev_b32_e32 v2, 4, v14
	v_lshlrev_b32_e32 v15, 24, v31
	v_and_b32_e32 v30, 0xffffffc, v2
	v_mov_b32_e32 v14, v13
	v_not_b32_e32 v2, v15
	v_cmp_gt_i64_e32 vcc, 0, v[14:15]
	v_ashrrev_i32_e32 v2, 31, v2
	v_add_u32_e32 v22, v30, v32
	v_xor_b32_e32 v14, vcc_hi, v2
	v_xor_b32_e32 v2, vcc_lo, v2
	v_and_b32_e32 v15, v18, v14
	v_and_b32_e32 v14, v12, v2
	v_mbcnt_lo_u32_b32 v2, v14, 0
	v_mbcnt_hi_u32_b32 v18, v15, v2
	v_cmp_eq_u32_e32 vcc, 0, v18
	v_cmp_ne_u64_e64 s[4:5], 0, v[14:15]
	s_and_b64 s[6:7], s[4:5], vcc
	s_and_saveexec_b64 s[4:5], s[6:7]
; %bb.22:
	v_bcnt_u32_b32 v2, v14, 0
	v_bcnt_u32_b32 v2, v15, v2
	ds_write_b32 v22, v2 offset:64
; %bb.23:
	s_or_b64 exec, exec, s[4:5]
	v_xor_b32_e32 v14, 0x7fffffff, v3
	v_lshrrev_b32_e32 v2, s24, v14
	v_and_b32_e32 v15, s33, v2
	v_mul_lo_u32 v2, v15, s34
	v_and_b32_e32 v12, 1, v15
	v_add_u32_e32 v23, v30, v2
	v_lshl_add_u64 v[2:3], v[12:13], 0, -1
	v_cmp_ne_u32_e32 vcc, 0, v12
	; wave barrier
	s_nop 1
	v_xor_b32_e32 v3, vcc_hi, v3
	v_xor_b32_e32 v2, vcc_lo, v2
	v_and_b32_e32 v12, exec_hi, v3
	v_and_b32_e32 v20, exec_lo, v2
	v_lshlrev_b32_e32 v3, 30, v15
	v_mov_b32_e32 v2, v13
	v_cmp_gt_i64_e32 vcc, 0, v[2:3]
	v_not_b32_e32 v2, v3
	v_ashrrev_i32_e32 v2, 31, v2
	v_xor_b32_e32 v3, vcc_hi, v2
	v_xor_b32_e32 v2, vcc_lo, v2
	v_and_b32_e32 v12, v12, v3
	v_and_b32_e32 v20, v20, v2
	v_lshlrev_b32_e32 v3, 29, v15
	v_mov_b32_e32 v2, v13
	v_cmp_gt_i64_e32 vcc, 0, v[2:3]
	v_not_b32_e32 v2, v3
	v_ashrrev_i32_e32 v2, 31, v2
	v_xor_b32_e32 v3, vcc_hi, v2
	v_xor_b32_e32 v2, vcc_lo, v2
	v_and_b32_e32 v12, v12, v3
	v_and_b32_e32 v20, v20, v2
	;; [unrolled: 9-line block ×6, first 2 shown]
	v_lshlrev_b32_e32 v3, 24, v15
	v_mov_b32_e32 v2, v13
	v_cmp_gt_i64_e32 vcc, 0, v[2:3]
	v_not_b32_e32 v2, v3
	v_ashrrev_i32_e32 v2, 31, v2
	v_xor_b32_e32 v3, vcc_hi, v2
	v_xor_b32_e32 v2, vcc_lo, v2
	ds_read_b32 v19, v23 offset:64
	v_and_b32_e32 v2, v20, v2
	v_and_b32_e32 v3, v12, v3
	v_mbcnt_lo_u32_b32 v12, v2, 0
	v_mbcnt_hi_u32_b32 v20, v3, v12
	v_cmp_eq_u32_e32 vcc, 0, v20
	v_cmp_ne_u64_e64 s[4:5], 0, v[2:3]
	s_and_b64 s[6:7], s[4:5], vcc
	; wave barrier
	s_and_saveexec_b64 s[4:5], s[6:7]
	s_cbranch_execz .LBB337_25
; %bb.24:
	v_bcnt_u32_b32 v2, v2, 0
	v_bcnt_u32_b32 v2, v3, v2
	s_waitcnt lgkmcnt(0)
	v_add_u32_e32 v2, v19, v2
	ds_write_b32 v23, v2 offset:64
.LBB337_25:
	s_or_b64 exec, exec, s[4:5]
	v_xor_b32_e32 v15, 0x7fffffff, v4
	v_lshrrev_b32_e32 v2, s24, v15
	v_and_b32_e32 v4, s33, v2
	s_movk_i32 s6, 0x44
	v_mul_lo_u32 v2, v4, s6
	v_add_u32_e32 v27, v30, v2
	v_and_b32_e32 v2, 1, v4
	v_mov_b32_e32 v3, 0
	v_lshl_add_u64 v[12:13], v[2:3], 0, -1
	v_cmp_ne_u32_e32 vcc, 0, v2
	; wave barrier
	s_nop 1
	v_xor_b32_e32 v12, vcc_lo, v12
	v_xor_b32_e32 v2, vcc_hi, v13
	v_and_b32_e32 v24, exec_lo, v12
	v_lshlrev_b32_e32 v13, 30, v4
	v_mov_b32_e32 v12, v3
	v_cmp_gt_i64_e32 vcc, 0, v[12:13]
	v_not_b32_e32 v12, v13
	v_ashrrev_i32_e32 v12, 31, v12
	v_and_b32_e32 v2, exec_hi, v2
	v_xor_b32_e32 v13, vcc_hi, v12
	v_xor_b32_e32 v12, vcc_lo, v12
	v_and_b32_e32 v2, v2, v13
	v_and_b32_e32 v24, v24, v12
	v_lshlrev_b32_e32 v13, 29, v4
	v_mov_b32_e32 v12, v3
	v_cmp_gt_i64_e32 vcc, 0, v[12:13]
	v_not_b32_e32 v12, v13
	v_ashrrev_i32_e32 v12, 31, v12
	v_xor_b32_e32 v13, vcc_hi, v12
	v_xor_b32_e32 v12, vcc_lo, v12
	v_and_b32_e32 v2, v2, v13
	v_and_b32_e32 v24, v24, v12
	v_lshlrev_b32_e32 v13, 28, v4
	v_mov_b32_e32 v12, v3
	v_cmp_gt_i64_e32 vcc, 0, v[12:13]
	v_not_b32_e32 v12, v13
	v_ashrrev_i32_e32 v12, 31, v12
	;; [unrolled: 9-line block ×5, first 2 shown]
	v_xor_b32_e32 v13, vcc_hi, v12
	v_xor_b32_e32 v12, vcc_lo, v12
	v_and_b32_e32 v2, v2, v13
	v_lshlrev_b32_e32 v13, 24, v4
	v_and_b32_e32 v24, v24, v12
	v_mov_b32_e32 v12, v3
	v_not_b32_e32 v4, v13
	v_cmp_gt_i64_e32 vcc, 0, v[12:13]
	v_ashrrev_i32_e32 v4, 31, v4
	ds_read_b32 v21, v27 offset:64
	v_xor_b32_e32 v12, vcc_hi, v4
	v_xor_b32_e32 v4, vcc_lo, v4
	v_and_b32_e32 v13, v2, v12
	v_and_b32_e32 v12, v24, v4
	v_mbcnt_lo_u32_b32 v2, v12, 0
	v_mbcnt_hi_u32_b32 v25, v13, v2
	v_cmp_eq_u32_e32 vcc, 0, v25
	v_cmp_ne_u64_e64 s[4:5], 0, v[12:13]
	s_and_b64 s[8:9], s[4:5], vcc
	; wave barrier
	s_and_saveexec_b64 s[4:5], s[8:9]
	s_cbranch_execz .LBB337_27
; %bb.26:
	v_bcnt_u32_b32 v2, v12, 0
	v_bcnt_u32_b32 v2, v13, v2
	s_waitcnt lgkmcnt(0)
	v_add_u32_e32 v2, v21, v2
	ds_write_b32 v27, v2 offset:64
.LBB337_27:
	s_or_b64 exec, exec, s[4:5]
	v_xor_b32_e32 v12, 0x7fffffff, v5
	v_lshrrev_b32_e32 v2, s24, v12
	v_and_b32_e32 v13, s33, v2
	v_mul_lo_u32 v2, v13, s6
	v_add_u32_e32 v31, v30, v2
	v_and_b32_e32 v2, 1, v13
	v_lshl_add_u64 v[4:5], v[2:3], 0, -1
	v_cmp_ne_u32_e32 vcc, 0, v2
	; wave barrier
	s_nop 1
	v_xor_b32_e32 v4, vcc_lo, v4
	v_xor_b32_e32 v2, vcc_hi, v5
	v_and_b32_e32 v24, exec_lo, v4
	v_lshlrev_b32_e32 v5, 30, v13
	v_mov_b32_e32 v4, v3
	v_cmp_gt_i64_e32 vcc, 0, v[4:5]
	v_not_b32_e32 v4, v5
	v_ashrrev_i32_e32 v4, 31, v4
	v_and_b32_e32 v2, exec_hi, v2
	v_xor_b32_e32 v5, vcc_hi, v4
	v_xor_b32_e32 v4, vcc_lo, v4
	v_and_b32_e32 v2, v2, v5
	v_and_b32_e32 v24, v24, v4
	v_lshlrev_b32_e32 v5, 29, v13
	v_mov_b32_e32 v4, v3
	v_cmp_gt_i64_e32 vcc, 0, v[4:5]
	v_not_b32_e32 v4, v5
	v_ashrrev_i32_e32 v4, 31, v4
	v_xor_b32_e32 v5, vcc_hi, v4
	v_xor_b32_e32 v4, vcc_lo, v4
	v_and_b32_e32 v2, v2, v5
	v_and_b32_e32 v24, v24, v4
	v_lshlrev_b32_e32 v5, 28, v13
	v_mov_b32_e32 v4, v3
	v_cmp_gt_i64_e32 vcc, 0, v[4:5]
	v_not_b32_e32 v4, v5
	v_ashrrev_i32_e32 v4, 31, v4
	;; [unrolled: 9-line block ×5, first 2 shown]
	v_xor_b32_e32 v5, vcc_hi, v4
	v_xor_b32_e32 v4, vcc_lo, v4
	v_and_b32_e32 v2, v2, v5
	v_lshlrev_b32_e32 v5, 24, v13
	v_and_b32_e32 v24, v24, v4
	v_mov_b32_e32 v4, v3
	v_not_b32_e32 v3, v5
	v_cmp_gt_i64_e32 vcc, 0, v[4:5]
	v_ashrrev_i32_e32 v3, 31, v3
	ds_read_b32 v26, v31 offset:64
	v_xor_b32_e32 v4, vcc_hi, v3
	v_xor_b32_e32 v5, vcc_lo, v3
	v_and_b32_e32 v3, v2, v4
	v_and_b32_e32 v2, v24, v5
	v_mbcnt_lo_u32_b32 v4, v2, 0
	v_mbcnt_hi_u32_b32 v28, v3, v4
	v_cmp_eq_u32_e32 vcc, 0, v28
	v_cmp_ne_u64_e64 s[4:5], 0, v[2:3]
	s_and_b64 s[6:7], s[4:5], vcc
	; wave barrier
	s_and_saveexec_b64 s[4:5], s[6:7]
	s_cbranch_execz .LBB337_29
; %bb.28:
	v_bcnt_u32_b32 v2, v2, 0
	v_bcnt_u32_b32 v2, v3, v2
	s_waitcnt lgkmcnt(0)
	v_add_u32_e32 v2, v26, v2
	ds_write_b32 v31, v2 offset:64
.LBB337_29:
	s_or_b64 exec, exec, s[4:5]
	v_xor_b32_e32 v13, 0x7fffffff, v6
	v_lshrrev_b32_e32 v2, s24, v13
	v_and_b32_e32 v24, s33, v2
	s_movk_i32 s6, 0x44
	v_mul_lo_u32 v2, v24, s6
	v_add_u32_e32 v6, v30, v2
	v_and_b32_e32 v2, 1, v24
	v_mov_b32_e32 v3, 0
	v_lshl_add_u64 v[4:5], v[2:3], 0, -1
	v_cmp_ne_u32_e32 vcc, 0, v2
	; wave barrier
	s_nop 1
	v_xor_b32_e32 v4, vcc_lo, v4
	v_xor_b32_e32 v2, vcc_hi, v5
	v_and_b32_e32 v32, exec_lo, v4
	v_lshlrev_b32_e32 v5, 30, v24
	v_mov_b32_e32 v4, v3
	v_cmp_gt_i64_e32 vcc, 0, v[4:5]
	v_not_b32_e32 v4, v5
	v_ashrrev_i32_e32 v4, 31, v4
	v_and_b32_e32 v2, exec_hi, v2
	v_xor_b32_e32 v5, vcc_hi, v4
	v_xor_b32_e32 v4, vcc_lo, v4
	v_and_b32_e32 v2, v2, v5
	v_and_b32_e32 v32, v32, v4
	v_lshlrev_b32_e32 v5, 29, v24
	v_mov_b32_e32 v4, v3
	v_cmp_gt_i64_e32 vcc, 0, v[4:5]
	v_not_b32_e32 v4, v5
	v_ashrrev_i32_e32 v4, 31, v4
	v_xor_b32_e32 v5, vcc_hi, v4
	v_xor_b32_e32 v4, vcc_lo, v4
	v_and_b32_e32 v2, v2, v5
	v_and_b32_e32 v32, v32, v4
	v_lshlrev_b32_e32 v5, 28, v24
	v_mov_b32_e32 v4, v3
	v_cmp_gt_i64_e32 vcc, 0, v[4:5]
	v_not_b32_e32 v4, v5
	v_ashrrev_i32_e32 v4, 31, v4
	v_xor_b32_e32 v5, vcc_hi, v4
	v_xor_b32_e32 v4, vcc_lo, v4
	v_and_b32_e32 v2, v2, v5
	v_and_b32_e32 v32, v32, v4
	v_lshlrev_b32_e32 v5, 27, v24
	v_mov_b32_e32 v4, v3
	v_cmp_gt_i64_e32 vcc, 0, v[4:5]
	v_not_b32_e32 v4, v5
	v_ashrrev_i32_e32 v4, 31, v4
	v_xor_b32_e32 v5, vcc_hi, v4
	v_xor_b32_e32 v4, vcc_lo, v4
	v_and_b32_e32 v2, v2, v5
	v_and_b32_e32 v32, v32, v4
	v_lshlrev_b32_e32 v5, 26, v24
	v_mov_b32_e32 v4, v3
	v_cmp_gt_i64_e32 vcc, 0, v[4:5]
	v_not_b32_e32 v4, v5
	v_ashrrev_i32_e32 v4, 31, v4
	v_xor_b32_e32 v5, vcc_hi, v4
	v_xor_b32_e32 v4, vcc_lo, v4
	v_and_b32_e32 v2, v2, v5
	v_and_b32_e32 v32, v32, v4
	v_lshlrev_b32_e32 v5, 25, v24
	v_mov_b32_e32 v4, v3
	v_cmp_gt_i64_e32 vcc, 0, v[4:5]
	v_not_b32_e32 v4, v5
	v_ashrrev_i32_e32 v4, 31, v4
	v_xor_b32_e32 v5, vcc_hi, v4
	v_xor_b32_e32 v4, vcc_lo, v4
	v_and_b32_e32 v2, v2, v5
	v_and_b32_e32 v32, v32, v4
	v_lshlrev_b32_e32 v5, 24, v24
	v_mov_b32_e32 v4, v3
	v_cmp_gt_i64_e32 vcc, 0, v[4:5]
	v_not_b32_e32 v4, v5
	v_ashrrev_i32_e32 v4, 31, v4
	v_xor_b32_e32 v5, vcc_hi, v4
	v_xor_b32_e32 v4, vcc_lo, v4
	ds_read_b32 v29, v6 offset:64
	v_and_b32_e32 v4, v32, v4
	v_and_b32_e32 v5, v2, v5
	v_mbcnt_lo_u32_b32 v2, v4, 0
	v_mbcnt_hi_u32_b32 v32, v5, v2
	v_cmp_eq_u32_e32 vcc, 0, v32
	v_cmp_ne_u64_e64 s[4:5], 0, v[4:5]
	s_and_b64 s[8:9], s[4:5], vcc
	; wave barrier
	s_and_saveexec_b64 s[4:5], s[8:9]
	s_cbranch_execz .LBB337_31
; %bb.30:
	v_bcnt_u32_b32 v2, v4, 0
	v_bcnt_u32_b32 v2, v5, v2
	s_waitcnt lgkmcnt(0)
	v_add_u32_e32 v2, v29, v2
	ds_write_b32 v6, v2 offset:64
.LBB337_31:
	s_or_b64 exec, exec, s[4:5]
	v_xor_b32_e32 v24, 0x7fffffff, v7
	v_lshrrev_b32_e32 v2, s24, v24
	v_and_b32_e32 v34, s33, v2
	v_mul_lo_u32 v2, v34, s6
	v_add_u32_e32 v7, v30, v2
	v_and_b32_e32 v2, 1, v34
	v_lshl_add_u64 v[4:5], v[2:3], 0, -1
	v_cmp_ne_u32_e32 vcc, 0, v2
	; wave barrier
	s_nop 1
	v_xor_b32_e32 v4, vcc_lo, v4
	v_xor_b32_e32 v2, vcc_hi, v5
	v_and_b32_e32 v35, exec_lo, v4
	v_lshlrev_b32_e32 v5, 30, v34
	v_mov_b32_e32 v4, v3
	v_cmp_gt_i64_e32 vcc, 0, v[4:5]
	v_not_b32_e32 v4, v5
	v_ashrrev_i32_e32 v4, 31, v4
	v_and_b32_e32 v2, exec_hi, v2
	v_xor_b32_e32 v5, vcc_hi, v4
	v_xor_b32_e32 v4, vcc_lo, v4
	v_and_b32_e32 v2, v2, v5
	v_and_b32_e32 v35, v35, v4
	v_lshlrev_b32_e32 v5, 29, v34
	v_mov_b32_e32 v4, v3
	v_cmp_gt_i64_e32 vcc, 0, v[4:5]
	v_not_b32_e32 v4, v5
	v_ashrrev_i32_e32 v4, 31, v4
	v_xor_b32_e32 v5, vcc_hi, v4
	v_xor_b32_e32 v4, vcc_lo, v4
	v_and_b32_e32 v2, v2, v5
	v_and_b32_e32 v35, v35, v4
	v_lshlrev_b32_e32 v5, 28, v34
	v_mov_b32_e32 v4, v3
	v_cmp_gt_i64_e32 vcc, 0, v[4:5]
	v_not_b32_e32 v4, v5
	v_ashrrev_i32_e32 v4, 31, v4
	;; [unrolled: 9-line block ×5, first 2 shown]
	v_xor_b32_e32 v5, vcc_hi, v4
	v_xor_b32_e32 v4, vcc_lo, v4
	v_and_b32_e32 v2, v2, v5
	v_lshlrev_b32_e32 v5, 24, v34
	v_and_b32_e32 v35, v35, v4
	v_mov_b32_e32 v4, v3
	v_not_b32_e32 v3, v5
	v_cmp_gt_i64_e32 vcc, 0, v[4:5]
	v_ashrrev_i32_e32 v3, 31, v3
	ds_read_b32 v33, v7 offset:64
	v_xor_b32_e32 v4, vcc_hi, v3
	v_xor_b32_e32 v5, vcc_lo, v3
	v_and_b32_e32 v3, v2, v4
	v_and_b32_e32 v2, v35, v5
	v_mbcnt_lo_u32_b32 v4, v2, 0
	v_mbcnt_hi_u32_b32 v34, v3, v4
	v_cmp_eq_u32_e32 vcc, 0, v34
	v_cmp_ne_u64_e64 s[4:5], 0, v[2:3]
	s_and_b64 s[6:7], s[4:5], vcc
	; wave barrier
	s_and_saveexec_b64 s[4:5], s[6:7]
	s_cbranch_execz .LBB337_33
; %bb.32:
	v_bcnt_u32_b32 v2, v2, 0
	v_bcnt_u32_b32 v2, v3, v2
	s_waitcnt lgkmcnt(0)
	v_add_u32_e32 v2, v33, v2
	ds_write_b32 v7, v2 offset:64
.LBB337_33:
	s_or_b64 exec, exec, s[4:5]
	v_xor_b32_e32 v8, 0x7fffffff, v8
	v_lshrrev_b32_e32 v2, s24, v8
	v_and_b32_e32 v36, s33, v2
	s_movk_i32 s6, 0x44
	v_mul_lo_u32 v2, v36, s6
	v_add_u32_e32 v37, v30, v2
	v_and_b32_e32 v2, 1, v36
	v_mov_b32_e32 v3, 0
	v_lshl_add_u64 v[4:5], v[2:3], 0, -1
	v_cmp_ne_u32_e32 vcc, 0, v2
	; wave barrier
	s_nop 1
	v_xor_b32_e32 v4, vcc_lo, v4
	v_xor_b32_e32 v2, vcc_hi, v5
	v_and_b32_e32 v38, exec_lo, v4
	v_lshlrev_b32_e32 v5, 30, v36
	v_mov_b32_e32 v4, v3
	v_cmp_gt_i64_e32 vcc, 0, v[4:5]
	v_not_b32_e32 v4, v5
	v_ashrrev_i32_e32 v4, 31, v4
	v_and_b32_e32 v2, exec_hi, v2
	v_xor_b32_e32 v5, vcc_hi, v4
	v_xor_b32_e32 v4, vcc_lo, v4
	v_and_b32_e32 v2, v2, v5
	v_and_b32_e32 v38, v38, v4
	v_lshlrev_b32_e32 v5, 29, v36
	v_mov_b32_e32 v4, v3
	v_cmp_gt_i64_e32 vcc, 0, v[4:5]
	v_not_b32_e32 v4, v5
	v_ashrrev_i32_e32 v4, 31, v4
	v_xor_b32_e32 v5, vcc_hi, v4
	v_xor_b32_e32 v4, vcc_lo, v4
	v_and_b32_e32 v2, v2, v5
	v_and_b32_e32 v38, v38, v4
	v_lshlrev_b32_e32 v5, 28, v36
	v_mov_b32_e32 v4, v3
	v_cmp_gt_i64_e32 vcc, 0, v[4:5]
	v_not_b32_e32 v4, v5
	v_ashrrev_i32_e32 v4, 31, v4
	;; [unrolled: 9-line block ×6, first 2 shown]
	v_xor_b32_e32 v5, vcc_hi, v4
	v_xor_b32_e32 v4, vcc_lo, v4
	ds_read_b32 v35, v37 offset:64
	v_and_b32_e32 v4, v38, v4
	v_and_b32_e32 v5, v2, v5
	v_mbcnt_lo_u32_b32 v2, v4, 0
	v_mbcnt_hi_u32_b32 v36, v5, v2
	v_cmp_eq_u32_e32 vcc, 0, v36
	v_cmp_ne_u64_e64 s[4:5], 0, v[4:5]
	s_and_b64 s[8:9], s[4:5], vcc
	; wave barrier
	s_and_saveexec_b64 s[4:5], s[8:9]
	s_cbranch_execz .LBB337_35
; %bb.34:
	v_bcnt_u32_b32 v2, v4, 0
	v_bcnt_u32_b32 v2, v5, v2
	s_waitcnt lgkmcnt(0)
	v_add_u32_e32 v2, v35, v2
	ds_write_b32 v37, v2 offset:64
.LBB337_35:
	s_or_b64 exec, exec, s[4:5]
	v_xor_b32_e32 v9, 0x7fffffff, v9
	v_lshrrev_b32_e32 v2, s24, v9
	v_and_b32_e32 v38, s33, v2
	v_mul_lo_u32 v2, v38, s6
	v_add_u32_e32 v39, v30, v2
	v_and_b32_e32 v2, 1, v38
	v_lshl_add_u64 v[4:5], v[2:3], 0, -1
	v_cmp_ne_u32_e32 vcc, 0, v2
	; wave barrier
	s_nop 1
	v_xor_b32_e32 v4, vcc_lo, v4
	v_xor_b32_e32 v2, vcc_hi, v5
	v_and_b32_e32 v40, exec_lo, v4
	v_lshlrev_b32_e32 v5, 30, v38
	v_mov_b32_e32 v4, v3
	v_cmp_gt_i64_e32 vcc, 0, v[4:5]
	v_not_b32_e32 v4, v5
	v_ashrrev_i32_e32 v4, 31, v4
	v_and_b32_e32 v2, exec_hi, v2
	v_xor_b32_e32 v5, vcc_hi, v4
	v_xor_b32_e32 v4, vcc_lo, v4
	v_and_b32_e32 v2, v2, v5
	v_and_b32_e32 v40, v40, v4
	v_lshlrev_b32_e32 v5, 29, v38
	v_mov_b32_e32 v4, v3
	v_cmp_gt_i64_e32 vcc, 0, v[4:5]
	v_not_b32_e32 v4, v5
	v_ashrrev_i32_e32 v4, 31, v4
	v_xor_b32_e32 v5, vcc_hi, v4
	v_xor_b32_e32 v4, vcc_lo, v4
	v_and_b32_e32 v2, v2, v5
	v_and_b32_e32 v40, v40, v4
	v_lshlrev_b32_e32 v5, 28, v38
	v_mov_b32_e32 v4, v3
	v_cmp_gt_i64_e32 vcc, 0, v[4:5]
	v_not_b32_e32 v4, v5
	v_ashrrev_i32_e32 v4, 31, v4
	;; [unrolled: 9-line block ×5, first 2 shown]
	v_xor_b32_e32 v5, vcc_hi, v4
	v_xor_b32_e32 v4, vcc_lo, v4
	v_and_b32_e32 v2, v2, v5
	v_lshlrev_b32_e32 v5, 24, v38
	v_and_b32_e32 v40, v40, v4
	v_mov_b32_e32 v4, v3
	v_not_b32_e32 v3, v5
	v_cmp_gt_i64_e32 vcc, 0, v[4:5]
	v_ashrrev_i32_e32 v3, 31, v3
	ds_read_b32 v30, v39 offset:64
	v_xor_b32_e32 v4, vcc_hi, v3
	v_xor_b32_e32 v5, vcc_lo, v3
	v_and_b32_e32 v3, v2, v4
	v_and_b32_e32 v2, v40, v5
	v_mbcnt_lo_u32_b32 v4, v2, 0
	v_mbcnt_hi_u32_b32 v38, v3, v4
	v_cmp_eq_u32_e32 vcc, 0, v38
	v_cmp_ne_u64_e64 s[4:5], 0, v[2:3]
	s_and_b64 s[6:7], s[4:5], vcc
	; wave barrier
	s_and_saveexec_b64 s[4:5], s[6:7]
	s_cbranch_execz .LBB337_37
; %bb.36:
	v_bcnt_u32_b32 v2, v2, 0
	v_bcnt_u32_b32 v2, v3, v2
	s_waitcnt lgkmcnt(0)
	v_add_u32_e32 v2, v30, v2
	ds_write_b32 v39, v2 offset:64
.LBB337_37:
	s_or_b64 exec, exec, s[4:5]
	; wave barrier
	s_waitcnt lgkmcnt(0)
	s_barrier
	ds_read2_b32 v[4:5], v17 offset0:16 offset1:17
	ds_read2_b32 v[2:3], v17 offset0:18 offset1:19
	ds_read_b32 v40, v17 offset:80
	v_cmp_lt_u32_e64 s[12:13], 31, v16
	s_waitcnt lgkmcnt(1)
	v_add3_u32 v41, v5, v4, v2
	s_waitcnt lgkmcnt(0)
	v_add3_u32 v40, v41, v3, v40
	v_and_b32_e32 v41, 15, v16
	v_cmp_eq_u32_e32 vcc, 0, v41
	v_mov_b32_dpp v42, v40 row_shr:1 row_mask:0xf bank_mask:0xf
	v_cmp_lt_u32_e64 s[4:5], 1, v41
	v_cndmask_b32_e64 v42, v42, 0, vcc
	v_add_u32_e32 v40, v42, v40
	v_cmp_lt_u32_e64 s[6:7], 3, v41
	v_cmp_lt_u32_e64 s[8:9], 7, v41
	v_mov_b32_dpp v42, v40 row_shr:2 row_mask:0xf bank_mask:0xf
	v_cndmask_b32_e64 v42, 0, v42, s[4:5]
	v_add_u32_e32 v40, v40, v42
	s_nop 1
	v_mov_b32_dpp v42, v40 row_shr:4 row_mask:0xf bank_mask:0xf
	v_cndmask_b32_e64 v42, 0, v42, s[6:7]
	v_add_u32_e32 v40, v40, v42
	s_nop 1
	v_mov_b32_dpp v42, v40 row_shr:8 row_mask:0xf bank_mask:0xf
	v_cndmask_b32_e64 v41, 0, v42, s[8:9]
	v_add_u32_e32 v40, v40, v41
	v_bfe_i32 v42, v16, 4, 1
	s_nop 0
	v_mov_b32_dpp v41, v40 row_bcast:15 row_mask:0xf bank_mask:0xf
	v_and_b32_e32 v41, v42, v41
	v_add_u32_e32 v40, v40, v41
	v_and_b32_e32 v42, 63, v10
	s_nop 0
	v_mov_b32_dpp v41, v40 row_bcast:31 row_mask:0xf bank_mask:0xf
	v_cndmask_b32_e64 v41, 0, v41, s[12:13]
	v_add_u32_e32 v40, v40, v41
	v_lshrrev_b32_e32 v41, 6, v10
	v_cmp_eq_u32_e64 s[12:13], 63, v42
	s_and_saveexec_b64 s[14:15], s[12:13]
; %bb.38:
	v_lshlrev_b32_e32 v42, 2, v41
	ds_write_b32 v42, v40
; %bb.39:
	s_or_b64 exec, exec, s[14:15]
	v_cmp_gt_u32_e64 s[12:13], 16, v10
	s_waitcnt lgkmcnt(0)
	s_barrier
	s_and_saveexec_b64 s[14:15], s[12:13]
	s_cbranch_execz .LBB337_41
; %bb.40:
	v_lshlrev_b32_e32 v42, 2, v10
	ds_read_b32 v43, v42
	s_waitcnt lgkmcnt(0)
	s_nop 0
	v_mov_b32_dpp v44, v43 row_shr:1 row_mask:0xf bank_mask:0xf
	v_cndmask_b32_e64 v44, v44, 0, vcc
	v_add_u32_e32 v43, v44, v43
	s_nop 1
	v_mov_b32_dpp v44, v43 row_shr:2 row_mask:0xf bank_mask:0xf
	v_cndmask_b32_e64 v44, 0, v44, s[4:5]
	v_add_u32_e32 v43, v43, v44
	s_nop 1
	v_mov_b32_dpp v44, v43 row_shr:4 row_mask:0xf bank_mask:0xf
	v_cndmask_b32_e64 v44, 0, v44, s[6:7]
	;; [unrolled: 4-line block ×3, first 2 shown]
	v_add_u32_e32 v43, v43, v44
	ds_write_b32 v42, v43
.LBB337_41:
	s_or_b64 exec, exec, s[14:15]
	v_cmp_lt_u32_e32 vcc, 63, v10
	v_mov_b32_e32 v42, 0
	s_waitcnt lgkmcnt(0)
	s_barrier
	s_and_saveexec_b64 s[4:5], vcc
; %bb.42:
	v_lshl_add_u32 v41, v41, 2, -4
	ds_read_b32 v42, v41
; %bb.43:
	s_or_b64 exec, exec, s[4:5]
	v_subrev_co_u32_e32 v41, vcc, 1, v16
	v_and_b32_e32 v43, 64, v16
	v_cmp_lt_i32_e64 s[4:5], v41, v43
	s_waitcnt lgkmcnt(0)
	v_add_u32_e32 v40, v42, v40
	s_movk_i32 s6, 0x100
	v_cndmask_b32_e64 v16, v41, v16, s[4:5]
	v_lshlrev_b32_e32 v16, 2, v16
	ds_bpermute_b32 v16, v16, v40
	s_movk_i32 s4, 0xff
	v_cmp_lt_u32_e64 s[4:5], s4, v10
	s_waitcnt lgkmcnt(0)
	v_cndmask_b32_e32 v16, v16, v42, vcc
	v_cndmask_b32_e64 v16, v16, 0, s[10:11]
	v_add_u32_e32 v4, v16, v4
	v_add_u32_e32 v5, v4, v5
	;; [unrolled: 1-line block ×4, first 2 shown]
	ds_write2_b32 v17, v16, v4 offset0:16 offset1:17
	ds_write2_b32 v17, v5, v2 offset0:18 offset1:19
	ds_write_b32 v17, v3 offset:80
	s_waitcnt lgkmcnt(0)
	s_barrier
	ds_read_b32 v40, v22 offset:64
	ds_read_b32 v23, v23 offset:64
	;; [unrolled: 1-line block ×8, first 2 shown]
	v_cmp_gt_u32_e32 vcc, s6, v10
                                        ; implicit-def: $vgpr16
                                        ; implicit-def: $vgpr17
	s_and_saveexec_b64 s[8:9], vcc
	s_cbranch_execz .LBB337_47
; %bb.44:
	v_mul_u32_u24_e32 v2, 0x44, v10
	ds_read_b32 v16, v2 offset:64
	v_add_u32_e32 v3, 1, v10
	v_cmp_ne_u32_e64 s[6:7], s6, v3
	v_mov_b32_e32 v2, 0x2000
	s_and_saveexec_b64 s[12:13], s[6:7]
; %bb.45:
	v_mul_u32_u24_e32 v2, 0x44, v3
	ds_read_b32 v2, v2 offset:64
; %bb.46:
	s_or_b64 exec, exec, s[12:13]
	s_waitcnt lgkmcnt(0)
	v_sub_u32_e32 v17, v2, v16
.LBB337_47:
	s_or_b64 exec, exec, s[8:9]
	v_mov_b32_e32 v3, 0
	v_lshlrev_b32_e32 v22, 2, v10
	s_waitcnt lgkmcnt(0)
	s_barrier
	s_and_saveexec_b64 s[6:7], vcc
	s_cbranch_execz .LBB337_57
; %bb.48:
	v_lshl_add_u32 v2, s27, 8, v10
	v_lshl_add_u64 v[4:5], v[2:3], 2, s[18:19]
	v_or_b32_e32 v2, 2.0, v17
	s_mov_b64 s[8:9], 0
	s_brev_b32 s16, -4
	s_mov_b32 s17, s27
	v_mov_b32_e32 v43, 0
	global_store_dword v[4:5], v2, off sc1
                                        ; implicit-def: $sgpr12_sgpr13
	s_branch .LBB337_51
.LBB337_49:                             ;   in Loop: Header=BB337_51 Depth=1
	s_or_b64 exec, exec, s[14:15]
.LBB337_50:                             ;   in Loop: Header=BB337_51 Depth=1
	s_or_b64 exec, exec, s[12:13]
	v_and_b32_e32 v6, 0x3fffffff, v2
	v_add_u32_e32 v43, v6, v43
	v_cmp_gt_i32_e64 s[12:13], -2.0, v2
	s_and_b64 s[14:15], exec, s[12:13]
	s_or_b64 s[8:9], s[14:15], s[8:9]
	s_andn2_b64 exec, exec, s[8:9]
	s_cbranch_execz .LBB337_56
.LBB337_51:                             ; =>This Loop Header: Depth=1
                                        ;     Child Loop BB337_54 Depth 2
	s_or_b64 s[12:13], s[12:13], exec
	s_cmp_eq_u32 s17, 0
	s_cbranch_scc1 .LBB337_55
; %bb.52:                               ;   in Loop: Header=BB337_51 Depth=1
	s_add_i32 s17, s17, -1
	v_lshl_or_b32 v2, s17, 8, v10
	v_lshl_add_u64 v[6:7], v[2:3], 2, s[18:19]
	global_load_dword v2, v[6:7], off sc1
	s_waitcnt vmcnt(0)
	v_cmp_gt_u32_e32 vcc, 2.0, v2
	s_and_saveexec_b64 s[12:13], vcc
	s_cbranch_execz .LBB337_50
; %bb.53:                               ;   in Loop: Header=BB337_51 Depth=1
	s_mov_b64 s[14:15], 0
.LBB337_54:                             ;   Parent Loop BB337_51 Depth=1
                                        ; =>  This Inner Loop Header: Depth=2
	global_load_dword v2, v[6:7], off sc1
	s_waitcnt vmcnt(0)
	v_cmp_lt_u32_e32 vcc, s16, v2
	s_or_b64 s[14:15], vcc, s[14:15]
	s_andn2_b64 exec, exec, s[14:15]
	s_cbranch_execnz .LBB337_54
	s_branch .LBB337_49
.LBB337_55:                             ;   in Loop: Header=BB337_51 Depth=1
                                        ; implicit-def: $sgpr17
	s_and_b64 s[14:15], exec, s[12:13]
	s_or_b64 s[8:9], s[14:15], s[8:9]
	s_andn2_b64 exec, exec, s[8:9]
	s_cbranch_execnz .LBB337_51
.LBB337_56:
	s_or_b64 exec, exec, s[8:9]
	v_add_u32_e32 v2, v43, v17
	v_or_b32_e32 v2, 0x80000000, v2
	global_store_dword v[4:5], v2, off sc1
	global_load_dword v2, v22, s[20:21]
	v_sub_u32_e32 v3, v43, v16
	s_waitcnt vmcnt(0)
	v_add_u32_e32 v2, v3, v2
	ds_write_b32 v22, v2
.LBB337_57:
	s_or_b64 exec, exec, s[6:7]
	v_add_u32_e32 v4, v40, v18
	v_add3_u32 v5, v20, v19, v23
	v_add3_u32 v6, v25, v21, v27
	;; [unrolled: 1-line block ×7, first 2 shown]
	v_lshlrev_b32_e32 v23, 2, v21
	v_lshlrev_b32_e32 v25, 2, v20
	;; [unrolled: 1-line block ×8, first 2 shown]
	s_mov_b64 s[6:7], -1
	s_mov_b32 s12, 0
	v_mov_b32_e32 v3, 0
	s_movk_i32 s13, 0x400
	s_movk_i32 s14, 0x800
	s_movk_i32 s15, 0xc00
	v_mov_b32_e32 v32, v10
	s_branch .LBB337_59
.LBB337_58:                             ;   in Loop: Header=BB337_59 Depth=1
	s_or_b64 exec, exec, s[8:9]
	s_xor_b64 s[8:9], s[6:7], -1
	s_addk_i32 s12, 0xc000
	v_add_u32_e32 v32, 0x1000, v32
	s_mov_b64 s[6:7], 0
	s_and_b64 vcc, exec, s[8:9]
	s_barrier
	s_cbranch_vccnz .LBB337_83
.LBB337_59:                             ; =>This Inner Loop Header: Depth=1
	v_subrev_co_u32_e32 v4, vcc, 0x1000, v4
	s_and_saveexec_b64 s[8:9], vcc
	s_cbranch_execz .LBB337_67
; %bb.60:                               ;   in Loop: Header=BB337_59 Depth=1
	v_add_u32_e32 v2, s12, v31
	ds_write_b32 v2, v11 offset:1024
	s_or_b64 exec, exec, s[8:9]
	v_subrev_co_u32_e32 v5, vcc, 0x1000, v5
	s_and_saveexec_b64 s[8:9], vcc
	s_cbranch_execnz .LBB337_68
.LBB337_61:                             ;   in Loop: Header=BB337_59 Depth=1
	s_or_b64 exec, exec, s[8:9]
	v_subrev_co_u32_e32 v6, vcc, 0x1000, v6
	s_and_saveexec_b64 s[8:9], vcc
	s_cbranch_execz .LBB337_69
.LBB337_62:                             ;   in Loop: Header=BB337_59 Depth=1
	v_add_u32_e32 v2, s12, v29
	ds_write_b32 v2, v15 offset:1024
	s_or_b64 exec, exec, s[8:9]
	v_subrev_co_u32_e32 v7, vcc, 0x1000, v7
	s_and_saveexec_b64 s[8:9], vcc
	s_cbranch_execnz .LBB337_70
.LBB337_63:                             ;   in Loop: Header=BB337_59 Depth=1
	s_or_b64 exec, exec, s[8:9]
	v_subrev_co_u32_e32 v18, vcc, 0x1000, v18
	s_and_saveexec_b64 s[8:9], vcc
	s_cbranch_execz .LBB337_71
.LBB337_64:                             ;   in Loop: Header=BB337_59 Depth=1
	v_add_u32_e32 v2, s12, v27
	ds_write_b32 v2, v13 offset:1024
	s_or_b64 exec, exec, s[8:9]
	v_subrev_co_u32_e32 v19, vcc, 0x1000, v19
	s_and_saveexec_b64 s[8:9], vcc
	s_cbranch_execnz .LBB337_72
.LBB337_65:                             ;   in Loop: Header=BB337_59 Depth=1
	s_or_b64 exec, exec, s[8:9]
	v_subrev_co_u32_e32 v20, vcc, 0x1000, v20
	s_and_saveexec_b64 s[8:9], vcc
	s_cbranch_execz .LBB337_73
.LBB337_66:                             ;   in Loop: Header=BB337_59 Depth=1
	v_add_u32_e32 v2, s12, v25
	ds_write_b32 v2, v8 offset:1024
	s_or_b64 exec, exec, s[8:9]
	v_subrev_co_u32_e32 v21, vcc, 0x1000, v21
	s_and_saveexec_b64 s[8:9], vcc
	s_cbranch_execnz .LBB337_74
	s_branch .LBB337_75
.LBB337_67:                             ;   in Loop: Header=BB337_59 Depth=1
	s_or_b64 exec, exec, s[8:9]
	v_subrev_co_u32_e32 v5, vcc, 0x1000, v5
	s_and_saveexec_b64 s[8:9], vcc
	s_cbranch_execz .LBB337_61
.LBB337_68:                             ;   in Loop: Header=BB337_59 Depth=1
	v_add_u32_e32 v2, s12, v30
	ds_write_b32 v2, v14 offset:1024
	s_or_b64 exec, exec, s[8:9]
	v_subrev_co_u32_e32 v6, vcc, 0x1000, v6
	s_and_saveexec_b64 s[8:9], vcc
	s_cbranch_execnz .LBB337_62
.LBB337_69:                             ;   in Loop: Header=BB337_59 Depth=1
	s_or_b64 exec, exec, s[8:9]
	v_subrev_co_u32_e32 v7, vcc, 0x1000, v7
	s_and_saveexec_b64 s[8:9], vcc
	s_cbranch_execz .LBB337_63
.LBB337_70:                             ;   in Loop: Header=BB337_59 Depth=1
	v_add_u32_e32 v2, s12, v28
	ds_write_b32 v2, v12 offset:1024
	s_or_b64 exec, exec, s[8:9]
	v_subrev_co_u32_e32 v18, vcc, 0x1000, v18
	s_and_saveexec_b64 s[8:9], vcc
	s_cbranch_execnz .LBB337_64
.LBB337_71:                             ;   in Loop: Header=BB337_59 Depth=1
	s_or_b64 exec, exec, s[8:9]
	v_subrev_co_u32_e32 v19, vcc, 0x1000, v19
	s_and_saveexec_b64 s[8:9], vcc
	s_cbranch_execz .LBB337_65
.LBB337_72:                             ;   in Loop: Header=BB337_59 Depth=1
	v_add_u32_e32 v2, s12, v26
	ds_write_b32 v2, v24 offset:1024
	s_or_b64 exec, exec, s[8:9]
	v_subrev_co_u32_e32 v20, vcc, 0x1000, v20
	s_and_saveexec_b64 s[8:9], vcc
	s_cbranch_execnz .LBB337_66
.LBB337_73:                             ;   in Loop: Header=BB337_59 Depth=1
	s_or_b64 exec, exec, s[8:9]
	v_subrev_co_u32_e32 v21, vcc, 0x1000, v21
	s_and_saveexec_b64 s[8:9], vcc
.LBB337_74:                             ;   in Loop: Header=BB337_59 Depth=1
	v_add_u32_e32 v2, s12, v23
	ds_write_b32 v2, v9 offset:1024
.LBB337_75:                             ;   in Loop: Header=BB337_59 Depth=1
	s_or_b64 exec, exec, s[8:9]
	v_cmp_gt_u32_e32 vcc, s3, v32
	s_waitcnt lgkmcnt(0)
	s_barrier
	s_and_saveexec_b64 s[8:9], vcc
	s_cbranch_execz .LBB337_77
; %bb.76:                               ;   in Loop: Header=BB337_59 Depth=1
	ds_read_b32 v2, v22 offset:1024
	s_waitcnt lgkmcnt(0)
	v_lshrrev_b32_e32 v33, s24, v2
	v_and_b32_e32 v33, s33, v33
	v_lshlrev_b32_e32 v33, 2, v33
	ds_read_b32 v33, v33
	v_xor_b32_e32 v36, 0x7fffffff, v2
	s_waitcnt lgkmcnt(0)
	v_add_u32_e32 v2, v32, v33
	v_lshl_add_u64 v[34:35], v[2:3], 2, s[30:31]
	global_store_dword v[34:35], v36, off
.LBB337_77:                             ;   in Loop: Header=BB337_59 Depth=1
	s_or_b64 exec, exec, s[8:9]
	v_add_u32_e32 v2, 0x400, v32
	v_cmp_gt_u32_e32 vcc, s3, v2
	s_and_saveexec_b64 s[8:9], vcc
	s_cbranch_execz .LBB337_79
; %bb.78:                               ;   in Loop: Header=BB337_59 Depth=1
	ds_read_b32 v2, v22 offset:5120
	s_waitcnt lgkmcnt(0)
	v_lshrrev_b32_e32 v33, s24, v2
	v_and_b32_e32 v33, s33, v33
	v_lshlrev_b32_e32 v33, 2, v33
	ds_read_b32 v33, v33
	v_xor_b32_e32 v36, 0x7fffffff, v2
	s_waitcnt lgkmcnt(0)
	v_add3_u32 v2, v32, v33, s13
	v_lshl_add_u64 v[34:35], v[2:3], 2, s[30:31]
	global_store_dword v[34:35], v36, off
.LBB337_79:                             ;   in Loop: Header=BB337_59 Depth=1
	s_or_b64 exec, exec, s[8:9]
	v_add_u32_e32 v2, 0x800, v32
	v_cmp_gt_u32_e32 vcc, s3, v2
	s_and_saveexec_b64 s[8:9], vcc
	s_cbranch_execz .LBB337_81
; %bb.80:                               ;   in Loop: Header=BB337_59 Depth=1
	ds_read_b32 v2, v22 offset:9216
	s_waitcnt lgkmcnt(0)
	v_lshrrev_b32_e32 v33, s24, v2
	v_and_b32_e32 v33, s33, v33
	v_lshlrev_b32_e32 v33, 2, v33
	ds_read_b32 v33, v33
	v_xor_b32_e32 v36, 0x7fffffff, v2
	s_waitcnt lgkmcnt(0)
	v_add3_u32 v2, v32, v33, s14
	v_lshl_add_u64 v[34:35], v[2:3], 2, s[30:31]
	global_store_dword v[34:35], v36, off
.LBB337_81:                             ;   in Loop: Header=BB337_59 Depth=1
	s_or_b64 exec, exec, s[8:9]
	v_add_u32_e32 v2, 0xc00, v32
	v_cmp_gt_u32_e32 vcc, s3, v2
	s_and_saveexec_b64 s[8:9], vcc
	s_cbranch_execz .LBB337_58
; %bb.82:                               ;   in Loop: Header=BB337_59 Depth=1
	ds_read_b32 v2, v22 offset:13312
	s_waitcnt lgkmcnt(0)
	v_lshrrev_b32_e32 v33, s24, v2
	v_and_b32_e32 v33, s33, v33
	v_lshlrev_b32_e32 v33, 2, v33
	ds_read_b32 v33, v33
	v_xor_b32_e32 v36, 0x7fffffff, v2
	s_waitcnt lgkmcnt(0)
	v_add3_u32 v2, v32, v33, s15
	v_lshl_add_u64 v[34:35], v[2:3], 2, s[30:31]
	global_store_dword v[34:35], v36, off
	s_branch .LBB337_58
.LBB337_83:
	s_add_i32 s26, s26, -1
	s_cmp_eq_u32 s27, s26
	s_cselect_b64 s[6:7], -1, 0
	s_xor_b64 s[4:5], s[4:5], -1
	s_and_b64 s[6:7], s[4:5], s[6:7]
	s_and_saveexec_b64 s[4:5], s[6:7]
	s_cbranch_execz .LBB337_85
; %bb.84:
	ds_read_b32 v2, v22
	s_waitcnt lgkmcnt(0)
	v_add3_u32 v2, v16, v17, v2
	global_store_dword v22, v2, s[22:23]
.LBB337_85:
	s_or_b64 exec, exec, s[4:5]
	s_mov_b64 s[4:5], 0
.LBB337_86:
	s_and_b64 vcc, exec, s[4:5]
	s_cbranch_vccz .LBB337_143
; %bb.87:
	s_lshl_b32 s4, s27, 13
	s_mov_b32 s5, 0
	s_lshl_b64 s[4:5], s[4:5], 2
	v_mbcnt_hi_u32_b32 v4, -1, v1
	s_add_u32 s4, s28, s4
	v_and_b32_e32 v1, 63, v4
	s_addc_u32 s5, s29, s5
	v_lshlrev_b32_e32 v2, 2, v1
	v_mov_b32_e32 v3, 0
	v_lshlrev_b32_e32 v1, 5, v10
	v_lshl_add_u64 v[6:7], s[4:5], 0, v[2:3]
	v_and_b32_e32 v2, 0x7800, v1
	v_lshl_add_u64 v[16:17], v[6:7], 0, v[2:3]
	global_load_dword v1, v[16:17], off
	s_load_dword s3, s[0:1], 0x64
	s_load_dword s12, s[0:1], 0x58
	s_add_u32 s0, s0, 0x58
	s_addc_u32 s1, s1, 0
	v_mul_u32_u24_e32 v5, 20, v10
	s_waitcnt lgkmcnt(0)
	s_lshr_b32 s3, s3, 16
	s_cmp_lt_u32 s2, s12
	s_cselect_b32 s2, 12, 18
	s_add_u32 s0, s0, s2
	s_addc_u32 s1, s1, 0
	global_load_ushort v9, v3, s[0:1]
	ds_write2_b32 v5, v3, v3 offset0:16 offset1:17
	ds_write2_b32 v5, v3, v3 offset0:18 offset1:19
	ds_write_b32 v5, v3 offset:80
	global_load_dword v7, v[16:17], off offset:256
	global_load_dword v8, v[16:17], off offset:512
	;; [unrolled: 1-line block ×7, first 2 shown]
	v_bfe_u32 v2, v0, 10, 10
	v_bfe_u32 v6, v0, 20, 10
	v_mad_u32_u24 v11, v6, s3, v2
	s_lshl_b32 s0, -1, s25
	v_mov_b32_e32 v0, v3
	s_not_b32 s13, s0
	v_mov_b32_e32 v18, v3
	v_mov_b32_e32 v24, v3
	;; [unrolled: 1-line block ×4, first 2 shown]
	s_movk_i32 s8, 0x44
	s_waitcnt lgkmcnt(0)
	s_barrier
	s_waitcnt vmcnt(8)
	; wave barrier
	v_xor_b32_e32 v6, 0x7fffffff, v1
	v_lshrrev_b32_e32 v1, s24, v6
	v_bitop3_b32 v13, v1, s0, v1 bitop3:0x30
	v_and_b32_e32 v2, 1, v13
	v_lshlrev_b32_e32 v1, 30, v13
	v_lshlrev_b32_e32 v19, 29, v13
	v_lshl_add_u64 v[32:33], v[2:3], 0, -1
	v_cmp_ne_u32_e32 vcc, 0, v2
	v_lshlrev_b32_e32 v25, 28, v13
	v_cmp_gt_i64_e64 s[2:3], 0, v[18:19]
	s_waitcnt vmcnt(7)
	v_mad_u64_u32 v[16:17], s[0:1], v11, v9, v[10:11]
	v_cmp_gt_i64_e64 s[0:1], 0, v[0:1]
	v_not_b32_e32 v0, v1
	v_not_b32_e32 v1, v19
	v_lshrrev_b32_e32 v11, 4, v16
	v_xor_b32_e32 v16, vcc_hi, v33
	v_xor_b32_e32 v17, vcc_lo, v32
	v_ashrrev_i32_e32 v0, 31, v0
	v_cmp_gt_i64_e64 s[4:5], 0, v[24:25]
	v_not_b32_e32 v2, v25
	v_ashrrev_i32_e32 v1, 31, v1
	v_and_b32_e32 v24, 0xffffffc, v11
	v_and_b32_e32 v11, exec_hi, v16
	v_and_b32_e32 v16, exec_lo, v17
	v_xor_b32_e32 v17, s1, v0
	v_xor_b32_e32 v0, s0, v0
	v_lshlrev_b32_e32 v29, 27, v13
	v_ashrrev_i32_e32 v2, 31, v2
	v_xor_b32_e32 v18, s3, v1
	v_xor_b32_e32 v1, s2, v1
	v_and_b32_e32 v0, v16, v0
	v_lshlrev_b32_e32 v31, 26, v13
	v_not_b32_e32 v9, v29
	v_xor_b32_e32 v19, s5, v2
	v_xor_b32_e32 v2, s4, v2
	v_and_b32_e32 v11, v11, v17
	v_and_b32_e32 v0, v0, v1
	v_cmp_gt_i64_e64 s[6:7], 0, v[28:29]
	v_ashrrev_i32_e32 v9, 31, v9
	v_and_b32_e32 v11, v11, v18
	v_and_b32_e32 v0, v0, v2
	v_not_b32_e32 v2, v31
	v_xor_b32_e32 v21, s7, v9
	v_xor_b32_e32 v9, s6, v9
	v_and_b32_e32 v1, v11, v19
	v_cmp_gt_i64_e32 vcc, 0, v[30:31]
	v_ashrrev_i32_e32 v2, 31, v2
	v_and_b32_e32 v1, v1, v21
	v_and_b32_e32 v0, v0, v9
	v_xor_b32_e32 v9, vcc_hi, v2
	v_xor_b32_e32 v2, vcc_lo, v2
	v_and_b32_e32 v9, v1, v9
	v_and_b32_e32 v2, v0, v2
	v_lshlrev_b32_e32 v1, 25, v13
	v_mov_b32_e32 v0, v3
	v_cmp_gt_i64_e32 vcc, 0, v[0:1]
	v_not_b32_e32 v0, v1
	v_ashrrev_i32_e32 v0, 31, v0
	v_xor_b32_e32 v1, vcc_hi, v0
	v_xor_b32_e32 v0, vcc_lo, v0
	v_and_b32_e32 v9, v9, v1
	v_and_b32_e32 v2, v2, v0
	v_lshlrev_b32_e32 v1, 24, v13
	v_mov_b32_e32 v0, v3
	v_cmp_gt_i64_e32 vcc, 0, v[0:1]
	v_not_b32_e32 v0, v1
	v_ashrrev_i32_e32 v0, 31, v0
	v_xor_b32_e32 v1, vcc_hi, v0
	v_xor_b32_e32 v0, vcc_lo, v0
	v_and_b32_e32 v0, v2, v0
	v_and_b32_e32 v1, v9, v1
	v_mbcnt_lo_u32_b32 v2, v0, 0
	v_mbcnt_hi_u32_b32 v9, v1, v2
	v_mul_lo_u32 v14, v13, s8
	v_cmp_eq_u32_e32 vcc, 0, v9
	v_cmp_ne_u64_e64 s[0:1], 0, v[0:1]
	s_and_b64 s[2:3], s[0:1], vcc
	v_add_u32_e32 v16, v24, v14
	s_and_saveexec_b64 s[0:1], s[2:3]
; %bb.88:
	v_bcnt_u32_b32 v0, v0, 0
	v_bcnt_u32_b32 v0, v1, v0
	ds_write_b32 v16, v0 offset:64
; %bb.89:
	s_or_b64 exec, exec, s[0:1]
	s_waitcnt vmcnt(6)
	v_xor_b32_e32 v7, 0x7fffffff, v7
	v_lshrrev_b32_e32 v0, s24, v7
	v_and_b32_e32 v13, s13, v0
	v_mul_lo_u32 v0, v13, s8
	v_and_b32_e32 v2, 1, v13
	v_add_u32_e32 v17, v24, v0
	v_lshl_add_u64 v[0:1], v[2:3], 0, -1
	v_cmp_ne_u32_e32 vcc, 0, v2
	; wave barrier
	s_nop 1
	v_xor_b32_e32 v1, vcc_hi, v1
	v_xor_b32_e32 v0, vcc_lo, v0
	v_and_b32_e32 v2, exec_hi, v1
	v_and_b32_e32 v14, exec_lo, v0
	v_lshlrev_b32_e32 v1, 30, v13
	v_mov_b32_e32 v0, v3
	v_cmp_gt_i64_e32 vcc, 0, v[0:1]
	v_not_b32_e32 v0, v1
	v_ashrrev_i32_e32 v0, 31, v0
	v_xor_b32_e32 v1, vcc_hi, v0
	v_xor_b32_e32 v0, vcc_lo, v0
	v_and_b32_e32 v2, v2, v1
	v_and_b32_e32 v14, v14, v0
	v_lshlrev_b32_e32 v1, 29, v13
	v_mov_b32_e32 v0, v3
	v_cmp_gt_i64_e32 vcc, 0, v[0:1]
	v_not_b32_e32 v0, v1
	v_ashrrev_i32_e32 v0, 31, v0
	v_xor_b32_e32 v1, vcc_hi, v0
	v_xor_b32_e32 v0, vcc_lo, v0
	v_and_b32_e32 v2, v2, v1
	v_and_b32_e32 v14, v14, v0
	v_lshlrev_b32_e32 v1, 28, v13
	v_mov_b32_e32 v0, v3
	v_cmp_gt_i64_e32 vcc, 0, v[0:1]
	v_not_b32_e32 v0, v1
	v_ashrrev_i32_e32 v0, 31, v0
	v_xor_b32_e32 v1, vcc_hi, v0
	v_xor_b32_e32 v0, vcc_lo, v0
	v_and_b32_e32 v2, v2, v1
	v_and_b32_e32 v14, v14, v0
	v_lshlrev_b32_e32 v1, 27, v13
	v_mov_b32_e32 v0, v3
	v_cmp_gt_i64_e32 vcc, 0, v[0:1]
	v_not_b32_e32 v0, v1
	v_ashrrev_i32_e32 v0, 31, v0
	v_xor_b32_e32 v1, vcc_hi, v0
	v_xor_b32_e32 v0, vcc_lo, v0
	v_and_b32_e32 v2, v2, v1
	v_and_b32_e32 v14, v14, v0
	v_lshlrev_b32_e32 v1, 26, v13
	v_mov_b32_e32 v0, v3
	v_cmp_gt_i64_e32 vcc, 0, v[0:1]
	v_not_b32_e32 v0, v1
	v_ashrrev_i32_e32 v0, 31, v0
	v_xor_b32_e32 v1, vcc_hi, v0
	v_xor_b32_e32 v0, vcc_lo, v0
	v_and_b32_e32 v2, v2, v1
	v_and_b32_e32 v14, v14, v0
	v_lshlrev_b32_e32 v1, 25, v13
	v_mov_b32_e32 v0, v3
	v_cmp_gt_i64_e32 vcc, 0, v[0:1]
	v_not_b32_e32 v0, v1
	v_ashrrev_i32_e32 v0, 31, v0
	v_xor_b32_e32 v1, vcc_hi, v0
	v_xor_b32_e32 v0, vcc_lo, v0
	v_and_b32_e32 v2, v2, v1
	v_and_b32_e32 v14, v14, v0
	v_lshlrev_b32_e32 v1, 24, v13
	v_mov_b32_e32 v0, v3
	v_cmp_gt_i64_e32 vcc, 0, v[0:1]
	v_not_b32_e32 v0, v1
	v_ashrrev_i32_e32 v0, 31, v0
	v_xor_b32_e32 v1, vcc_hi, v0
	v_xor_b32_e32 v0, vcc_lo, v0
	ds_read_b32 v11, v17 offset:64
	v_and_b32_e32 v0, v14, v0
	v_and_b32_e32 v1, v2, v1
	v_mbcnt_lo_u32_b32 v2, v0, 0
	v_mbcnt_hi_u32_b32 v13, v1, v2
	v_cmp_eq_u32_e32 vcc, 0, v13
	v_cmp_ne_u64_e64 s[0:1], 0, v[0:1]
	s_and_b64 s[2:3], s[0:1], vcc
	; wave barrier
	s_and_saveexec_b64 s[0:1], s[2:3]
	s_cbranch_execz .LBB337_91
; %bb.90:
	v_bcnt_u32_b32 v0, v0, 0
	v_bcnt_u32_b32 v0, v1, v0
	s_waitcnt lgkmcnt(0)
	v_add_u32_e32 v0, v11, v0
	ds_write_b32 v17, v0 offset:64
.LBB337_91:
	s_or_b64 exec, exec, s[0:1]
	s_waitcnt vmcnt(5)
	v_xor_b32_e32 v8, 0x7fffffff, v8
	v_lshrrev_b32_e32 v0, s24, v8
	v_and_b32_e32 v18, s13, v0
	s_movk_i32 s2, 0x44
	v_mul_lo_u32 v0, v18, s2
	v_add_u32_e32 v21, v24, v0
	v_and_b32_e32 v0, 1, v18
	v_mov_b32_e32 v1, 0
	v_lshl_add_u64 v[2:3], v[0:1], 0, -1
	v_cmp_ne_u32_e32 vcc, 0, v0
	; wave barrier
	s_nop 1
	v_xor_b32_e32 v2, vcc_lo, v2
	v_xor_b32_e32 v0, vcc_hi, v3
	v_and_b32_e32 v19, exec_lo, v2
	v_lshlrev_b32_e32 v3, 30, v18
	v_mov_b32_e32 v2, v1
	v_cmp_gt_i64_e32 vcc, 0, v[2:3]
	v_not_b32_e32 v2, v3
	v_ashrrev_i32_e32 v2, 31, v2
	v_and_b32_e32 v0, exec_hi, v0
	v_xor_b32_e32 v3, vcc_hi, v2
	v_xor_b32_e32 v2, vcc_lo, v2
	v_and_b32_e32 v0, v0, v3
	v_and_b32_e32 v19, v19, v2
	v_lshlrev_b32_e32 v3, 29, v18
	v_mov_b32_e32 v2, v1
	v_cmp_gt_i64_e32 vcc, 0, v[2:3]
	v_not_b32_e32 v2, v3
	v_ashrrev_i32_e32 v2, 31, v2
	v_xor_b32_e32 v3, vcc_hi, v2
	v_xor_b32_e32 v2, vcc_lo, v2
	v_and_b32_e32 v0, v0, v3
	v_and_b32_e32 v19, v19, v2
	v_lshlrev_b32_e32 v3, 28, v18
	v_mov_b32_e32 v2, v1
	v_cmp_gt_i64_e32 vcc, 0, v[2:3]
	v_not_b32_e32 v2, v3
	v_ashrrev_i32_e32 v2, 31, v2
	;; [unrolled: 9-line block ×6, first 2 shown]
	v_xor_b32_e32 v3, vcc_hi, v2
	v_xor_b32_e32 v2, vcc_lo, v2
	ds_read_b32 v14, v21 offset:64
	v_and_b32_e32 v2, v19, v2
	v_and_b32_e32 v3, v0, v3
	v_mbcnt_lo_u32_b32 v0, v2, 0
	v_mbcnt_hi_u32_b32 v18, v3, v0
	v_cmp_eq_u32_e32 vcc, 0, v18
	v_cmp_ne_u64_e64 s[0:1], 0, v[2:3]
	s_and_b64 s[4:5], s[0:1], vcc
	; wave barrier
	s_and_saveexec_b64 s[0:1], s[4:5]
	s_cbranch_execz .LBB337_93
; %bb.92:
	v_bcnt_u32_b32 v0, v2, 0
	v_bcnt_u32_b32 v0, v3, v0
	s_waitcnt lgkmcnt(0)
	v_add_u32_e32 v0, v14, v0
	ds_write_b32 v21, v0 offset:64
.LBB337_93:
	s_or_b64 exec, exec, s[0:1]
	s_waitcnt vmcnt(4)
	v_xor_b32_e32 v12, 0x7fffffff, v12
	v_lshrrev_b32_e32 v0, s24, v12
	v_and_b32_e32 v23, s13, v0
	v_mul_lo_u32 v0, v23, s2
	v_add_u32_e32 v27, v24, v0
	v_and_b32_e32 v0, 1, v23
	v_lshl_add_u64 v[2:3], v[0:1], 0, -1
	v_cmp_ne_u32_e32 vcc, 0, v0
	; wave barrier
	s_nop 1
	v_xor_b32_e32 v2, vcc_lo, v2
	v_xor_b32_e32 v0, vcc_hi, v3
	v_and_b32_e32 v25, exec_lo, v2
	v_lshlrev_b32_e32 v3, 30, v23
	v_mov_b32_e32 v2, v1
	v_cmp_gt_i64_e32 vcc, 0, v[2:3]
	v_not_b32_e32 v2, v3
	v_ashrrev_i32_e32 v2, 31, v2
	v_and_b32_e32 v0, exec_hi, v0
	v_xor_b32_e32 v3, vcc_hi, v2
	v_xor_b32_e32 v2, vcc_lo, v2
	v_and_b32_e32 v0, v0, v3
	v_and_b32_e32 v25, v25, v2
	v_lshlrev_b32_e32 v3, 29, v23
	v_mov_b32_e32 v2, v1
	v_cmp_gt_i64_e32 vcc, 0, v[2:3]
	v_not_b32_e32 v2, v3
	v_ashrrev_i32_e32 v2, 31, v2
	v_xor_b32_e32 v3, vcc_hi, v2
	v_xor_b32_e32 v2, vcc_lo, v2
	v_and_b32_e32 v0, v0, v3
	v_and_b32_e32 v25, v25, v2
	v_lshlrev_b32_e32 v3, 28, v23
	v_mov_b32_e32 v2, v1
	v_cmp_gt_i64_e32 vcc, 0, v[2:3]
	v_not_b32_e32 v2, v3
	v_ashrrev_i32_e32 v2, 31, v2
	v_xor_b32_e32 v3, vcc_hi, v2
	v_xor_b32_e32 v2, vcc_lo, v2
	v_and_b32_e32 v0, v0, v3
	v_and_b32_e32 v25, v25, v2
	v_lshlrev_b32_e32 v3, 27, v23
	v_mov_b32_e32 v2, v1
	v_cmp_gt_i64_e32 vcc, 0, v[2:3]
	v_not_b32_e32 v2, v3
	v_ashrrev_i32_e32 v2, 31, v2
	v_xor_b32_e32 v3, vcc_hi, v2
	v_xor_b32_e32 v2, vcc_lo, v2
	v_and_b32_e32 v0, v0, v3
	v_and_b32_e32 v25, v25, v2
	v_lshlrev_b32_e32 v3, 26, v23
	v_mov_b32_e32 v2, v1
	v_cmp_gt_i64_e32 vcc, 0, v[2:3]
	v_not_b32_e32 v2, v3
	v_ashrrev_i32_e32 v2, 31, v2
	v_xor_b32_e32 v3, vcc_hi, v2
	v_xor_b32_e32 v2, vcc_lo, v2
	v_and_b32_e32 v0, v0, v3
	v_and_b32_e32 v25, v25, v2
	v_lshlrev_b32_e32 v3, 25, v23
	v_mov_b32_e32 v2, v1
	v_cmp_gt_i64_e32 vcc, 0, v[2:3]
	v_not_b32_e32 v2, v3
	v_ashrrev_i32_e32 v2, 31, v2
	v_xor_b32_e32 v3, vcc_hi, v2
	v_xor_b32_e32 v2, vcc_lo, v2
	v_and_b32_e32 v0, v0, v3
	v_lshlrev_b32_e32 v3, 24, v23
	v_and_b32_e32 v25, v25, v2
	v_mov_b32_e32 v2, v1
	v_not_b32_e32 v1, v3
	v_cmp_gt_i64_e32 vcc, 0, v[2:3]
	v_ashrrev_i32_e32 v1, 31, v1
	ds_read_b32 v19, v27 offset:64
	v_xor_b32_e32 v2, vcc_hi, v1
	v_xor_b32_e32 v3, vcc_lo, v1
	v_and_b32_e32 v1, v0, v2
	v_and_b32_e32 v0, v25, v3
	v_mbcnt_lo_u32_b32 v2, v0, 0
	v_mbcnt_hi_u32_b32 v23, v1, v2
	v_cmp_eq_u32_e32 vcc, 0, v23
	v_cmp_ne_u64_e64 s[0:1], 0, v[0:1]
	s_and_b64 s[2:3], s[0:1], vcc
	; wave barrier
	s_and_saveexec_b64 s[0:1], s[2:3]
	s_cbranch_execz .LBB337_95
; %bb.94:
	v_bcnt_u32_b32 v0, v0, 0
	v_bcnt_u32_b32 v0, v1, v0
	s_waitcnt lgkmcnt(0)
	v_add_u32_e32 v0, v19, v0
	ds_write_b32 v27, v0 offset:64
.LBB337_95:
	s_or_b64 exec, exec, s[0:1]
	s_waitcnt vmcnt(3)
	v_xor_b32_e32 v15, 0x7fffffff, v15
	v_lshrrev_b32_e32 v0, s24, v15
	v_and_b32_e32 v28, s13, v0
	s_movk_i32 s2, 0x44
	v_mul_lo_u32 v0, v28, s2
	v_add_u32_e32 v30, v24, v0
	v_and_b32_e32 v0, 1, v28
	v_mov_b32_e32 v1, 0
	v_lshl_add_u64 v[2:3], v[0:1], 0, -1
	v_cmp_ne_u32_e32 vcc, 0, v0
	; wave barrier
	s_nop 1
	v_xor_b32_e32 v2, vcc_lo, v2
	v_xor_b32_e32 v0, vcc_hi, v3
	v_and_b32_e32 v29, exec_lo, v2
	v_lshlrev_b32_e32 v3, 30, v28
	v_mov_b32_e32 v2, v1
	v_cmp_gt_i64_e32 vcc, 0, v[2:3]
	v_not_b32_e32 v2, v3
	v_ashrrev_i32_e32 v2, 31, v2
	v_and_b32_e32 v0, exec_hi, v0
	v_xor_b32_e32 v3, vcc_hi, v2
	v_xor_b32_e32 v2, vcc_lo, v2
	v_and_b32_e32 v0, v0, v3
	v_and_b32_e32 v29, v29, v2
	v_lshlrev_b32_e32 v3, 29, v28
	v_mov_b32_e32 v2, v1
	v_cmp_gt_i64_e32 vcc, 0, v[2:3]
	v_not_b32_e32 v2, v3
	v_ashrrev_i32_e32 v2, 31, v2
	v_xor_b32_e32 v3, vcc_hi, v2
	v_xor_b32_e32 v2, vcc_lo, v2
	v_and_b32_e32 v0, v0, v3
	v_and_b32_e32 v29, v29, v2
	v_lshlrev_b32_e32 v3, 28, v28
	v_mov_b32_e32 v2, v1
	v_cmp_gt_i64_e32 vcc, 0, v[2:3]
	v_not_b32_e32 v2, v3
	v_ashrrev_i32_e32 v2, 31, v2
	;; [unrolled: 9-line block ×6, first 2 shown]
	v_xor_b32_e32 v3, vcc_hi, v2
	v_xor_b32_e32 v2, vcc_lo, v2
	ds_read_b32 v25, v30 offset:64
	v_and_b32_e32 v2, v29, v2
	v_and_b32_e32 v3, v0, v3
	v_mbcnt_lo_u32_b32 v0, v2, 0
	v_mbcnt_hi_u32_b32 v28, v3, v0
	v_cmp_eq_u32_e32 vcc, 0, v28
	v_cmp_ne_u64_e64 s[0:1], 0, v[2:3]
	s_and_b64 s[4:5], s[0:1], vcc
	; wave barrier
	s_and_saveexec_b64 s[0:1], s[4:5]
	s_cbranch_execz .LBB337_97
; %bb.96:
	v_bcnt_u32_b32 v0, v2, 0
	v_bcnt_u32_b32 v0, v3, v0
	s_waitcnt lgkmcnt(0)
	v_add_u32_e32 v0, v25, v0
	ds_write_b32 v30, v0 offset:64
.LBB337_97:
	s_or_b64 exec, exec, s[0:1]
	s_waitcnt vmcnt(2)
	v_xor_b32_e32 v20, 0x7fffffff, v20
	v_lshrrev_b32_e32 v0, s24, v20
	v_and_b32_e32 v31, s13, v0
	v_mul_lo_u32 v0, v31, s2
	v_add_u32_e32 v33, v24, v0
	v_and_b32_e32 v0, 1, v31
	v_lshl_add_u64 v[2:3], v[0:1], 0, -1
	v_cmp_ne_u32_e32 vcc, 0, v0
	; wave barrier
	s_nop 1
	v_xor_b32_e32 v2, vcc_lo, v2
	v_xor_b32_e32 v0, vcc_hi, v3
	v_and_b32_e32 v32, exec_lo, v2
	v_lshlrev_b32_e32 v3, 30, v31
	v_mov_b32_e32 v2, v1
	v_cmp_gt_i64_e32 vcc, 0, v[2:3]
	v_not_b32_e32 v2, v3
	v_ashrrev_i32_e32 v2, 31, v2
	v_and_b32_e32 v0, exec_hi, v0
	v_xor_b32_e32 v3, vcc_hi, v2
	v_xor_b32_e32 v2, vcc_lo, v2
	v_and_b32_e32 v0, v0, v3
	v_and_b32_e32 v32, v32, v2
	v_lshlrev_b32_e32 v3, 29, v31
	v_mov_b32_e32 v2, v1
	v_cmp_gt_i64_e32 vcc, 0, v[2:3]
	v_not_b32_e32 v2, v3
	v_ashrrev_i32_e32 v2, 31, v2
	v_xor_b32_e32 v3, vcc_hi, v2
	v_xor_b32_e32 v2, vcc_lo, v2
	v_and_b32_e32 v0, v0, v3
	v_and_b32_e32 v32, v32, v2
	v_lshlrev_b32_e32 v3, 28, v31
	v_mov_b32_e32 v2, v1
	v_cmp_gt_i64_e32 vcc, 0, v[2:3]
	v_not_b32_e32 v2, v3
	v_ashrrev_i32_e32 v2, 31, v2
	;; [unrolled: 9-line block ×5, first 2 shown]
	v_xor_b32_e32 v3, vcc_hi, v2
	v_xor_b32_e32 v2, vcc_lo, v2
	v_and_b32_e32 v0, v0, v3
	v_lshlrev_b32_e32 v3, 24, v31
	v_and_b32_e32 v32, v32, v2
	v_mov_b32_e32 v2, v1
	v_not_b32_e32 v1, v3
	v_cmp_gt_i64_e32 vcc, 0, v[2:3]
	v_ashrrev_i32_e32 v1, 31, v1
	ds_read_b32 v29, v33 offset:64
	v_xor_b32_e32 v2, vcc_hi, v1
	v_xor_b32_e32 v3, vcc_lo, v1
	v_and_b32_e32 v1, v0, v2
	v_and_b32_e32 v0, v32, v3
	v_mbcnt_lo_u32_b32 v2, v0, 0
	v_mbcnt_hi_u32_b32 v31, v1, v2
	v_cmp_eq_u32_e32 vcc, 0, v31
	v_cmp_ne_u64_e64 s[0:1], 0, v[0:1]
	s_and_b64 s[2:3], s[0:1], vcc
	; wave barrier
	s_and_saveexec_b64 s[0:1], s[2:3]
	s_cbranch_execz .LBB337_99
; %bb.98:
	v_bcnt_u32_b32 v0, v0, 0
	v_bcnt_u32_b32 v0, v1, v0
	s_waitcnt lgkmcnt(0)
	v_add_u32_e32 v0, v29, v0
	ds_write_b32 v33, v0 offset:64
.LBB337_99:
	s_or_b64 exec, exec, s[0:1]
	s_waitcnt vmcnt(1)
	v_xor_b32_e32 v26, 0x7fffffff, v26
	v_lshrrev_b32_e32 v0, s24, v26
	v_and_b32_e32 v34, s13, v0
	s_movk_i32 s2, 0x44
	v_mul_lo_u32 v0, v34, s2
	v_add_u32_e32 v36, v24, v0
	v_and_b32_e32 v0, 1, v34
	v_mov_b32_e32 v1, 0
	v_lshl_add_u64 v[2:3], v[0:1], 0, -1
	v_cmp_ne_u32_e32 vcc, 0, v0
	; wave barrier
	s_nop 1
	v_xor_b32_e32 v2, vcc_lo, v2
	v_xor_b32_e32 v0, vcc_hi, v3
	v_and_b32_e32 v35, exec_lo, v2
	v_lshlrev_b32_e32 v3, 30, v34
	v_mov_b32_e32 v2, v1
	v_cmp_gt_i64_e32 vcc, 0, v[2:3]
	v_not_b32_e32 v2, v3
	v_ashrrev_i32_e32 v2, 31, v2
	v_and_b32_e32 v0, exec_hi, v0
	v_xor_b32_e32 v3, vcc_hi, v2
	v_xor_b32_e32 v2, vcc_lo, v2
	v_and_b32_e32 v0, v0, v3
	v_and_b32_e32 v35, v35, v2
	v_lshlrev_b32_e32 v3, 29, v34
	v_mov_b32_e32 v2, v1
	v_cmp_gt_i64_e32 vcc, 0, v[2:3]
	v_not_b32_e32 v2, v3
	v_ashrrev_i32_e32 v2, 31, v2
	v_xor_b32_e32 v3, vcc_hi, v2
	v_xor_b32_e32 v2, vcc_lo, v2
	v_and_b32_e32 v0, v0, v3
	v_and_b32_e32 v35, v35, v2
	v_lshlrev_b32_e32 v3, 28, v34
	v_mov_b32_e32 v2, v1
	v_cmp_gt_i64_e32 vcc, 0, v[2:3]
	v_not_b32_e32 v2, v3
	v_ashrrev_i32_e32 v2, 31, v2
	;; [unrolled: 9-line block ×6, first 2 shown]
	v_xor_b32_e32 v3, vcc_hi, v2
	v_xor_b32_e32 v2, vcc_lo, v2
	ds_read_b32 v32, v36 offset:64
	v_and_b32_e32 v2, v35, v2
	v_and_b32_e32 v3, v0, v3
	v_mbcnt_lo_u32_b32 v0, v2, 0
	v_mbcnt_hi_u32_b32 v34, v3, v0
	v_cmp_eq_u32_e32 vcc, 0, v34
	v_cmp_ne_u64_e64 s[0:1], 0, v[2:3]
	s_and_b64 s[4:5], s[0:1], vcc
	; wave barrier
	s_and_saveexec_b64 s[0:1], s[4:5]
	s_cbranch_execz .LBB337_101
; %bb.100:
	v_bcnt_u32_b32 v0, v2, 0
	v_bcnt_u32_b32 v0, v3, v0
	s_waitcnt lgkmcnt(0)
	v_add_u32_e32 v0, v32, v0
	ds_write_b32 v36, v0 offset:64
.LBB337_101:
	s_or_b64 exec, exec, s[0:1]
	s_waitcnt vmcnt(0)
	v_xor_b32_e32 v22, 0x7fffffff, v22
	v_lshrrev_b32_e32 v0, s24, v22
	v_and_b32_e32 v37, s13, v0
	v_mul_lo_u32 v0, v37, s2
	v_add_u32_e32 v38, v24, v0
	v_and_b32_e32 v0, 1, v37
	v_lshl_add_u64 v[2:3], v[0:1], 0, -1
	v_cmp_ne_u32_e32 vcc, 0, v0
	; wave barrier
	s_nop 1
	v_xor_b32_e32 v2, vcc_lo, v2
	v_xor_b32_e32 v0, vcc_hi, v3
	v_and_b32_e32 v24, exec_lo, v2
	v_lshlrev_b32_e32 v3, 30, v37
	v_mov_b32_e32 v2, v1
	v_cmp_gt_i64_e32 vcc, 0, v[2:3]
	v_not_b32_e32 v2, v3
	v_ashrrev_i32_e32 v2, 31, v2
	v_and_b32_e32 v0, exec_hi, v0
	v_xor_b32_e32 v3, vcc_hi, v2
	v_xor_b32_e32 v2, vcc_lo, v2
	v_and_b32_e32 v0, v0, v3
	v_and_b32_e32 v24, v24, v2
	v_lshlrev_b32_e32 v3, 29, v37
	v_mov_b32_e32 v2, v1
	v_cmp_gt_i64_e32 vcc, 0, v[2:3]
	v_not_b32_e32 v2, v3
	v_ashrrev_i32_e32 v2, 31, v2
	v_xor_b32_e32 v3, vcc_hi, v2
	v_xor_b32_e32 v2, vcc_lo, v2
	v_and_b32_e32 v0, v0, v3
	v_and_b32_e32 v24, v24, v2
	v_lshlrev_b32_e32 v3, 28, v37
	v_mov_b32_e32 v2, v1
	v_cmp_gt_i64_e32 vcc, 0, v[2:3]
	v_not_b32_e32 v2, v3
	v_ashrrev_i32_e32 v2, 31, v2
	;; [unrolled: 9-line block ×5, first 2 shown]
	v_xor_b32_e32 v3, vcc_hi, v2
	v_xor_b32_e32 v2, vcc_lo, v2
	v_and_b32_e32 v0, v0, v3
	v_lshlrev_b32_e32 v3, 24, v37
	v_and_b32_e32 v24, v24, v2
	v_mov_b32_e32 v2, v1
	v_not_b32_e32 v1, v3
	v_cmp_gt_i64_e32 vcc, 0, v[2:3]
	v_ashrrev_i32_e32 v1, 31, v1
	ds_read_b32 v35, v38 offset:64
	v_xor_b32_e32 v2, vcc_hi, v1
	v_xor_b32_e32 v3, vcc_lo, v1
	v_and_b32_e32 v1, v0, v2
	v_and_b32_e32 v0, v24, v3
	v_mbcnt_lo_u32_b32 v2, v0, 0
	v_mbcnt_hi_u32_b32 v37, v1, v2
	v_cmp_eq_u32_e32 vcc, 0, v37
	v_cmp_ne_u64_e64 s[0:1], 0, v[0:1]
	s_and_b64 s[2:3], s[0:1], vcc
	; wave barrier
	s_and_saveexec_b64 s[0:1], s[2:3]
	s_cbranch_execz .LBB337_103
; %bb.102:
	v_bcnt_u32_b32 v0, v0, 0
	v_bcnt_u32_b32 v0, v1, v0
	s_waitcnt lgkmcnt(0)
	v_add_u32_e32 v0, v35, v0
	ds_write_b32 v38, v0 offset:64
.LBB337_103:
	s_or_b64 exec, exec, s[0:1]
	; wave barrier
	s_waitcnt lgkmcnt(0)
	s_barrier
	ds_read2_b32 v[2:3], v5 offset0:16 offset1:17
	ds_read2_b32 v[0:1], v5 offset0:18 offset1:19
	ds_read_b32 v24, v5 offset:80
	v_cmp_lt_u32_e64 s[2:3], 31, v4
	s_waitcnt lgkmcnt(1)
	v_add3_u32 v39, v3, v2, v0
	s_waitcnt lgkmcnt(0)
	v_add3_u32 v24, v39, v1, v24
	v_and_b32_e32 v39, 15, v4
	v_cmp_eq_u32_e32 vcc, 0, v39
	v_mov_b32_dpp v40, v24 row_shr:1 row_mask:0xf bank_mask:0xf
	v_cmp_lt_u32_e64 s[0:1], 1, v39
	v_cndmask_b32_e64 v40, v40, 0, vcc
	v_add_u32_e32 v24, v40, v24
	v_cmp_lt_u32_e64 s[4:5], 3, v39
	v_cmp_lt_u32_e64 s[6:7], 7, v39
	v_mov_b32_dpp v40, v24 row_shr:2 row_mask:0xf bank_mask:0xf
	v_cndmask_b32_e64 v40, 0, v40, s[0:1]
	v_add_u32_e32 v24, v24, v40
	s_nop 1
	v_mov_b32_dpp v40, v24 row_shr:4 row_mask:0xf bank_mask:0xf
	v_cndmask_b32_e64 v40, 0, v40, s[4:5]
	v_add_u32_e32 v24, v24, v40
	s_nop 1
	v_mov_b32_dpp v40, v24 row_shr:8 row_mask:0xf bank_mask:0xf
	v_cndmask_b32_e64 v39, 0, v40, s[6:7]
	v_add_u32_e32 v24, v24, v39
	v_bfe_i32 v40, v4, 4, 1
	s_nop 0
	v_mov_b32_dpp v39, v24 row_bcast:15 row_mask:0xf bank_mask:0xf
	v_and_b32_e32 v39, v40, v39
	v_add_u32_e32 v24, v24, v39
	v_lshrrev_b32_e32 v40, 6, v10
	s_nop 0
	v_mov_b32_dpp v39, v24 row_bcast:31 row_mask:0xf bank_mask:0xf
	v_cndmask_b32_e64 v39, 0, v39, s[2:3]
	v_add_u32_e32 v39, v24, v39
	v_and_b32_e32 v24, 63, v10
	v_cmp_eq_u32_e64 s[2:3], 63, v24
	s_and_saveexec_b64 s[8:9], s[2:3]
; %bb.104:
	v_lshlrev_b32_e32 v24, 2, v40
	ds_write_b32 v24, v39
; %bb.105:
	s_or_b64 exec, exec, s[8:9]
	v_cmp_gt_u32_e64 s[2:3], 16, v10
	v_lshlrev_b32_e32 v24, 2, v10
	s_waitcnt lgkmcnt(0)
	s_barrier
	s_and_saveexec_b64 s[8:9], s[2:3]
	s_cbranch_execz .LBB337_107
; %bb.106:
	ds_read_b32 v41, v24
	s_waitcnt lgkmcnt(0)
	s_nop 0
	v_mov_b32_dpp v42, v41 row_shr:1 row_mask:0xf bank_mask:0xf
	v_cndmask_b32_e64 v42, v42, 0, vcc
	v_add_u32_e32 v41, v42, v41
	s_nop 1
	v_mov_b32_dpp v42, v41 row_shr:2 row_mask:0xf bank_mask:0xf
	v_cndmask_b32_e64 v42, 0, v42, s[0:1]
	v_add_u32_e32 v41, v41, v42
	s_nop 1
	v_mov_b32_dpp v42, v41 row_shr:4 row_mask:0xf bank_mask:0xf
	v_cndmask_b32_e64 v42, 0, v42, s[4:5]
	;; [unrolled: 4-line block ×3, first 2 shown]
	v_add_u32_e32 v41, v41, v42
	ds_write_b32 v24, v41
.LBB337_107:
	s_or_b64 exec, exec, s[8:9]
	v_cmp_lt_u32_e32 vcc, 63, v10
	v_mov_b32_e32 v41, 0
	s_waitcnt lgkmcnt(0)
	s_barrier
	s_and_saveexec_b64 s[0:1], vcc
; %bb.108:
	v_lshl_add_u32 v40, v40, 2, -4
	ds_read_b32 v41, v40
; %bb.109:
	s_or_b64 exec, exec, s[0:1]
	v_subrev_co_u32_e32 v40, vcc, 1, v4
	v_and_b32_e32 v42, 64, v4
	v_cmp_lt_i32_e64 s[0:1], v40, v42
	s_waitcnt lgkmcnt(0)
	v_add_u32_e32 v39, v41, v39
	s_movk_i32 s2, 0x100
	v_cndmask_b32_e64 v4, v40, v4, s[0:1]
	v_lshlrev_b32_e32 v4, 2, v4
	ds_bpermute_b32 v4, v4, v39
	s_movk_i32 s0, 0xff
	v_cmp_lt_u32_e64 s[0:1], s0, v10
	s_waitcnt lgkmcnt(0)
	v_cndmask_b32_e32 v4, v4, v41, vcc
	v_cndmask_b32_e64 v4, v4, 0, s[10:11]
	v_add_u32_e32 v2, v4, v2
	v_add_u32_e32 v3, v2, v3
	;; [unrolled: 1-line block ×4, first 2 shown]
	ds_write2_b32 v5, v4, v2 offset0:16 offset1:17
	ds_write2_b32 v5, v3, v0 offset0:18 offset1:19
	ds_write_b32 v5, v1 offset:80
	s_waitcnt lgkmcnt(0)
	s_barrier
	ds_read_b32 v42, v16 offset:64
	ds_read_b32 v39, v17 offset:64
	;; [unrolled: 1-line block ×8, first 2 shown]
	v_cmp_gt_u32_e32 vcc, s2, v10
                                        ; implicit-def: $vgpr16
                                        ; implicit-def: $vgpr17
	s_and_saveexec_b64 s[4:5], vcc
	s_cbranch_execz .LBB337_113
; %bb.110:
	v_mul_u32_u24_e32 v0, 0x44, v10
	ds_read_b32 v16, v0 offset:64
	v_add_u32_e32 v1, 1, v10
	v_cmp_ne_u32_e64 s[2:3], s2, v1
	v_mov_b32_e32 v0, 0x2000
	s_and_saveexec_b64 s[6:7], s[2:3]
; %bb.111:
	v_mul_u32_u24_e32 v0, 0x44, v1
	ds_read_b32 v0, v0 offset:64
; %bb.112:
	s_or_b64 exec, exec, s[6:7]
	s_waitcnt lgkmcnt(0)
	v_sub_u32_e32 v17, v0, v16
.LBB337_113:
	s_or_b64 exec, exec, s[4:5]
	v_mov_b32_e32 v1, 0
	s_waitcnt lgkmcnt(0)
	s_barrier
	s_and_saveexec_b64 s[2:3], vcc
	s_cbranch_execz .LBB337_123
; %bb.114:
	v_lshl_add_u32 v0, s27, 8, v10
	v_lshl_add_u64 v[2:3], v[0:1], 2, s[18:19]
	v_or_b32_e32 v0, 2.0, v17
	s_mov_b64 s[4:5], 0
	s_brev_b32 s10, -4
	s_mov_b32 s11, s27
	v_mov_b32_e32 v36, 0
	global_store_dword v[2:3], v0, off sc1
                                        ; implicit-def: $sgpr6_sgpr7
	s_branch .LBB337_117
.LBB337_115:                            ;   in Loop: Header=BB337_117 Depth=1
	s_or_b64 exec, exec, s[8:9]
.LBB337_116:                            ;   in Loop: Header=BB337_117 Depth=1
	s_or_b64 exec, exec, s[6:7]
	v_and_b32_e32 v4, 0x3fffffff, v0
	v_add_u32_e32 v36, v4, v36
	v_cmp_gt_i32_e64 s[6:7], -2.0, v0
	s_and_b64 s[8:9], exec, s[6:7]
	s_or_b64 s[4:5], s[8:9], s[4:5]
	s_andn2_b64 exec, exec, s[4:5]
	s_cbranch_execz .LBB337_122
.LBB337_117:                            ; =>This Loop Header: Depth=1
                                        ;     Child Loop BB337_120 Depth 2
	s_or_b64 s[6:7], s[6:7], exec
	s_cmp_eq_u32 s11, 0
	s_cbranch_scc1 .LBB337_121
; %bb.118:                              ;   in Loop: Header=BB337_117 Depth=1
	s_add_i32 s11, s11, -1
	v_lshl_or_b32 v0, s11, 8, v10
	v_lshl_add_u64 v[4:5], v[0:1], 2, s[18:19]
	global_load_dword v0, v[4:5], off sc1
	s_waitcnt vmcnt(0)
	v_cmp_gt_u32_e32 vcc, 2.0, v0
	s_and_saveexec_b64 s[6:7], vcc
	s_cbranch_execz .LBB337_116
; %bb.119:                              ;   in Loop: Header=BB337_117 Depth=1
	s_mov_b64 s[8:9], 0
.LBB337_120:                            ;   Parent Loop BB337_117 Depth=1
                                        ; =>  This Inner Loop Header: Depth=2
	global_load_dword v0, v[4:5], off sc1
	s_waitcnt vmcnt(0)
	v_cmp_lt_u32_e32 vcc, s10, v0
	s_or_b64 s[8:9], vcc, s[8:9]
	s_andn2_b64 exec, exec, s[8:9]
	s_cbranch_execnz .LBB337_120
	s_branch .LBB337_115
.LBB337_121:                            ;   in Loop: Header=BB337_117 Depth=1
                                        ; implicit-def: $sgpr11
	s_and_b64 s[8:9], exec, s[6:7]
	s_or_b64 s[4:5], s[8:9], s[4:5]
	s_andn2_b64 exec, exec, s[4:5]
	s_cbranch_execnz .LBB337_117
.LBB337_122:
	s_or_b64 exec, exec, s[4:5]
	v_add_u32_e32 v0, v36, v17
	v_or_b32_e32 v0, 0x80000000, v0
	global_store_dword v[2:3], v0, off sc1
	global_load_dword v0, v24, s[20:21]
	v_sub_u32_e32 v1, v36, v16
	s_waitcnt vmcnt(0)
	v_add_u32_e32 v0, v1, v0
	ds_write_b32 v24, v0
.LBB337_123:
	s_or_b64 exec, exec, s[2:3]
	v_add_u32_e32 v0, v37, v35
	v_add_u32_e32 v1, v34, v32
	;; [unrolled: 1-line block ×8, first 2 shown]
	v_add_lshl_u32 v3, v0, v33, 2
	v_add3_u32 v4, v37, v33, v35
	v_add_lshl_u32 v5, v1, v21, 2
	v_add3_u32 v9, v34, v21, v32
	;; [unrolled: 2-line block ×7, first 2 shown]
	v_lshlrev_b32_e32 v13, 2, v2
	s_mov_b64 s[2:3], -1
	s_mov_b32 s6, 0
	s_movk_i32 s7, 0x1000
	v_mov_b32_e32 v1, 0
	s_movk_i32 s8, 0x400
	s_movk_i32 s9, 0x800
	;; [unrolled: 1-line block ×3, first 2 shown]
	s_mov_b32 s11, 0
	s_branch .LBB337_125
.LBB337_124:                            ;   in Loop: Header=BB337_125 Depth=1
	s_or_b64 exec, exec, s[4:5]
	s_waitcnt lgkmcnt(0)
	s_barrier
	ds_read2st64_b32 v[30:31], v24 offset0:4 offset1:20
	s_xor_b64 s[4:5], s[2:3], -1
	s_addk_i32 s11, 0xc000
	s_addk_i32 s6, 0xf000
	s_mov_b64 s[2:3], 0
	s_waitcnt lgkmcnt(0)
	v_lshrrev_b32_e32 v0, s24, v30
	v_and_b32_e32 v0, s13, v0
	v_lshlrev_b32_e32 v0, 2, v0
	ds_read2st64_b32 v[32:33], v24 offset0:36 offset1:52
	ds_read_b32 v0, v0
	v_lshrrev_b32_e32 v34, s24, v31
	v_and_b32_e32 v34, s13, v34
	v_lshlrev_b32_e32 v34, 2, v34
	s_waitcnt lgkmcnt(1)
	v_lshrrev_b32_e32 v36, s24, v33
	v_lshrrev_b32_e32 v35, s24, v32
	v_and_b32_e32 v36, s13, v36
	v_and_b32_e32 v35, s13, v35
	v_lshlrev_b32_e32 v36, 2, v36
	v_lshlrev_b32_e32 v35, 2, v35
	ds_read_b32 v37, v34
	ds_read_b32 v38, v35
	;; [unrolled: 1-line block ×3, first 2 shown]
	s_waitcnt lgkmcnt(3)
	v_add_u32_e32 v0, v10, v0
	v_xor_b32_e32 v30, 0x7fffffff, v30
	v_lshl_add_u64 v[34:35], v[0:1], 2, s[30:31]
	s_waitcnt lgkmcnt(2)
	v_add3_u32 v0, v10, v37, s8
	global_store_dword v[34:35], v30, off
	v_xor_b32_e32 v34, 0x7fffffff, v31
	v_lshl_add_u64 v[30:31], v[0:1], 2, s[30:31]
	s_waitcnt lgkmcnt(1)
	v_add3_u32 v0, v10, v38, s9
	global_store_dword v[30:31], v34, off
	;; [unrolled: 5-line block ×3, first 2 shown]
	v_xor_b32_e32 v32, 0x7fffffff, v33
	v_lshl_add_u64 v[30:31], v[0:1], 2, s[30:31]
	v_add_u32_e32 v10, 0x1000, v10
	s_and_b64 vcc, exec, s[4:5]
	global_store_dword v[30:31], v32, off
	s_barrier
	s_cbranch_vccnz .LBB337_141
.LBB337_125:                            ; =>This Inner Loop Header: Depth=1
	v_add_u32_e32 v0, s6, v2
	v_cmp_gt_u32_e32 vcc, s7, v0
	s_and_saveexec_b64 s[4:5], vcc
; %bb.126:                              ;   in Loop: Header=BB337_125 Depth=1
	v_add_u32_e32 v0, s11, v13
	ds_write_b32 v0, v6 offset:1024
; %bb.127:                              ;   in Loop: Header=BB337_125 Depth=1
	s_or_b64 exec, exec, s[4:5]
	v_add_u32_e32 v0, s6, v11
	v_cmp_gt_u32_e32 vcc, s7, v0
	s_and_saveexec_b64 s[4:5], vcc
; %bb.128:                              ;   in Loop: Header=BB337_125 Depth=1
	v_add_u32_e32 v0, s11, v18
	ds_write_b32 v0, v7 offset:1024
; %bb.129:                              ;   in Loop: Header=BB337_125 Depth=1
	s_or_b64 exec, exec, s[4:5]
	v_add_u32_e32 v0, s6, v14
	v_cmp_gt_u32_e32 vcc, s7, v0
	s_and_saveexec_b64 s[4:5], vcc
; %bb.130:                              ;   in Loop: Header=BB337_125 Depth=1
	v_add_u32_e32 v0, s11, v23
	ds_write_b32 v0, v8 offset:1024
; %bb.131:                              ;   in Loop: Header=BB337_125 Depth=1
	s_or_b64 exec, exec, s[4:5]
	v_add_u32_e32 v0, s6, v19
	v_cmp_gt_u32_e32 vcc, s7, v0
	s_and_saveexec_b64 s[4:5], vcc
; %bb.132:                              ;   in Loop: Header=BB337_125 Depth=1
	v_add_u32_e32 v0, s11, v28
	ds_write_b32 v0, v12 offset:1024
; %bb.133:                              ;   in Loop: Header=BB337_125 Depth=1
	s_or_b64 exec, exec, s[4:5]
	v_add_u32_e32 v0, s6, v25
	v_cmp_gt_u32_e32 vcc, s7, v0
	s_and_saveexec_b64 s[4:5], vcc
; %bb.134:                              ;   in Loop: Header=BB337_125 Depth=1
	v_add_u32_e32 v0, s11, v29
	ds_write_b32 v0, v15 offset:1024
; %bb.135:                              ;   in Loop: Header=BB337_125 Depth=1
	s_or_b64 exec, exec, s[4:5]
	v_add_u32_e32 v0, s6, v27
	v_cmp_gt_u32_e32 vcc, s7, v0
	s_and_saveexec_b64 s[4:5], vcc
; %bb.136:                              ;   in Loop: Header=BB337_125 Depth=1
	v_add_u32_e32 v0, s11, v21
	ds_write_b32 v0, v20 offset:1024
; %bb.137:                              ;   in Loop: Header=BB337_125 Depth=1
	s_or_b64 exec, exec, s[4:5]
	v_add_u32_e32 v0, s6, v9
	v_cmp_gt_u32_e32 vcc, s7, v0
	s_and_saveexec_b64 s[4:5], vcc
; %bb.138:                              ;   in Loop: Header=BB337_125 Depth=1
	v_add_u32_e32 v0, s11, v5
	ds_write_b32 v0, v26 offset:1024
; %bb.139:                              ;   in Loop: Header=BB337_125 Depth=1
	s_or_b64 exec, exec, s[4:5]
	v_add_u32_e32 v0, s6, v4
	v_cmp_gt_u32_e32 vcc, s7, v0
	s_and_saveexec_b64 s[4:5], vcc
	s_cbranch_execz .LBB337_124
; %bb.140:                              ;   in Loop: Header=BB337_125 Depth=1
	v_add_u32_e32 v0, s11, v3
	ds_write_b32 v0, v22 offset:1024
	s_branch .LBB337_124
.LBB337_141:
	s_add_i32 s12, s12, -1
	s_cmp_eq_u32 s27, s12
	s_cselect_b64 s[2:3], -1, 0
	s_xor_b64 s[0:1], s[0:1], -1
	s_and_b64 s[0:1], s[0:1], s[2:3]
	s_and_saveexec_b64 s[2:3], s[0:1]
	s_cbranch_execz .LBB337_143
; %bb.142:
	ds_read_b32 v0, v24
	s_waitcnt lgkmcnt(0)
	v_add3_u32 v0, v16, v17, v0
	global_store_dword v24, v0, s[22:23]
.LBB337_143:
	s_endpgm
	.section	.rodata,"a",@progbits
	.p2align	6, 0x0
	.amdhsa_kernel _ZN7rocprim17ROCPRIM_400000_NS6detail17trampoline_kernelINS0_14default_configENS1_35radix_sort_onesweep_config_selectorIiNS0_10empty_typeEEEZZNS1_29radix_sort_onesweep_iterationIS3_Lb1EN6thrust23THRUST_200600_302600_NS6detail15normal_iteratorINS9_10device_ptrIiEEEESE_PS5_SF_jNS0_19identity_decomposerENS1_16block_id_wrapperIjLb1EEEEE10hipError_tT1_PNSt15iterator_traitsISK_E10value_typeET2_T3_PNSL_ISQ_E10value_typeET4_T5_PSV_SW_PNS1_23onesweep_lookback_stateEbbT6_jjT7_P12ihipStream_tbENKUlT_T0_SK_SP_E_clISE_SE_SF_SF_EEDaS13_S14_SK_SP_EUlS13_E_NS1_11comp_targetILNS1_3genE6ELNS1_11target_archE950ELNS1_3gpuE13ELNS1_3repE0EEENS1_47radix_sort_onesweep_sort_config_static_selectorELNS0_4arch9wavefront6targetE1EEEvSK_
		.amdhsa_group_segment_fixed_size 20552
		.amdhsa_private_segment_fixed_size 0
		.amdhsa_kernarg_size 344
		.amdhsa_user_sgpr_count 2
		.amdhsa_user_sgpr_dispatch_ptr 0
		.amdhsa_user_sgpr_queue_ptr 0
		.amdhsa_user_sgpr_kernarg_segment_ptr 1
		.amdhsa_user_sgpr_dispatch_id 0
		.amdhsa_user_sgpr_kernarg_preload_length 0
		.amdhsa_user_sgpr_kernarg_preload_offset 0
		.amdhsa_user_sgpr_private_segment_size 0
		.amdhsa_uses_dynamic_stack 0
		.amdhsa_enable_private_segment 0
		.amdhsa_system_sgpr_workgroup_id_x 1
		.amdhsa_system_sgpr_workgroup_id_y 0
		.amdhsa_system_sgpr_workgroup_id_z 0
		.amdhsa_system_sgpr_workgroup_info 0
		.amdhsa_system_vgpr_workitem_id 2
		.amdhsa_next_free_vgpr 46
		.amdhsa_next_free_sgpr 35
		.amdhsa_accum_offset 48
		.amdhsa_reserve_vcc 1
		.amdhsa_float_round_mode_32 0
		.amdhsa_float_round_mode_16_64 0
		.amdhsa_float_denorm_mode_32 3
		.amdhsa_float_denorm_mode_16_64 3
		.amdhsa_dx10_clamp 1
		.amdhsa_ieee_mode 1
		.amdhsa_fp16_overflow 0
		.amdhsa_tg_split 0
		.amdhsa_exception_fp_ieee_invalid_op 0
		.amdhsa_exception_fp_denorm_src 0
		.amdhsa_exception_fp_ieee_div_zero 0
		.amdhsa_exception_fp_ieee_overflow 0
		.amdhsa_exception_fp_ieee_underflow 0
		.amdhsa_exception_fp_ieee_inexact 0
		.amdhsa_exception_int_div_zero 0
	.end_amdhsa_kernel
	.section	.text._ZN7rocprim17ROCPRIM_400000_NS6detail17trampoline_kernelINS0_14default_configENS1_35radix_sort_onesweep_config_selectorIiNS0_10empty_typeEEEZZNS1_29radix_sort_onesweep_iterationIS3_Lb1EN6thrust23THRUST_200600_302600_NS6detail15normal_iteratorINS9_10device_ptrIiEEEESE_PS5_SF_jNS0_19identity_decomposerENS1_16block_id_wrapperIjLb1EEEEE10hipError_tT1_PNSt15iterator_traitsISK_E10value_typeET2_T3_PNSL_ISQ_E10value_typeET4_T5_PSV_SW_PNS1_23onesweep_lookback_stateEbbT6_jjT7_P12ihipStream_tbENKUlT_T0_SK_SP_E_clISE_SE_SF_SF_EEDaS13_S14_SK_SP_EUlS13_E_NS1_11comp_targetILNS1_3genE6ELNS1_11target_archE950ELNS1_3gpuE13ELNS1_3repE0EEENS1_47radix_sort_onesweep_sort_config_static_selectorELNS0_4arch9wavefront6targetE1EEEvSK_,"axG",@progbits,_ZN7rocprim17ROCPRIM_400000_NS6detail17trampoline_kernelINS0_14default_configENS1_35radix_sort_onesweep_config_selectorIiNS0_10empty_typeEEEZZNS1_29radix_sort_onesweep_iterationIS3_Lb1EN6thrust23THRUST_200600_302600_NS6detail15normal_iteratorINS9_10device_ptrIiEEEESE_PS5_SF_jNS0_19identity_decomposerENS1_16block_id_wrapperIjLb1EEEEE10hipError_tT1_PNSt15iterator_traitsISK_E10value_typeET2_T3_PNSL_ISQ_E10value_typeET4_T5_PSV_SW_PNS1_23onesweep_lookback_stateEbbT6_jjT7_P12ihipStream_tbENKUlT_T0_SK_SP_E_clISE_SE_SF_SF_EEDaS13_S14_SK_SP_EUlS13_E_NS1_11comp_targetILNS1_3genE6ELNS1_11target_archE950ELNS1_3gpuE13ELNS1_3repE0EEENS1_47radix_sort_onesweep_sort_config_static_selectorELNS0_4arch9wavefront6targetE1EEEvSK_,comdat
.Lfunc_end337:
	.size	_ZN7rocprim17ROCPRIM_400000_NS6detail17trampoline_kernelINS0_14default_configENS1_35radix_sort_onesweep_config_selectorIiNS0_10empty_typeEEEZZNS1_29radix_sort_onesweep_iterationIS3_Lb1EN6thrust23THRUST_200600_302600_NS6detail15normal_iteratorINS9_10device_ptrIiEEEESE_PS5_SF_jNS0_19identity_decomposerENS1_16block_id_wrapperIjLb1EEEEE10hipError_tT1_PNSt15iterator_traitsISK_E10value_typeET2_T3_PNSL_ISQ_E10value_typeET4_T5_PSV_SW_PNS1_23onesweep_lookback_stateEbbT6_jjT7_P12ihipStream_tbENKUlT_T0_SK_SP_E_clISE_SE_SF_SF_EEDaS13_S14_SK_SP_EUlS13_E_NS1_11comp_targetILNS1_3genE6ELNS1_11target_archE950ELNS1_3gpuE13ELNS1_3repE0EEENS1_47radix_sort_onesweep_sort_config_static_selectorELNS0_4arch9wavefront6targetE1EEEvSK_, .Lfunc_end337-_ZN7rocprim17ROCPRIM_400000_NS6detail17trampoline_kernelINS0_14default_configENS1_35radix_sort_onesweep_config_selectorIiNS0_10empty_typeEEEZZNS1_29radix_sort_onesweep_iterationIS3_Lb1EN6thrust23THRUST_200600_302600_NS6detail15normal_iteratorINS9_10device_ptrIiEEEESE_PS5_SF_jNS0_19identity_decomposerENS1_16block_id_wrapperIjLb1EEEEE10hipError_tT1_PNSt15iterator_traitsISK_E10value_typeET2_T3_PNSL_ISQ_E10value_typeET4_T5_PSV_SW_PNS1_23onesweep_lookback_stateEbbT6_jjT7_P12ihipStream_tbENKUlT_T0_SK_SP_E_clISE_SE_SF_SF_EEDaS13_S14_SK_SP_EUlS13_E_NS1_11comp_targetILNS1_3genE6ELNS1_11target_archE950ELNS1_3gpuE13ELNS1_3repE0EEENS1_47radix_sort_onesweep_sort_config_static_selectorELNS0_4arch9wavefront6targetE1EEEvSK_
                                        ; -- End function
	.set _ZN7rocprim17ROCPRIM_400000_NS6detail17trampoline_kernelINS0_14default_configENS1_35radix_sort_onesweep_config_selectorIiNS0_10empty_typeEEEZZNS1_29radix_sort_onesweep_iterationIS3_Lb1EN6thrust23THRUST_200600_302600_NS6detail15normal_iteratorINS9_10device_ptrIiEEEESE_PS5_SF_jNS0_19identity_decomposerENS1_16block_id_wrapperIjLb1EEEEE10hipError_tT1_PNSt15iterator_traitsISK_E10value_typeET2_T3_PNSL_ISQ_E10value_typeET4_T5_PSV_SW_PNS1_23onesweep_lookback_stateEbbT6_jjT7_P12ihipStream_tbENKUlT_T0_SK_SP_E_clISE_SE_SF_SF_EEDaS13_S14_SK_SP_EUlS13_E_NS1_11comp_targetILNS1_3genE6ELNS1_11target_archE950ELNS1_3gpuE13ELNS1_3repE0EEENS1_47radix_sort_onesweep_sort_config_static_selectorELNS0_4arch9wavefront6targetE1EEEvSK_.num_vgpr, 46
	.set _ZN7rocprim17ROCPRIM_400000_NS6detail17trampoline_kernelINS0_14default_configENS1_35radix_sort_onesweep_config_selectorIiNS0_10empty_typeEEEZZNS1_29radix_sort_onesweep_iterationIS3_Lb1EN6thrust23THRUST_200600_302600_NS6detail15normal_iteratorINS9_10device_ptrIiEEEESE_PS5_SF_jNS0_19identity_decomposerENS1_16block_id_wrapperIjLb1EEEEE10hipError_tT1_PNSt15iterator_traitsISK_E10value_typeET2_T3_PNSL_ISQ_E10value_typeET4_T5_PSV_SW_PNS1_23onesweep_lookback_stateEbbT6_jjT7_P12ihipStream_tbENKUlT_T0_SK_SP_E_clISE_SE_SF_SF_EEDaS13_S14_SK_SP_EUlS13_E_NS1_11comp_targetILNS1_3genE6ELNS1_11target_archE950ELNS1_3gpuE13ELNS1_3repE0EEENS1_47radix_sort_onesweep_sort_config_static_selectorELNS0_4arch9wavefront6targetE1EEEvSK_.num_agpr, 0
	.set _ZN7rocprim17ROCPRIM_400000_NS6detail17trampoline_kernelINS0_14default_configENS1_35radix_sort_onesweep_config_selectorIiNS0_10empty_typeEEEZZNS1_29radix_sort_onesweep_iterationIS3_Lb1EN6thrust23THRUST_200600_302600_NS6detail15normal_iteratorINS9_10device_ptrIiEEEESE_PS5_SF_jNS0_19identity_decomposerENS1_16block_id_wrapperIjLb1EEEEE10hipError_tT1_PNSt15iterator_traitsISK_E10value_typeET2_T3_PNSL_ISQ_E10value_typeET4_T5_PSV_SW_PNS1_23onesweep_lookback_stateEbbT6_jjT7_P12ihipStream_tbENKUlT_T0_SK_SP_E_clISE_SE_SF_SF_EEDaS13_S14_SK_SP_EUlS13_E_NS1_11comp_targetILNS1_3genE6ELNS1_11target_archE950ELNS1_3gpuE13ELNS1_3repE0EEENS1_47radix_sort_onesweep_sort_config_static_selectorELNS0_4arch9wavefront6targetE1EEEvSK_.numbered_sgpr, 35
	.set _ZN7rocprim17ROCPRIM_400000_NS6detail17trampoline_kernelINS0_14default_configENS1_35radix_sort_onesweep_config_selectorIiNS0_10empty_typeEEEZZNS1_29radix_sort_onesweep_iterationIS3_Lb1EN6thrust23THRUST_200600_302600_NS6detail15normal_iteratorINS9_10device_ptrIiEEEESE_PS5_SF_jNS0_19identity_decomposerENS1_16block_id_wrapperIjLb1EEEEE10hipError_tT1_PNSt15iterator_traitsISK_E10value_typeET2_T3_PNSL_ISQ_E10value_typeET4_T5_PSV_SW_PNS1_23onesweep_lookback_stateEbbT6_jjT7_P12ihipStream_tbENKUlT_T0_SK_SP_E_clISE_SE_SF_SF_EEDaS13_S14_SK_SP_EUlS13_E_NS1_11comp_targetILNS1_3genE6ELNS1_11target_archE950ELNS1_3gpuE13ELNS1_3repE0EEENS1_47radix_sort_onesweep_sort_config_static_selectorELNS0_4arch9wavefront6targetE1EEEvSK_.num_named_barrier, 0
	.set _ZN7rocprim17ROCPRIM_400000_NS6detail17trampoline_kernelINS0_14default_configENS1_35radix_sort_onesweep_config_selectorIiNS0_10empty_typeEEEZZNS1_29radix_sort_onesweep_iterationIS3_Lb1EN6thrust23THRUST_200600_302600_NS6detail15normal_iteratorINS9_10device_ptrIiEEEESE_PS5_SF_jNS0_19identity_decomposerENS1_16block_id_wrapperIjLb1EEEEE10hipError_tT1_PNSt15iterator_traitsISK_E10value_typeET2_T3_PNSL_ISQ_E10value_typeET4_T5_PSV_SW_PNS1_23onesweep_lookback_stateEbbT6_jjT7_P12ihipStream_tbENKUlT_T0_SK_SP_E_clISE_SE_SF_SF_EEDaS13_S14_SK_SP_EUlS13_E_NS1_11comp_targetILNS1_3genE6ELNS1_11target_archE950ELNS1_3gpuE13ELNS1_3repE0EEENS1_47radix_sort_onesweep_sort_config_static_selectorELNS0_4arch9wavefront6targetE1EEEvSK_.private_seg_size, 0
	.set _ZN7rocprim17ROCPRIM_400000_NS6detail17trampoline_kernelINS0_14default_configENS1_35radix_sort_onesweep_config_selectorIiNS0_10empty_typeEEEZZNS1_29radix_sort_onesweep_iterationIS3_Lb1EN6thrust23THRUST_200600_302600_NS6detail15normal_iteratorINS9_10device_ptrIiEEEESE_PS5_SF_jNS0_19identity_decomposerENS1_16block_id_wrapperIjLb1EEEEE10hipError_tT1_PNSt15iterator_traitsISK_E10value_typeET2_T3_PNSL_ISQ_E10value_typeET4_T5_PSV_SW_PNS1_23onesweep_lookback_stateEbbT6_jjT7_P12ihipStream_tbENKUlT_T0_SK_SP_E_clISE_SE_SF_SF_EEDaS13_S14_SK_SP_EUlS13_E_NS1_11comp_targetILNS1_3genE6ELNS1_11target_archE950ELNS1_3gpuE13ELNS1_3repE0EEENS1_47radix_sort_onesweep_sort_config_static_selectorELNS0_4arch9wavefront6targetE1EEEvSK_.uses_vcc, 1
	.set _ZN7rocprim17ROCPRIM_400000_NS6detail17trampoline_kernelINS0_14default_configENS1_35radix_sort_onesweep_config_selectorIiNS0_10empty_typeEEEZZNS1_29radix_sort_onesweep_iterationIS3_Lb1EN6thrust23THRUST_200600_302600_NS6detail15normal_iteratorINS9_10device_ptrIiEEEESE_PS5_SF_jNS0_19identity_decomposerENS1_16block_id_wrapperIjLb1EEEEE10hipError_tT1_PNSt15iterator_traitsISK_E10value_typeET2_T3_PNSL_ISQ_E10value_typeET4_T5_PSV_SW_PNS1_23onesweep_lookback_stateEbbT6_jjT7_P12ihipStream_tbENKUlT_T0_SK_SP_E_clISE_SE_SF_SF_EEDaS13_S14_SK_SP_EUlS13_E_NS1_11comp_targetILNS1_3genE6ELNS1_11target_archE950ELNS1_3gpuE13ELNS1_3repE0EEENS1_47radix_sort_onesweep_sort_config_static_selectorELNS0_4arch9wavefront6targetE1EEEvSK_.uses_flat_scratch, 0
	.set _ZN7rocprim17ROCPRIM_400000_NS6detail17trampoline_kernelINS0_14default_configENS1_35radix_sort_onesweep_config_selectorIiNS0_10empty_typeEEEZZNS1_29radix_sort_onesweep_iterationIS3_Lb1EN6thrust23THRUST_200600_302600_NS6detail15normal_iteratorINS9_10device_ptrIiEEEESE_PS5_SF_jNS0_19identity_decomposerENS1_16block_id_wrapperIjLb1EEEEE10hipError_tT1_PNSt15iterator_traitsISK_E10value_typeET2_T3_PNSL_ISQ_E10value_typeET4_T5_PSV_SW_PNS1_23onesweep_lookback_stateEbbT6_jjT7_P12ihipStream_tbENKUlT_T0_SK_SP_E_clISE_SE_SF_SF_EEDaS13_S14_SK_SP_EUlS13_E_NS1_11comp_targetILNS1_3genE6ELNS1_11target_archE950ELNS1_3gpuE13ELNS1_3repE0EEENS1_47radix_sort_onesweep_sort_config_static_selectorELNS0_4arch9wavefront6targetE1EEEvSK_.has_dyn_sized_stack, 0
	.set _ZN7rocprim17ROCPRIM_400000_NS6detail17trampoline_kernelINS0_14default_configENS1_35radix_sort_onesweep_config_selectorIiNS0_10empty_typeEEEZZNS1_29radix_sort_onesweep_iterationIS3_Lb1EN6thrust23THRUST_200600_302600_NS6detail15normal_iteratorINS9_10device_ptrIiEEEESE_PS5_SF_jNS0_19identity_decomposerENS1_16block_id_wrapperIjLb1EEEEE10hipError_tT1_PNSt15iterator_traitsISK_E10value_typeET2_T3_PNSL_ISQ_E10value_typeET4_T5_PSV_SW_PNS1_23onesweep_lookback_stateEbbT6_jjT7_P12ihipStream_tbENKUlT_T0_SK_SP_E_clISE_SE_SF_SF_EEDaS13_S14_SK_SP_EUlS13_E_NS1_11comp_targetILNS1_3genE6ELNS1_11target_archE950ELNS1_3gpuE13ELNS1_3repE0EEENS1_47radix_sort_onesweep_sort_config_static_selectorELNS0_4arch9wavefront6targetE1EEEvSK_.has_recursion, 0
	.set _ZN7rocprim17ROCPRIM_400000_NS6detail17trampoline_kernelINS0_14default_configENS1_35radix_sort_onesweep_config_selectorIiNS0_10empty_typeEEEZZNS1_29radix_sort_onesweep_iterationIS3_Lb1EN6thrust23THRUST_200600_302600_NS6detail15normal_iteratorINS9_10device_ptrIiEEEESE_PS5_SF_jNS0_19identity_decomposerENS1_16block_id_wrapperIjLb1EEEEE10hipError_tT1_PNSt15iterator_traitsISK_E10value_typeET2_T3_PNSL_ISQ_E10value_typeET4_T5_PSV_SW_PNS1_23onesweep_lookback_stateEbbT6_jjT7_P12ihipStream_tbENKUlT_T0_SK_SP_E_clISE_SE_SF_SF_EEDaS13_S14_SK_SP_EUlS13_E_NS1_11comp_targetILNS1_3genE6ELNS1_11target_archE950ELNS1_3gpuE13ELNS1_3repE0EEENS1_47radix_sort_onesweep_sort_config_static_selectorELNS0_4arch9wavefront6targetE1EEEvSK_.has_indirect_call, 0
	.section	.AMDGPU.csdata,"",@progbits
; Kernel info:
; codeLenInByte = 11324
; TotalNumSgprs: 41
; NumVgprs: 46
; NumAgprs: 0
; TotalNumVgprs: 46
; ScratchSize: 0
; MemoryBound: 0
; FloatMode: 240
; IeeeMode: 1
; LDSByteSize: 20552 bytes/workgroup (compile time only)
; SGPRBlocks: 5
; VGPRBlocks: 5
; NumSGPRsForWavesPerEU: 41
; NumVGPRsForWavesPerEU: 46
; AccumOffset: 48
; Occupancy: 8
; WaveLimiterHint : 1
; COMPUTE_PGM_RSRC2:SCRATCH_EN: 0
; COMPUTE_PGM_RSRC2:USER_SGPR: 2
; COMPUTE_PGM_RSRC2:TRAP_HANDLER: 0
; COMPUTE_PGM_RSRC2:TGID_X_EN: 1
; COMPUTE_PGM_RSRC2:TGID_Y_EN: 0
; COMPUTE_PGM_RSRC2:TGID_Z_EN: 0
; COMPUTE_PGM_RSRC2:TIDIG_COMP_CNT: 2
; COMPUTE_PGM_RSRC3_GFX90A:ACCUM_OFFSET: 11
; COMPUTE_PGM_RSRC3_GFX90A:TG_SPLIT: 0
	.section	.text._ZN7rocprim17ROCPRIM_400000_NS6detail17trampoline_kernelINS0_14default_configENS1_35radix_sort_onesweep_config_selectorIiNS0_10empty_typeEEEZZNS1_29radix_sort_onesweep_iterationIS3_Lb1EN6thrust23THRUST_200600_302600_NS6detail15normal_iteratorINS9_10device_ptrIiEEEESE_PS5_SF_jNS0_19identity_decomposerENS1_16block_id_wrapperIjLb1EEEEE10hipError_tT1_PNSt15iterator_traitsISK_E10value_typeET2_T3_PNSL_ISQ_E10value_typeET4_T5_PSV_SW_PNS1_23onesweep_lookback_stateEbbT6_jjT7_P12ihipStream_tbENKUlT_T0_SK_SP_E_clISE_SE_SF_SF_EEDaS13_S14_SK_SP_EUlS13_E_NS1_11comp_targetILNS1_3genE5ELNS1_11target_archE942ELNS1_3gpuE9ELNS1_3repE0EEENS1_47radix_sort_onesweep_sort_config_static_selectorELNS0_4arch9wavefront6targetE1EEEvSK_,"axG",@progbits,_ZN7rocprim17ROCPRIM_400000_NS6detail17trampoline_kernelINS0_14default_configENS1_35radix_sort_onesweep_config_selectorIiNS0_10empty_typeEEEZZNS1_29radix_sort_onesweep_iterationIS3_Lb1EN6thrust23THRUST_200600_302600_NS6detail15normal_iteratorINS9_10device_ptrIiEEEESE_PS5_SF_jNS0_19identity_decomposerENS1_16block_id_wrapperIjLb1EEEEE10hipError_tT1_PNSt15iterator_traitsISK_E10value_typeET2_T3_PNSL_ISQ_E10value_typeET4_T5_PSV_SW_PNS1_23onesweep_lookback_stateEbbT6_jjT7_P12ihipStream_tbENKUlT_T0_SK_SP_E_clISE_SE_SF_SF_EEDaS13_S14_SK_SP_EUlS13_E_NS1_11comp_targetILNS1_3genE5ELNS1_11target_archE942ELNS1_3gpuE9ELNS1_3repE0EEENS1_47radix_sort_onesweep_sort_config_static_selectorELNS0_4arch9wavefront6targetE1EEEvSK_,comdat
	.protected	_ZN7rocprim17ROCPRIM_400000_NS6detail17trampoline_kernelINS0_14default_configENS1_35radix_sort_onesweep_config_selectorIiNS0_10empty_typeEEEZZNS1_29radix_sort_onesweep_iterationIS3_Lb1EN6thrust23THRUST_200600_302600_NS6detail15normal_iteratorINS9_10device_ptrIiEEEESE_PS5_SF_jNS0_19identity_decomposerENS1_16block_id_wrapperIjLb1EEEEE10hipError_tT1_PNSt15iterator_traitsISK_E10value_typeET2_T3_PNSL_ISQ_E10value_typeET4_T5_PSV_SW_PNS1_23onesweep_lookback_stateEbbT6_jjT7_P12ihipStream_tbENKUlT_T0_SK_SP_E_clISE_SE_SF_SF_EEDaS13_S14_SK_SP_EUlS13_E_NS1_11comp_targetILNS1_3genE5ELNS1_11target_archE942ELNS1_3gpuE9ELNS1_3repE0EEENS1_47radix_sort_onesweep_sort_config_static_selectorELNS0_4arch9wavefront6targetE1EEEvSK_ ; -- Begin function _ZN7rocprim17ROCPRIM_400000_NS6detail17trampoline_kernelINS0_14default_configENS1_35radix_sort_onesweep_config_selectorIiNS0_10empty_typeEEEZZNS1_29radix_sort_onesweep_iterationIS3_Lb1EN6thrust23THRUST_200600_302600_NS6detail15normal_iteratorINS9_10device_ptrIiEEEESE_PS5_SF_jNS0_19identity_decomposerENS1_16block_id_wrapperIjLb1EEEEE10hipError_tT1_PNSt15iterator_traitsISK_E10value_typeET2_T3_PNSL_ISQ_E10value_typeET4_T5_PSV_SW_PNS1_23onesweep_lookback_stateEbbT6_jjT7_P12ihipStream_tbENKUlT_T0_SK_SP_E_clISE_SE_SF_SF_EEDaS13_S14_SK_SP_EUlS13_E_NS1_11comp_targetILNS1_3genE5ELNS1_11target_archE942ELNS1_3gpuE9ELNS1_3repE0EEENS1_47radix_sort_onesweep_sort_config_static_selectorELNS0_4arch9wavefront6targetE1EEEvSK_
	.globl	_ZN7rocprim17ROCPRIM_400000_NS6detail17trampoline_kernelINS0_14default_configENS1_35radix_sort_onesweep_config_selectorIiNS0_10empty_typeEEEZZNS1_29radix_sort_onesweep_iterationIS3_Lb1EN6thrust23THRUST_200600_302600_NS6detail15normal_iteratorINS9_10device_ptrIiEEEESE_PS5_SF_jNS0_19identity_decomposerENS1_16block_id_wrapperIjLb1EEEEE10hipError_tT1_PNSt15iterator_traitsISK_E10value_typeET2_T3_PNSL_ISQ_E10value_typeET4_T5_PSV_SW_PNS1_23onesweep_lookback_stateEbbT6_jjT7_P12ihipStream_tbENKUlT_T0_SK_SP_E_clISE_SE_SF_SF_EEDaS13_S14_SK_SP_EUlS13_E_NS1_11comp_targetILNS1_3genE5ELNS1_11target_archE942ELNS1_3gpuE9ELNS1_3repE0EEENS1_47radix_sort_onesweep_sort_config_static_selectorELNS0_4arch9wavefront6targetE1EEEvSK_
	.p2align	8
	.type	_ZN7rocprim17ROCPRIM_400000_NS6detail17trampoline_kernelINS0_14default_configENS1_35radix_sort_onesweep_config_selectorIiNS0_10empty_typeEEEZZNS1_29radix_sort_onesweep_iterationIS3_Lb1EN6thrust23THRUST_200600_302600_NS6detail15normal_iteratorINS9_10device_ptrIiEEEESE_PS5_SF_jNS0_19identity_decomposerENS1_16block_id_wrapperIjLb1EEEEE10hipError_tT1_PNSt15iterator_traitsISK_E10value_typeET2_T3_PNSL_ISQ_E10value_typeET4_T5_PSV_SW_PNS1_23onesweep_lookback_stateEbbT6_jjT7_P12ihipStream_tbENKUlT_T0_SK_SP_E_clISE_SE_SF_SF_EEDaS13_S14_SK_SP_EUlS13_E_NS1_11comp_targetILNS1_3genE5ELNS1_11target_archE942ELNS1_3gpuE9ELNS1_3repE0EEENS1_47radix_sort_onesweep_sort_config_static_selectorELNS0_4arch9wavefront6targetE1EEEvSK_,@function
_ZN7rocprim17ROCPRIM_400000_NS6detail17trampoline_kernelINS0_14default_configENS1_35radix_sort_onesweep_config_selectorIiNS0_10empty_typeEEEZZNS1_29radix_sort_onesweep_iterationIS3_Lb1EN6thrust23THRUST_200600_302600_NS6detail15normal_iteratorINS9_10device_ptrIiEEEESE_PS5_SF_jNS0_19identity_decomposerENS1_16block_id_wrapperIjLb1EEEEE10hipError_tT1_PNSt15iterator_traitsISK_E10value_typeET2_T3_PNSL_ISQ_E10value_typeET4_T5_PSV_SW_PNS1_23onesweep_lookback_stateEbbT6_jjT7_P12ihipStream_tbENKUlT_T0_SK_SP_E_clISE_SE_SF_SF_EEDaS13_S14_SK_SP_EUlS13_E_NS1_11comp_targetILNS1_3genE5ELNS1_11target_archE942ELNS1_3gpuE9ELNS1_3repE0EEENS1_47radix_sort_onesweep_sort_config_static_selectorELNS0_4arch9wavefront6targetE1EEEvSK_: ; @_ZN7rocprim17ROCPRIM_400000_NS6detail17trampoline_kernelINS0_14default_configENS1_35radix_sort_onesweep_config_selectorIiNS0_10empty_typeEEEZZNS1_29radix_sort_onesweep_iterationIS3_Lb1EN6thrust23THRUST_200600_302600_NS6detail15normal_iteratorINS9_10device_ptrIiEEEESE_PS5_SF_jNS0_19identity_decomposerENS1_16block_id_wrapperIjLb1EEEEE10hipError_tT1_PNSt15iterator_traitsISK_E10value_typeET2_T3_PNSL_ISQ_E10value_typeET4_T5_PSV_SW_PNS1_23onesweep_lookback_stateEbbT6_jjT7_P12ihipStream_tbENKUlT_T0_SK_SP_E_clISE_SE_SF_SF_EEDaS13_S14_SK_SP_EUlS13_E_NS1_11comp_targetILNS1_3genE5ELNS1_11target_archE942ELNS1_3gpuE9ELNS1_3repE0EEENS1_47radix_sort_onesweep_sort_config_static_selectorELNS0_4arch9wavefront6targetE1EEEvSK_
; %bb.0:
	.section	.rodata,"a",@progbits
	.p2align	6, 0x0
	.amdhsa_kernel _ZN7rocprim17ROCPRIM_400000_NS6detail17trampoline_kernelINS0_14default_configENS1_35radix_sort_onesweep_config_selectorIiNS0_10empty_typeEEEZZNS1_29radix_sort_onesweep_iterationIS3_Lb1EN6thrust23THRUST_200600_302600_NS6detail15normal_iteratorINS9_10device_ptrIiEEEESE_PS5_SF_jNS0_19identity_decomposerENS1_16block_id_wrapperIjLb1EEEEE10hipError_tT1_PNSt15iterator_traitsISK_E10value_typeET2_T3_PNSL_ISQ_E10value_typeET4_T5_PSV_SW_PNS1_23onesweep_lookback_stateEbbT6_jjT7_P12ihipStream_tbENKUlT_T0_SK_SP_E_clISE_SE_SF_SF_EEDaS13_S14_SK_SP_EUlS13_E_NS1_11comp_targetILNS1_3genE5ELNS1_11target_archE942ELNS1_3gpuE9ELNS1_3repE0EEENS1_47radix_sort_onesweep_sort_config_static_selectorELNS0_4arch9wavefront6targetE1EEEvSK_
		.amdhsa_group_segment_fixed_size 0
		.amdhsa_private_segment_fixed_size 0
		.amdhsa_kernarg_size 88
		.amdhsa_user_sgpr_count 2
		.amdhsa_user_sgpr_dispatch_ptr 0
		.amdhsa_user_sgpr_queue_ptr 0
		.amdhsa_user_sgpr_kernarg_segment_ptr 1
		.amdhsa_user_sgpr_dispatch_id 0
		.amdhsa_user_sgpr_kernarg_preload_length 0
		.amdhsa_user_sgpr_kernarg_preload_offset 0
		.amdhsa_user_sgpr_private_segment_size 0
		.amdhsa_uses_dynamic_stack 0
		.amdhsa_enable_private_segment 0
		.amdhsa_system_sgpr_workgroup_id_x 1
		.amdhsa_system_sgpr_workgroup_id_y 0
		.amdhsa_system_sgpr_workgroup_id_z 0
		.amdhsa_system_sgpr_workgroup_info 0
		.amdhsa_system_vgpr_workitem_id 0
		.amdhsa_next_free_vgpr 1
		.amdhsa_next_free_sgpr 0
		.amdhsa_accum_offset 4
		.amdhsa_reserve_vcc 0
		.amdhsa_float_round_mode_32 0
		.amdhsa_float_round_mode_16_64 0
		.amdhsa_float_denorm_mode_32 3
		.amdhsa_float_denorm_mode_16_64 3
		.amdhsa_dx10_clamp 1
		.amdhsa_ieee_mode 1
		.amdhsa_fp16_overflow 0
		.amdhsa_tg_split 0
		.amdhsa_exception_fp_ieee_invalid_op 0
		.amdhsa_exception_fp_denorm_src 0
		.amdhsa_exception_fp_ieee_div_zero 0
		.amdhsa_exception_fp_ieee_overflow 0
		.amdhsa_exception_fp_ieee_underflow 0
		.amdhsa_exception_fp_ieee_inexact 0
		.amdhsa_exception_int_div_zero 0
	.end_amdhsa_kernel
	.section	.text._ZN7rocprim17ROCPRIM_400000_NS6detail17trampoline_kernelINS0_14default_configENS1_35radix_sort_onesweep_config_selectorIiNS0_10empty_typeEEEZZNS1_29radix_sort_onesweep_iterationIS3_Lb1EN6thrust23THRUST_200600_302600_NS6detail15normal_iteratorINS9_10device_ptrIiEEEESE_PS5_SF_jNS0_19identity_decomposerENS1_16block_id_wrapperIjLb1EEEEE10hipError_tT1_PNSt15iterator_traitsISK_E10value_typeET2_T3_PNSL_ISQ_E10value_typeET4_T5_PSV_SW_PNS1_23onesweep_lookback_stateEbbT6_jjT7_P12ihipStream_tbENKUlT_T0_SK_SP_E_clISE_SE_SF_SF_EEDaS13_S14_SK_SP_EUlS13_E_NS1_11comp_targetILNS1_3genE5ELNS1_11target_archE942ELNS1_3gpuE9ELNS1_3repE0EEENS1_47radix_sort_onesweep_sort_config_static_selectorELNS0_4arch9wavefront6targetE1EEEvSK_,"axG",@progbits,_ZN7rocprim17ROCPRIM_400000_NS6detail17trampoline_kernelINS0_14default_configENS1_35radix_sort_onesweep_config_selectorIiNS0_10empty_typeEEEZZNS1_29radix_sort_onesweep_iterationIS3_Lb1EN6thrust23THRUST_200600_302600_NS6detail15normal_iteratorINS9_10device_ptrIiEEEESE_PS5_SF_jNS0_19identity_decomposerENS1_16block_id_wrapperIjLb1EEEEE10hipError_tT1_PNSt15iterator_traitsISK_E10value_typeET2_T3_PNSL_ISQ_E10value_typeET4_T5_PSV_SW_PNS1_23onesweep_lookback_stateEbbT6_jjT7_P12ihipStream_tbENKUlT_T0_SK_SP_E_clISE_SE_SF_SF_EEDaS13_S14_SK_SP_EUlS13_E_NS1_11comp_targetILNS1_3genE5ELNS1_11target_archE942ELNS1_3gpuE9ELNS1_3repE0EEENS1_47radix_sort_onesweep_sort_config_static_selectorELNS0_4arch9wavefront6targetE1EEEvSK_,comdat
.Lfunc_end338:
	.size	_ZN7rocprim17ROCPRIM_400000_NS6detail17trampoline_kernelINS0_14default_configENS1_35radix_sort_onesweep_config_selectorIiNS0_10empty_typeEEEZZNS1_29radix_sort_onesweep_iterationIS3_Lb1EN6thrust23THRUST_200600_302600_NS6detail15normal_iteratorINS9_10device_ptrIiEEEESE_PS5_SF_jNS0_19identity_decomposerENS1_16block_id_wrapperIjLb1EEEEE10hipError_tT1_PNSt15iterator_traitsISK_E10value_typeET2_T3_PNSL_ISQ_E10value_typeET4_T5_PSV_SW_PNS1_23onesweep_lookback_stateEbbT6_jjT7_P12ihipStream_tbENKUlT_T0_SK_SP_E_clISE_SE_SF_SF_EEDaS13_S14_SK_SP_EUlS13_E_NS1_11comp_targetILNS1_3genE5ELNS1_11target_archE942ELNS1_3gpuE9ELNS1_3repE0EEENS1_47radix_sort_onesweep_sort_config_static_selectorELNS0_4arch9wavefront6targetE1EEEvSK_, .Lfunc_end338-_ZN7rocprim17ROCPRIM_400000_NS6detail17trampoline_kernelINS0_14default_configENS1_35radix_sort_onesweep_config_selectorIiNS0_10empty_typeEEEZZNS1_29radix_sort_onesweep_iterationIS3_Lb1EN6thrust23THRUST_200600_302600_NS6detail15normal_iteratorINS9_10device_ptrIiEEEESE_PS5_SF_jNS0_19identity_decomposerENS1_16block_id_wrapperIjLb1EEEEE10hipError_tT1_PNSt15iterator_traitsISK_E10value_typeET2_T3_PNSL_ISQ_E10value_typeET4_T5_PSV_SW_PNS1_23onesweep_lookback_stateEbbT6_jjT7_P12ihipStream_tbENKUlT_T0_SK_SP_E_clISE_SE_SF_SF_EEDaS13_S14_SK_SP_EUlS13_E_NS1_11comp_targetILNS1_3genE5ELNS1_11target_archE942ELNS1_3gpuE9ELNS1_3repE0EEENS1_47radix_sort_onesweep_sort_config_static_selectorELNS0_4arch9wavefront6targetE1EEEvSK_
                                        ; -- End function
	.set _ZN7rocprim17ROCPRIM_400000_NS6detail17trampoline_kernelINS0_14default_configENS1_35radix_sort_onesweep_config_selectorIiNS0_10empty_typeEEEZZNS1_29radix_sort_onesweep_iterationIS3_Lb1EN6thrust23THRUST_200600_302600_NS6detail15normal_iteratorINS9_10device_ptrIiEEEESE_PS5_SF_jNS0_19identity_decomposerENS1_16block_id_wrapperIjLb1EEEEE10hipError_tT1_PNSt15iterator_traitsISK_E10value_typeET2_T3_PNSL_ISQ_E10value_typeET4_T5_PSV_SW_PNS1_23onesweep_lookback_stateEbbT6_jjT7_P12ihipStream_tbENKUlT_T0_SK_SP_E_clISE_SE_SF_SF_EEDaS13_S14_SK_SP_EUlS13_E_NS1_11comp_targetILNS1_3genE5ELNS1_11target_archE942ELNS1_3gpuE9ELNS1_3repE0EEENS1_47radix_sort_onesweep_sort_config_static_selectorELNS0_4arch9wavefront6targetE1EEEvSK_.num_vgpr, 0
	.set _ZN7rocprim17ROCPRIM_400000_NS6detail17trampoline_kernelINS0_14default_configENS1_35radix_sort_onesweep_config_selectorIiNS0_10empty_typeEEEZZNS1_29radix_sort_onesweep_iterationIS3_Lb1EN6thrust23THRUST_200600_302600_NS6detail15normal_iteratorINS9_10device_ptrIiEEEESE_PS5_SF_jNS0_19identity_decomposerENS1_16block_id_wrapperIjLb1EEEEE10hipError_tT1_PNSt15iterator_traitsISK_E10value_typeET2_T3_PNSL_ISQ_E10value_typeET4_T5_PSV_SW_PNS1_23onesweep_lookback_stateEbbT6_jjT7_P12ihipStream_tbENKUlT_T0_SK_SP_E_clISE_SE_SF_SF_EEDaS13_S14_SK_SP_EUlS13_E_NS1_11comp_targetILNS1_3genE5ELNS1_11target_archE942ELNS1_3gpuE9ELNS1_3repE0EEENS1_47radix_sort_onesweep_sort_config_static_selectorELNS0_4arch9wavefront6targetE1EEEvSK_.num_agpr, 0
	.set _ZN7rocprim17ROCPRIM_400000_NS6detail17trampoline_kernelINS0_14default_configENS1_35radix_sort_onesweep_config_selectorIiNS0_10empty_typeEEEZZNS1_29radix_sort_onesweep_iterationIS3_Lb1EN6thrust23THRUST_200600_302600_NS6detail15normal_iteratorINS9_10device_ptrIiEEEESE_PS5_SF_jNS0_19identity_decomposerENS1_16block_id_wrapperIjLb1EEEEE10hipError_tT1_PNSt15iterator_traitsISK_E10value_typeET2_T3_PNSL_ISQ_E10value_typeET4_T5_PSV_SW_PNS1_23onesweep_lookback_stateEbbT6_jjT7_P12ihipStream_tbENKUlT_T0_SK_SP_E_clISE_SE_SF_SF_EEDaS13_S14_SK_SP_EUlS13_E_NS1_11comp_targetILNS1_3genE5ELNS1_11target_archE942ELNS1_3gpuE9ELNS1_3repE0EEENS1_47radix_sort_onesweep_sort_config_static_selectorELNS0_4arch9wavefront6targetE1EEEvSK_.numbered_sgpr, 0
	.set _ZN7rocprim17ROCPRIM_400000_NS6detail17trampoline_kernelINS0_14default_configENS1_35radix_sort_onesweep_config_selectorIiNS0_10empty_typeEEEZZNS1_29radix_sort_onesweep_iterationIS3_Lb1EN6thrust23THRUST_200600_302600_NS6detail15normal_iteratorINS9_10device_ptrIiEEEESE_PS5_SF_jNS0_19identity_decomposerENS1_16block_id_wrapperIjLb1EEEEE10hipError_tT1_PNSt15iterator_traitsISK_E10value_typeET2_T3_PNSL_ISQ_E10value_typeET4_T5_PSV_SW_PNS1_23onesweep_lookback_stateEbbT6_jjT7_P12ihipStream_tbENKUlT_T0_SK_SP_E_clISE_SE_SF_SF_EEDaS13_S14_SK_SP_EUlS13_E_NS1_11comp_targetILNS1_3genE5ELNS1_11target_archE942ELNS1_3gpuE9ELNS1_3repE0EEENS1_47radix_sort_onesweep_sort_config_static_selectorELNS0_4arch9wavefront6targetE1EEEvSK_.num_named_barrier, 0
	.set _ZN7rocprim17ROCPRIM_400000_NS6detail17trampoline_kernelINS0_14default_configENS1_35radix_sort_onesweep_config_selectorIiNS0_10empty_typeEEEZZNS1_29radix_sort_onesweep_iterationIS3_Lb1EN6thrust23THRUST_200600_302600_NS6detail15normal_iteratorINS9_10device_ptrIiEEEESE_PS5_SF_jNS0_19identity_decomposerENS1_16block_id_wrapperIjLb1EEEEE10hipError_tT1_PNSt15iterator_traitsISK_E10value_typeET2_T3_PNSL_ISQ_E10value_typeET4_T5_PSV_SW_PNS1_23onesweep_lookback_stateEbbT6_jjT7_P12ihipStream_tbENKUlT_T0_SK_SP_E_clISE_SE_SF_SF_EEDaS13_S14_SK_SP_EUlS13_E_NS1_11comp_targetILNS1_3genE5ELNS1_11target_archE942ELNS1_3gpuE9ELNS1_3repE0EEENS1_47radix_sort_onesweep_sort_config_static_selectorELNS0_4arch9wavefront6targetE1EEEvSK_.private_seg_size, 0
	.set _ZN7rocprim17ROCPRIM_400000_NS6detail17trampoline_kernelINS0_14default_configENS1_35radix_sort_onesweep_config_selectorIiNS0_10empty_typeEEEZZNS1_29radix_sort_onesweep_iterationIS3_Lb1EN6thrust23THRUST_200600_302600_NS6detail15normal_iteratorINS9_10device_ptrIiEEEESE_PS5_SF_jNS0_19identity_decomposerENS1_16block_id_wrapperIjLb1EEEEE10hipError_tT1_PNSt15iterator_traitsISK_E10value_typeET2_T3_PNSL_ISQ_E10value_typeET4_T5_PSV_SW_PNS1_23onesweep_lookback_stateEbbT6_jjT7_P12ihipStream_tbENKUlT_T0_SK_SP_E_clISE_SE_SF_SF_EEDaS13_S14_SK_SP_EUlS13_E_NS1_11comp_targetILNS1_3genE5ELNS1_11target_archE942ELNS1_3gpuE9ELNS1_3repE0EEENS1_47radix_sort_onesweep_sort_config_static_selectorELNS0_4arch9wavefront6targetE1EEEvSK_.uses_vcc, 0
	.set _ZN7rocprim17ROCPRIM_400000_NS6detail17trampoline_kernelINS0_14default_configENS1_35radix_sort_onesweep_config_selectorIiNS0_10empty_typeEEEZZNS1_29radix_sort_onesweep_iterationIS3_Lb1EN6thrust23THRUST_200600_302600_NS6detail15normal_iteratorINS9_10device_ptrIiEEEESE_PS5_SF_jNS0_19identity_decomposerENS1_16block_id_wrapperIjLb1EEEEE10hipError_tT1_PNSt15iterator_traitsISK_E10value_typeET2_T3_PNSL_ISQ_E10value_typeET4_T5_PSV_SW_PNS1_23onesweep_lookback_stateEbbT6_jjT7_P12ihipStream_tbENKUlT_T0_SK_SP_E_clISE_SE_SF_SF_EEDaS13_S14_SK_SP_EUlS13_E_NS1_11comp_targetILNS1_3genE5ELNS1_11target_archE942ELNS1_3gpuE9ELNS1_3repE0EEENS1_47radix_sort_onesweep_sort_config_static_selectorELNS0_4arch9wavefront6targetE1EEEvSK_.uses_flat_scratch, 0
	.set _ZN7rocprim17ROCPRIM_400000_NS6detail17trampoline_kernelINS0_14default_configENS1_35radix_sort_onesweep_config_selectorIiNS0_10empty_typeEEEZZNS1_29radix_sort_onesweep_iterationIS3_Lb1EN6thrust23THRUST_200600_302600_NS6detail15normal_iteratorINS9_10device_ptrIiEEEESE_PS5_SF_jNS0_19identity_decomposerENS1_16block_id_wrapperIjLb1EEEEE10hipError_tT1_PNSt15iterator_traitsISK_E10value_typeET2_T3_PNSL_ISQ_E10value_typeET4_T5_PSV_SW_PNS1_23onesweep_lookback_stateEbbT6_jjT7_P12ihipStream_tbENKUlT_T0_SK_SP_E_clISE_SE_SF_SF_EEDaS13_S14_SK_SP_EUlS13_E_NS1_11comp_targetILNS1_3genE5ELNS1_11target_archE942ELNS1_3gpuE9ELNS1_3repE0EEENS1_47radix_sort_onesweep_sort_config_static_selectorELNS0_4arch9wavefront6targetE1EEEvSK_.has_dyn_sized_stack, 0
	.set _ZN7rocprim17ROCPRIM_400000_NS6detail17trampoline_kernelINS0_14default_configENS1_35radix_sort_onesweep_config_selectorIiNS0_10empty_typeEEEZZNS1_29radix_sort_onesweep_iterationIS3_Lb1EN6thrust23THRUST_200600_302600_NS6detail15normal_iteratorINS9_10device_ptrIiEEEESE_PS5_SF_jNS0_19identity_decomposerENS1_16block_id_wrapperIjLb1EEEEE10hipError_tT1_PNSt15iterator_traitsISK_E10value_typeET2_T3_PNSL_ISQ_E10value_typeET4_T5_PSV_SW_PNS1_23onesweep_lookback_stateEbbT6_jjT7_P12ihipStream_tbENKUlT_T0_SK_SP_E_clISE_SE_SF_SF_EEDaS13_S14_SK_SP_EUlS13_E_NS1_11comp_targetILNS1_3genE5ELNS1_11target_archE942ELNS1_3gpuE9ELNS1_3repE0EEENS1_47radix_sort_onesweep_sort_config_static_selectorELNS0_4arch9wavefront6targetE1EEEvSK_.has_recursion, 0
	.set _ZN7rocprim17ROCPRIM_400000_NS6detail17trampoline_kernelINS0_14default_configENS1_35radix_sort_onesweep_config_selectorIiNS0_10empty_typeEEEZZNS1_29radix_sort_onesweep_iterationIS3_Lb1EN6thrust23THRUST_200600_302600_NS6detail15normal_iteratorINS9_10device_ptrIiEEEESE_PS5_SF_jNS0_19identity_decomposerENS1_16block_id_wrapperIjLb1EEEEE10hipError_tT1_PNSt15iterator_traitsISK_E10value_typeET2_T3_PNSL_ISQ_E10value_typeET4_T5_PSV_SW_PNS1_23onesweep_lookback_stateEbbT6_jjT7_P12ihipStream_tbENKUlT_T0_SK_SP_E_clISE_SE_SF_SF_EEDaS13_S14_SK_SP_EUlS13_E_NS1_11comp_targetILNS1_3genE5ELNS1_11target_archE942ELNS1_3gpuE9ELNS1_3repE0EEENS1_47radix_sort_onesweep_sort_config_static_selectorELNS0_4arch9wavefront6targetE1EEEvSK_.has_indirect_call, 0
	.section	.AMDGPU.csdata,"",@progbits
; Kernel info:
; codeLenInByte = 0
; TotalNumSgprs: 6
; NumVgprs: 0
; NumAgprs: 0
; TotalNumVgprs: 0
; ScratchSize: 0
; MemoryBound: 0
; FloatMode: 240
; IeeeMode: 1
; LDSByteSize: 0 bytes/workgroup (compile time only)
; SGPRBlocks: 0
; VGPRBlocks: 0
; NumSGPRsForWavesPerEU: 6
; NumVGPRsForWavesPerEU: 1
; AccumOffset: 4
; Occupancy: 8
; WaveLimiterHint : 0
; COMPUTE_PGM_RSRC2:SCRATCH_EN: 0
; COMPUTE_PGM_RSRC2:USER_SGPR: 2
; COMPUTE_PGM_RSRC2:TRAP_HANDLER: 0
; COMPUTE_PGM_RSRC2:TGID_X_EN: 1
; COMPUTE_PGM_RSRC2:TGID_Y_EN: 0
; COMPUTE_PGM_RSRC2:TGID_Z_EN: 0
; COMPUTE_PGM_RSRC2:TIDIG_COMP_CNT: 0
; COMPUTE_PGM_RSRC3_GFX90A:ACCUM_OFFSET: 0
; COMPUTE_PGM_RSRC3_GFX90A:TG_SPLIT: 0
	.section	.text._ZN7rocprim17ROCPRIM_400000_NS6detail17trampoline_kernelINS0_14default_configENS1_35radix_sort_onesweep_config_selectorIiNS0_10empty_typeEEEZZNS1_29radix_sort_onesweep_iterationIS3_Lb1EN6thrust23THRUST_200600_302600_NS6detail15normal_iteratorINS9_10device_ptrIiEEEESE_PS5_SF_jNS0_19identity_decomposerENS1_16block_id_wrapperIjLb1EEEEE10hipError_tT1_PNSt15iterator_traitsISK_E10value_typeET2_T3_PNSL_ISQ_E10value_typeET4_T5_PSV_SW_PNS1_23onesweep_lookback_stateEbbT6_jjT7_P12ihipStream_tbENKUlT_T0_SK_SP_E_clISE_SE_SF_SF_EEDaS13_S14_SK_SP_EUlS13_E_NS1_11comp_targetILNS1_3genE2ELNS1_11target_archE906ELNS1_3gpuE6ELNS1_3repE0EEENS1_47radix_sort_onesweep_sort_config_static_selectorELNS0_4arch9wavefront6targetE1EEEvSK_,"axG",@progbits,_ZN7rocprim17ROCPRIM_400000_NS6detail17trampoline_kernelINS0_14default_configENS1_35radix_sort_onesweep_config_selectorIiNS0_10empty_typeEEEZZNS1_29radix_sort_onesweep_iterationIS3_Lb1EN6thrust23THRUST_200600_302600_NS6detail15normal_iteratorINS9_10device_ptrIiEEEESE_PS5_SF_jNS0_19identity_decomposerENS1_16block_id_wrapperIjLb1EEEEE10hipError_tT1_PNSt15iterator_traitsISK_E10value_typeET2_T3_PNSL_ISQ_E10value_typeET4_T5_PSV_SW_PNS1_23onesweep_lookback_stateEbbT6_jjT7_P12ihipStream_tbENKUlT_T0_SK_SP_E_clISE_SE_SF_SF_EEDaS13_S14_SK_SP_EUlS13_E_NS1_11comp_targetILNS1_3genE2ELNS1_11target_archE906ELNS1_3gpuE6ELNS1_3repE0EEENS1_47radix_sort_onesweep_sort_config_static_selectorELNS0_4arch9wavefront6targetE1EEEvSK_,comdat
	.protected	_ZN7rocprim17ROCPRIM_400000_NS6detail17trampoline_kernelINS0_14default_configENS1_35radix_sort_onesweep_config_selectorIiNS0_10empty_typeEEEZZNS1_29radix_sort_onesweep_iterationIS3_Lb1EN6thrust23THRUST_200600_302600_NS6detail15normal_iteratorINS9_10device_ptrIiEEEESE_PS5_SF_jNS0_19identity_decomposerENS1_16block_id_wrapperIjLb1EEEEE10hipError_tT1_PNSt15iterator_traitsISK_E10value_typeET2_T3_PNSL_ISQ_E10value_typeET4_T5_PSV_SW_PNS1_23onesweep_lookback_stateEbbT6_jjT7_P12ihipStream_tbENKUlT_T0_SK_SP_E_clISE_SE_SF_SF_EEDaS13_S14_SK_SP_EUlS13_E_NS1_11comp_targetILNS1_3genE2ELNS1_11target_archE906ELNS1_3gpuE6ELNS1_3repE0EEENS1_47radix_sort_onesweep_sort_config_static_selectorELNS0_4arch9wavefront6targetE1EEEvSK_ ; -- Begin function _ZN7rocprim17ROCPRIM_400000_NS6detail17trampoline_kernelINS0_14default_configENS1_35radix_sort_onesweep_config_selectorIiNS0_10empty_typeEEEZZNS1_29radix_sort_onesweep_iterationIS3_Lb1EN6thrust23THRUST_200600_302600_NS6detail15normal_iteratorINS9_10device_ptrIiEEEESE_PS5_SF_jNS0_19identity_decomposerENS1_16block_id_wrapperIjLb1EEEEE10hipError_tT1_PNSt15iterator_traitsISK_E10value_typeET2_T3_PNSL_ISQ_E10value_typeET4_T5_PSV_SW_PNS1_23onesweep_lookback_stateEbbT6_jjT7_P12ihipStream_tbENKUlT_T0_SK_SP_E_clISE_SE_SF_SF_EEDaS13_S14_SK_SP_EUlS13_E_NS1_11comp_targetILNS1_3genE2ELNS1_11target_archE906ELNS1_3gpuE6ELNS1_3repE0EEENS1_47radix_sort_onesweep_sort_config_static_selectorELNS0_4arch9wavefront6targetE1EEEvSK_
	.globl	_ZN7rocprim17ROCPRIM_400000_NS6detail17trampoline_kernelINS0_14default_configENS1_35radix_sort_onesweep_config_selectorIiNS0_10empty_typeEEEZZNS1_29radix_sort_onesweep_iterationIS3_Lb1EN6thrust23THRUST_200600_302600_NS6detail15normal_iteratorINS9_10device_ptrIiEEEESE_PS5_SF_jNS0_19identity_decomposerENS1_16block_id_wrapperIjLb1EEEEE10hipError_tT1_PNSt15iterator_traitsISK_E10value_typeET2_T3_PNSL_ISQ_E10value_typeET4_T5_PSV_SW_PNS1_23onesweep_lookback_stateEbbT6_jjT7_P12ihipStream_tbENKUlT_T0_SK_SP_E_clISE_SE_SF_SF_EEDaS13_S14_SK_SP_EUlS13_E_NS1_11comp_targetILNS1_3genE2ELNS1_11target_archE906ELNS1_3gpuE6ELNS1_3repE0EEENS1_47radix_sort_onesweep_sort_config_static_selectorELNS0_4arch9wavefront6targetE1EEEvSK_
	.p2align	8
	.type	_ZN7rocprim17ROCPRIM_400000_NS6detail17trampoline_kernelINS0_14default_configENS1_35radix_sort_onesweep_config_selectorIiNS0_10empty_typeEEEZZNS1_29radix_sort_onesweep_iterationIS3_Lb1EN6thrust23THRUST_200600_302600_NS6detail15normal_iteratorINS9_10device_ptrIiEEEESE_PS5_SF_jNS0_19identity_decomposerENS1_16block_id_wrapperIjLb1EEEEE10hipError_tT1_PNSt15iterator_traitsISK_E10value_typeET2_T3_PNSL_ISQ_E10value_typeET4_T5_PSV_SW_PNS1_23onesweep_lookback_stateEbbT6_jjT7_P12ihipStream_tbENKUlT_T0_SK_SP_E_clISE_SE_SF_SF_EEDaS13_S14_SK_SP_EUlS13_E_NS1_11comp_targetILNS1_3genE2ELNS1_11target_archE906ELNS1_3gpuE6ELNS1_3repE0EEENS1_47radix_sort_onesweep_sort_config_static_selectorELNS0_4arch9wavefront6targetE1EEEvSK_,@function
_ZN7rocprim17ROCPRIM_400000_NS6detail17trampoline_kernelINS0_14default_configENS1_35radix_sort_onesweep_config_selectorIiNS0_10empty_typeEEEZZNS1_29radix_sort_onesweep_iterationIS3_Lb1EN6thrust23THRUST_200600_302600_NS6detail15normal_iteratorINS9_10device_ptrIiEEEESE_PS5_SF_jNS0_19identity_decomposerENS1_16block_id_wrapperIjLb1EEEEE10hipError_tT1_PNSt15iterator_traitsISK_E10value_typeET2_T3_PNSL_ISQ_E10value_typeET4_T5_PSV_SW_PNS1_23onesweep_lookback_stateEbbT6_jjT7_P12ihipStream_tbENKUlT_T0_SK_SP_E_clISE_SE_SF_SF_EEDaS13_S14_SK_SP_EUlS13_E_NS1_11comp_targetILNS1_3genE2ELNS1_11target_archE906ELNS1_3gpuE6ELNS1_3repE0EEENS1_47radix_sort_onesweep_sort_config_static_selectorELNS0_4arch9wavefront6targetE1EEEvSK_: ; @_ZN7rocprim17ROCPRIM_400000_NS6detail17trampoline_kernelINS0_14default_configENS1_35radix_sort_onesweep_config_selectorIiNS0_10empty_typeEEEZZNS1_29radix_sort_onesweep_iterationIS3_Lb1EN6thrust23THRUST_200600_302600_NS6detail15normal_iteratorINS9_10device_ptrIiEEEESE_PS5_SF_jNS0_19identity_decomposerENS1_16block_id_wrapperIjLb1EEEEE10hipError_tT1_PNSt15iterator_traitsISK_E10value_typeET2_T3_PNSL_ISQ_E10value_typeET4_T5_PSV_SW_PNS1_23onesweep_lookback_stateEbbT6_jjT7_P12ihipStream_tbENKUlT_T0_SK_SP_E_clISE_SE_SF_SF_EEDaS13_S14_SK_SP_EUlS13_E_NS1_11comp_targetILNS1_3genE2ELNS1_11target_archE906ELNS1_3gpuE6ELNS1_3repE0EEENS1_47radix_sort_onesweep_sort_config_static_selectorELNS0_4arch9wavefront6targetE1EEEvSK_
; %bb.0:
	.section	.rodata,"a",@progbits
	.p2align	6, 0x0
	.amdhsa_kernel _ZN7rocprim17ROCPRIM_400000_NS6detail17trampoline_kernelINS0_14default_configENS1_35radix_sort_onesweep_config_selectorIiNS0_10empty_typeEEEZZNS1_29radix_sort_onesweep_iterationIS3_Lb1EN6thrust23THRUST_200600_302600_NS6detail15normal_iteratorINS9_10device_ptrIiEEEESE_PS5_SF_jNS0_19identity_decomposerENS1_16block_id_wrapperIjLb1EEEEE10hipError_tT1_PNSt15iterator_traitsISK_E10value_typeET2_T3_PNSL_ISQ_E10value_typeET4_T5_PSV_SW_PNS1_23onesweep_lookback_stateEbbT6_jjT7_P12ihipStream_tbENKUlT_T0_SK_SP_E_clISE_SE_SF_SF_EEDaS13_S14_SK_SP_EUlS13_E_NS1_11comp_targetILNS1_3genE2ELNS1_11target_archE906ELNS1_3gpuE6ELNS1_3repE0EEENS1_47radix_sort_onesweep_sort_config_static_selectorELNS0_4arch9wavefront6targetE1EEEvSK_
		.amdhsa_group_segment_fixed_size 0
		.amdhsa_private_segment_fixed_size 0
		.amdhsa_kernarg_size 88
		.amdhsa_user_sgpr_count 2
		.amdhsa_user_sgpr_dispatch_ptr 0
		.amdhsa_user_sgpr_queue_ptr 0
		.amdhsa_user_sgpr_kernarg_segment_ptr 1
		.amdhsa_user_sgpr_dispatch_id 0
		.amdhsa_user_sgpr_kernarg_preload_length 0
		.amdhsa_user_sgpr_kernarg_preload_offset 0
		.amdhsa_user_sgpr_private_segment_size 0
		.amdhsa_uses_dynamic_stack 0
		.amdhsa_enable_private_segment 0
		.amdhsa_system_sgpr_workgroup_id_x 1
		.amdhsa_system_sgpr_workgroup_id_y 0
		.amdhsa_system_sgpr_workgroup_id_z 0
		.amdhsa_system_sgpr_workgroup_info 0
		.amdhsa_system_vgpr_workitem_id 0
		.amdhsa_next_free_vgpr 1
		.amdhsa_next_free_sgpr 0
		.amdhsa_accum_offset 4
		.amdhsa_reserve_vcc 0
		.amdhsa_float_round_mode_32 0
		.amdhsa_float_round_mode_16_64 0
		.amdhsa_float_denorm_mode_32 3
		.amdhsa_float_denorm_mode_16_64 3
		.amdhsa_dx10_clamp 1
		.amdhsa_ieee_mode 1
		.amdhsa_fp16_overflow 0
		.amdhsa_tg_split 0
		.amdhsa_exception_fp_ieee_invalid_op 0
		.amdhsa_exception_fp_denorm_src 0
		.amdhsa_exception_fp_ieee_div_zero 0
		.amdhsa_exception_fp_ieee_overflow 0
		.amdhsa_exception_fp_ieee_underflow 0
		.amdhsa_exception_fp_ieee_inexact 0
		.amdhsa_exception_int_div_zero 0
	.end_amdhsa_kernel
	.section	.text._ZN7rocprim17ROCPRIM_400000_NS6detail17trampoline_kernelINS0_14default_configENS1_35radix_sort_onesweep_config_selectorIiNS0_10empty_typeEEEZZNS1_29radix_sort_onesweep_iterationIS3_Lb1EN6thrust23THRUST_200600_302600_NS6detail15normal_iteratorINS9_10device_ptrIiEEEESE_PS5_SF_jNS0_19identity_decomposerENS1_16block_id_wrapperIjLb1EEEEE10hipError_tT1_PNSt15iterator_traitsISK_E10value_typeET2_T3_PNSL_ISQ_E10value_typeET4_T5_PSV_SW_PNS1_23onesweep_lookback_stateEbbT6_jjT7_P12ihipStream_tbENKUlT_T0_SK_SP_E_clISE_SE_SF_SF_EEDaS13_S14_SK_SP_EUlS13_E_NS1_11comp_targetILNS1_3genE2ELNS1_11target_archE906ELNS1_3gpuE6ELNS1_3repE0EEENS1_47radix_sort_onesweep_sort_config_static_selectorELNS0_4arch9wavefront6targetE1EEEvSK_,"axG",@progbits,_ZN7rocprim17ROCPRIM_400000_NS6detail17trampoline_kernelINS0_14default_configENS1_35radix_sort_onesweep_config_selectorIiNS0_10empty_typeEEEZZNS1_29radix_sort_onesweep_iterationIS3_Lb1EN6thrust23THRUST_200600_302600_NS6detail15normal_iteratorINS9_10device_ptrIiEEEESE_PS5_SF_jNS0_19identity_decomposerENS1_16block_id_wrapperIjLb1EEEEE10hipError_tT1_PNSt15iterator_traitsISK_E10value_typeET2_T3_PNSL_ISQ_E10value_typeET4_T5_PSV_SW_PNS1_23onesweep_lookback_stateEbbT6_jjT7_P12ihipStream_tbENKUlT_T0_SK_SP_E_clISE_SE_SF_SF_EEDaS13_S14_SK_SP_EUlS13_E_NS1_11comp_targetILNS1_3genE2ELNS1_11target_archE906ELNS1_3gpuE6ELNS1_3repE0EEENS1_47radix_sort_onesweep_sort_config_static_selectorELNS0_4arch9wavefront6targetE1EEEvSK_,comdat
.Lfunc_end339:
	.size	_ZN7rocprim17ROCPRIM_400000_NS6detail17trampoline_kernelINS0_14default_configENS1_35radix_sort_onesweep_config_selectorIiNS0_10empty_typeEEEZZNS1_29radix_sort_onesweep_iterationIS3_Lb1EN6thrust23THRUST_200600_302600_NS6detail15normal_iteratorINS9_10device_ptrIiEEEESE_PS5_SF_jNS0_19identity_decomposerENS1_16block_id_wrapperIjLb1EEEEE10hipError_tT1_PNSt15iterator_traitsISK_E10value_typeET2_T3_PNSL_ISQ_E10value_typeET4_T5_PSV_SW_PNS1_23onesweep_lookback_stateEbbT6_jjT7_P12ihipStream_tbENKUlT_T0_SK_SP_E_clISE_SE_SF_SF_EEDaS13_S14_SK_SP_EUlS13_E_NS1_11comp_targetILNS1_3genE2ELNS1_11target_archE906ELNS1_3gpuE6ELNS1_3repE0EEENS1_47radix_sort_onesweep_sort_config_static_selectorELNS0_4arch9wavefront6targetE1EEEvSK_, .Lfunc_end339-_ZN7rocprim17ROCPRIM_400000_NS6detail17trampoline_kernelINS0_14default_configENS1_35radix_sort_onesweep_config_selectorIiNS0_10empty_typeEEEZZNS1_29radix_sort_onesweep_iterationIS3_Lb1EN6thrust23THRUST_200600_302600_NS6detail15normal_iteratorINS9_10device_ptrIiEEEESE_PS5_SF_jNS0_19identity_decomposerENS1_16block_id_wrapperIjLb1EEEEE10hipError_tT1_PNSt15iterator_traitsISK_E10value_typeET2_T3_PNSL_ISQ_E10value_typeET4_T5_PSV_SW_PNS1_23onesweep_lookback_stateEbbT6_jjT7_P12ihipStream_tbENKUlT_T0_SK_SP_E_clISE_SE_SF_SF_EEDaS13_S14_SK_SP_EUlS13_E_NS1_11comp_targetILNS1_3genE2ELNS1_11target_archE906ELNS1_3gpuE6ELNS1_3repE0EEENS1_47radix_sort_onesweep_sort_config_static_selectorELNS0_4arch9wavefront6targetE1EEEvSK_
                                        ; -- End function
	.set _ZN7rocprim17ROCPRIM_400000_NS6detail17trampoline_kernelINS0_14default_configENS1_35radix_sort_onesweep_config_selectorIiNS0_10empty_typeEEEZZNS1_29radix_sort_onesweep_iterationIS3_Lb1EN6thrust23THRUST_200600_302600_NS6detail15normal_iteratorINS9_10device_ptrIiEEEESE_PS5_SF_jNS0_19identity_decomposerENS1_16block_id_wrapperIjLb1EEEEE10hipError_tT1_PNSt15iterator_traitsISK_E10value_typeET2_T3_PNSL_ISQ_E10value_typeET4_T5_PSV_SW_PNS1_23onesweep_lookback_stateEbbT6_jjT7_P12ihipStream_tbENKUlT_T0_SK_SP_E_clISE_SE_SF_SF_EEDaS13_S14_SK_SP_EUlS13_E_NS1_11comp_targetILNS1_3genE2ELNS1_11target_archE906ELNS1_3gpuE6ELNS1_3repE0EEENS1_47radix_sort_onesweep_sort_config_static_selectorELNS0_4arch9wavefront6targetE1EEEvSK_.num_vgpr, 0
	.set _ZN7rocprim17ROCPRIM_400000_NS6detail17trampoline_kernelINS0_14default_configENS1_35radix_sort_onesweep_config_selectorIiNS0_10empty_typeEEEZZNS1_29radix_sort_onesweep_iterationIS3_Lb1EN6thrust23THRUST_200600_302600_NS6detail15normal_iteratorINS9_10device_ptrIiEEEESE_PS5_SF_jNS0_19identity_decomposerENS1_16block_id_wrapperIjLb1EEEEE10hipError_tT1_PNSt15iterator_traitsISK_E10value_typeET2_T3_PNSL_ISQ_E10value_typeET4_T5_PSV_SW_PNS1_23onesweep_lookback_stateEbbT6_jjT7_P12ihipStream_tbENKUlT_T0_SK_SP_E_clISE_SE_SF_SF_EEDaS13_S14_SK_SP_EUlS13_E_NS1_11comp_targetILNS1_3genE2ELNS1_11target_archE906ELNS1_3gpuE6ELNS1_3repE0EEENS1_47radix_sort_onesweep_sort_config_static_selectorELNS0_4arch9wavefront6targetE1EEEvSK_.num_agpr, 0
	.set _ZN7rocprim17ROCPRIM_400000_NS6detail17trampoline_kernelINS0_14default_configENS1_35radix_sort_onesweep_config_selectorIiNS0_10empty_typeEEEZZNS1_29radix_sort_onesweep_iterationIS3_Lb1EN6thrust23THRUST_200600_302600_NS6detail15normal_iteratorINS9_10device_ptrIiEEEESE_PS5_SF_jNS0_19identity_decomposerENS1_16block_id_wrapperIjLb1EEEEE10hipError_tT1_PNSt15iterator_traitsISK_E10value_typeET2_T3_PNSL_ISQ_E10value_typeET4_T5_PSV_SW_PNS1_23onesweep_lookback_stateEbbT6_jjT7_P12ihipStream_tbENKUlT_T0_SK_SP_E_clISE_SE_SF_SF_EEDaS13_S14_SK_SP_EUlS13_E_NS1_11comp_targetILNS1_3genE2ELNS1_11target_archE906ELNS1_3gpuE6ELNS1_3repE0EEENS1_47radix_sort_onesweep_sort_config_static_selectorELNS0_4arch9wavefront6targetE1EEEvSK_.numbered_sgpr, 0
	.set _ZN7rocprim17ROCPRIM_400000_NS6detail17trampoline_kernelINS0_14default_configENS1_35radix_sort_onesweep_config_selectorIiNS0_10empty_typeEEEZZNS1_29radix_sort_onesweep_iterationIS3_Lb1EN6thrust23THRUST_200600_302600_NS6detail15normal_iteratorINS9_10device_ptrIiEEEESE_PS5_SF_jNS0_19identity_decomposerENS1_16block_id_wrapperIjLb1EEEEE10hipError_tT1_PNSt15iterator_traitsISK_E10value_typeET2_T3_PNSL_ISQ_E10value_typeET4_T5_PSV_SW_PNS1_23onesweep_lookback_stateEbbT6_jjT7_P12ihipStream_tbENKUlT_T0_SK_SP_E_clISE_SE_SF_SF_EEDaS13_S14_SK_SP_EUlS13_E_NS1_11comp_targetILNS1_3genE2ELNS1_11target_archE906ELNS1_3gpuE6ELNS1_3repE0EEENS1_47radix_sort_onesweep_sort_config_static_selectorELNS0_4arch9wavefront6targetE1EEEvSK_.num_named_barrier, 0
	.set _ZN7rocprim17ROCPRIM_400000_NS6detail17trampoline_kernelINS0_14default_configENS1_35radix_sort_onesweep_config_selectorIiNS0_10empty_typeEEEZZNS1_29radix_sort_onesweep_iterationIS3_Lb1EN6thrust23THRUST_200600_302600_NS6detail15normal_iteratorINS9_10device_ptrIiEEEESE_PS5_SF_jNS0_19identity_decomposerENS1_16block_id_wrapperIjLb1EEEEE10hipError_tT1_PNSt15iterator_traitsISK_E10value_typeET2_T3_PNSL_ISQ_E10value_typeET4_T5_PSV_SW_PNS1_23onesweep_lookback_stateEbbT6_jjT7_P12ihipStream_tbENKUlT_T0_SK_SP_E_clISE_SE_SF_SF_EEDaS13_S14_SK_SP_EUlS13_E_NS1_11comp_targetILNS1_3genE2ELNS1_11target_archE906ELNS1_3gpuE6ELNS1_3repE0EEENS1_47radix_sort_onesweep_sort_config_static_selectorELNS0_4arch9wavefront6targetE1EEEvSK_.private_seg_size, 0
	.set _ZN7rocprim17ROCPRIM_400000_NS6detail17trampoline_kernelINS0_14default_configENS1_35radix_sort_onesweep_config_selectorIiNS0_10empty_typeEEEZZNS1_29radix_sort_onesweep_iterationIS3_Lb1EN6thrust23THRUST_200600_302600_NS6detail15normal_iteratorINS9_10device_ptrIiEEEESE_PS5_SF_jNS0_19identity_decomposerENS1_16block_id_wrapperIjLb1EEEEE10hipError_tT1_PNSt15iterator_traitsISK_E10value_typeET2_T3_PNSL_ISQ_E10value_typeET4_T5_PSV_SW_PNS1_23onesweep_lookback_stateEbbT6_jjT7_P12ihipStream_tbENKUlT_T0_SK_SP_E_clISE_SE_SF_SF_EEDaS13_S14_SK_SP_EUlS13_E_NS1_11comp_targetILNS1_3genE2ELNS1_11target_archE906ELNS1_3gpuE6ELNS1_3repE0EEENS1_47radix_sort_onesweep_sort_config_static_selectorELNS0_4arch9wavefront6targetE1EEEvSK_.uses_vcc, 0
	.set _ZN7rocprim17ROCPRIM_400000_NS6detail17trampoline_kernelINS0_14default_configENS1_35radix_sort_onesweep_config_selectorIiNS0_10empty_typeEEEZZNS1_29radix_sort_onesweep_iterationIS3_Lb1EN6thrust23THRUST_200600_302600_NS6detail15normal_iteratorINS9_10device_ptrIiEEEESE_PS5_SF_jNS0_19identity_decomposerENS1_16block_id_wrapperIjLb1EEEEE10hipError_tT1_PNSt15iterator_traitsISK_E10value_typeET2_T3_PNSL_ISQ_E10value_typeET4_T5_PSV_SW_PNS1_23onesweep_lookback_stateEbbT6_jjT7_P12ihipStream_tbENKUlT_T0_SK_SP_E_clISE_SE_SF_SF_EEDaS13_S14_SK_SP_EUlS13_E_NS1_11comp_targetILNS1_3genE2ELNS1_11target_archE906ELNS1_3gpuE6ELNS1_3repE0EEENS1_47radix_sort_onesweep_sort_config_static_selectorELNS0_4arch9wavefront6targetE1EEEvSK_.uses_flat_scratch, 0
	.set _ZN7rocprim17ROCPRIM_400000_NS6detail17trampoline_kernelINS0_14default_configENS1_35radix_sort_onesweep_config_selectorIiNS0_10empty_typeEEEZZNS1_29radix_sort_onesweep_iterationIS3_Lb1EN6thrust23THRUST_200600_302600_NS6detail15normal_iteratorINS9_10device_ptrIiEEEESE_PS5_SF_jNS0_19identity_decomposerENS1_16block_id_wrapperIjLb1EEEEE10hipError_tT1_PNSt15iterator_traitsISK_E10value_typeET2_T3_PNSL_ISQ_E10value_typeET4_T5_PSV_SW_PNS1_23onesweep_lookback_stateEbbT6_jjT7_P12ihipStream_tbENKUlT_T0_SK_SP_E_clISE_SE_SF_SF_EEDaS13_S14_SK_SP_EUlS13_E_NS1_11comp_targetILNS1_3genE2ELNS1_11target_archE906ELNS1_3gpuE6ELNS1_3repE0EEENS1_47radix_sort_onesweep_sort_config_static_selectorELNS0_4arch9wavefront6targetE1EEEvSK_.has_dyn_sized_stack, 0
	.set _ZN7rocprim17ROCPRIM_400000_NS6detail17trampoline_kernelINS0_14default_configENS1_35radix_sort_onesweep_config_selectorIiNS0_10empty_typeEEEZZNS1_29radix_sort_onesweep_iterationIS3_Lb1EN6thrust23THRUST_200600_302600_NS6detail15normal_iteratorINS9_10device_ptrIiEEEESE_PS5_SF_jNS0_19identity_decomposerENS1_16block_id_wrapperIjLb1EEEEE10hipError_tT1_PNSt15iterator_traitsISK_E10value_typeET2_T3_PNSL_ISQ_E10value_typeET4_T5_PSV_SW_PNS1_23onesweep_lookback_stateEbbT6_jjT7_P12ihipStream_tbENKUlT_T0_SK_SP_E_clISE_SE_SF_SF_EEDaS13_S14_SK_SP_EUlS13_E_NS1_11comp_targetILNS1_3genE2ELNS1_11target_archE906ELNS1_3gpuE6ELNS1_3repE0EEENS1_47radix_sort_onesweep_sort_config_static_selectorELNS0_4arch9wavefront6targetE1EEEvSK_.has_recursion, 0
	.set _ZN7rocprim17ROCPRIM_400000_NS6detail17trampoline_kernelINS0_14default_configENS1_35radix_sort_onesweep_config_selectorIiNS0_10empty_typeEEEZZNS1_29radix_sort_onesweep_iterationIS3_Lb1EN6thrust23THRUST_200600_302600_NS6detail15normal_iteratorINS9_10device_ptrIiEEEESE_PS5_SF_jNS0_19identity_decomposerENS1_16block_id_wrapperIjLb1EEEEE10hipError_tT1_PNSt15iterator_traitsISK_E10value_typeET2_T3_PNSL_ISQ_E10value_typeET4_T5_PSV_SW_PNS1_23onesweep_lookback_stateEbbT6_jjT7_P12ihipStream_tbENKUlT_T0_SK_SP_E_clISE_SE_SF_SF_EEDaS13_S14_SK_SP_EUlS13_E_NS1_11comp_targetILNS1_3genE2ELNS1_11target_archE906ELNS1_3gpuE6ELNS1_3repE0EEENS1_47radix_sort_onesweep_sort_config_static_selectorELNS0_4arch9wavefront6targetE1EEEvSK_.has_indirect_call, 0
	.section	.AMDGPU.csdata,"",@progbits
; Kernel info:
; codeLenInByte = 0
; TotalNumSgprs: 6
; NumVgprs: 0
; NumAgprs: 0
; TotalNumVgprs: 0
; ScratchSize: 0
; MemoryBound: 0
; FloatMode: 240
; IeeeMode: 1
; LDSByteSize: 0 bytes/workgroup (compile time only)
; SGPRBlocks: 0
; VGPRBlocks: 0
; NumSGPRsForWavesPerEU: 6
; NumVGPRsForWavesPerEU: 1
; AccumOffset: 4
; Occupancy: 8
; WaveLimiterHint : 0
; COMPUTE_PGM_RSRC2:SCRATCH_EN: 0
; COMPUTE_PGM_RSRC2:USER_SGPR: 2
; COMPUTE_PGM_RSRC2:TRAP_HANDLER: 0
; COMPUTE_PGM_RSRC2:TGID_X_EN: 1
; COMPUTE_PGM_RSRC2:TGID_Y_EN: 0
; COMPUTE_PGM_RSRC2:TGID_Z_EN: 0
; COMPUTE_PGM_RSRC2:TIDIG_COMP_CNT: 0
; COMPUTE_PGM_RSRC3_GFX90A:ACCUM_OFFSET: 0
; COMPUTE_PGM_RSRC3_GFX90A:TG_SPLIT: 0
	.section	.text._ZN7rocprim17ROCPRIM_400000_NS6detail17trampoline_kernelINS0_14default_configENS1_35radix_sort_onesweep_config_selectorIiNS0_10empty_typeEEEZZNS1_29radix_sort_onesweep_iterationIS3_Lb1EN6thrust23THRUST_200600_302600_NS6detail15normal_iteratorINS9_10device_ptrIiEEEESE_PS5_SF_jNS0_19identity_decomposerENS1_16block_id_wrapperIjLb1EEEEE10hipError_tT1_PNSt15iterator_traitsISK_E10value_typeET2_T3_PNSL_ISQ_E10value_typeET4_T5_PSV_SW_PNS1_23onesweep_lookback_stateEbbT6_jjT7_P12ihipStream_tbENKUlT_T0_SK_SP_E_clISE_SE_SF_SF_EEDaS13_S14_SK_SP_EUlS13_E_NS1_11comp_targetILNS1_3genE4ELNS1_11target_archE910ELNS1_3gpuE8ELNS1_3repE0EEENS1_47radix_sort_onesweep_sort_config_static_selectorELNS0_4arch9wavefront6targetE1EEEvSK_,"axG",@progbits,_ZN7rocprim17ROCPRIM_400000_NS6detail17trampoline_kernelINS0_14default_configENS1_35radix_sort_onesweep_config_selectorIiNS0_10empty_typeEEEZZNS1_29radix_sort_onesweep_iterationIS3_Lb1EN6thrust23THRUST_200600_302600_NS6detail15normal_iteratorINS9_10device_ptrIiEEEESE_PS5_SF_jNS0_19identity_decomposerENS1_16block_id_wrapperIjLb1EEEEE10hipError_tT1_PNSt15iterator_traitsISK_E10value_typeET2_T3_PNSL_ISQ_E10value_typeET4_T5_PSV_SW_PNS1_23onesweep_lookback_stateEbbT6_jjT7_P12ihipStream_tbENKUlT_T0_SK_SP_E_clISE_SE_SF_SF_EEDaS13_S14_SK_SP_EUlS13_E_NS1_11comp_targetILNS1_3genE4ELNS1_11target_archE910ELNS1_3gpuE8ELNS1_3repE0EEENS1_47radix_sort_onesweep_sort_config_static_selectorELNS0_4arch9wavefront6targetE1EEEvSK_,comdat
	.protected	_ZN7rocprim17ROCPRIM_400000_NS6detail17trampoline_kernelINS0_14default_configENS1_35radix_sort_onesweep_config_selectorIiNS0_10empty_typeEEEZZNS1_29radix_sort_onesweep_iterationIS3_Lb1EN6thrust23THRUST_200600_302600_NS6detail15normal_iteratorINS9_10device_ptrIiEEEESE_PS5_SF_jNS0_19identity_decomposerENS1_16block_id_wrapperIjLb1EEEEE10hipError_tT1_PNSt15iterator_traitsISK_E10value_typeET2_T3_PNSL_ISQ_E10value_typeET4_T5_PSV_SW_PNS1_23onesweep_lookback_stateEbbT6_jjT7_P12ihipStream_tbENKUlT_T0_SK_SP_E_clISE_SE_SF_SF_EEDaS13_S14_SK_SP_EUlS13_E_NS1_11comp_targetILNS1_3genE4ELNS1_11target_archE910ELNS1_3gpuE8ELNS1_3repE0EEENS1_47radix_sort_onesweep_sort_config_static_selectorELNS0_4arch9wavefront6targetE1EEEvSK_ ; -- Begin function _ZN7rocprim17ROCPRIM_400000_NS6detail17trampoline_kernelINS0_14default_configENS1_35radix_sort_onesweep_config_selectorIiNS0_10empty_typeEEEZZNS1_29radix_sort_onesweep_iterationIS3_Lb1EN6thrust23THRUST_200600_302600_NS6detail15normal_iteratorINS9_10device_ptrIiEEEESE_PS5_SF_jNS0_19identity_decomposerENS1_16block_id_wrapperIjLb1EEEEE10hipError_tT1_PNSt15iterator_traitsISK_E10value_typeET2_T3_PNSL_ISQ_E10value_typeET4_T5_PSV_SW_PNS1_23onesweep_lookback_stateEbbT6_jjT7_P12ihipStream_tbENKUlT_T0_SK_SP_E_clISE_SE_SF_SF_EEDaS13_S14_SK_SP_EUlS13_E_NS1_11comp_targetILNS1_3genE4ELNS1_11target_archE910ELNS1_3gpuE8ELNS1_3repE0EEENS1_47radix_sort_onesweep_sort_config_static_selectorELNS0_4arch9wavefront6targetE1EEEvSK_
	.globl	_ZN7rocprim17ROCPRIM_400000_NS6detail17trampoline_kernelINS0_14default_configENS1_35radix_sort_onesweep_config_selectorIiNS0_10empty_typeEEEZZNS1_29radix_sort_onesweep_iterationIS3_Lb1EN6thrust23THRUST_200600_302600_NS6detail15normal_iteratorINS9_10device_ptrIiEEEESE_PS5_SF_jNS0_19identity_decomposerENS1_16block_id_wrapperIjLb1EEEEE10hipError_tT1_PNSt15iterator_traitsISK_E10value_typeET2_T3_PNSL_ISQ_E10value_typeET4_T5_PSV_SW_PNS1_23onesweep_lookback_stateEbbT6_jjT7_P12ihipStream_tbENKUlT_T0_SK_SP_E_clISE_SE_SF_SF_EEDaS13_S14_SK_SP_EUlS13_E_NS1_11comp_targetILNS1_3genE4ELNS1_11target_archE910ELNS1_3gpuE8ELNS1_3repE0EEENS1_47radix_sort_onesweep_sort_config_static_selectorELNS0_4arch9wavefront6targetE1EEEvSK_
	.p2align	8
	.type	_ZN7rocprim17ROCPRIM_400000_NS6detail17trampoline_kernelINS0_14default_configENS1_35radix_sort_onesweep_config_selectorIiNS0_10empty_typeEEEZZNS1_29radix_sort_onesweep_iterationIS3_Lb1EN6thrust23THRUST_200600_302600_NS6detail15normal_iteratorINS9_10device_ptrIiEEEESE_PS5_SF_jNS0_19identity_decomposerENS1_16block_id_wrapperIjLb1EEEEE10hipError_tT1_PNSt15iterator_traitsISK_E10value_typeET2_T3_PNSL_ISQ_E10value_typeET4_T5_PSV_SW_PNS1_23onesweep_lookback_stateEbbT6_jjT7_P12ihipStream_tbENKUlT_T0_SK_SP_E_clISE_SE_SF_SF_EEDaS13_S14_SK_SP_EUlS13_E_NS1_11comp_targetILNS1_3genE4ELNS1_11target_archE910ELNS1_3gpuE8ELNS1_3repE0EEENS1_47radix_sort_onesweep_sort_config_static_selectorELNS0_4arch9wavefront6targetE1EEEvSK_,@function
_ZN7rocprim17ROCPRIM_400000_NS6detail17trampoline_kernelINS0_14default_configENS1_35radix_sort_onesweep_config_selectorIiNS0_10empty_typeEEEZZNS1_29radix_sort_onesweep_iterationIS3_Lb1EN6thrust23THRUST_200600_302600_NS6detail15normal_iteratorINS9_10device_ptrIiEEEESE_PS5_SF_jNS0_19identity_decomposerENS1_16block_id_wrapperIjLb1EEEEE10hipError_tT1_PNSt15iterator_traitsISK_E10value_typeET2_T3_PNSL_ISQ_E10value_typeET4_T5_PSV_SW_PNS1_23onesweep_lookback_stateEbbT6_jjT7_P12ihipStream_tbENKUlT_T0_SK_SP_E_clISE_SE_SF_SF_EEDaS13_S14_SK_SP_EUlS13_E_NS1_11comp_targetILNS1_3genE4ELNS1_11target_archE910ELNS1_3gpuE8ELNS1_3repE0EEENS1_47radix_sort_onesweep_sort_config_static_selectorELNS0_4arch9wavefront6targetE1EEEvSK_: ; @_ZN7rocprim17ROCPRIM_400000_NS6detail17trampoline_kernelINS0_14default_configENS1_35radix_sort_onesweep_config_selectorIiNS0_10empty_typeEEEZZNS1_29radix_sort_onesweep_iterationIS3_Lb1EN6thrust23THRUST_200600_302600_NS6detail15normal_iteratorINS9_10device_ptrIiEEEESE_PS5_SF_jNS0_19identity_decomposerENS1_16block_id_wrapperIjLb1EEEEE10hipError_tT1_PNSt15iterator_traitsISK_E10value_typeET2_T3_PNSL_ISQ_E10value_typeET4_T5_PSV_SW_PNS1_23onesweep_lookback_stateEbbT6_jjT7_P12ihipStream_tbENKUlT_T0_SK_SP_E_clISE_SE_SF_SF_EEDaS13_S14_SK_SP_EUlS13_E_NS1_11comp_targetILNS1_3genE4ELNS1_11target_archE910ELNS1_3gpuE8ELNS1_3repE0EEENS1_47radix_sort_onesweep_sort_config_static_selectorELNS0_4arch9wavefront6targetE1EEEvSK_
; %bb.0:
	.section	.rodata,"a",@progbits
	.p2align	6, 0x0
	.amdhsa_kernel _ZN7rocprim17ROCPRIM_400000_NS6detail17trampoline_kernelINS0_14default_configENS1_35radix_sort_onesweep_config_selectorIiNS0_10empty_typeEEEZZNS1_29radix_sort_onesweep_iterationIS3_Lb1EN6thrust23THRUST_200600_302600_NS6detail15normal_iteratorINS9_10device_ptrIiEEEESE_PS5_SF_jNS0_19identity_decomposerENS1_16block_id_wrapperIjLb1EEEEE10hipError_tT1_PNSt15iterator_traitsISK_E10value_typeET2_T3_PNSL_ISQ_E10value_typeET4_T5_PSV_SW_PNS1_23onesweep_lookback_stateEbbT6_jjT7_P12ihipStream_tbENKUlT_T0_SK_SP_E_clISE_SE_SF_SF_EEDaS13_S14_SK_SP_EUlS13_E_NS1_11comp_targetILNS1_3genE4ELNS1_11target_archE910ELNS1_3gpuE8ELNS1_3repE0EEENS1_47radix_sort_onesweep_sort_config_static_selectorELNS0_4arch9wavefront6targetE1EEEvSK_
		.amdhsa_group_segment_fixed_size 0
		.amdhsa_private_segment_fixed_size 0
		.amdhsa_kernarg_size 88
		.amdhsa_user_sgpr_count 2
		.amdhsa_user_sgpr_dispatch_ptr 0
		.amdhsa_user_sgpr_queue_ptr 0
		.amdhsa_user_sgpr_kernarg_segment_ptr 1
		.amdhsa_user_sgpr_dispatch_id 0
		.amdhsa_user_sgpr_kernarg_preload_length 0
		.amdhsa_user_sgpr_kernarg_preload_offset 0
		.amdhsa_user_sgpr_private_segment_size 0
		.amdhsa_uses_dynamic_stack 0
		.amdhsa_enable_private_segment 0
		.amdhsa_system_sgpr_workgroup_id_x 1
		.amdhsa_system_sgpr_workgroup_id_y 0
		.amdhsa_system_sgpr_workgroup_id_z 0
		.amdhsa_system_sgpr_workgroup_info 0
		.amdhsa_system_vgpr_workitem_id 0
		.amdhsa_next_free_vgpr 1
		.amdhsa_next_free_sgpr 0
		.amdhsa_accum_offset 4
		.amdhsa_reserve_vcc 0
		.amdhsa_float_round_mode_32 0
		.amdhsa_float_round_mode_16_64 0
		.amdhsa_float_denorm_mode_32 3
		.amdhsa_float_denorm_mode_16_64 3
		.amdhsa_dx10_clamp 1
		.amdhsa_ieee_mode 1
		.amdhsa_fp16_overflow 0
		.amdhsa_tg_split 0
		.amdhsa_exception_fp_ieee_invalid_op 0
		.amdhsa_exception_fp_denorm_src 0
		.amdhsa_exception_fp_ieee_div_zero 0
		.amdhsa_exception_fp_ieee_overflow 0
		.amdhsa_exception_fp_ieee_underflow 0
		.amdhsa_exception_fp_ieee_inexact 0
		.amdhsa_exception_int_div_zero 0
	.end_amdhsa_kernel
	.section	.text._ZN7rocprim17ROCPRIM_400000_NS6detail17trampoline_kernelINS0_14default_configENS1_35radix_sort_onesweep_config_selectorIiNS0_10empty_typeEEEZZNS1_29radix_sort_onesweep_iterationIS3_Lb1EN6thrust23THRUST_200600_302600_NS6detail15normal_iteratorINS9_10device_ptrIiEEEESE_PS5_SF_jNS0_19identity_decomposerENS1_16block_id_wrapperIjLb1EEEEE10hipError_tT1_PNSt15iterator_traitsISK_E10value_typeET2_T3_PNSL_ISQ_E10value_typeET4_T5_PSV_SW_PNS1_23onesweep_lookback_stateEbbT6_jjT7_P12ihipStream_tbENKUlT_T0_SK_SP_E_clISE_SE_SF_SF_EEDaS13_S14_SK_SP_EUlS13_E_NS1_11comp_targetILNS1_3genE4ELNS1_11target_archE910ELNS1_3gpuE8ELNS1_3repE0EEENS1_47radix_sort_onesweep_sort_config_static_selectorELNS0_4arch9wavefront6targetE1EEEvSK_,"axG",@progbits,_ZN7rocprim17ROCPRIM_400000_NS6detail17trampoline_kernelINS0_14default_configENS1_35radix_sort_onesweep_config_selectorIiNS0_10empty_typeEEEZZNS1_29radix_sort_onesweep_iterationIS3_Lb1EN6thrust23THRUST_200600_302600_NS6detail15normal_iteratorINS9_10device_ptrIiEEEESE_PS5_SF_jNS0_19identity_decomposerENS1_16block_id_wrapperIjLb1EEEEE10hipError_tT1_PNSt15iterator_traitsISK_E10value_typeET2_T3_PNSL_ISQ_E10value_typeET4_T5_PSV_SW_PNS1_23onesweep_lookback_stateEbbT6_jjT7_P12ihipStream_tbENKUlT_T0_SK_SP_E_clISE_SE_SF_SF_EEDaS13_S14_SK_SP_EUlS13_E_NS1_11comp_targetILNS1_3genE4ELNS1_11target_archE910ELNS1_3gpuE8ELNS1_3repE0EEENS1_47radix_sort_onesweep_sort_config_static_selectorELNS0_4arch9wavefront6targetE1EEEvSK_,comdat
.Lfunc_end340:
	.size	_ZN7rocprim17ROCPRIM_400000_NS6detail17trampoline_kernelINS0_14default_configENS1_35radix_sort_onesweep_config_selectorIiNS0_10empty_typeEEEZZNS1_29radix_sort_onesweep_iterationIS3_Lb1EN6thrust23THRUST_200600_302600_NS6detail15normal_iteratorINS9_10device_ptrIiEEEESE_PS5_SF_jNS0_19identity_decomposerENS1_16block_id_wrapperIjLb1EEEEE10hipError_tT1_PNSt15iterator_traitsISK_E10value_typeET2_T3_PNSL_ISQ_E10value_typeET4_T5_PSV_SW_PNS1_23onesweep_lookback_stateEbbT6_jjT7_P12ihipStream_tbENKUlT_T0_SK_SP_E_clISE_SE_SF_SF_EEDaS13_S14_SK_SP_EUlS13_E_NS1_11comp_targetILNS1_3genE4ELNS1_11target_archE910ELNS1_3gpuE8ELNS1_3repE0EEENS1_47radix_sort_onesweep_sort_config_static_selectorELNS0_4arch9wavefront6targetE1EEEvSK_, .Lfunc_end340-_ZN7rocprim17ROCPRIM_400000_NS6detail17trampoline_kernelINS0_14default_configENS1_35radix_sort_onesweep_config_selectorIiNS0_10empty_typeEEEZZNS1_29radix_sort_onesweep_iterationIS3_Lb1EN6thrust23THRUST_200600_302600_NS6detail15normal_iteratorINS9_10device_ptrIiEEEESE_PS5_SF_jNS0_19identity_decomposerENS1_16block_id_wrapperIjLb1EEEEE10hipError_tT1_PNSt15iterator_traitsISK_E10value_typeET2_T3_PNSL_ISQ_E10value_typeET4_T5_PSV_SW_PNS1_23onesweep_lookback_stateEbbT6_jjT7_P12ihipStream_tbENKUlT_T0_SK_SP_E_clISE_SE_SF_SF_EEDaS13_S14_SK_SP_EUlS13_E_NS1_11comp_targetILNS1_3genE4ELNS1_11target_archE910ELNS1_3gpuE8ELNS1_3repE0EEENS1_47radix_sort_onesweep_sort_config_static_selectorELNS0_4arch9wavefront6targetE1EEEvSK_
                                        ; -- End function
	.set _ZN7rocprim17ROCPRIM_400000_NS6detail17trampoline_kernelINS0_14default_configENS1_35radix_sort_onesweep_config_selectorIiNS0_10empty_typeEEEZZNS1_29radix_sort_onesweep_iterationIS3_Lb1EN6thrust23THRUST_200600_302600_NS6detail15normal_iteratorINS9_10device_ptrIiEEEESE_PS5_SF_jNS0_19identity_decomposerENS1_16block_id_wrapperIjLb1EEEEE10hipError_tT1_PNSt15iterator_traitsISK_E10value_typeET2_T3_PNSL_ISQ_E10value_typeET4_T5_PSV_SW_PNS1_23onesweep_lookback_stateEbbT6_jjT7_P12ihipStream_tbENKUlT_T0_SK_SP_E_clISE_SE_SF_SF_EEDaS13_S14_SK_SP_EUlS13_E_NS1_11comp_targetILNS1_3genE4ELNS1_11target_archE910ELNS1_3gpuE8ELNS1_3repE0EEENS1_47radix_sort_onesweep_sort_config_static_selectorELNS0_4arch9wavefront6targetE1EEEvSK_.num_vgpr, 0
	.set _ZN7rocprim17ROCPRIM_400000_NS6detail17trampoline_kernelINS0_14default_configENS1_35radix_sort_onesweep_config_selectorIiNS0_10empty_typeEEEZZNS1_29radix_sort_onesweep_iterationIS3_Lb1EN6thrust23THRUST_200600_302600_NS6detail15normal_iteratorINS9_10device_ptrIiEEEESE_PS5_SF_jNS0_19identity_decomposerENS1_16block_id_wrapperIjLb1EEEEE10hipError_tT1_PNSt15iterator_traitsISK_E10value_typeET2_T3_PNSL_ISQ_E10value_typeET4_T5_PSV_SW_PNS1_23onesweep_lookback_stateEbbT6_jjT7_P12ihipStream_tbENKUlT_T0_SK_SP_E_clISE_SE_SF_SF_EEDaS13_S14_SK_SP_EUlS13_E_NS1_11comp_targetILNS1_3genE4ELNS1_11target_archE910ELNS1_3gpuE8ELNS1_3repE0EEENS1_47radix_sort_onesweep_sort_config_static_selectorELNS0_4arch9wavefront6targetE1EEEvSK_.num_agpr, 0
	.set _ZN7rocprim17ROCPRIM_400000_NS6detail17trampoline_kernelINS0_14default_configENS1_35radix_sort_onesweep_config_selectorIiNS0_10empty_typeEEEZZNS1_29radix_sort_onesweep_iterationIS3_Lb1EN6thrust23THRUST_200600_302600_NS6detail15normal_iteratorINS9_10device_ptrIiEEEESE_PS5_SF_jNS0_19identity_decomposerENS1_16block_id_wrapperIjLb1EEEEE10hipError_tT1_PNSt15iterator_traitsISK_E10value_typeET2_T3_PNSL_ISQ_E10value_typeET4_T5_PSV_SW_PNS1_23onesweep_lookback_stateEbbT6_jjT7_P12ihipStream_tbENKUlT_T0_SK_SP_E_clISE_SE_SF_SF_EEDaS13_S14_SK_SP_EUlS13_E_NS1_11comp_targetILNS1_3genE4ELNS1_11target_archE910ELNS1_3gpuE8ELNS1_3repE0EEENS1_47radix_sort_onesweep_sort_config_static_selectorELNS0_4arch9wavefront6targetE1EEEvSK_.numbered_sgpr, 0
	.set _ZN7rocprim17ROCPRIM_400000_NS6detail17trampoline_kernelINS0_14default_configENS1_35radix_sort_onesweep_config_selectorIiNS0_10empty_typeEEEZZNS1_29radix_sort_onesweep_iterationIS3_Lb1EN6thrust23THRUST_200600_302600_NS6detail15normal_iteratorINS9_10device_ptrIiEEEESE_PS5_SF_jNS0_19identity_decomposerENS1_16block_id_wrapperIjLb1EEEEE10hipError_tT1_PNSt15iterator_traitsISK_E10value_typeET2_T3_PNSL_ISQ_E10value_typeET4_T5_PSV_SW_PNS1_23onesweep_lookback_stateEbbT6_jjT7_P12ihipStream_tbENKUlT_T0_SK_SP_E_clISE_SE_SF_SF_EEDaS13_S14_SK_SP_EUlS13_E_NS1_11comp_targetILNS1_3genE4ELNS1_11target_archE910ELNS1_3gpuE8ELNS1_3repE0EEENS1_47radix_sort_onesweep_sort_config_static_selectorELNS0_4arch9wavefront6targetE1EEEvSK_.num_named_barrier, 0
	.set _ZN7rocprim17ROCPRIM_400000_NS6detail17trampoline_kernelINS0_14default_configENS1_35radix_sort_onesweep_config_selectorIiNS0_10empty_typeEEEZZNS1_29radix_sort_onesweep_iterationIS3_Lb1EN6thrust23THRUST_200600_302600_NS6detail15normal_iteratorINS9_10device_ptrIiEEEESE_PS5_SF_jNS0_19identity_decomposerENS1_16block_id_wrapperIjLb1EEEEE10hipError_tT1_PNSt15iterator_traitsISK_E10value_typeET2_T3_PNSL_ISQ_E10value_typeET4_T5_PSV_SW_PNS1_23onesweep_lookback_stateEbbT6_jjT7_P12ihipStream_tbENKUlT_T0_SK_SP_E_clISE_SE_SF_SF_EEDaS13_S14_SK_SP_EUlS13_E_NS1_11comp_targetILNS1_3genE4ELNS1_11target_archE910ELNS1_3gpuE8ELNS1_3repE0EEENS1_47radix_sort_onesweep_sort_config_static_selectorELNS0_4arch9wavefront6targetE1EEEvSK_.private_seg_size, 0
	.set _ZN7rocprim17ROCPRIM_400000_NS6detail17trampoline_kernelINS0_14default_configENS1_35radix_sort_onesweep_config_selectorIiNS0_10empty_typeEEEZZNS1_29radix_sort_onesweep_iterationIS3_Lb1EN6thrust23THRUST_200600_302600_NS6detail15normal_iteratorINS9_10device_ptrIiEEEESE_PS5_SF_jNS0_19identity_decomposerENS1_16block_id_wrapperIjLb1EEEEE10hipError_tT1_PNSt15iterator_traitsISK_E10value_typeET2_T3_PNSL_ISQ_E10value_typeET4_T5_PSV_SW_PNS1_23onesweep_lookback_stateEbbT6_jjT7_P12ihipStream_tbENKUlT_T0_SK_SP_E_clISE_SE_SF_SF_EEDaS13_S14_SK_SP_EUlS13_E_NS1_11comp_targetILNS1_3genE4ELNS1_11target_archE910ELNS1_3gpuE8ELNS1_3repE0EEENS1_47radix_sort_onesweep_sort_config_static_selectorELNS0_4arch9wavefront6targetE1EEEvSK_.uses_vcc, 0
	.set _ZN7rocprim17ROCPRIM_400000_NS6detail17trampoline_kernelINS0_14default_configENS1_35radix_sort_onesweep_config_selectorIiNS0_10empty_typeEEEZZNS1_29radix_sort_onesweep_iterationIS3_Lb1EN6thrust23THRUST_200600_302600_NS6detail15normal_iteratorINS9_10device_ptrIiEEEESE_PS5_SF_jNS0_19identity_decomposerENS1_16block_id_wrapperIjLb1EEEEE10hipError_tT1_PNSt15iterator_traitsISK_E10value_typeET2_T3_PNSL_ISQ_E10value_typeET4_T5_PSV_SW_PNS1_23onesweep_lookback_stateEbbT6_jjT7_P12ihipStream_tbENKUlT_T0_SK_SP_E_clISE_SE_SF_SF_EEDaS13_S14_SK_SP_EUlS13_E_NS1_11comp_targetILNS1_3genE4ELNS1_11target_archE910ELNS1_3gpuE8ELNS1_3repE0EEENS1_47radix_sort_onesweep_sort_config_static_selectorELNS0_4arch9wavefront6targetE1EEEvSK_.uses_flat_scratch, 0
	.set _ZN7rocprim17ROCPRIM_400000_NS6detail17trampoline_kernelINS0_14default_configENS1_35radix_sort_onesweep_config_selectorIiNS0_10empty_typeEEEZZNS1_29radix_sort_onesweep_iterationIS3_Lb1EN6thrust23THRUST_200600_302600_NS6detail15normal_iteratorINS9_10device_ptrIiEEEESE_PS5_SF_jNS0_19identity_decomposerENS1_16block_id_wrapperIjLb1EEEEE10hipError_tT1_PNSt15iterator_traitsISK_E10value_typeET2_T3_PNSL_ISQ_E10value_typeET4_T5_PSV_SW_PNS1_23onesweep_lookback_stateEbbT6_jjT7_P12ihipStream_tbENKUlT_T0_SK_SP_E_clISE_SE_SF_SF_EEDaS13_S14_SK_SP_EUlS13_E_NS1_11comp_targetILNS1_3genE4ELNS1_11target_archE910ELNS1_3gpuE8ELNS1_3repE0EEENS1_47radix_sort_onesweep_sort_config_static_selectorELNS0_4arch9wavefront6targetE1EEEvSK_.has_dyn_sized_stack, 0
	.set _ZN7rocprim17ROCPRIM_400000_NS6detail17trampoline_kernelINS0_14default_configENS1_35radix_sort_onesweep_config_selectorIiNS0_10empty_typeEEEZZNS1_29radix_sort_onesweep_iterationIS3_Lb1EN6thrust23THRUST_200600_302600_NS6detail15normal_iteratorINS9_10device_ptrIiEEEESE_PS5_SF_jNS0_19identity_decomposerENS1_16block_id_wrapperIjLb1EEEEE10hipError_tT1_PNSt15iterator_traitsISK_E10value_typeET2_T3_PNSL_ISQ_E10value_typeET4_T5_PSV_SW_PNS1_23onesweep_lookback_stateEbbT6_jjT7_P12ihipStream_tbENKUlT_T0_SK_SP_E_clISE_SE_SF_SF_EEDaS13_S14_SK_SP_EUlS13_E_NS1_11comp_targetILNS1_3genE4ELNS1_11target_archE910ELNS1_3gpuE8ELNS1_3repE0EEENS1_47radix_sort_onesweep_sort_config_static_selectorELNS0_4arch9wavefront6targetE1EEEvSK_.has_recursion, 0
	.set _ZN7rocprim17ROCPRIM_400000_NS6detail17trampoline_kernelINS0_14default_configENS1_35radix_sort_onesweep_config_selectorIiNS0_10empty_typeEEEZZNS1_29radix_sort_onesweep_iterationIS3_Lb1EN6thrust23THRUST_200600_302600_NS6detail15normal_iteratorINS9_10device_ptrIiEEEESE_PS5_SF_jNS0_19identity_decomposerENS1_16block_id_wrapperIjLb1EEEEE10hipError_tT1_PNSt15iterator_traitsISK_E10value_typeET2_T3_PNSL_ISQ_E10value_typeET4_T5_PSV_SW_PNS1_23onesweep_lookback_stateEbbT6_jjT7_P12ihipStream_tbENKUlT_T0_SK_SP_E_clISE_SE_SF_SF_EEDaS13_S14_SK_SP_EUlS13_E_NS1_11comp_targetILNS1_3genE4ELNS1_11target_archE910ELNS1_3gpuE8ELNS1_3repE0EEENS1_47radix_sort_onesweep_sort_config_static_selectorELNS0_4arch9wavefront6targetE1EEEvSK_.has_indirect_call, 0
	.section	.AMDGPU.csdata,"",@progbits
; Kernel info:
; codeLenInByte = 0
; TotalNumSgprs: 6
; NumVgprs: 0
; NumAgprs: 0
; TotalNumVgprs: 0
; ScratchSize: 0
; MemoryBound: 0
; FloatMode: 240
; IeeeMode: 1
; LDSByteSize: 0 bytes/workgroup (compile time only)
; SGPRBlocks: 0
; VGPRBlocks: 0
; NumSGPRsForWavesPerEU: 6
; NumVGPRsForWavesPerEU: 1
; AccumOffset: 4
; Occupancy: 8
; WaveLimiterHint : 0
; COMPUTE_PGM_RSRC2:SCRATCH_EN: 0
; COMPUTE_PGM_RSRC2:USER_SGPR: 2
; COMPUTE_PGM_RSRC2:TRAP_HANDLER: 0
; COMPUTE_PGM_RSRC2:TGID_X_EN: 1
; COMPUTE_PGM_RSRC2:TGID_Y_EN: 0
; COMPUTE_PGM_RSRC2:TGID_Z_EN: 0
; COMPUTE_PGM_RSRC2:TIDIG_COMP_CNT: 0
; COMPUTE_PGM_RSRC3_GFX90A:ACCUM_OFFSET: 0
; COMPUTE_PGM_RSRC3_GFX90A:TG_SPLIT: 0
	.section	.text._ZN7rocprim17ROCPRIM_400000_NS6detail17trampoline_kernelINS0_14default_configENS1_35radix_sort_onesweep_config_selectorIiNS0_10empty_typeEEEZZNS1_29radix_sort_onesweep_iterationIS3_Lb1EN6thrust23THRUST_200600_302600_NS6detail15normal_iteratorINS9_10device_ptrIiEEEESE_PS5_SF_jNS0_19identity_decomposerENS1_16block_id_wrapperIjLb1EEEEE10hipError_tT1_PNSt15iterator_traitsISK_E10value_typeET2_T3_PNSL_ISQ_E10value_typeET4_T5_PSV_SW_PNS1_23onesweep_lookback_stateEbbT6_jjT7_P12ihipStream_tbENKUlT_T0_SK_SP_E_clISE_SE_SF_SF_EEDaS13_S14_SK_SP_EUlS13_E_NS1_11comp_targetILNS1_3genE3ELNS1_11target_archE908ELNS1_3gpuE7ELNS1_3repE0EEENS1_47radix_sort_onesweep_sort_config_static_selectorELNS0_4arch9wavefront6targetE1EEEvSK_,"axG",@progbits,_ZN7rocprim17ROCPRIM_400000_NS6detail17trampoline_kernelINS0_14default_configENS1_35radix_sort_onesweep_config_selectorIiNS0_10empty_typeEEEZZNS1_29radix_sort_onesweep_iterationIS3_Lb1EN6thrust23THRUST_200600_302600_NS6detail15normal_iteratorINS9_10device_ptrIiEEEESE_PS5_SF_jNS0_19identity_decomposerENS1_16block_id_wrapperIjLb1EEEEE10hipError_tT1_PNSt15iterator_traitsISK_E10value_typeET2_T3_PNSL_ISQ_E10value_typeET4_T5_PSV_SW_PNS1_23onesweep_lookback_stateEbbT6_jjT7_P12ihipStream_tbENKUlT_T0_SK_SP_E_clISE_SE_SF_SF_EEDaS13_S14_SK_SP_EUlS13_E_NS1_11comp_targetILNS1_3genE3ELNS1_11target_archE908ELNS1_3gpuE7ELNS1_3repE0EEENS1_47radix_sort_onesweep_sort_config_static_selectorELNS0_4arch9wavefront6targetE1EEEvSK_,comdat
	.protected	_ZN7rocprim17ROCPRIM_400000_NS6detail17trampoline_kernelINS0_14default_configENS1_35radix_sort_onesweep_config_selectorIiNS0_10empty_typeEEEZZNS1_29radix_sort_onesweep_iterationIS3_Lb1EN6thrust23THRUST_200600_302600_NS6detail15normal_iteratorINS9_10device_ptrIiEEEESE_PS5_SF_jNS0_19identity_decomposerENS1_16block_id_wrapperIjLb1EEEEE10hipError_tT1_PNSt15iterator_traitsISK_E10value_typeET2_T3_PNSL_ISQ_E10value_typeET4_T5_PSV_SW_PNS1_23onesweep_lookback_stateEbbT6_jjT7_P12ihipStream_tbENKUlT_T0_SK_SP_E_clISE_SE_SF_SF_EEDaS13_S14_SK_SP_EUlS13_E_NS1_11comp_targetILNS1_3genE3ELNS1_11target_archE908ELNS1_3gpuE7ELNS1_3repE0EEENS1_47radix_sort_onesweep_sort_config_static_selectorELNS0_4arch9wavefront6targetE1EEEvSK_ ; -- Begin function _ZN7rocprim17ROCPRIM_400000_NS6detail17trampoline_kernelINS0_14default_configENS1_35radix_sort_onesweep_config_selectorIiNS0_10empty_typeEEEZZNS1_29radix_sort_onesweep_iterationIS3_Lb1EN6thrust23THRUST_200600_302600_NS6detail15normal_iteratorINS9_10device_ptrIiEEEESE_PS5_SF_jNS0_19identity_decomposerENS1_16block_id_wrapperIjLb1EEEEE10hipError_tT1_PNSt15iterator_traitsISK_E10value_typeET2_T3_PNSL_ISQ_E10value_typeET4_T5_PSV_SW_PNS1_23onesweep_lookback_stateEbbT6_jjT7_P12ihipStream_tbENKUlT_T0_SK_SP_E_clISE_SE_SF_SF_EEDaS13_S14_SK_SP_EUlS13_E_NS1_11comp_targetILNS1_3genE3ELNS1_11target_archE908ELNS1_3gpuE7ELNS1_3repE0EEENS1_47radix_sort_onesweep_sort_config_static_selectorELNS0_4arch9wavefront6targetE1EEEvSK_
	.globl	_ZN7rocprim17ROCPRIM_400000_NS6detail17trampoline_kernelINS0_14default_configENS1_35radix_sort_onesweep_config_selectorIiNS0_10empty_typeEEEZZNS1_29radix_sort_onesweep_iterationIS3_Lb1EN6thrust23THRUST_200600_302600_NS6detail15normal_iteratorINS9_10device_ptrIiEEEESE_PS5_SF_jNS0_19identity_decomposerENS1_16block_id_wrapperIjLb1EEEEE10hipError_tT1_PNSt15iterator_traitsISK_E10value_typeET2_T3_PNSL_ISQ_E10value_typeET4_T5_PSV_SW_PNS1_23onesweep_lookback_stateEbbT6_jjT7_P12ihipStream_tbENKUlT_T0_SK_SP_E_clISE_SE_SF_SF_EEDaS13_S14_SK_SP_EUlS13_E_NS1_11comp_targetILNS1_3genE3ELNS1_11target_archE908ELNS1_3gpuE7ELNS1_3repE0EEENS1_47radix_sort_onesweep_sort_config_static_selectorELNS0_4arch9wavefront6targetE1EEEvSK_
	.p2align	8
	.type	_ZN7rocprim17ROCPRIM_400000_NS6detail17trampoline_kernelINS0_14default_configENS1_35radix_sort_onesweep_config_selectorIiNS0_10empty_typeEEEZZNS1_29radix_sort_onesweep_iterationIS3_Lb1EN6thrust23THRUST_200600_302600_NS6detail15normal_iteratorINS9_10device_ptrIiEEEESE_PS5_SF_jNS0_19identity_decomposerENS1_16block_id_wrapperIjLb1EEEEE10hipError_tT1_PNSt15iterator_traitsISK_E10value_typeET2_T3_PNSL_ISQ_E10value_typeET4_T5_PSV_SW_PNS1_23onesweep_lookback_stateEbbT6_jjT7_P12ihipStream_tbENKUlT_T0_SK_SP_E_clISE_SE_SF_SF_EEDaS13_S14_SK_SP_EUlS13_E_NS1_11comp_targetILNS1_3genE3ELNS1_11target_archE908ELNS1_3gpuE7ELNS1_3repE0EEENS1_47radix_sort_onesweep_sort_config_static_selectorELNS0_4arch9wavefront6targetE1EEEvSK_,@function
_ZN7rocprim17ROCPRIM_400000_NS6detail17trampoline_kernelINS0_14default_configENS1_35radix_sort_onesweep_config_selectorIiNS0_10empty_typeEEEZZNS1_29radix_sort_onesweep_iterationIS3_Lb1EN6thrust23THRUST_200600_302600_NS6detail15normal_iteratorINS9_10device_ptrIiEEEESE_PS5_SF_jNS0_19identity_decomposerENS1_16block_id_wrapperIjLb1EEEEE10hipError_tT1_PNSt15iterator_traitsISK_E10value_typeET2_T3_PNSL_ISQ_E10value_typeET4_T5_PSV_SW_PNS1_23onesweep_lookback_stateEbbT6_jjT7_P12ihipStream_tbENKUlT_T0_SK_SP_E_clISE_SE_SF_SF_EEDaS13_S14_SK_SP_EUlS13_E_NS1_11comp_targetILNS1_3genE3ELNS1_11target_archE908ELNS1_3gpuE7ELNS1_3repE0EEENS1_47radix_sort_onesweep_sort_config_static_selectorELNS0_4arch9wavefront6targetE1EEEvSK_: ; @_ZN7rocprim17ROCPRIM_400000_NS6detail17trampoline_kernelINS0_14default_configENS1_35radix_sort_onesweep_config_selectorIiNS0_10empty_typeEEEZZNS1_29radix_sort_onesweep_iterationIS3_Lb1EN6thrust23THRUST_200600_302600_NS6detail15normal_iteratorINS9_10device_ptrIiEEEESE_PS5_SF_jNS0_19identity_decomposerENS1_16block_id_wrapperIjLb1EEEEE10hipError_tT1_PNSt15iterator_traitsISK_E10value_typeET2_T3_PNSL_ISQ_E10value_typeET4_T5_PSV_SW_PNS1_23onesweep_lookback_stateEbbT6_jjT7_P12ihipStream_tbENKUlT_T0_SK_SP_E_clISE_SE_SF_SF_EEDaS13_S14_SK_SP_EUlS13_E_NS1_11comp_targetILNS1_3genE3ELNS1_11target_archE908ELNS1_3gpuE7ELNS1_3repE0EEENS1_47radix_sort_onesweep_sort_config_static_selectorELNS0_4arch9wavefront6targetE1EEEvSK_
; %bb.0:
	.section	.rodata,"a",@progbits
	.p2align	6, 0x0
	.amdhsa_kernel _ZN7rocprim17ROCPRIM_400000_NS6detail17trampoline_kernelINS0_14default_configENS1_35radix_sort_onesweep_config_selectorIiNS0_10empty_typeEEEZZNS1_29radix_sort_onesweep_iterationIS3_Lb1EN6thrust23THRUST_200600_302600_NS6detail15normal_iteratorINS9_10device_ptrIiEEEESE_PS5_SF_jNS0_19identity_decomposerENS1_16block_id_wrapperIjLb1EEEEE10hipError_tT1_PNSt15iterator_traitsISK_E10value_typeET2_T3_PNSL_ISQ_E10value_typeET4_T5_PSV_SW_PNS1_23onesweep_lookback_stateEbbT6_jjT7_P12ihipStream_tbENKUlT_T0_SK_SP_E_clISE_SE_SF_SF_EEDaS13_S14_SK_SP_EUlS13_E_NS1_11comp_targetILNS1_3genE3ELNS1_11target_archE908ELNS1_3gpuE7ELNS1_3repE0EEENS1_47radix_sort_onesweep_sort_config_static_selectorELNS0_4arch9wavefront6targetE1EEEvSK_
		.amdhsa_group_segment_fixed_size 0
		.amdhsa_private_segment_fixed_size 0
		.amdhsa_kernarg_size 88
		.amdhsa_user_sgpr_count 2
		.amdhsa_user_sgpr_dispatch_ptr 0
		.amdhsa_user_sgpr_queue_ptr 0
		.amdhsa_user_sgpr_kernarg_segment_ptr 1
		.amdhsa_user_sgpr_dispatch_id 0
		.amdhsa_user_sgpr_kernarg_preload_length 0
		.amdhsa_user_sgpr_kernarg_preload_offset 0
		.amdhsa_user_sgpr_private_segment_size 0
		.amdhsa_uses_dynamic_stack 0
		.amdhsa_enable_private_segment 0
		.amdhsa_system_sgpr_workgroup_id_x 1
		.amdhsa_system_sgpr_workgroup_id_y 0
		.amdhsa_system_sgpr_workgroup_id_z 0
		.amdhsa_system_sgpr_workgroup_info 0
		.amdhsa_system_vgpr_workitem_id 0
		.amdhsa_next_free_vgpr 1
		.amdhsa_next_free_sgpr 0
		.amdhsa_accum_offset 4
		.amdhsa_reserve_vcc 0
		.amdhsa_float_round_mode_32 0
		.amdhsa_float_round_mode_16_64 0
		.amdhsa_float_denorm_mode_32 3
		.amdhsa_float_denorm_mode_16_64 3
		.amdhsa_dx10_clamp 1
		.amdhsa_ieee_mode 1
		.amdhsa_fp16_overflow 0
		.amdhsa_tg_split 0
		.amdhsa_exception_fp_ieee_invalid_op 0
		.amdhsa_exception_fp_denorm_src 0
		.amdhsa_exception_fp_ieee_div_zero 0
		.amdhsa_exception_fp_ieee_overflow 0
		.amdhsa_exception_fp_ieee_underflow 0
		.amdhsa_exception_fp_ieee_inexact 0
		.amdhsa_exception_int_div_zero 0
	.end_amdhsa_kernel
	.section	.text._ZN7rocprim17ROCPRIM_400000_NS6detail17trampoline_kernelINS0_14default_configENS1_35radix_sort_onesweep_config_selectorIiNS0_10empty_typeEEEZZNS1_29radix_sort_onesweep_iterationIS3_Lb1EN6thrust23THRUST_200600_302600_NS6detail15normal_iteratorINS9_10device_ptrIiEEEESE_PS5_SF_jNS0_19identity_decomposerENS1_16block_id_wrapperIjLb1EEEEE10hipError_tT1_PNSt15iterator_traitsISK_E10value_typeET2_T3_PNSL_ISQ_E10value_typeET4_T5_PSV_SW_PNS1_23onesweep_lookback_stateEbbT6_jjT7_P12ihipStream_tbENKUlT_T0_SK_SP_E_clISE_SE_SF_SF_EEDaS13_S14_SK_SP_EUlS13_E_NS1_11comp_targetILNS1_3genE3ELNS1_11target_archE908ELNS1_3gpuE7ELNS1_3repE0EEENS1_47radix_sort_onesweep_sort_config_static_selectorELNS0_4arch9wavefront6targetE1EEEvSK_,"axG",@progbits,_ZN7rocprim17ROCPRIM_400000_NS6detail17trampoline_kernelINS0_14default_configENS1_35radix_sort_onesweep_config_selectorIiNS0_10empty_typeEEEZZNS1_29radix_sort_onesweep_iterationIS3_Lb1EN6thrust23THRUST_200600_302600_NS6detail15normal_iteratorINS9_10device_ptrIiEEEESE_PS5_SF_jNS0_19identity_decomposerENS1_16block_id_wrapperIjLb1EEEEE10hipError_tT1_PNSt15iterator_traitsISK_E10value_typeET2_T3_PNSL_ISQ_E10value_typeET4_T5_PSV_SW_PNS1_23onesweep_lookback_stateEbbT6_jjT7_P12ihipStream_tbENKUlT_T0_SK_SP_E_clISE_SE_SF_SF_EEDaS13_S14_SK_SP_EUlS13_E_NS1_11comp_targetILNS1_3genE3ELNS1_11target_archE908ELNS1_3gpuE7ELNS1_3repE0EEENS1_47radix_sort_onesweep_sort_config_static_selectorELNS0_4arch9wavefront6targetE1EEEvSK_,comdat
.Lfunc_end341:
	.size	_ZN7rocprim17ROCPRIM_400000_NS6detail17trampoline_kernelINS0_14default_configENS1_35radix_sort_onesweep_config_selectorIiNS0_10empty_typeEEEZZNS1_29radix_sort_onesweep_iterationIS3_Lb1EN6thrust23THRUST_200600_302600_NS6detail15normal_iteratorINS9_10device_ptrIiEEEESE_PS5_SF_jNS0_19identity_decomposerENS1_16block_id_wrapperIjLb1EEEEE10hipError_tT1_PNSt15iterator_traitsISK_E10value_typeET2_T3_PNSL_ISQ_E10value_typeET4_T5_PSV_SW_PNS1_23onesweep_lookback_stateEbbT6_jjT7_P12ihipStream_tbENKUlT_T0_SK_SP_E_clISE_SE_SF_SF_EEDaS13_S14_SK_SP_EUlS13_E_NS1_11comp_targetILNS1_3genE3ELNS1_11target_archE908ELNS1_3gpuE7ELNS1_3repE0EEENS1_47radix_sort_onesweep_sort_config_static_selectorELNS0_4arch9wavefront6targetE1EEEvSK_, .Lfunc_end341-_ZN7rocprim17ROCPRIM_400000_NS6detail17trampoline_kernelINS0_14default_configENS1_35radix_sort_onesweep_config_selectorIiNS0_10empty_typeEEEZZNS1_29radix_sort_onesweep_iterationIS3_Lb1EN6thrust23THRUST_200600_302600_NS6detail15normal_iteratorINS9_10device_ptrIiEEEESE_PS5_SF_jNS0_19identity_decomposerENS1_16block_id_wrapperIjLb1EEEEE10hipError_tT1_PNSt15iterator_traitsISK_E10value_typeET2_T3_PNSL_ISQ_E10value_typeET4_T5_PSV_SW_PNS1_23onesweep_lookback_stateEbbT6_jjT7_P12ihipStream_tbENKUlT_T0_SK_SP_E_clISE_SE_SF_SF_EEDaS13_S14_SK_SP_EUlS13_E_NS1_11comp_targetILNS1_3genE3ELNS1_11target_archE908ELNS1_3gpuE7ELNS1_3repE0EEENS1_47radix_sort_onesweep_sort_config_static_selectorELNS0_4arch9wavefront6targetE1EEEvSK_
                                        ; -- End function
	.set _ZN7rocprim17ROCPRIM_400000_NS6detail17trampoline_kernelINS0_14default_configENS1_35radix_sort_onesweep_config_selectorIiNS0_10empty_typeEEEZZNS1_29radix_sort_onesweep_iterationIS3_Lb1EN6thrust23THRUST_200600_302600_NS6detail15normal_iteratorINS9_10device_ptrIiEEEESE_PS5_SF_jNS0_19identity_decomposerENS1_16block_id_wrapperIjLb1EEEEE10hipError_tT1_PNSt15iterator_traitsISK_E10value_typeET2_T3_PNSL_ISQ_E10value_typeET4_T5_PSV_SW_PNS1_23onesweep_lookback_stateEbbT6_jjT7_P12ihipStream_tbENKUlT_T0_SK_SP_E_clISE_SE_SF_SF_EEDaS13_S14_SK_SP_EUlS13_E_NS1_11comp_targetILNS1_3genE3ELNS1_11target_archE908ELNS1_3gpuE7ELNS1_3repE0EEENS1_47radix_sort_onesweep_sort_config_static_selectorELNS0_4arch9wavefront6targetE1EEEvSK_.num_vgpr, 0
	.set _ZN7rocprim17ROCPRIM_400000_NS6detail17trampoline_kernelINS0_14default_configENS1_35radix_sort_onesweep_config_selectorIiNS0_10empty_typeEEEZZNS1_29radix_sort_onesweep_iterationIS3_Lb1EN6thrust23THRUST_200600_302600_NS6detail15normal_iteratorINS9_10device_ptrIiEEEESE_PS5_SF_jNS0_19identity_decomposerENS1_16block_id_wrapperIjLb1EEEEE10hipError_tT1_PNSt15iterator_traitsISK_E10value_typeET2_T3_PNSL_ISQ_E10value_typeET4_T5_PSV_SW_PNS1_23onesweep_lookback_stateEbbT6_jjT7_P12ihipStream_tbENKUlT_T0_SK_SP_E_clISE_SE_SF_SF_EEDaS13_S14_SK_SP_EUlS13_E_NS1_11comp_targetILNS1_3genE3ELNS1_11target_archE908ELNS1_3gpuE7ELNS1_3repE0EEENS1_47radix_sort_onesweep_sort_config_static_selectorELNS0_4arch9wavefront6targetE1EEEvSK_.num_agpr, 0
	.set _ZN7rocprim17ROCPRIM_400000_NS6detail17trampoline_kernelINS0_14default_configENS1_35radix_sort_onesweep_config_selectorIiNS0_10empty_typeEEEZZNS1_29radix_sort_onesweep_iterationIS3_Lb1EN6thrust23THRUST_200600_302600_NS6detail15normal_iteratorINS9_10device_ptrIiEEEESE_PS5_SF_jNS0_19identity_decomposerENS1_16block_id_wrapperIjLb1EEEEE10hipError_tT1_PNSt15iterator_traitsISK_E10value_typeET2_T3_PNSL_ISQ_E10value_typeET4_T5_PSV_SW_PNS1_23onesweep_lookback_stateEbbT6_jjT7_P12ihipStream_tbENKUlT_T0_SK_SP_E_clISE_SE_SF_SF_EEDaS13_S14_SK_SP_EUlS13_E_NS1_11comp_targetILNS1_3genE3ELNS1_11target_archE908ELNS1_3gpuE7ELNS1_3repE0EEENS1_47radix_sort_onesweep_sort_config_static_selectorELNS0_4arch9wavefront6targetE1EEEvSK_.numbered_sgpr, 0
	.set _ZN7rocprim17ROCPRIM_400000_NS6detail17trampoline_kernelINS0_14default_configENS1_35radix_sort_onesweep_config_selectorIiNS0_10empty_typeEEEZZNS1_29radix_sort_onesweep_iterationIS3_Lb1EN6thrust23THRUST_200600_302600_NS6detail15normal_iteratorINS9_10device_ptrIiEEEESE_PS5_SF_jNS0_19identity_decomposerENS1_16block_id_wrapperIjLb1EEEEE10hipError_tT1_PNSt15iterator_traitsISK_E10value_typeET2_T3_PNSL_ISQ_E10value_typeET4_T5_PSV_SW_PNS1_23onesweep_lookback_stateEbbT6_jjT7_P12ihipStream_tbENKUlT_T0_SK_SP_E_clISE_SE_SF_SF_EEDaS13_S14_SK_SP_EUlS13_E_NS1_11comp_targetILNS1_3genE3ELNS1_11target_archE908ELNS1_3gpuE7ELNS1_3repE0EEENS1_47radix_sort_onesweep_sort_config_static_selectorELNS0_4arch9wavefront6targetE1EEEvSK_.num_named_barrier, 0
	.set _ZN7rocprim17ROCPRIM_400000_NS6detail17trampoline_kernelINS0_14default_configENS1_35radix_sort_onesweep_config_selectorIiNS0_10empty_typeEEEZZNS1_29radix_sort_onesweep_iterationIS3_Lb1EN6thrust23THRUST_200600_302600_NS6detail15normal_iteratorINS9_10device_ptrIiEEEESE_PS5_SF_jNS0_19identity_decomposerENS1_16block_id_wrapperIjLb1EEEEE10hipError_tT1_PNSt15iterator_traitsISK_E10value_typeET2_T3_PNSL_ISQ_E10value_typeET4_T5_PSV_SW_PNS1_23onesweep_lookback_stateEbbT6_jjT7_P12ihipStream_tbENKUlT_T0_SK_SP_E_clISE_SE_SF_SF_EEDaS13_S14_SK_SP_EUlS13_E_NS1_11comp_targetILNS1_3genE3ELNS1_11target_archE908ELNS1_3gpuE7ELNS1_3repE0EEENS1_47radix_sort_onesweep_sort_config_static_selectorELNS0_4arch9wavefront6targetE1EEEvSK_.private_seg_size, 0
	.set _ZN7rocprim17ROCPRIM_400000_NS6detail17trampoline_kernelINS0_14default_configENS1_35radix_sort_onesweep_config_selectorIiNS0_10empty_typeEEEZZNS1_29radix_sort_onesweep_iterationIS3_Lb1EN6thrust23THRUST_200600_302600_NS6detail15normal_iteratorINS9_10device_ptrIiEEEESE_PS5_SF_jNS0_19identity_decomposerENS1_16block_id_wrapperIjLb1EEEEE10hipError_tT1_PNSt15iterator_traitsISK_E10value_typeET2_T3_PNSL_ISQ_E10value_typeET4_T5_PSV_SW_PNS1_23onesweep_lookback_stateEbbT6_jjT7_P12ihipStream_tbENKUlT_T0_SK_SP_E_clISE_SE_SF_SF_EEDaS13_S14_SK_SP_EUlS13_E_NS1_11comp_targetILNS1_3genE3ELNS1_11target_archE908ELNS1_3gpuE7ELNS1_3repE0EEENS1_47radix_sort_onesweep_sort_config_static_selectorELNS0_4arch9wavefront6targetE1EEEvSK_.uses_vcc, 0
	.set _ZN7rocprim17ROCPRIM_400000_NS6detail17trampoline_kernelINS0_14default_configENS1_35radix_sort_onesweep_config_selectorIiNS0_10empty_typeEEEZZNS1_29radix_sort_onesweep_iterationIS3_Lb1EN6thrust23THRUST_200600_302600_NS6detail15normal_iteratorINS9_10device_ptrIiEEEESE_PS5_SF_jNS0_19identity_decomposerENS1_16block_id_wrapperIjLb1EEEEE10hipError_tT1_PNSt15iterator_traitsISK_E10value_typeET2_T3_PNSL_ISQ_E10value_typeET4_T5_PSV_SW_PNS1_23onesweep_lookback_stateEbbT6_jjT7_P12ihipStream_tbENKUlT_T0_SK_SP_E_clISE_SE_SF_SF_EEDaS13_S14_SK_SP_EUlS13_E_NS1_11comp_targetILNS1_3genE3ELNS1_11target_archE908ELNS1_3gpuE7ELNS1_3repE0EEENS1_47radix_sort_onesweep_sort_config_static_selectorELNS0_4arch9wavefront6targetE1EEEvSK_.uses_flat_scratch, 0
	.set _ZN7rocprim17ROCPRIM_400000_NS6detail17trampoline_kernelINS0_14default_configENS1_35radix_sort_onesweep_config_selectorIiNS0_10empty_typeEEEZZNS1_29radix_sort_onesweep_iterationIS3_Lb1EN6thrust23THRUST_200600_302600_NS6detail15normal_iteratorINS9_10device_ptrIiEEEESE_PS5_SF_jNS0_19identity_decomposerENS1_16block_id_wrapperIjLb1EEEEE10hipError_tT1_PNSt15iterator_traitsISK_E10value_typeET2_T3_PNSL_ISQ_E10value_typeET4_T5_PSV_SW_PNS1_23onesweep_lookback_stateEbbT6_jjT7_P12ihipStream_tbENKUlT_T0_SK_SP_E_clISE_SE_SF_SF_EEDaS13_S14_SK_SP_EUlS13_E_NS1_11comp_targetILNS1_3genE3ELNS1_11target_archE908ELNS1_3gpuE7ELNS1_3repE0EEENS1_47radix_sort_onesweep_sort_config_static_selectorELNS0_4arch9wavefront6targetE1EEEvSK_.has_dyn_sized_stack, 0
	.set _ZN7rocprim17ROCPRIM_400000_NS6detail17trampoline_kernelINS0_14default_configENS1_35radix_sort_onesweep_config_selectorIiNS0_10empty_typeEEEZZNS1_29radix_sort_onesweep_iterationIS3_Lb1EN6thrust23THRUST_200600_302600_NS6detail15normal_iteratorINS9_10device_ptrIiEEEESE_PS5_SF_jNS0_19identity_decomposerENS1_16block_id_wrapperIjLb1EEEEE10hipError_tT1_PNSt15iterator_traitsISK_E10value_typeET2_T3_PNSL_ISQ_E10value_typeET4_T5_PSV_SW_PNS1_23onesweep_lookback_stateEbbT6_jjT7_P12ihipStream_tbENKUlT_T0_SK_SP_E_clISE_SE_SF_SF_EEDaS13_S14_SK_SP_EUlS13_E_NS1_11comp_targetILNS1_3genE3ELNS1_11target_archE908ELNS1_3gpuE7ELNS1_3repE0EEENS1_47radix_sort_onesweep_sort_config_static_selectorELNS0_4arch9wavefront6targetE1EEEvSK_.has_recursion, 0
	.set _ZN7rocprim17ROCPRIM_400000_NS6detail17trampoline_kernelINS0_14default_configENS1_35radix_sort_onesweep_config_selectorIiNS0_10empty_typeEEEZZNS1_29radix_sort_onesweep_iterationIS3_Lb1EN6thrust23THRUST_200600_302600_NS6detail15normal_iteratorINS9_10device_ptrIiEEEESE_PS5_SF_jNS0_19identity_decomposerENS1_16block_id_wrapperIjLb1EEEEE10hipError_tT1_PNSt15iterator_traitsISK_E10value_typeET2_T3_PNSL_ISQ_E10value_typeET4_T5_PSV_SW_PNS1_23onesweep_lookback_stateEbbT6_jjT7_P12ihipStream_tbENKUlT_T0_SK_SP_E_clISE_SE_SF_SF_EEDaS13_S14_SK_SP_EUlS13_E_NS1_11comp_targetILNS1_3genE3ELNS1_11target_archE908ELNS1_3gpuE7ELNS1_3repE0EEENS1_47radix_sort_onesweep_sort_config_static_selectorELNS0_4arch9wavefront6targetE1EEEvSK_.has_indirect_call, 0
	.section	.AMDGPU.csdata,"",@progbits
; Kernel info:
; codeLenInByte = 0
; TotalNumSgprs: 6
; NumVgprs: 0
; NumAgprs: 0
; TotalNumVgprs: 0
; ScratchSize: 0
; MemoryBound: 0
; FloatMode: 240
; IeeeMode: 1
; LDSByteSize: 0 bytes/workgroup (compile time only)
; SGPRBlocks: 0
; VGPRBlocks: 0
; NumSGPRsForWavesPerEU: 6
; NumVGPRsForWavesPerEU: 1
; AccumOffset: 4
; Occupancy: 8
; WaveLimiterHint : 0
; COMPUTE_PGM_RSRC2:SCRATCH_EN: 0
; COMPUTE_PGM_RSRC2:USER_SGPR: 2
; COMPUTE_PGM_RSRC2:TRAP_HANDLER: 0
; COMPUTE_PGM_RSRC2:TGID_X_EN: 1
; COMPUTE_PGM_RSRC2:TGID_Y_EN: 0
; COMPUTE_PGM_RSRC2:TGID_Z_EN: 0
; COMPUTE_PGM_RSRC2:TIDIG_COMP_CNT: 0
; COMPUTE_PGM_RSRC3_GFX90A:ACCUM_OFFSET: 0
; COMPUTE_PGM_RSRC3_GFX90A:TG_SPLIT: 0
	.section	.text._ZN7rocprim17ROCPRIM_400000_NS6detail17trampoline_kernelINS0_14default_configENS1_35radix_sort_onesweep_config_selectorIiNS0_10empty_typeEEEZZNS1_29radix_sort_onesweep_iterationIS3_Lb1EN6thrust23THRUST_200600_302600_NS6detail15normal_iteratorINS9_10device_ptrIiEEEESE_PS5_SF_jNS0_19identity_decomposerENS1_16block_id_wrapperIjLb1EEEEE10hipError_tT1_PNSt15iterator_traitsISK_E10value_typeET2_T3_PNSL_ISQ_E10value_typeET4_T5_PSV_SW_PNS1_23onesweep_lookback_stateEbbT6_jjT7_P12ihipStream_tbENKUlT_T0_SK_SP_E_clISE_SE_SF_SF_EEDaS13_S14_SK_SP_EUlS13_E_NS1_11comp_targetILNS1_3genE10ELNS1_11target_archE1201ELNS1_3gpuE5ELNS1_3repE0EEENS1_47radix_sort_onesweep_sort_config_static_selectorELNS0_4arch9wavefront6targetE1EEEvSK_,"axG",@progbits,_ZN7rocprim17ROCPRIM_400000_NS6detail17trampoline_kernelINS0_14default_configENS1_35radix_sort_onesweep_config_selectorIiNS0_10empty_typeEEEZZNS1_29radix_sort_onesweep_iterationIS3_Lb1EN6thrust23THRUST_200600_302600_NS6detail15normal_iteratorINS9_10device_ptrIiEEEESE_PS5_SF_jNS0_19identity_decomposerENS1_16block_id_wrapperIjLb1EEEEE10hipError_tT1_PNSt15iterator_traitsISK_E10value_typeET2_T3_PNSL_ISQ_E10value_typeET4_T5_PSV_SW_PNS1_23onesweep_lookback_stateEbbT6_jjT7_P12ihipStream_tbENKUlT_T0_SK_SP_E_clISE_SE_SF_SF_EEDaS13_S14_SK_SP_EUlS13_E_NS1_11comp_targetILNS1_3genE10ELNS1_11target_archE1201ELNS1_3gpuE5ELNS1_3repE0EEENS1_47radix_sort_onesweep_sort_config_static_selectorELNS0_4arch9wavefront6targetE1EEEvSK_,comdat
	.protected	_ZN7rocprim17ROCPRIM_400000_NS6detail17trampoline_kernelINS0_14default_configENS1_35radix_sort_onesweep_config_selectorIiNS0_10empty_typeEEEZZNS1_29radix_sort_onesweep_iterationIS3_Lb1EN6thrust23THRUST_200600_302600_NS6detail15normal_iteratorINS9_10device_ptrIiEEEESE_PS5_SF_jNS0_19identity_decomposerENS1_16block_id_wrapperIjLb1EEEEE10hipError_tT1_PNSt15iterator_traitsISK_E10value_typeET2_T3_PNSL_ISQ_E10value_typeET4_T5_PSV_SW_PNS1_23onesweep_lookback_stateEbbT6_jjT7_P12ihipStream_tbENKUlT_T0_SK_SP_E_clISE_SE_SF_SF_EEDaS13_S14_SK_SP_EUlS13_E_NS1_11comp_targetILNS1_3genE10ELNS1_11target_archE1201ELNS1_3gpuE5ELNS1_3repE0EEENS1_47radix_sort_onesweep_sort_config_static_selectorELNS0_4arch9wavefront6targetE1EEEvSK_ ; -- Begin function _ZN7rocprim17ROCPRIM_400000_NS6detail17trampoline_kernelINS0_14default_configENS1_35radix_sort_onesweep_config_selectorIiNS0_10empty_typeEEEZZNS1_29radix_sort_onesweep_iterationIS3_Lb1EN6thrust23THRUST_200600_302600_NS6detail15normal_iteratorINS9_10device_ptrIiEEEESE_PS5_SF_jNS0_19identity_decomposerENS1_16block_id_wrapperIjLb1EEEEE10hipError_tT1_PNSt15iterator_traitsISK_E10value_typeET2_T3_PNSL_ISQ_E10value_typeET4_T5_PSV_SW_PNS1_23onesweep_lookback_stateEbbT6_jjT7_P12ihipStream_tbENKUlT_T0_SK_SP_E_clISE_SE_SF_SF_EEDaS13_S14_SK_SP_EUlS13_E_NS1_11comp_targetILNS1_3genE10ELNS1_11target_archE1201ELNS1_3gpuE5ELNS1_3repE0EEENS1_47radix_sort_onesweep_sort_config_static_selectorELNS0_4arch9wavefront6targetE1EEEvSK_
	.globl	_ZN7rocprim17ROCPRIM_400000_NS6detail17trampoline_kernelINS0_14default_configENS1_35radix_sort_onesweep_config_selectorIiNS0_10empty_typeEEEZZNS1_29radix_sort_onesweep_iterationIS3_Lb1EN6thrust23THRUST_200600_302600_NS6detail15normal_iteratorINS9_10device_ptrIiEEEESE_PS5_SF_jNS0_19identity_decomposerENS1_16block_id_wrapperIjLb1EEEEE10hipError_tT1_PNSt15iterator_traitsISK_E10value_typeET2_T3_PNSL_ISQ_E10value_typeET4_T5_PSV_SW_PNS1_23onesweep_lookback_stateEbbT6_jjT7_P12ihipStream_tbENKUlT_T0_SK_SP_E_clISE_SE_SF_SF_EEDaS13_S14_SK_SP_EUlS13_E_NS1_11comp_targetILNS1_3genE10ELNS1_11target_archE1201ELNS1_3gpuE5ELNS1_3repE0EEENS1_47radix_sort_onesweep_sort_config_static_selectorELNS0_4arch9wavefront6targetE1EEEvSK_
	.p2align	8
	.type	_ZN7rocprim17ROCPRIM_400000_NS6detail17trampoline_kernelINS0_14default_configENS1_35radix_sort_onesweep_config_selectorIiNS0_10empty_typeEEEZZNS1_29radix_sort_onesweep_iterationIS3_Lb1EN6thrust23THRUST_200600_302600_NS6detail15normal_iteratorINS9_10device_ptrIiEEEESE_PS5_SF_jNS0_19identity_decomposerENS1_16block_id_wrapperIjLb1EEEEE10hipError_tT1_PNSt15iterator_traitsISK_E10value_typeET2_T3_PNSL_ISQ_E10value_typeET4_T5_PSV_SW_PNS1_23onesweep_lookback_stateEbbT6_jjT7_P12ihipStream_tbENKUlT_T0_SK_SP_E_clISE_SE_SF_SF_EEDaS13_S14_SK_SP_EUlS13_E_NS1_11comp_targetILNS1_3genE10ELNS1_11target_archE1201ELNS1_3gpuE5ELNS1_3repE0EEENS1_47radix_sort_onesweep_sort_config_static_selectorELNS0_4arch9wavefront6targetE1EEEvSK_,@function
_ZN7rocprim17ROCPRIM_400000_NS6detail17trampoline_kernelINS0_14default_configENS1_35radix_sort_onesweep_config_selectorIiNS0_10empty_typeEEEZZNS1_29radix_sort_onesweep_iterationIS3_Lb1EN6thrust23THRUST_200600_302600_NS6detail15normal_iteratorINS9_10device_ptrIiEEEESE_PS5_SF_jNS0_19identity_decomposerENS1_16block_id_wrapperIjLb1EEEEE10hipError_tT1_PNSt15iterator_traitsISK_E10value_typeET2_T3_PNSL_ISQ_E10value_typeET4_T5_PSV_SW_PNS1_23onesweep_lookback_stateEbbT6_jjT7_P12ihipStream_tbENKUlT_T0_SK_SP_E_clISE_SE_SF_SF_EEDaS13_S14_SK_SP_EUlS13_E_NS1_11comp_targetILNS1_3genE10ELNS1_11target_archE1201ELNS1_3gpuE5ELNS1_3repE0EEENS1_47radix_sort_onesweep_sort_config_static_selectorELNS0_4arch9wavefront6targetE1EEEvSK_: ; @_ZN7rocprim17ROCPRIM_400000_NS6detail17trampoline_kernelINS0_14default_configENS1_35radix_sort_onesweep_config_selectorIiNS0_10empty_typeEEEZZNS1_29radix_sort_onesweep_iterationIS3_Lb1EN6thrust23THRUST_200600_302600_NS6detail15normal_iteratorINS9_10device_ptrIiEEEESE_PS5_SF_jNS0_19identity_decomposerENS1_16block_id_wrapperIjLb1EEEEE10hipError_tT1_PNSt15iterator_traitsISK_E10value_typeET2_T3_PNSL_ISQ_E10value_typeET4_T5_PSV_SW_PNS1_23onesweep_lookback_stateEbbT6_jjT7_P12ihipStream_tbENKUlT_T0_SK_SP_E_clISE_SE_SF_SF_EEDaS13_S14_SK_SP_EUlS13_E_NS1_11comp_targetILNS1_3genE10ELNS1_11target_archE1201ELNS1_3gpuE5ELNS1_3repE0EEENS1_47radix_sort_onesweep_sort_config_static_selectorELNS0_4arch9wavefront6targetE1EEEvSK_
; %bb.0:
	.section	.rodata,"a",@progbits
	.p2align	6, 0x0
	.amdhsa_kernel _ZN7rocprim17ROCPRIM_400000_NS6detail17trampoline_kernelINS0_14default_configENS1_35radix_sort_onesweep_config_selectorIiNS0_10empty_typeEEEZZNS1_29radix_sort_onesweep_iterationIS3_Lb1EN6thrust23THRUST_200600_302600_NS6detail15normal_iteratorINS9_10device_ptrIiEEEESE_PS5_SF_jNS0_19identity_decomposerENS1_16block_id_wrapperIjLb1EEEEE10hipError_tT1_PNSt15iterator_traitsISK_E10value_typeET2_T3_PNSL_ISQ_E10value_typeET4_T5_PSV_SW_PNS1_23onesweep_lookback_stateEbbT6_jjT7_P12ihipStream_tbENKUlT_T0_SK_SP_E_clISE_SE_SF_SF_EEDaS13_S14_SK_SP_EUlS13_E_NS1_11comp_targetILNS1_3genE10ELNS1_11target_archE1201ELNS1_3gpuE5ELNS1_3repE0EEENS1_47radix_sort_onesweep_sort_config_static_selectorELNS0_4arch9wavefront6targetE1EEEvSK_
		.amdhsa_group_segment_fixed_size 0
		.amdhsa_private_segment_fixed_size 0
		.amdhsa_kernarg_size 88
		.amdhsa_user_sgpr_count 2
		.amdhsa_user_sgpr_dispatch_ptr 0
		.amdhsa_user_sgpr_queue_ptr 0
		.amdhsa_user_sgpr_kernarg_segment_ptr 1
		.amdhsa_user_sgpr_dispatch_id 0
		.amdhsa_user_sgpr_kernarg_preload_length 0
		.amdhsa_user_sgpr_kernarg_preload_offset 0
		.amdhsa_user_sgpr_private_segment_size 0
		.amdhsa_uses_dynamic_stack 0
		.amdhsa_enable_private_segment 0
		.amdhsa_system_sgpr_workgroup_id_x 1
		.amdhsa_system_sgpr_workgroup_id_y 0
		.amdhsa_system_sgpr_workgroup_id_z 0
		.amdhsa_system_sgpr_workgroup_info 0
		.amdhsa_system_vgpr_workitem_id 0
		.amdhsa_next_free_vgpr 1
		.amdhsa_next_free_sgpr 0
		.amdhsa_accum_offset 4
		.amdhsa_reserve_vcc 0
		.amdhsa_float_round_mode_32 0
		.amdhsa_float_round_mode_16_64 0
		.amdhsa_float_denorm_mode_32 3
		.amdhsa_float_denorm_mode_16_64 3
		.amdhsa_dx10_clamp 1
		.amdhsa_ieee_mode 1
		.amdhsa_fp16_overflow 0
		.amdhsa_tg_split 0
		.amdhsa_exception_fp_ieee_invalid_op 0
		.amdhsa_exception_fp_denorm_src 0
		.amdhsa_exception_fp_ieee_div_zero 0
		.amdhsa_exception_fp_ieee_overflow 0
		.amdhsa_exception_fp_ieee_underflow 0
		.amdhsa_exception_fp_ieee_inexact 0
		.amdhsa_exception_int_div_zero 0
	.end_amdhsa_kernel
	.section	.text._ZN7rocprim17ROCPRIM_400000_NS6detail17trampoline_kernelINS0_14default_configENS1_35radix_sort_onesweep_config_selectorIiNS0_10empty_typeEEEZZNS1_29radix_sort_onesweep_iterationIS3_Lb1EN6thrust23THRUST_200600_302600_NS6detail15normal_iteratorINS9_10device_ptrIiEEEESE_PS5_SF_jNS0_19identity_decomposerENS1_16block_id_wrapperIjLb1EEEEE10hipError_tT1_PNSt15iterator_traitsISK_E10value_typeET2_T3_PNSL_ISQ_E10value_typeET4_T5_PSV_SW_PNS1_23onesweep_lookback_stateEbbT6_jjT7_P12ihipStream_tbENKUlT_T0_SK_SP_E_clISE_SE_SF_SF_EEDaS13_S14_SK_SP_EUlS13_E_NS1_11comp_targetILNS1_3genE10ELNS1_11target_archE1201ELNS1_3gpuE5ELNS1_3repE0EEENS1_47radix_sort_onesweep_sort_config_static_selectorELNS0_4arch9wavefront6targetE1EEEvSK_,"axG",@progbits,_ZN7rocprim17ROCPRIM_400000_NS6detail17trampoline_kernelINS0_14default_configENS1_35radix_sort_onesweep_config_selectorIiNS0_10empty_typeEEEZZNS1_29radix_sort_onesweep_iterationIS3_Lb1EN6thrust23THRUST_200600_302600_NS6detail15normal_iteratorINS9_10device_ptrIiEEEESE_PS5_SF_jNS0_19identity_decomposerENS1_16block_id_wrapperIjLb1EEEEE10hipError_tT1_PNSt15iterator_traitsISK_E10value_typeET2_T3_PNSL_ISQ_E10value_typeET4_T5_PSV_SW_PNS1_23onesweep_lookback_stateEbbT6_jjT7_P12ihipStream_tbENKUlT_T0_SK_SP_E_clISE_SE_SF_SF_EEDaS13_S14_SK_SP_EUlS13_E_NS1_11comp_targetILNS1_3genE10ELNS1_11target_archE1201ELNS1_3gpuE5ELNS1_3repE0EEENS1_47radix_sort_onesweep_sort_config_static_selectorELNS0_4arch9wavefront6targetE1EEEvSK_,comdat
.Lfunc_end342:
	.size	_ZN7rocprim17ROCPRIM_400000_NS6detail17trampoline_kernelINS0_14default_configENS1_35radix_sort_onesweep_config_selectorIiNS0_10empty_typeEEEZZNS1_29radix_sort_onesweep_iterationIS3_Lb1EN6thrust23THRUST_200600_302600_NS6detail15normal_iteratorINS9_10device_ptrIiEEEESE_PS5_SF_jNS0_19identity_decomposerENS1_16block_id_wrapperIjLb1EEEEE10hipError_tT1_PNSt15iterator_traitsISK_E10value_typeET2_T3_PNSL_ISQ_E10value_typeET4_T5_PSV_SW_PNS1_23onesweep_lookback_stateEbbT6_jjT7_P12ihipStream_tbENKUlT_T0_SK_SP_E_clISE_SE_SF_SF_EEDaS13_S14_SK_SP_EUlS13_E_NS1_11comp_targetILNS1_3genE10ELNS1_11target_archE1201ELNS1_3gpuE5ELNS1_3repE0EEENS1_47radix_sort_onesweep_sort_config_static_selectorELNS0_4arch9wavefront6targetE1EEEvSK_, .Lfunc_end342-_ZN7rocprim17ROCPRIM_400000_NS6detail17trampoline_kernelINS0_14default_configENS1_35radix_sort_onesweep_config_selectorIiNS0_10empty_typeEEEZZNS1_29radix_sort_onesweep_iterationIS3_Lb1EN6thrust23THRUST_200600_302600_NS6detail15normal_iteratorINS9_10device_ptrIiEEEESE_PS5_SF_jNS0_19identity_decomposerENS1_16block_id_wrapperIjLb1EEEEE10hipError_tT1_PNSt15iterator_traitsISK_E10value_typeET2_T3_PNSL_ISQ_E10value_typeET4_T5_PSV_SW_PNS1_23onesweep_lookback_stateEbbT6_jjT7_P12ihipStream_tbENKUlT_T0_SK_SP_E_clISE_SE_SF_SF_EEDaS13_S14_SK_SP_EUlS13_E_NS1_11comp_targetILNS1_3genE10ELNS1_11target_archE1201ELNS1_3gpuE5ELNS1_3repE0EEENS1_47radix_sort_onesweep_sort_config_static_selectorELNS0_4arch9wavefront6targetE1EEEvSK_
                                        ; -- End function
	.set _ZN7rocprim17ROCPRIM_400000_NS6detail17trampoline_kernelINS0_14default_configENS1_35radix_sort_onesweep_config_selectorIiNS0_10empty_typeEEEZZNS1_29radix_sort_onesweep_iterationIS3_Lb1EN6thrust23THRUST_200600_302600_NS6detail15normal_iteratorINS9_10device_ptrIiEEEESE_PS5_SF_jNS0_19identity_decomposerENS1_16block_id_wrapperIjLb1EEEEE10hipError_tT1_PNSt15iterator_traitsISK_E10value_typeET2_T3_PNSL_ISQ_E10value_typeET4_T5_PSV_SW_PNS1_23onesweep_lookback_stateEbbT6_jjT7_P12ihipStream_tbENKUlT_T0_SK_SP_E_clISE_SE_SF_SF_EEDaS13_S14_SK_SP_EUlS13_E_NS1_11comp_targetILNS1_3genE10ELNS1_11target_archE1201ELNS1_3gpuE5ELNS1_3repE0EEENS1_47radix_sort_onesweep_sort_config_static_selectorELNS0_4arch9wavefront6targetE1EEEvSK_.num_vgpr, 0
	.set _ZN7rocprim17ROCPRIM_400000_NS6detail17trampoline_kernelINS0_14default_configENS1_35radix_sort_onesweep_config_selectorIiNS0_10empty_typeEEEZZNS1_29radix_sort_onesweep_iterationIS3_Lb1EN6thrust23THRUST_200600_302600_NS6detail15normal_iteratorINS9_10device_ptrIiEEEESE_PS5_SF_jNS0_19identity_decomposerENS1_16block_id_wrapperIjLb1EEEEE10hipError_tT1_PNSt15iterator_traitsISK_E10value_typeET2_T3_PNSL_ISQ_E10value_typeET4_T5_PSV_SW_PNS1_23onesweep_lookback_stateEbbT6_jjT7_P12ihipStream_tbENKUlT_T0_SK_SP_E_clISE_SE_SF_SF_EEDaS13_S14_SK_SP_EUlS13_E_NS1_11comp_targetILNS1_3genE10ELNS1_11target_archE1201ELNS1_3gpuE5ELNS1_3repE0EEENS1_47radix_sort_onesweep_sort_config_static_selectorELNS0_4arch9wavefront6targetE1EEEvSK_.num_agpr, 0
	.set _ZN7rocprim17ROCPRIM_400000_NS6detail17trampoline_kernelINS0_14default_configENS1_35radix_sort_onesweep_config_selectorIiNS0_10empty_typeEEEZZNS1_29radix_sort_onesweep_iterationIS3_Lb1EN6thrust23THRUST_200600_302600_NS6detail15normal_iteratorINS9_10device_ptrIiEEEESE_PS5_SF_jNS0_19identity_decomposerENS1_16block_id_wrapperIjLb1EEEEE10hipError_tT1_PNSt15iterator_traitsISK_E10value_typeET2_T3_PNSL_ISQ_E10value_typeET4_T5_PSV_SW_PNS1_23onesweep_lookback_stateEbbT6_jjT7_P12ihipStream_tbENKUlT_T0_SK_SP_E_clISE_SE_SF_SF_EEDaS13_S14_SK_SP_EUlS13_E_NS1_11comp_targetILNS1_3genE10ELNS1_11target_archE1201ELNS1_3gpuE5ELNS1_3repE0EEENS1_47radix_sort_onesweep_sort_config_static_selectorELNS0_4arch9wavefront6targetE1EEEvSK_.numbered_sgpr, 0
	.set _ZN7rocprim17ROCPRIM_400000_NS6detail17trampoline_kernelINS0_14default_configENS1_35radix_sort_onesweep_config_selectorIiNS0_10empty_typeEEEZZNS1_29radix_sort_onesweep_iterationIS3_Lb1EN6thrust23THRUST_200600_302600_NS6detail15normal_iteratorINS9_10device_ptrIiEEEESE_PS5_SF_jNS0_19identity_decomposerENS1_16block_id_wrapperIjLb1EEEEE10hipError_tT1_PNSt15iterator_traitsISK_E10value_typeET2_T3_PNSL_ISQ_E10value_typeET4_T5_PSV_SW_PNS1_23onesweep_lookback_stateEbbT6_jjT7_P12ihipStream_tbENKUlT_T0_SK_SP_E_clISE_SE_SF_SF_EEDaS13_S14_SK_SP_EUlS13_E_NS1_11comp_targetILNS1_3genE10ELNS1_11target_archE1201ELNS1_3gpuE5ELNS1_3repE0EEENS1_47radix_sort_onesweep_sort_config_static_selectorELNS0_4arch9wavefront6targetE1EEEvSK_.num_named_barrier, 0
	.set _ZN7rocprim17ROCPRIM_400000_NS6detail17trampoline_kernelINS0_14default_configENS1_35radix_sort_onesweep_config_selectorIiNS0_10empty_typeEEEZZNS1_29radix_sort_onesweep_iterationIS3_Lb1EN6thrust23THRUST_200600_302600_NS6detail15normal_iteratorINS9_10device_ptrIiEEEESE_PS5_SF_jNS0_19identity_decomposerENS1_16block_id_wrapperIjLb1EEEEE10hipError_tT1_PNSt15iterator_traitsISK_E10value_typeET2_T3_PNSL_ISQ_E10value_typeET4_T5_PSV_SW_PNS1_23onesweep_lookback_stateEbbT6_jjT7_P12ihipStream_tbENKUlT_T0_SK_SP_E_clISE_SE_SF_SF_EEDaS13_S14_SK_SP_EUlS13_E_NS1_11comp_targetILNS1_3genE10ELNS1_11target_archE1201ELNS1_3gpuE5ELNS1_3repE0EEENS1_47radix_sort_onesweep_sort_config_static_selectorELNS0_4arch9wavefront6targetE1EEEvSK_.private_seg_size, 0
	.set _ZN7rocprim17ROCPRIM_400000_NS6detail17trampoline_kernelINS0_14default_configENS1_35radix_sort_onesweep_config_selectorIiNS0_10empty_typeEEEZZNS1_29radix_sort_onesweep_iterationIS3_Lb1EN6thrust23THRUST_200600_302600_NS6detail15normal_iteratorINS9_10device_ptrIiEEEESE_PS5_SF_jNS0_19identity_decomposerENS1_16block_id_wrapperIjLb1EEEEE10hipError_tT1_PNSt15iterator_traitsISK_E10value_typeET2_T3_PNSL_ISQ_E10value_typeET4_T5_PSV_SW_PNS1_23onesweep_lookback_stateEbbT6_jjT7_P12ihipStream_tbENKUlT_T0_SK_SP_E_clISE_SE_SF_SF_EEDaS13_S14_SK_SP_EUlS13_E_NS1_11comp_targetILNS1_3genE10ELNS1_11target_archE1201ELNS1_3gpuE5ELNS1_3repE0EEENS1_47radix_sort_onesweep_sort_config_static_selectorELNS0_4arch9wavefront6targetE1EEEvSK_.uses_vcc, 0
	.set _ZN7rocprim17ROCPRIM_400000_NS6detail17trampoline_kernelINS0_14default_configENS1_35radix_sort_onesweep_config_selectorIiNS0_10empty_typeEEEZZNS1_29radix_sort_onesweep_iterationIS3_Lb1EN6thrust23THRUST_200600_302600_NS6detail15normal_iteratorINS9_10device_ptrIiEEEESE_PS5_SF_jNS0_19identity_decomposerENS1_16block_id_wrapperIjLb1EEEEE10hipError_tT1_PNSt15iterator_traitsISK_E10value_typeET2_T3_PNSL_ISQ_E10value_typeET4_T5_PSV_SW_PNS1_23onesweep_lookback_stateEbbT6_jjT7_P12ihipStream_tbENKUlT_T0_SK_SP_E_clISE_SE_SF_SF_EEDaS13_S14_SK_SP_EUlS13_E_NS1_11comp_targetILNS1_3genE10ELNS1_11target_archE1201ELNS1_3gpuE5ELNS1_3repE0EEENS1_47radix_sort_onesweep_sort_config_static_selectorELNS0_4arch9wavefront6targetE1EEEvSK_.uses_flat_scratch, 0
	.set _ZN7rocprim17ROCPRIM_400000_NS6detail17trampoline_kernelINS0_14default_configENS1_35radix_sort_onesweep_config_selectorIiNS0_10empty_typeEEEZZNS1_29radix_sort_onesweep_iterationIS3_Lb1EN6thrust23THRUST_200600_302600_NS6detail15normal_iteratorINS9_10device_ptrIiEEEESE_PS5_SF_jNS0_19identity_decomposerENS1_16block_id_wrapperIjLb1EEEEE10hipError_tT1_PNSt15iterator_traitsISK_E10value_typeET2_T3_PNSL_ISQ_E10value_typeET4_T5_PSV_SW_PNS1_23onesweep_lookback_stateEbbT6_jjT7_P12ihipStream_tbENKUlT_T0_SK_SP_E_clISE_SE_SF_SF_EEDaS13_S14_SK_SP_EUlS13_E_NS1_11comp_targetILNS1_3genE10ELNS1_11target_archE1201ELNS1_3gpuE5ELNS1_3repE0EEENS1_47radix_sort_onesweep_sort_config_static_selectorELNS0_4arch9wavefront6targetE1EEEvSK_.has_dyn_sized_stack, 0
	.set _ZN7rocprim17ROCPRIM_400000_NS6detail17trampoline_kernelINS0_14default_configENS1_35radix_sort_onesweep_config_selectorIiNS0_10empty_typeEEEZZNS1_29radix_sort_onesweep_iterationIS3_Lb1EN6thrust23THRUST_200600_302600_NS6detail15normal_iteratorINS9_10device_ptrIiEEEESE_PS5_SF_jNS0_19identity_decomposerENS1_16block_id_wrapperIjLb1EEEEE10hipError_tT1_PNSt15iterator_traitsISK_E10value_typeET2_T3_PNSL_ISQ_E10value_typeET4_T5_PSV_SW_PNS1_23onesweep_lookback_stateEbbT6_jjT7_P12ihipStream_tbENKUlT_T0_SK_SP_E_clISE_SE_SF_SF_EEDaS13_S14_SK_SP_EUlS13_E_NS1_11comp_targetILNS1_3genE10ELNS1_11target_archE1201ELNS1_3gpuE5ELNS1_3repE0EEENS1_47radix_sort_onesweep_sort_config_static_selectorELNS0_4arch9wavefront6targetE1EEEvSK_.has_recursion, 0
	.set _ZN7rocprim17ROCPRIM_400000_NS6detail17trampoline_kernelINS0_14default_configENS1_35radix_sort_onesweep_config_selectorIiNS0_10empty_typeEEEZZNS1_29radix_sort_onesweep_iterationIS3_Lb1EN6thrust23THRUST_200600_302600_NS6detail15normal_iteratorINS9_10device_ptrIiEEEESE_PS5_SF_jNS0_19identity_decomposerENS1_16block_id_wrapperIjLb1EEEEE10hipError_tT1_PNSt15iterator_traitsISK_E10value_typeET2_T3_PNSL_ISQ_E10value_typeET4_T5_PSV_SW_PNS1_23onesweep_lookback_stateEbbT6_jjT7_P12ihipStream_tbENKUlT_T0_SK_SP_E_clISE_SE_SF_SF_EEDaS13_S14_SK_SP_EUlS13_E_NS1_11comp_targetILNS1_3genE10ELNS1_11target_archE1201ELNS1_3gpuE5ELNS1_3repE0EEENS1_47radix_sort_onesweep_sort_config_static_selectorELNS0_4arch9wavefront6targetE1EEEvSK_.has_indirect_call, 0
	.section	.AMDGPU.csdata,"",@progbits
; Kernel info:
; codeLenInByte = 0
; TotalNumSgprs: 6
; NumVgprs: 0
; NumAgprs: 0
; TotalNumVgprs: 0
; ScratchSize: 0
; MemoryBound: 0
; FloatMode: 240
; IeeeMode: 1
; LDSByteSize: 0 bytes/workgroup (compile time only)
; SGPRBlocks: 0
; VGPRBlocks: 0
; NumSGPRsForWavesPerEU: 6
; NumVGPRsForWavesPerEU: 1
; AccumOffset: 4
; Occupancy: 8
; WaveLimiterHint : 0
; COMPUTE_PGM_RSRC2:SCRATCH_EN: 0
; COMPUTE_PGM_RSRC2:USER_SGPR: 2
; COMPUTE_PGM_RSRC2:TRAP_HANDLER: 0
; COMPUTE_PGM_RSRC2:TGID_X_EN: 1
; COMPUTE_PGM_RSRC2:TGID_Y_EN: 0
; COMPUTE_PGM_RSRC2:TGID_Z_EN: 0
; COMPUTE_PGM_RSRC2:TIDIG_COMP_CNT: 0
; COMPUTE_PGM_RSRC3_GFX90A:ACCUM_OFFSET: 0
; COMPUTE_PGM_RSRC3_GFX90A:TG_SPLIT: 0
	.section	.text._ZN7rocprim17ROCPRIM_400000_NS6detail17trampoline_kernelINS0_14default_configENS1_35radix_sort_onesweep_config_selectorIiNS0_10empty_typeEEEZZNS1_29radix_sort_onesweep_iterationIS3_Lb1EN6thrust23THRUST_200600_302600_NS6detail15normal_iteratorINS9_10device_ptrIiEEEESE_PS5_SF_jNS0_19identity_decomposerENS1_16block_id_wrapperIjLb1EEEEE10hipError_tT1_PNSt15iterator_traitsISK_E10value_typeET2_T3_PNSL_ISQ_E10value_typeET4_T5_PSV_SW_PNS1_23onesweep_lookback_stateEbbT6_jjT7_P12ihipStream_tbENKUlT_T0_SK_SP_E_clISE_SE_SF_SF_EEDaS13_S14_SK_SP_EUlS13_E_NS1_11comp_targetILNS1_3genE9ELNS1_11target_archE1100ELNS1_3gpuE3ELNS1_3repE0EEENS1_47radix_sort_onesweep_sort_config_static_selectorELNS0_4arch9wavefront6targetE1EEEvSK_,"axG",@progbits,_ZN7rocprim17ROCPRIM_400000_NS6detail17trampoline_kernelINS0_14default_configENS1_35radix_sort_onesweep_config_selectorIiNS0_10empty_typeEEEZZNS1_29radix_sort_onesweep_iterationIS3_Lb1EN6thrust23THRUST_200600_302600_NS6detail15normal_iteratorINS9_10device_ptrIiEEEESE_PS5_SF_jNS0_19identity_decomposerENS1_16block_id_wrapperIjLb1EEEEE10hipError_tT1_PNSt15iterator_traitsISK_E10value_typeET2_T3_PNSL_ISQ_E10value_typeET4_T5_PSV_SW_PNS1_23onesweep_lookback_stateEbbT6_jjT7_P12ihipStream_tbENKUlT_T0_SK_SP_E_clISE_SE_SF_SF_EEDaS13_S14_SK_SP_EUlS13_E_NS1_11comp_targetILNS1_3genE9ELNS1_11target_archE1100ELNS1_3gpuE3ELNS1_3repE0EEENS1_47radix_sort_onesweep_sort_config_static_selectorELNS0_4arch9wavefront6targetE1EEEvSK_,comdat
	.protected	_ZN7rocprim17ROCPRIM_400000_NS6detail17trampoline_kernelINS0_14default_configENS1_35radix_sort_onesweep_config_selectorIiNS0_10empty_typeEEEZZNS1_29radix_sort_onesweep_iterationIS3_Lb1EN6thrust23THRUST_200600_302600_NS6detail15normal_iteratorINS9_10device_ptrIiEEEESE_PS5_SF_jNS0_19identity_decomposerENS1_16block_id_wrapperIjLb1EEEEE10hipError_tT1_PNSt15iterator_traitsISK_E10value_typeET2_T3_PNSL_ISQ_E10value_typeET4_T5_PSV_SW_PNS1_23onesweep_lookback_stateEbbT6_jjT7_P12ihipStream_tbENKUlT_T0_SK_SP_E_clISE_SE_SF_SF_EEDaS13_S14_SK_SP_EUlS13_E_NS1_11comp_targetILNS1_3genE9ELNS1_11target_archE1100ELNS1_3gpuE3ELNS1_3repE0EEENS1_47radix_sort_onesweep_sort_config_static_selectorELNS0_4arch9wavefront6targetE1EEEvSK_ ; -- Begin function _ZN7rocprim17ROCPRIM_400000_NS6detail17trampoline_kernelINS0_14default_configENS1_35radix_sort_onesweep_config_selectorIiNS0_10empty_typeEEEZZNS1_29radix_sort_onesweep_iterationIS3_Lb1EN6thrust23THRUST_200600_302600_NS6detail15normal_iteratorINS9_10device_ptrIiEEEESE_PS5_SF_jNS0_19identity_decomposerENS1_16block_id_wrapperIjLb1EEEEE10hipError_tT1_PNSt15iterator_traitsISK_E10value_typeET2_T3_PNSL_ISQ_E10value_typeET4_T5_PSV_SW_PNS1_23onesweep_lookback_stateEbbT6_jjT7_P12ihipStream_tbENKUlT_T0_SK_SP_E_clISE_SE_SF_SF_EEDaS13_S14_SK_SP_EUlS13_E_NS1_11comp_targetILNS1_3genE9ELNS1_11target_archE1100ELNS1_3gpuE3ELNS1_3repE0EEENS1_47radix_sort_onesweep_sort_config_static_selectorELNS0_4arch9wavefront6targetE1EEEvSK_
	.globl	_ZN7rocprim17ROCPRIM_400000_NS6detail17trampoline_kernelINS0_14default_configENS1_35radix_sort_onesweep_config_selectorIiNS0_10empty_typeEEEZZNS1_29radix_sort_onesweep_iterationIS3_Lb1EN6thrust23THRUST_200600_302600_NS6detail15normal_iteratorINS9_10device_ptrIiEEEESE_PS5_SF_jNS0_19identity_decomposerENS1_16block_id_wrapperIjLb1EEEEE10hipError_tT1_PNSt15iterator_traitsISK_E10value_typeET2_T3_PNSL_ISQ_E10value_typeET4_T5_PSV_SW_PNS1_23onesweep_lookback_stateEbbT6_jjT7_P12ihipStream_tbENKUlT_T0_SK_SP_E_clISE_SE_SF_SF_EEDaS13_S14_SK_SP_EUlS13_E_NS1_11comp_targetILNS1_3genE9ELNS1_11target_archE1100ELNS1_3gpuE3ELNS1_3repE0EEENS1_47radix_sort_onesweep_sort_config_static_selectorELNS0_4arch9wavefront6targetE1EEEvSK_
	.p2align	8
	.type	_ZN7rocprim17ROCPRIM_400000_NS6detail17trampoline_kernelINS0_14default_configENS1_35radix_sort_onesweep_config_selectorIiNS0_10empty_typeEEEZZNS1_29radix_sort_onesweep_iterationIS3_Lb1EN6thrust23THRUST_200600_302600_NS6detail15normal_iteratorINS9_10device_ptrIiEEEESE_PS5_SF_jNS0_19identity_decomposerENS1_16block_id_wrapperIjLb1EEEEE10hipError_tT1_PNSt15iterator_traitsISK_E10value_typeET2_T3_PNSL_ISQ_E10value_typeET4_T5_PSV_SW_PNS1_23onesweep_lookback_stateEbbT6_jjT7_P12ihipStream_tbENKUlT_T0_SK_SP_E_clISE_SE_SF_SF_EEDaS13_S14_SK_SP_EUlS13_E_NS1_11comp_targetILNS1_3genE9ELNS1_11target_archE1100ELNS1_3gpuE3ELNS1_3repE0EEENS1_47radix_sort_onesweep_sort_config_static_selectorELNS0_4arch9wavefront6targetE1EEEvSK_,@function
_ZN7rocprim17ROCPRIM_400000_NS6detail17trampoline_kernelINS0_14default_configENS1_35radix_sort_onesweep_config_selectorIiNS0_10empty_typeEEEZZNS1_29radix_sort_onesweep_iterationIS3_Lb1EN6thrust23THRUST_200600_302600_NS6detail15normal_iteratorINS9_10device_ptrIiEEEESE_PS5_SF_jNS0_19identity_decomposerENS1_16block_id_wrapperIjLb1EEEEE10hipError_tT1_PNSt15iterator_traitsISK_E10value_typeET2_T3_PNSL_ISQ_E10value_typeET4_T5_PSV_SW_PNS1_23onesweep_lookback_stateEbbT6_jjT7_P12ihipStream_tbENKUlT_T0_SK_SP_E_clISE_SE_SF_SF_EEDaS13_S14_SK_SP_EUlS13_E_NS1_11comp_targetILNS1_3genE9ELNS1_11target_archE1100ELNS1_3gpuE3ELNS1_3repE0EEENS1_47radix_sort_onesweep_sort_config_static_selectorELNS0_4arch9wavefront6targetE1EEEvSK_: ; @_ZN7rocprim17ROCPRIM_400000_NS6detail17trampoline_kernelINS0_14default_configENS1_35radix_sort_onesweep_config_selectorIiNS0_10empty_typeEEEZZNS1_29radix_sort_onesweep_iterationIS3_Lb1EN6thrust23THRUST_200600_302600_NS6detail15normal_iteratorINS9_10device_ptrIiEEEESE_PS5_SF_jNS0_19identity_decomposerENS1_16block_id_wrapperIjLb1EEEEE10hipError_tT1_PNSt15iterator_traitsISK_E10value_typeET2_T3_PNSL_ISQ_E10value_typeET4_T5_PSV_SW_PNS1_23onesweep_lookback_stateEbbT6_jjT7_P12ihipStream_tbENKUlT_T0_SK_SP_E_clISE_SE_SF_SF_EEDaS13_S14_SK_SP_EUlS13_E_NS1_11comp_targetILNS1_3genE9ELNS1_11target_archE1100ELNS1_3gpuE3ELNS1_3repE0EEENS1_47radix_sort_onesweep_sort_config_static_selectorELNS0_4arch9wavefront6targetE1EEEvSK_
; %bb.0:
	.section	.rodata,"a",@progbits
	.p2align	6, 0x0
	.amdhsa_kernel _ZN7rocprim17ROCPRIM_400000_NS6detail17trampoline_kernelINS0_14default_configENS1_35radix_sort_onesweep_config_selectorIiNS0_10empty_typeEEEZZNS1_29radix_sort_onesweep_iterationIS3_Lb1EN6thrust23THRUST_200600_302600_NS6detail15normal_iteratorINS9_10device_ptrIiEEEESE_PS5_SF_jNS0_19identity_decomposerENS1_16block_id_wrapperIjLb1EEEEE10hipError_tT1_PNSt15iterator_traitsISK_E10value_typeET2_T3_PNSL_ISQ_E10value_typeET4_T5_PSV_SW_PNS1_23onesweep_lookback_stateEbbT6_jjT7_P12ihipStream_tbENKUlT_T0_SK_SP_E_clISE_SE_SF_SF_EEDaS13_S14_SK_SP_EUlS13_E_NS1_11comp_targetILNS1_3genE9ELNS1_11target_archE1100ELNS1_3gpuE3ELNS1_3repE0EEENS1_47radix_sort_onesweep_sort_config_static_selectorELNS0_4arch9wavefront6targetE1EEEvSK_
		.amdhsa_group_segment_fixed_size 0
		.amdhsa_private_segment_fixed_size 0
		.amdhsa_kernarg_size 88
		.amdhsa_user_sgpr_count 2
		.amdhsa_user_sgpr_dispatch_ptr 0
		.amdhsa_user_sgpr_queue_ptr 0
		.amdhsa_user_sgpr_kernarg_segment_ptr 1
		.amdhsa_user_sgpr_dispatch_id 0
		.amdhsa_user_sgpr_kernarg_preload_length 0
		.amdhsa_user_sgpr_kernarg_preload_offset 0
		.amdhsa_user_sgpr_private_segment_size 0
		.amdhsa_uses_dynamic_stack 0
		.amdhsa_enable_private_segment 0
		.amdhsa_system_sgpr_workgroup_id_x 1
		.amdhsa_system_sgpr_workgroup_id_y 0
		.amdhsa_system_sgpr_workgroup_id_z 0
		.amdhsa_system_sgpr_workgroup_info 0
		.amdhsa_system_vgpr_workitem_id 0
		.amdhsa_next_free_vgpr 1
		.amdhsa_next_free_sgpr 0
		.amdhsa_accum_offset 4
		.amdhsa_reserve_vcc 0
		.amdhsa_float_round_mode_32 0
		.amdhsa_float_round_mode_16_64 0
		.amdhsa_float_denorm_mode_32 3
		.amdhsa_float_denorm_mode_16_64 3
		.amdhsa_dx10_clamp 1
		.amdhsa_ieee_mode 1
		.amdhsa_fp16_overflow 0
		.amdhsa_tg_split 0
		.amdhsa_exception_fp_ieee_invalid_op 0
		.amdhsa_exception_fp_denorm_src 0
		.amdhsa_exception_fp_ieee_div_zero 0
		.amdhsa_exception_fp_ieee_overflow 0
		.amdhsa_exception_fp_ieee_underflow 0
		.amdhsa_exception_fp_ieee_inexact 0
		.amdhsa_exception_int_div_zero 0
	.end_amdhsa_kernel
	.section	.text._ZN7rocprim17ROCPRIM_400000_NS6detail17trampoline_kernelINS0_14default_configENS1_35radix_sort_onesweep_config_selectorIiNS0_10empty_typeEEEZZNS1_29radix_sort_onesweep_iterationIS3_Lb1EN6thrust23THRUST_200600_302600_NS6detail15normal_iteratorINS9_10device_ptrIiEEEESE_PS5_SF_jNS0_19identity_decomposerENS1_16block_id_wrapperIjLb1EEEEE10hipError_tT1_PNSt15iterator_traitsISK_E10value_typeET2_T3_PNSL_ISQ_E10value_typeET4_T5_PSV_SW_PNS1_23onesweep_lookback_stateEbbT6_jjT7_P12ihipStream_tbENKUlT_T0_SK_SP_E_clISE_SE_SF_SF_EEDaS13_S14_SK_SP_EUlS13_E_NS1_11comp_targetILNS1_3genE9ELNS1_11target_archE1100ELNS1_3gpuE3ELNS1_3repE0EEENS1_47radix_sort_onesweep_sort_config_static_selectorELNS0_4arch9wavefront6targetE1EEEvSK_,"axG",@progbits,_ZN7rocprim17ROCPRIM_400000_NS6detail17trampoline_kernelINS0_14default_configENS1_35radix_sort_onesweep_config_selectorIiNS0_10empty_typeEEEZZNS1_29radix_sort_onesweep_iterationIS3_Lb1EN6thrust23THRUST_200600_302600_NS6detail15normal_iteratorINS9_10device_ptrIiEEEESE_PS5_SF_jNS0_19identity_decomposerENS1_16block_id_wrapperIjLb1EEEEE10hipError_tT1_PNSt15iterator_traitsISK_E10value_typeET2_T3_PNSL_ISQ_E10value_typeET4_T5_PSV_SW_PNS1_23onesweep_lookback_stateEbbT6_jjT7_P12ihipStream_tbENKUlT_T0_SK_SP_E_clISE_SE_SF_SF_EEDaS13_S14_SK_SP_EUlS13_E_NS1_11comp_targetILNS1_3genE9ELNS1_11target_archE1100ELNS1_3gpuE3ELNS1_3repE0EEENS1_47radix_sort_onesweep_sort_config_static_selectorELNS0_4arch9wavefront6targetE1EEEvSK_,comdat
.Lfunc_end343:
	.size	_ZN7rocprim17ROCPRIM_400000_NS6detail17trampoline_kernelINS0_14default_configENS1_35radix_sort_onesweep_config_selectorIiNS0_10empty_typeEEEZZNS1_29radix_sort_onesweep_iterationIS3_Lb1EN6thrust23THRUST_200600_302600_NS6detail15normal_iteratorINS9_10device_ptrIiEEEESE_PS5_SF_jNS0_19identity_decomposerENS1_16block_id_wrapperIjLb1EEEEE10hipError_tT1_PNSt15iterator_traitsISK_E10value_typeET2_T3_PNSL_ISQ_E10value_typeET4_T5_PSV_SW_PNS1_23onesweep_lookback_stateEbbT6_jjT7_P12ihipStream_tbENKUlT_T0_SK_SP_E_clISE_SE_SF_SF_EEDaS13_S14_SK_SP_EUlS13_E_NS1_11comp_targetILNS1_3genE9ELNS1_11target_archE1100ELNS1_3gpuE3ELNS1_3repE0EEENS1_47radix_sort_onesweep_sort_config_static_selectorELNS0_4arch9wavefront6targetE1EEEvSK_, .Lfunc_end343-_ZN7rocprim17ROCPRIM_400000_NS6detail17trampoline_kernelINS0_14default_configENS1_35radix_sort_onesweep_config_selectorIiNS0_10empty_typeEEEZZNS1_29radix_sort_onesweep_iterationIS3_Lb1EN6thrust23THRUST_200600_302600_NS6detail15normal_iteratorINS9_10device_ptrIiEEEESE_PS5_SF_jNS0_19identity_decomposerENS1_16block_id_wrapperIjLb1EEEEE10hipError_tT1_PNSt15iterator_traitsISK_E10value_typeET2_T3_PNSL_ISQ_E10value_typeET4_T5_PSV_SW_PNS1_23onesweep_lookback_stateEbbT6_jjT7_P12ihipStream_tbENKUlT_T0_SK_SP_E_clISE_SE_SF_SF_EEDaS13_S14_SK_SP_EUlS13_E_NS1_11comp_targetILNS1_3genE9ELNS1_11target_archE1100ELNS1_3gpuE3ELNS1_3repE0EEENS1_47radix_sort_onesweep_sort_config_static_selectorELNS0_4arch9wavefront6targetE1EEEvSK_
                                        ; -- End function
	.set _ZN7rocprim17ROCPRIM_400000_NS6detail17trampoline_kernelINS0_14default_configENS1_35radix_sort_onesweep_config_selectorIiNS0_10empty_typeEEEZZNS1_29radix_sort_onesweep_iterationIS3_Lb1EN6thrust23THRUST_200600_302600_NS6detail15normal_iteratorINS9_10device_ptrIiEEEESE_PS5_SF_jNS0_19identity_decomposerENS1_16block_id_wrapperIjLb1EEEEE10hipError_tT1_PNSt15iterator_traitsISK_E10value_typeET2_T3_PNSL_ISQ_E10value_typeET4_T5_PSV_SW_PNS1_23onesweep_lookback_stateEbbT6_jjT7_P12ihipStream_tbENKUlT_T0_SK_SP_E_clISE_SE_SF_SF_EEDaS13_S14_SK_SP_EUlS13_E_NS1_11comp_targetILNS1_3genE9ELNS1_11target_archE1100ELNS1_3gpuE3ELNS1_3repE0EEENS1_47radix_sort_onesweep_sort_config_static_selectorELNS0_4arch9wavefront6targetE1EEEvSK_.num_vgpr, 0
	.set _ZN7rocprim17ROCPRIM_400000_NS6detail17trampoline_kernelINS0_14default_configENS1_35radix_sort_onesweep_config_selectorIiNS0_10empty_typeEEEZZNS1_29radix_sort_onesweep_iterationIS3_Lb1EN6thrust23THRUST_200600_302600_NS6detail15normal_iteratorINS9_10device_ptrIiEEEESE_PS5_SF_jNS0_19identity_decomposerENS1_16block_id_wrapperIjLb1EEEEE10hipError_tT1_PNSt15iterator_traitsISK_E10value_typeET2_T3_PNSL_ISQ_E10value_typeET4_T5_PSV_SW_PNS1_23onesweep_lookback_stateEbbT6_jjT7_P12ihipStream_tbENKUlT_T0_SK_SP_E_clISE_SE_SF_SF_EEDaS13_S14_SK_SP_EUlS13_E_NS1_11comp_targetILNS1_3genE9ELNS1_11target_archE1100ELNS1_3gpuE3ELNS1_3repE0EEENS1_47radix_sort_onesweep_sort_config_static_selectorELNS0_4arch9wavefront6targetE1EEEvSK_.num_agpr, 0
	.set _ZN7rocprim17ROCPRIM_400000_NS6detail17trampoline_kernelINS0_14default_configENS1_35radix_sort_onesweep_config_selectorIiNS0_10empty_typeEEEZZNS1_29radix_sort_onesweep_iterationIS3_Lb1EN6thrust23THRUST_200600_302600_NS6detail15normal_iteratorINS9_10device_ptrIiEEEESE_PS5_SF_jNS0_19identity_decomposerENS1_16block_id_wrapperIjLb1EEEEE10hipError_tT1_PNSt15iterator_traitsISK_E10value_typeET2_T3_PNSL_ISQ_E10value_typeET4_T5_PSV_SW_PNS1_23onesweep_lookback_stateEbbT6_jjT7_P12ihipStream_tbENKUlT_T0_SK_SP_E_clISE_SE_SF_SF_EEDaS13_S14_SK_SP_EUlS13_E_NS1_11comp_targetILNS1_3genE9ELNS1_11target_archE1100ELNS1_3gpuE3ELNS1_3repE0EEENS1_47radix_sort_onesweep_sort_config_static_selectorELNS0_4arch9wavefront6targetE1EEEvSK_.numbered_sgpr, 0
	.set _ZN7rocprim17ROCPRIM_400000_NS6detail17trampoline_kernelINS0_14default_configENS1_35radix_sort_onesweep_config_selectorIiNS0_10empty_typeEEEZZNS1_29radix_sort_onesweep_iterationIS3_Lb1EN6thrust23THRUST_200600_302600_NS6detail15normal_iteratorINS9_10device_ptrIiEEEESE_PS5_SF_jNS0_19identity_decomposerENS1_16block_id_wrapperIjLb1EEEEE10hipError_tT1_PNSt15iterator_traitsISK_E10value_typeET2_T3_PNSL_ISQ_E10value_typeET4_T5_PSV_SW_PNS1_23onesweep_lookback_stateEbbT6_jjT7_P12ihipStream_tbENKUlT_T0_SK_SP_E_clISE_SE_SF_SF_EEDaS13_S14_SK_SP_EUlS13_E_NS1_11comp_targetILNS1_3genE9ELNS1_11target_archE1100ELNS1_3gpuE3ELNS1_3repE0EEENS1_47radix_sort_onesweep_sort_config_static_selectorELNS0_4arch9wavefront6targetE1EEEvSK_.num_named_barrier, 0
	.set _ZN7rocprim17ROCPRIM_400000_NS6detail17trampoline_kernelINS0_14default_configENS1_35radix_sort_onesweep_config_selectorIiNS0_10empty_typeEEEZZNS1_29radix_sort_onesweep_iterationIS3_Lb1EN6thrust23THRUST_200600_302600_NS6detail15normal_iteratorINS9_10device_ptrIiEEEESE_PS5_SF_jNS0_19identity_decomposerENS1_16block_id_wrapperIjLb1EEEEE10hipError_tT1_PNSt15iterator_traitsISK_E10value_typeET2_T3_PNSL_ISQ_E10value_typeET4_T5_PSV_SW_PNS1_23onesweep_lookback_stateEbbT6_jjT7_P12ihipStream_tbENKUlT_T0_SK_SP_E_clISE_SE_SF_SF_EEDaS13_S14_SK_SP_EUlS13_E_NS1_11comp_targetILNS1_3genE9ELNS1_11target_archE1100ELNS1_3gpuE3ELNS1_3repE0EEENS1_47radix_sort_onesweep_sort_config_static_selectorELNS0_4arch9wavefront6targetE1EEEvSK_.private_seg_size, 0
	.set _ZN7rocprim17ROCPRIM_400000_NS6detail17trampoline_kernelINS0_14default_configENS1_35radix_sort_onesweep_config_selectorIiNS0_10empty_typeEEEZZNS1_29radix_sort_onesweep_iterationIS3_Lb1EN6thrust23THRUST_200600_302600_NS6detail15normal_iteratorINS9_10device_ptrIiEEEESE_PS5_SF_jNS0_19identity_decomposerENS1_16block_id_wrapperIjLb1EEEEE10hipError_tT1_PNSt15iterator_traitsISK_E10value_typeET2_T3_PNSL_ISQ_E10value_typeET4_T5_PSV_SW_PNS1_23onesweep_lookback_stateEbbT6_jjT7_P12ihipStream_tbENKUlT_T0_SK_SP_E_clISE_SE_SF_SF_EEDaS13_S14_SK_SP_EUlS13_E_NS1_11comp_targetILNS1_3genE9ELNS1_11target_archE1100ELNS1_3gpuE3ELNS1_3repE0EEENS1_47radix_sort_onesweep_sort_config_static_selectorELNS0_4arch9wavefront6targetE1EEEvSK_.uses_vcc, 0
	.set _ZN7rocprim17ROCPRIM_400000_NS6detail17trampoline_kernelINS0_14default_configENS1_35radix_sort_onesweep_config_selectorIiNS0_10empty_typeEEEZZNS1_29radix_sort_onesweep_iterationIS3_Lb1EN6thrust23THRUST_200600_302600_NS6detail15normal_iteratorINS9_10device_ptrIiEEEESE_PS5_SF_jNS0_19identity_decomposerENS1_16block_id_wrapperIjLb1EEEEE10hipError_tT1_PNSt15iterator_traitsISK_E10value_typeET2_T3_PNSL_ISQ_E10value_typeET4_T5_PSV_SW_PNS1_23onesweep_lookback_stateEbbT6_jjT7_P12ihipStream_tbENKUlT_T0_SK_SP_E_clISE_SE_SF_SF_EEDaS13_S14_SK_SP_EUlS13_E_NS1_11comp_targetILNS1_3genE9ELNS1_11target_archE1100ELNS1_3gpuE3ELNS1_3repE0EEENS1_47radix_sort_onesweep_sort_config_static_selectorELNS0_4arch9wavefront6targetE1EEEvSK_.uses_flat_scratch, 0
	.set _ZN7rocprim17ROCPRIM_400000_NS6detail17trampoline_kernelINS0_14default_configENS1_35radix_sort_onesweep_config_selectorIiNS0_10empty_typeEEEZZNS1_29radix_sort_onesweep_iterationIS3_Lb1EN6thrust23THRUST_200600_302600_NS6detail15normal_iteratorINS9_10device_ptrIiEEEESE_PS5_SF_jNS0_19identity_decomposerENS1_16block_id_wrapperIjLb1EEEEE10hipError_tT1_PNSt15iterator_traitsISK_E10value_typeET2_T3_PNSL_ISQ_E10value_typeET4_T5_PSV_SW_PNS1_23onesweep_lookback_stateEbbT6_jjT7_P12ihipStream_tbENKUlT_T0_SK_SP_E_clISE_SE_SF_SF_EEDaS13_S14_SK_SP_EUlS13_E_NS1_11comp_targetILNS1_3genE9ELNS1_11target_archE1100ELNS1_3gpuE3ELNS1_3repE0EEENS1_47radix_sort_onesweep_sort_config_static_selectorELNS0_4arch9wavefront6targetE1EEEvSK_.has_dyn_sized_stack, 0
	.set _ZN7rocprim17ROCPRIM_400000_NS6detail17trampoline_kernelINS0_14default_configENS1_35radix_sort_onesweep_config_selectorIiNS0_10empty_typeEEEZZNS1_29radix_sort_onesweep_iterationIS3_Lb1EN6thrust23THRUST_200600_302600_NS6detail15normal_iteratorINS9_10device_ptrIiEEEESE_PS5_SF_jNS0_19identity_decomposerENS1_16block_id_wrapperIjLb1EEEEE10hipError_tT1_PNSt15iterator_traitsISK_E10value_typeET2_T3_PNSL_ISQ_E10value_typeET4_T5_PSV_SW_PNS1_23onesweep_lookback_stateEbbT6_jjT7_P12ihipStream_tbENKUlT_T0_SK_SP_E_clISE_SE_SF_SF_EEDaS13_S14_SK_SP_EUlS13_E_NS1_11comp_targetILNS1_3genE9ELNS1_11target_archE1100ELNS1_3gpuE3ELNS1_3repE0EEENS1_47radix_sort_onesweep_sort_config_static_selectorELNS0_4arch9wavefront6targetE1EEEvSK_.has_recursion, 0
	.set _ZN7rocprim17ROCPRIM_400000_NS6detail17trampoline_kernelINS0_14default_configENS1_35radix_sort_onesweep_config_selectorIiNS0_10empty_typeEEEZZNS1_29radix_sort_onesweep_iterationIS3_Lb1EN6thrust23THRUST_200600_302600_NS6detail15normal_iteratorINS9_10device_ptrIiEEEESE_PS5_SF_jNS0_19identity_decomposerENS1_16block_id_wrapperIjLb1EEEEE10hipError_tT1_PNSt15iterator_traitsISK_E10value_typeET2_T3_PNSL_ISQ_E10value_typeET4_T5_PSV_SW_PNS1_23onesweep_lookback_stateEbbT6_jjT7_P12ihipStream_tbENKUlT_T0_SK_SP_E_clISE_SE_SF_SF_EEDaS13_S14_SK_SP_EUlS13_E_NS1_11comp_targetILNS1_3genE9ELNS1_11target_archE1100ELNS1_3gpuE3ELNS1_3repE0EEENS1_47radix_sort_onesweep_sort_config_static_selectorELNS0_4arch9wavefront6targetE1EEEvSK_.has_indirect_call, 0
	.section	.AMDGPU.csdata,"",@progbits
; Kernel info:
; codeLenInByte = 0
; TotalNumSgprs: 6
; NumVgprs: 0
; NumAgprs: 0
; TotalNumVgprs: 0
; ScratchSize: 0
; MemoryBound: 0
; FloatMode: 240
; IeeeMode: 1
; LDSByteSize: 0 bytes/workgroup (compile time only)
; SGPRBlocks: 0
; VGPRBlocks: 0
; NumSGPRsForWavesPerEU: 6
; NumVGPRsForWavesPerEU: 1
; AccumOffset: 4
; Occupancy: 8
; WaveLimiterHint : 0
; COMPUTE_PGM_RSRC2:SCRATCH_EN: 0
; COMPUTE_PGM_RSRC2:USER_SGPR: 2
; COMPUTE_PGM_RSRC2:TRAP_HANDLER: 0
; COMPUTE_PGM_RSRC2:TGID_X_EN: 1
; COMPUTE_PGM_RSRC2:TGID_Y_EN: 0
; COMPUTE_PGM_RSRC2:TGID_Z_EN: 0
; COMPUTE_PGM_RSRC2:TIDIG_COMP_CNT: 0
; COMPUTE_PGM_RSRC3_GFX90A:ACCUM_OFFSET: 0
; COMPUTE_PGM_RSRC3_GFX90A:TG_SPLIT: 0
	.section	.text._ZN7rocprim17ROCPRIM_400000_NS6detail17trampoline_kernelINS0_14default_configENS1_35radix_sort_onesweep_config_selectorIiNS0_10empty_typeEEEZZNS1_29radix_sort_onesweep_iterationIS3_Lb1EN6thrust23THRUST_200600_302600_NS6detail15normal_iteratorINS9_10device_ptrIiEEEESE_PS5_SF_jNS0_19identity_decomposerENS1_16block_id_wrapperIjLb1EEEEE10hipError_tT1_PNSt15iterator_traitsISK_E10value_typeET2_T3_PNSL_ISQ_E10value_typeET4_T5_PSV_SW_PNS1_23onesweep_lookback_stateEbbT6_jjT7_P12ihipStream_tbENKUlT_T0_SK_SP_E_clISE_SE_SF_SF_EEDaS13_S14_SK_SP_EUlS13_E_NS1_11comp_targetILNS1_3genE8ELNS1_11target_archE1030ELNS1_3gpuE2ELNS1_3repE0EEENS1_47radix_sort_onesweep_sort_config_static_selectorELNS0_4arch9wavefront6targetE1EEEvSK_,"axG",@progbits,_ZN7rocprim17ROCPRIM_400000_NS6detail17trampoline_kernelINS0_14default_configENS1_35radix_sort_onesweep_config_selectorIiNS0_10empty_typeEEEZZNS1_29radix_sort_onesweep_iterationIS3_Lb1EN6thrust23THRUST_200600_302600_NS6detail15normal_iteratorINS9_10device_ptrIiEEEESE_PS5_SF_jNS0_19identity_decomposerENS1_16block_id_wrapperIjLb1EEEEE10hipError_tT1_PNSt15iterator_traitsISK_E10value_typeET2_T3_PNSL_ISQ_E10value_typeET4_T5_PSV_SW_PNS1_23onesweep_lookback_stateEbbT6_jjT7_P12ihipStream_tbENKUlT_T0_SK_SP_E_clISE_SE_SF_SF_EEDaS13_S14_SK_SP_EUlS13_E_NS1_11comp_targetILNS1_3genE8ELNS1_11target_archE1030ELNS1_3gpuE2ELNS1_3repE0EEENS1_47radix_sort_onesweep_sort_config_static_selectorELNS0_4arch9wavefront6targetE1EEEvSK_,comdat
	.protected	_ZN7rocprim17ROCPRIM_400000_NS6detail17trampoline_kernelINS0_14default_configENS1_35radix_sort_onesweep_config_selectorIiNS0_10empty_typeEEEZZNS1_29radix_sort_onesweep_iterationIS3_Lb1EN6thrust23THRUST_200600_302600_NS6detail15normal_iteratorINS9_10device_ptrIiEEEESE_PS5_SF_jNS0_19identity_decomposerENS1_16block_id_wrapperIjLb1EEEEE10hipError_tT1_PNSt15iterator_traitsISK_E10value_typeET2_T3_PNSL_ISQ_E10value_typeET4_T5_PSV_SW_PNS1_23onesweep_lookback_stateEbbT6_jjT7_P12ihipStream_tbENKUlT_T0_SK_SP_E_clISE_SE_SF_SF_EEDaS13_S14_SK_SP_EUlS13_E_NS1_11comp_targetILNS1_3genE8ELNS1_11target_archE1030ELNS1_3gpuE2ELNS1_3repE0EEENS1_47radix_sort_onesweep_sort_config_static_selectorELNS0_4arch9wavefront6targetE1EEEvSK_ ; -- Begin function _ZN7rocprim17ROCPRIM_400000_NS6detail17trampoline_kernelINS0_14default_configENS1_35radix_sort_onesweep_config_selectorIiNS0_10empty_typeEEEZZNS1_29radix_sort_onesweep_iterationIS3_Lb1EN6thrust23THRUST_200600_302600_NS6detail15normal_iteratorINS9_10device_ptrIiEEEESE_PS5_SF_jNS0_19identity_decomposerENS1_16block_id_wrapperIjLb1EEEEE10hipError_tT1_PNSt15iterator_traitsISK_E10value_typeET2_T3_PNSL_ISQ_E10value_typeET4_T5_PSV_SW_PNS1_23onesweep_lookback_stateEbbT6_jjT7_P12ihipStream_tbENKUlT_T0_SK_SP_E_clISE_SE_SF_SF_EEDaS13_S14_SK_SP_EUlS13_E_NS1_11comp_targetILNS1_3genE8ELNS1_11target_archE1030ELNS1_3gpuE2ELNS1_3repE0EEENS1_47radix_sort_onesweep_sort_config_static_selectorELNS0_4arch9wavefront6targetE1EEEvSK_
	.globl	_ZN7rocprim17ROCPRIM_400000_NS6detail17trampoline_kernelINS0_14default_configENS1_35radix_sort_onesweep_config_selectorIiNS0_10empty_typeEEEZZNS1_29radix_sort_onesweep_iterationIS3_Lb1EN6thrust23THRUST_200600_302600_NS6detail15normal_iteratorINS9_10device_ptrIiEEEESE_PS5_SF_jNS0_19identity_decomposerENS1_16block_id_wrapperIjLb1EEEEE10hipError_tT1_PNSt15iterator_traitsISK_E10value_typeET2_T3_PNSL_ISQ_E10value_typeET4_T5_PSV_SW_PNS1_23onesweep_lookback_stateEbbT6_jjT7_P12ihipStream_tbENKUlT_T0_SK_SP_E_clISE_SE_SF_SF_EEDaS13_S14_SK_SP_EUlS13_E_NS1_11comp_targetILNS1_3genE8ELNS1_11target_archE1030ELNS1_3gpuE2ELNS1_3repE0EEENS1_47radix_sort_onesweep_sort_config_static_selectorELNS0_4arch9wavefront6targetE1EEEvSK_
	.p2align	8
	.type	_ZN7rocprim17ROCPRIM_400000_NS6detail17trampoline_kernelINS0_14default_configENS1_35radix_sort_onesweep_config_selectorIiNS0_10empty_typeEEEZZNS1_29radix_sort_onesweep_iterationIS3_Lb1EN6thrust23THRUST_200600_302600_NS6detail15normal_iteratorINS9_10device_ptrIiEEEESE_PS5_SF_jNS0_19identity_decomposerENS1_16block_id_wrapperIjLb1EEEEE10hipError_tT1_PNSt15iterator_traitsISK_E10value_typeET2_T3_PNSL_ISQ_E10value_typeET4_T5_PSV_SW_PNS1_23onesweep_lookback_stateEbbT6_jjT7_P12ihipStream_tbENKUlT_T0_SK_SP_E_clISE_SE_SF_SF_EEDaS13_S14_SK_SP_EUlS13_E_NS1_11comp_targetILNS1_3genE8ELNS1_11target_archE1030ELNS1_3gpuE2ELNS1_3repE0EEENS1_47radix_sort_onesweep_sort_config_static_selectorELNS0_4arch9wavefront6targetE1EEEvSK_,@function
_ZN7rocprim17ROCPRIM_400000_NS6detail17trampoline_kernelINS0_14default_configENS1_35radix_sort_onesweep_config_selectorIiNS0_10empty_typeEEEZZNS1_29radix_sort_onesweep_iterationIS3_Lb1EN6thrust23THRUST_200600_302600_NS6detail15normal_iteratorINS9_10device_ptrIiEEEESE_PS5_SF_jNS0_19identity_decomposerENS1_16block_id_wrapperIjLb1EEEEE10hipError_tT1_PNSt15iterator_traitsISK_E10value_typeET2_T3_PNSL_ISQ_E10value_typeET4_T5_PSV_SW_PNS1_23onesweep_lookback_stateEbbT6_jjT7_P12ihipStream_tbENKUlT_T0_SK_SP_E_clISE_SE_SF_SF_EEDaS13_S14_SK_SP_EUlS13_E_NS1_11comp_targetILNS1_3genE8ELNS1_11target_archE1030ELNS1_3gpuE2ELNS1_3repE0EEENS1_47radix_sort_onesweep_sort_config_static_selectorELNS0_4arch9wavefront6targetE1EEEvSK_: ; @_ZN7rocprim17ROCPRIM_400000_NS6detail17trampoline_kernelINS0_14default_configENS1_35radix_sort_onesweep_config_selectorIiNS0_10empty_typeEEEZZNS1_29radix_sort_onesweep_iterationIS3_Lb1EN6thrust23THRUST_200600_302600_NS6detail15normal_iteratorINS9_10device_ptrIiEEEESE_PS5_SF_jNS0_19identity_decomposerENS1_16block_id_wrapperIjLb1EEEEE10hipError_tT1_PNSt15iterator_traitsISK_E10value_typeET2_T3_PNSL_ISQ_E10value_typeET4_T5_PSV_SW_PNS1_23onesweep_lookback_stateEbbT6_jjT7_P12ihipStream_tbENKUlT_T0_SK_SP_E_clISE_SE_SF_SF_EEDaS13_S14_SK_SP_EUlS13_E_NS1_11comp_targetILNS1_3genE8ELNS1_11target_archE1030ELNS1_3gpuE2ELNS1_3repE0EEENS1_47radix_sort_onesweep_sort_config_static_selectorELNS0_4arch9wavefront6targetE1EEEvSK_
; %bb.0:
	.section	.rodata,"a",@progbits
	.p2align	6, 0x0
	.amdhsa_kernel _ZN7rocprim17ROCPRIM_400000_NS6detail17trampoline_kernelINS0_14default_configENS1_35radix_sort_onesweep_config_selectorIiNS0_10empty_typeEEEZZNS1_29radix_sort_onesweep_iterationIS3_Lb1EN6thrust23THRUST_200600_302600_NS6detail15normal_iteratorINS9_10device_ptrIiEEEESE_PS5_SF_jNS0_19identity_decomposerENS1_16block_id_wrapperIjLb1EEEEE10hipError_tT1_PNSt15iterator_traitsISK_E10value_typeET2_T3_PNSL_ISQ_E10value_typeET4_T5_PSV_SW_PNS1_23onesweep_lookback_stateEbbT6_jjT7_P12ihipStream_tbENKUlT_T0_SK_SP_E_clISE_SE_SF_SF_EEDaS13_S14_SK_SP_EUlS13_E_NS1_11comp_targetILNS1_3genE8ELNS1_11target_archE1030ELNS1_3gpuE2ELNS1_3repE0EEENS1_47radix_sort_onesweep_sort_config_static_selectorELNS0_4arch9wavefront6targetE1EEEvSK_
		.amdhsa_group_segment_fixed_size 0
		.amdhsa_private_segment_fixed_size 0
		.amdhsa_kernarg_size 88
		.amdhsa_user_sgpr_count 2
		.amdhsa_user_sgpr_dispatch_ptr 0
		.amdhsa_user_sgpr_queue_ptr 0
		.amdhsa_user_sgpr_kernarg_segment_ptr 1
		.amdhsa_user_sgpr_dispatch_id 0
		.amdhsa_user_sgpr_kernarg_preload_length 0
		.amdhsa_user_sgpr_kernarg_preload_offset 0
		.amdhsa_user_sgpr_private_segment_size 0
		.amdhsa_uses_dynamic_stack 0
		.amdhsa_enable_private_segment 0
		.amdhsa_system_sgpr_workgroup_id_x 1
		.amdhsa_system_sgpr_workgroup_id_y 0
		.amdhsa_system_sgpr_workgroup_id_z 0
		.amdhsa_system_sgpr_workgroup_info 0
		.amdhsa_system_vgpr_workitem_id 0
		.amdhsa_next_free_vgpr 1
		.amdhsa_next_free_sgpr 0
		.amdhsa_accum_offset 4
		.amdhsa_reserve_vcc 0
		.amdhsa_float_round_mode_32 0
		.amdhsa_float_round_mode_16_64 0
		.amdhsa_float_denorm_mode_32 3
		.amdhsa_float_denorm_mode_16_64 3
		.amdhsa_dx10_clamp 1
		.amdhsa_ieee_mode 1
		.amdhsa_fp16_overflow 0
		.amdhsa_tg_split 0
		.amdhsa_exception_fp_ieee_invalid_op 0
		.amdhsa_exception_fp_denorm_src 0
		.amdhsa_exception_fp_ieee_div_zero 0
		.amdhsa_exception_fp_ieee_overflow 0
		.amdhsa_exception_fp_ieee_underflow 0
		.amdhsa_exception_fp_ieee_inexact 0
		.amdhsa_exception_int_div_zero 0
	.end_amdhsa_kernel
	.section	.text._ZN7rocprim17ROCPRIM_400000_NS6detail17trampoline_kernelINS0_14default_configENS1_35radix_sort_onesweep_config_selectorIiNS0_10empty_typeEEEZZNS1_29radix_sort_onesweep_iterationIS3_Lb1EN6thrust23THRUST_200600_302600_NS6detail15normal_iteratorINS9_10device_ptrIiEEEESE_PS5_SF_jNS0_19identity_decomposerENS1_16block_id_wrapperIjLb1EEEEE10hipError_tT1_PNSt15iterator_traitsISK_E10value_typeET2_T3_PNSL_ISQ_E10value_typeET4_T5_PSV_SW_PNS1_23onesweep_lookback_stateEbbT6_jjT7_P12ihipStream_tbENKUlT_T0_SK_SP_E_clISE_SE_SF_SF_EEDaS13_S14_SK_SP_EUlS13_E_NS1_11comp_targetILNS1_3genE8ELNS1_11target_archE1030ELNS1_3gpuE2ELNS1_3repE0EEENS1_47radix_sort_onesweep_sort_config_static_selectorELNS0_4arch9wavefront6targetE1EEEvSK_,"axG",@progbits,_ZN7rocprim17ROCPRIM_400000_NS6detail17trampoline_kernelINS0_14default_configENS1_35radix_sort_onesweep_config_selectorIiNS0_10empty_typeEEEZZNS1_29radix_sort_onesweep_iterationIS3_Lb1EN6thrust23THRUST_200600_302600_NS6detail15normal_iteratorINS9_10device_ptrIiEEEESE_PS5_SF_jNS0_19identity_decomposerENS1_16block_id_wrapperIjLb1EEEEE10hipError_tT1_PNSt15iterator_traitsISK_E10value_typeET2_T3_PNSL_ISQ_E10value_typeET4_T5_PSV_SW_PNS1_23onesweep_lookback_stateEbbT6_jjT7_P12ihipStream_tbENKUlT_T0_SK_SP_E_clISE_SE_SF_SF_EEDaS13_S14_SK_SP_EUlS13_E_NS1_11comp_targetILNS1_3genE8ELNS1_11target_archE1030ELNS1_3gpuE2ELNS1_3repE0EEENS1_47radix_sort_onesweep_sort_config_static_selectorELNS0_4arch9wavefront6targetE1EEEvSK_,comdat
.Lfunc_end344:
	.size	_ZN7rocprim17ROCPRIM_400000_NS6detail17trampoline_kernelINS0_14default_configENS1_35radix_sort_onesweep_config_selectorIiNS0_10empty_typeEEEZZNS1_29radix_sort_onesweep_iterationIS3_Lb1EN6thrust23THRUST_200600_302600_NS6detail15normal_iteratorINS9_10device_ptrIiEEEESE_PS5_SF_jNS0_19identity_decomposerENS1_16block_id_wrapperIjLb1EEEEE10hipError_tT1_PNSt15iterator_traitsISK_E10value_typeET2_T3_PNSL_ISQ_E10value_typeET4_T5_PSV_SW_PNS1_23onesweep_lookback_stateEbbT6_jjT7_P12ihipStream_tbENKUlT_T0_SK_SP_E_clISE_SE_SF_SF_EEDaS13_S14_SK_SP_EUlS13_E_NS1_11comp_targetILNS1_3genE8ELNS1_11target_archE1030ELNS1_3gpuE2ELNS1_3repE0EEENS1_47radix_sort_onesweep_sort_config_static_selectorELNS0_4arch9wavefront6targetE1EEEvSK_, .Lfunc_end344-_ZN7rocprim17ROCPRIM_400000_NS6detail17trampoline_kernelINS0_14default_configENS1_35radix_sort_onesweep_config_selectorIiNS0_10empty_typeEEEZZNS1_29radix_sort_onesweep_iterationIS3_Lb1EN6thrust23THRUST_200600_302600_NS6detail15normal_iteratorINS9_10device_ptrIiEEEESE_PS5_SF_jNS0_19identity_decomposerENS1_16block_id_wrapperIjLb1EEEEE10hipError_tT1_PNSt15iterator_traitsISK_E10value_typeET2_T3_PNSL_ISQ_E10value_typeET4_T5_PSV_SW_PNS1_23onesweep_lookback_stateEbbT6_jjT7_P12ihipStream_tbENKUlT_T0_SK_SP_E_clISE_SE_SF_SF_EEDaS13_S14_SK_SP_EUlS13_E_NS1_11comp_targetILNS1_3genE8ELNS1_11target_archE1030ELNS1_3gpuE2ELNS1_3repE0EEENS1_47radix_sort_onesweep_sort_config_static_selectorELNS0_4arch9wavefront6targetE1EEEvSK_
                                        ; -- End function
	.set _ZN7rocprim17ROCPRIM_400000_NS6detail17trampoline_kernelINS0_14default_configENS1_35radix_sort_onesweep_config_selectorIiNS0_10empty_typeEEEZZNS1_29radix_sort_onesweep_iterationIS3_Lb1EN6thrust23THRUST_200600_302600_NS6detail15normal_iteratorINS9_10device_ptrIiEEEESE_PS5_SF_jNS0_19identity_decomposerENS1_16block_id_wrapperIjLb1EEEEE10hipError_tT1_PNSt15iterator_traitsISK_E10value_typeET2_T3_PNSL_ISQ_E10value_typeET4_T5_PSV_SW_PNS1_23onesweep_lookback_stateEbbT6_jjT7_P12ihipStream_tbENKUlT_T0_SK_SP_E_clISE_SE_SF_SF_EEDaS13_S14_SK_SP_EUlS13_E_NS1_11comp_targetILNS1_3genE8ELNS1_11target_archE1030ELNS1_3gpuE2ELNS1_3repE0EEENS1_47radix_sort_onesweep_sort_config_static_selectorELNS0_4arch9wavefront6targetE1EEEvSK_.num_vgpr, 0
	.set _ZN7rocprim17ROCPRIM_400000_NS6detail17trampoline_kernelINS0_14default_configENS1_35radix_sort_onesweep_config_selectorIiNS0_10empty_typeEEEZZNS1_29radix_sort_onesweep_iterationIS3_Lb1EN6thrust23THRUST_200600_302600_NS6detail15normal_iteratorINS9_10device_ptrIiEEEESE_PS5_SF_jNS0_19identity_decomposerENS1_16block_id_wrapperIjLb1EEEEE10hipError_tT1_PNSt15iterator_traitsISK_E10value_typeET2_T3_PNSL_ISQ_E10value_typeET4_T5_PSV_SW_PNS1_23onesweep_lookback_stateEbbT6_jjT7_P12ihipStream_tbENKUlT_T0_SK_SP_E_clISE_SE_SF_SF_EEDaS13_S14_SK_SP_EUlS13_E_NS1_11comp_targetILNS1_3genE8ELNS1_11target_archE1030ELNS1_3gpuE2ELNS1_3repE0EEENS1_47radix_sort_onesweep_sort_config_static_selectorELNS0_4arch9wavefront6targetE1EEEvSK_.num_agpr, 0
	.set _ZN7rocprim17ROCPRIM_400000_NS6detail17trampoline_kernelINS0_14default_configENS1_35radix_sort_onesweep_config_selectorIiNS0_10empty_typeEEEZZNS1_29radix_sort_onesweep_iterationIS3_Lb1EN6thrust23THRUST_200600_302600_NS6detail15normal_iteratorINS9_10device_ptrIiEEEESE_PS5_SF_jNS0_19identity_decomposerENS1_16block_id_wrapperIjLb1EEEEE10hipError_tT1_PNSt15iterator_traitsISK_E10value_typeET2_T3_PNSL_ISQ_E10value_typeET4_T5_PSV_SW_PNS1_23onesweep_lookback_stateEbbT6_jjT7_P12ihipStream_tbENKUlT_T0_SK_SP_E_clISE_SE_SF_SF_EEDaS13_S14_SK_SP_EUlS13_E_NS1_11comp_targetILNS1_3genE8ELNS1_11target_archE1030ELNS1_3gpuE2ELNS1_3repE0EEENS1_47radix_sort_onesweep_sort_config_static_selectorELNS0_4arch9wavefront6targetE1EEEvSK_.numbered_sgpr, 0
	.set _ZN7rocprim17ROCPRIM_400000_NS6detail17trampoline_kernelINS0_14default_configENS1_35radix_sort_onesweep_config_selectorIiNS0_10empty_typeEEEZZNS1_29radix_sort_onesweep_iterationIS3_Lb1EN6thrust23THRUST_200600_302600_NS6detail15normal_iteratorINS9_10device_ptrIiEEEESE_PS5_SF_jNS0_19identity_decomposerENS1_16block_id_wrapperIjLb1EEEEE10hipError_tT1_PNSt15iterator_traitsISK_E10value_typeET2_T3_PNSL_ISQ_E10value_typeET4_T5_PSV_SW_PNS1_23onesweep_lookback_stateEbbT6_jjT7_P12ihipStream_tbENKUlT_T0_SK_SP_E_clISE_SE_SF_SF_EEDaS13_S14_SK_SP_EUlS13_E_NS1_11comp_targetILNS1_3genE8ELNS1_11target_archE1030ELNS1_3gpuE2ELNS1_3repE0EEENS1_47radix_sort_onesweep_sort_config_static_selectorELNS0_4arch9wavefront6targetE1EEEvSK_.num_named_barrier, 0
	.set _ZN7rocprim17ROCPRIM_400000_NS6detail17trampoline_kernelINS0_14default_configENS1_35radix_sort_onesweep_config_selectorIiNS0_10empty_typeEEEZZNS1_29radix_sort_onesweep_iterationIS3_Lb1EN6thrust23THRUST_200600_302600_NS6detail15normal_iteratorINS9_10device_ptrIiEEEESE_PS5_SF_jNS0_19identity_decomposerENS1_16block_id_wrapperIjLb1EEEEE10hipError_tT1_PNSt15iterator_traitsISK_E10value_typeET2_T3_PNSL_ISQ_E10value_typeET4_T5_PSV_SW_PNS1_23onesweep_lookback_stateEbbT6_jjT7_P12ihipStream_tbENKUlT_T0_SK_SP_E_clISE_SE_SF_SF_EEDaS13_S14_SK_SP_EUlS13_E_NS1_11comp_targetILNS1_3genE8ELNS1_11target_archE1030ELNS1_3gpuE2ELNS1_3repE0EEENS1_47radix_sort_onesweep_sort_config_static_selectorELNS0_4arch9wavefront6targetE1EEEvSK_.private_seg_size, 0
	.set _ZN7rocprim17ROCPRIM_400000_NS6detail17trampoline_kernelINS0_14default_configENS1_35radix_sort_onesweep_config_selectorIiNS0_10empty_typeEEEZZNS1_29radix_sort_onesweep_iterationIS3_Lb1EN6thrust23THRUST_200600_302600_NS6detail15normal_iteratorINS9_10device_ptrIiEEEESE_PS5_SF_jNS0_19identity_decomposerENS1_16block_id_wrapperIjLb1EEEEE10hipError_tT1_PNSt15iterator_traitsISK_E10value_typeET2_T3_PNSL_ISQ_E10value_typeET4_T5_PSV_SW_PNS1_23onesweep_lookback_stateEbbT6_jjT7_P12ihipStream_tbENKUlT_T0_SK_SP_E_clISE_SE_SF_SF_EEDaS13_S14_SK_SP_EUlS13_E_NS1_11comp_targetILNS1_3genE8ELNS1_11target_archE1030ELNS1_3gpuE2ELNS1_3repE0EEENS1_47radix_sort_onesweep_sort_config_static_selectorELNS0_4arch9wavefront6targetE1EEEvSK_.uses_vcc, 0
	.set _ZN7rocprim17ROCPRIM_400000_NS6detail17trampoline_kernelINS0_14default_configENS1_35radix_sort_onesweep_config_selectorIiNS0_10empty_typeEEEZZNS1_29radix_sort_onesweep_iterationIS3_Lb1EN6thrust23THRUST_200600_302600_NS6detail15normal_iteratorINS9_10device_ptrIiEEEESE_PS5_SF_jNS0_19identity_decomposerENS1_16block_id_wrapperIjLb1EEEEE10hipError_tT1_PNSt15iterator_traitsISK_E10value_typeET2_T3_PNSL_ISQ_E10value_typeET4_T5_PSV_SW_PNS1_23onesweep_lookback_stateEbbT6_jjT7_P12ihipStream_tbENKUlT_T0_SK_SP_E_clISE_SE_SF_SF_EEDaS13_S14_SK_SP_EUlS13_E_NS1_11comp_targetILNS1_3genE8ELNS1_11target_archE1030ELNS1_3gpuE2ELNS1_3repE0EEENS1_47radix_sort_onesweep_sort_config_static_selectorELNS0_4arch9wavefront6targetE1EEEvSK_.uses_flat_scratch, 0
	.set _ZN7rocprim17ROCPRIM_400000_NS6detail17trampoline_kernelINS0_14default_configENS1_35radix_sort_onesweep_config_selectorIiNS0_10empty_typeEEEZZNS1_29radix_sort_onesweep_iterationIS3_Lb1EN6thrust23THRUST_200600_302600_NS6detail15normal_iteratorINS9_10device_ptrIiEEEESE_PS5_SF_jNS0_19identity_decomposerENS1_16block_id_wrapperIjLb1EEEEE10hipError_tT1_PNSt15iterator_traitsISK_E10value_typeET2_T3_PNSL_ISQ_E10value_typeET4_T5_PSV_SW_PNS1_23onesweep_lookback_stateEbbT6_jjT7_P12ihipStream_tbENKUlT_T0_SK_SP_E_clISE_SE_SF_SF_EEDaS13_S14_SK_SP_EUlS13_E_NS1_11comp_targetILNS1_3genE8ELNS1_11target_archE1030ELNS1_3gpuE2ELNS1_3repE0EEENS1_47radix_sort_onesweep_sort_config_static_selectorELNS0_4arch9wavefront6targetE1EEEvSK_.has_dyn_sized_stack, 0
	.set _ZN7rocprim17ROCPRIM_400000_NS6detail17trampoline_kernelINS0_14default_configENS1_35radix_sort_onesweep_config_selectorIiNS0_10empty_typeEEEZZNS1_29radix_sort_onesweep_iterationIS3_Lb1EN6thrust23THRUST_200600_302600_NS6detail15normal_iteratorINS9_10device_ptrIiEEEESE_PS5_SF_jNS0_19identity_decomposerENS1_16block_id_wrapperIjLb1EEEEE10hipError_tT1_PNSt15iterator_traitsISK_E10value_typeET2_T3_PNSL_ISQ_E10value_typeET4_T5_PSV_SW_PNS1_23onesweep_lookback_stateEbbT6_jjT7_P12ihipStream_tbENKUlT_T0_SK_SP_E_clISE_SE_SF_SF_EEDaS13_S14_SK_SP_EUlS13_E_NS1_11comp_targetILNS1_3genE8ELNS1_11target_archE1030ELNS1_3gpuE2ELNS1_3repE0EEENS1_47radix_sort_onesweep_sort_config_static_selectorELNS0_4arch9wavefront6targetE1EEEvSK_.has_recursion, 0
	.set _ZN7rocprim17ROCPRIM_400000_NS6detail17trampoline_kernelINS0_14default_configENS1_35radix_sort_onesweep_config_selectorIiNS0_10empty_typeEEEZZNS1_29radix_sort_onesweep_iterationIS3_Lb1EN6thrust23THRUST_200600_302600_NS6detail15normal_iteratorINS9_10device_ptrIiEEEESE_PS5_SF_jNS0_19identity_decomposerENS1_16block_id_wrapperIjLb1EEEEE10hipError_tT1_PNSt15iterator_traitsISK_E10value_typeET2_T3_PNSL_ISQ_E10value_typeET4_T5_PSV_SW_PNS1_23onesweep_lookback_stateEbbT6_jjT7_P12ihipStream_tbENKUlT_T0_SK_SP_E_clISE_SE_SF_SF_EEDaS13_S14_SK_SP_EUlS13_E_NS1_11comp_targetILNS1_3genE8ELNS1_11target_archE1030ELNS1_3gpuE2ELNS1_3repE0EEENS1_47radix_sort_onesweep_sort_config_static_selectorELNS0_4arch9wavefront6targetE1EEEvSK_.has_indirect_call, 0
	.section	.AMDGPU.csdata,"",@progbits
; Kernel info:
; codeLenInByte = 0
; TotalNumSgprs: 6
; NumVgprs: 0
; NumAgprs: 0
; TotalNumVgprs: 0
; ScratchSize: 0
; MemoryBound: 0
; FloatMode: 240
; IeeeMode: 1
; LDSByteSize: 0 bytes/workgroup (compile time only)
; SGPRBlocks: 0
; VGPRBlocks: 0
; NumSGPRsForWavesPerEU: 6
; NumVGPRsForWavesPerEU: 1
; AccumOffset: 4
; Occupancy: 8
; WaveLimiterHint : 0
; COMPUTE_PGM_RSRC2:SCRATCH_EN: 0
; COMPUTE_PGM_RSRC2:USER_SGPR: 2
; COMPUTE_PGM_RSRC2:TRAP_HANDLER: 0
; COMPUTE_PGM_RSRC2:TGID_X_EN: 1
; COMPUTE_PGM_RSRC2:TGID_Y_EN: 0
; COMPUTE_PGM_RSRC2:TGID_Z_EN: 0
; COMPUTE_PGM_RSRC2:TIDIG_COMP_CNT: 0
; COMPUTE_PGM_RSRC3_GFX90A:ACCUM_OFFSET: 0
; COMPUTE_PGM_RSRC3_GFX90A:TG_SPLIT: 0
	.section	.text._ZN7rocprim17ROCPRIM_400000_NS6detail17trampoline_kernelINS0_14default_configENS1_35radix_sort_onesweep_config_selectorIiNS0_10empty_typeEEEZZNS1_29radix_sort_onesweep_iterationIS3_Lb1EN6thrust23THRUST_200600_302600_NS6detail15normal_iteratorINS9_10device_ptrIiEEEESE_PS5_SF_jNS0_19identity_decomposerENS1_16block_id_wrapperIjLb1EEEEE10hipError_tT1_PNSt15iterator_traitsISK_E10value_typeET2_T3_PNSL_ISQ_E10value_typeET4_T5_PSV_SW_PNS1_23onesweep_lookback_stateEbbT6_jjT7_P12ihipStream_tbENKUlT_T0_SK_SP_E_clISE_PiSF_SF_EEDaS13_S14_SK_SP_EUlS13_E_NS1_11comp_targetILNS1_3genE0ELNS1_11target_archE4294967295ELNS1_3gpuE0ELNS1_3repE0EEENS1_47radix_sort_onesweep_sort_config_static_selectorELNS0_4arch9wavefront6targetE1EEEvSK_,"axG",@progbits,_ZN7rocprim17ROCPRIM_400000_NS6detail17trampoline_kernelINS0_14default_configENS1_35radix_sort_onesweep_config_selectorIiNS0_10empty_typeEEEZZNS1_29radix_sort_onesweep_iterationIS3_Lb1EN6thrust23THRUST_200600_302600_NS6detail15normal_iteratorINS9_10device_ptrIiEEEESE_PS5_SF_jNS0_19identity_decomposerENS1_16block_id_wrapperIjLb1EEEEE10hipError_tT1_PNSt15iterator_traitsISK_E10value_typeET2_T3_PNSL_ISQ_E10value_typeET4_T5_PSV_SW_PNS1_23onesweep_lookback_stateEbbT6_jjT7_P12ihipStream_tbENKUlT_T0_SK_SP_E_clISE_PiSF_SF_EEDaS13_S14_SK_SP_EUlS13_E_NS1_11comp_targetILNS1_3genE0ELNS1_11target_archE4294967295ELNS1_3gpuE0ELNS1_3repE0EEENS1_47radix_sort_onesweep_sort_config_static_selectorELNS0_4arch9wavefront6targetE1EEEvSK_,comdat
	.protected	_ZN7rocprim17ROCPRIM_400000_NS6detail17trampoline_kernelINS0_14default_configENS1_35radix_sort_onesweep_config_selectorIiNS0_10empty_typeEEEZZNS1_29radix_sort_onesweep_iterationIS3_Lb1EN6thrust23THRUST_200600_302600_NS6detail15normal_iteratorINS9_10device_ptrIiEEEESE_PS5_SF_jNS0_19identity_decomposerENS1_16block_id_wrapperIjLb1EEEEE10hipError_tT1_PNSt15iterator_traitsISK_E10value_typeET2_T3_PNSL_ISQ_E10value_typeET4_T5_PSV_SW_PNS1_23onesweep_lookback_stateEbbT6_jjT7_P12ihipStream_tbENKUlT_T0_SK_SP_E_clISE_PiSF_SF_EEDaS13_S14_SK_SP_EUlS13_E_NS1_11comp_targetILNS1_3genE0ELNS1_11target_archE4294967295ELNS1_3gpuE0ELNS1_3repE0EEENS1_47radix_sort_onesweep_sort_config_static_selectorELNS0_4arch9wavefront6targetE1EEEvSK_ ; -- Begin function _ZN7rocprim17ROCPRIM_400000_NS6detail17trampoline_kernelINS0_14default_configENS1_35radix_sort_onesweep_config_selectorIiNS0_10empty_typeEEEZZNS1_29radix_sort_onesweep_iterationIS3_Lb1EN6thrust23THRUST_200600_302600_NS6detail15normal_iteratorINS9_10device_ptrIiEEEESE_PS5_SF_jNS0_19identity_decomposerENS1_16block_id_wrapperIjLb1EEEEE10hipError_tT1_PNSt15iterator_traitsISK_E10value_typeET2_T3_PNSL_ISQ_E10value_typeET4_T5_PSV_SW_PNS1_23onesweep_lookback_stateEbbT6_jjT7_P12ihipStream_tbENKUlT_T0_SK_SP_E_clISE_PiSF_SF_EEDaS13_S14_SK_SP_EUlS13_E_NS1_11comp_targetILNS1_3genE0ELNS1_11target_archE4294967295ELNS1_3gpuE0ELNS1_3repE0EEENS1_47radix_sort_onesweep_sort_config_static_selectorELNS0_4arch9wavefront6targetE1EEEvSK_
	.globl	_ZN7rocprim17ROCPRIM_400000_NS6detail17trampoline_kernelINS0_14default_configENS1_35radix_sort_onesweep_config_selectorIiNS0_10empty_typeEEEZZNS1_29radix_sort_onesweep_iterationIS3_Lb1EN6thrust23THRUST_200600_302600_NS6detail15normal_iteratorINS9_10device_ptrIiEEEESE_PS5_SF_jNS0_19identity_decomposerENS1_16block_id_wrapperIjLb1EEEEE10hipError_tT1_PNSt15iterator_traitsISK_E10value_typeET2_T3_PNSL_ISQ_E10value_typeET4_T5_PSV_SW_PNS1_23onesweep_lookback_stateEbbT6_jjT7_P12ihipStream_tbENKUlT_T0_SK_SP_E_clISE_PiSF_SF_EEDaS13_S14_SK_SP_EUlS13_E_NS1_11comp_targetILNS1_3genE0ELNS1_11target_archE4294967295ELNS1_3gpuE0ELNS1_3repE0EEENS1_47radix_sort_onesweep_sort_config_static_selectorELNS0_4arch9wavefront6targetE1EEEvSK_
	.p2align	8
	.type	_ZN7rocprim17ROCPRIM_400000_NS6detail17trampoline_kernelINS0_14default_configENS1_35radix_sort_onesweep_config_selectorIiNS0_10empty_typeEEEZZNS1_29radix_sort_onesweep_iterationIS3_Lb1EN6thrust23THRUST_200600_302600_NS6detail15normal_iteratorINS9_10device_ptrIiEEEESE_PS5_SF_jNS0_19identity_decomposerENS1_16block_id_wrapperIjLb1EEEEE10hipError_tT1_PNSt15iterator_traitsISK_E10value_typeET2_T3_PNSL_ISQ_E10value_typeET4_T5_PSV_SW_PNS1_23onesweep_lookback_stateEbbT6_jjT7_P12ihipStream_tbENKUlT_T0_SK_SP_E_clISE_PiSF_SF_EEDaS13_S14_SK_SP_EUlS13_E_NS1_11comp_targetILNS1_3genE0ELNS1_11target_archE4294967295ELNS1_3gpuE0ELNS1_3repE0EEENS1_47radix_sort_onesweep_sort_config_static_selectorELNS0_4arch9wavefront6targetE1EEEvSK_,@function
_ZN7rocprim17ROCPRIM_400000_NS6detail17trampoline_kernelINS0_14default_configENS1_35radix_sort_onesweep_config_selectorIiNS0_10empty_typeEEEZZNS1_29radix_sort_onesweep_iterationIS3_Lb1EN6thrust23THRUST_200600_302600_NS6detail15normal_iteratorINS9_10device_ptrIiEEEESE_PS5_SF_jNS0_19identity_decomposerENS1_16block_id_wrapperIjLb1EEEEE10hipError_tT1_PNSt15iterator_traitsISK_E10value_typeET2_T3_PNSL_ISQ_E10value_typeET4_T5_PSV_SW_PNS1_23onesweep_lookback_stateEbbT6_jjT7_P12ihipStream_tbENKUlT_T0_SK_SP_E_clISE_PiSF_SF_EEDaS13_S14_SK_SP_EUlS13_E_NS1_11comp_targetILNS1_3genE0ELNS1_11target_archE4294967295ELNS1_3gpuE0ELNS1_3repE0EEENS1_47radix_sort_onesweep_sort_config_static_selectorELNS0_4arch9wavefront6targetE1EEEvSK_: ; @_ZN7rocprim17ROCPRIM_400000_NS6detail17trampoline_kernelINS0_14default_configENS1_35radix_sort_onesweep_config_selectorIiNS0_10empty_typeEEEZZNS1_29radix_sort_onesweep_iterationIS3_Lb1EN6thrust23THRUST_200600_302600_NS6detail15normal_iteratorINS9_10device_ptrIiEEEESE_PS5_SF_jNS0_19identity_decomposerENS1_16block_id_wrapperIjLb1EEEEE10hipError_tT1_PNSt15iterator_traitsISK_E10value_typeET2_T3_PNSL_ISQ_E10value_typeET4_T5_PSV_SW_PNS1_23onesweep_lookback_stateEbbT6_jjT7_P12ihipStream_tbENKUlT_T0_SK_SP_E_clISE_PiSF_SF_EEDaS13_S14_SK_SP_EUlS13_E_NS1_11comp_targetILNS1_3genE0ELNS1_11target_archE4294967295ELNS1_3gpuE0ELNS1_3repE0EEENS1_47radix_sort_onesweep_sort_config_static_selectorELNS0_4arch9wavefront6targetE1EEEvSK_
; %bb.0:
	.section	.rodata,"a",@progbits
	.p2align	6, 0x0
	.amdhsa_kernel _ZN7rocprim17ROCPRIM_400000_NS6detail17trampoline_kernelINS0_14default_configENS1_35radix_sort_onesweep_config_selectorIiNS0_10empty_typeEEEZZNS1_29radix_sort_onesweep_iterationIS3_Lb1EN6thrust23THRUST_200600_302600_NS6detail15normal_iteratorINS9_10device_ptrIiEEEESE_PS5_SF_jNS0_19identity_decomposerENS1_16block_id_wrapperIjLb1EEEEE10hipError_tT1_PNSt15iterator_traitsISK_E10value_typeET2_T3_PNSL_ISQ_E10value_typeET4_T5_PSV_SW_PNS1_23onesweep_lookback_stateEbbT6_jjT7_P12ihipStream_tbENKUlT_T0_SK_SP_E_clISE_PiSF_SF_EEDaS13_S14_SK_SP_EUlS13_E_NS1_11comp_targetILNS1_3genE0ELNS1_11target_archE4294967295ELNS1_3gpuE0ELNS1_3repE0EEENS1_47radix_sort_onesweep_sort_config_static_selectorELNS0_4arch9wavefront6targetE1EEEvSK_
		.amdhsa_group_segment_fixed_size 0
		.amdhsa_private_segment_fixed_size 0
		.amdhsa_kernarg_size 88
		.amdhsa_user_sgpr_count 2
		.amdhsa_user_sgpr_dispatch_ptr 0
		.amdhsa_user_sgpr_queue_ptr 0
		.amdhsa_user_sgpr_kernarg_segment_ptr 1
		.amdhsa_user_sgpr_dispatch_id 0
		.amdhsa_user_sgpr_kernarg_preload_length 0
		.amdhsa_user_sgpr_kernarg_preload_offset 0
		.amdhsa_user_sgpr_private_segment_size 0
		.amdhsa_uses_dynamic_stack 0
		.amdhsa_enable_private_segment 0
		.amdhsa_system_sgpr_workgroup_id_x 1
		.amdhsa_system_sgpr_workgroup_id_y 0
		.amdhsa_system_sgpr_workgroup_id_z 0
		.amdhsa_system_sgpr_workgroup_info 0
		.amdhsa_system_vgpr_workitem_id 0
		.amdhsa_next_free_vgpr 1
		.amdhsa_next_free_sgpr 0
		.amdhsa_accum_offset 4
		.amdhsa_reserve_vcc 0
		.amdhsa_float_round_mode_32 0
		.amdhsa_float_round_mode_16_64 0
		.amdhsa_float_denorm_mode_32 3
		.amdhsa_float_denorm_mode_16_64 3
		.amdhsa_dx10_clamp 1
		.amdhsa_ieee_mode 1
		.amdhsa_fp16_overflow 0
		.amdhsa_tg_split 0
		.amdhsa_exception_fp_ieee_invalid_op 0
		.amdhsa_exception_fp_denorm_src 0
		.amdhsa_exception_fp_ieee_div_zero 0
		.amdhsa_exception_fp_ieee_overflow 0
		.amdhsa_exception_fp_ieee_underflow 0
		.amdhsa_exception_fp_ieee_inexact 0
		.amdhsa_exception_int_div_zero 0
	.end_amdhsa_kernel
	.section	.text._ZN7rocprim17ROCPRIM_400000_NS6detail17trampoline_kernelINS0_14default_configENS1_35radix_sort_onesweep_config_selectorIiNS0_10empty_typeEEEZZNS1_29radix_sort_onesweep_iterationIS3_Lb1EN6thrust23THRUST_200600_302600_NS6detail15normal_iteratorINS9_10device_ptrIiEEEESE_PS5_SF_jNS0_19identity_decomposerENS1_16block_id_wrapperIjLb1EEEEE10hipError_tT1_PNSt15iterator_traitsISK_E10value_typeET2_T3_PNSL_ISQ_E10value_typeET4_T5_PSV_SW_PNS1_23onesweep_lookback_stateEbbT6_jjT7_P12ihipStream_tbENKUlT_T0_SK_SP_E_clISE_PiSF_SF_EEDaS13_S14_SK_SP_EUlS13_E_NS1_11comp_targetILNS1_3genE0ELNS1_11target_archE4294967295ELNS1_3gpuE0ELNS1_3repE0EEENS1_47radix_sort_onesweep_sort_config_static_selectorELNS0_4arch9wavefront6targetE1EEEvSK_,"axG",@progbits,_ZN7rocprim17ROCPRIM_400000_NS6detail17trampoline_kernelINS0_14default_configENS1_35radix_sort_onesweep_config_selectorIiNS0_10empty_typeEEEZZNS1_29radix_sort_onesweep_iterationIS3_Lb1EN6thrust23THRUST_200600_302600_NS6detail15normal_iteratorINS9_10device_ptrIiEEEESE_PS5_SF_jNS0_19identity_decomposerENS1_16block_id_wrapperIjLb1EEEEE10hipError_tT1_PNSt15iterator_traitsISK_E10value_typeET2_T3_PNSL_ISQ_E10value_typeET4_T5_PSV_SW_PNS1_23onesweep_lookback_stateEbbT6_jjT7_P12ihipStream_tbENKUlT_T0_SK_SP_E_clISE_PiSF_SF_EEDaS13_S14_SK_SP_EUlS13_E_NS1_11comp_targetILNS1_3genE0ELNS1_11target_archE4294967295ELNS1_3gpuE0ELNS1_3repE0EEENS1_47radix_sort_onesweep_sort_config_static_selectorELNS0_4arch9wavefront6targetE1EEEvSK_,comdat
.Lfunc_end345:
	.size	_ZN7rocprim17ROCPRIM_400000_NS6detail17trampoline_kernelINS0_14default_configENS1_35radix_sort_onesweep_config_selectorIiNS0_10empty_typeEEEZZNS1_29radix_sort_onesweep_iterationIS3_Lb1EN6thrust23THRUST_200600_302600_NS6detail15normal_iteratorINS9_10device_ptrIiEEEESE_PS5_SF_jNS0_19identity_decomposerENS1_16block_id_wrapperIjLb1EEEEE10hipError_tT1_PNSt15iterator_traitsISK_E10value_typeET2_T3_PNSL_ISQ_E10value_typeET4_T5_PSV_SW_PNS1_23onesweep_lookback_stateEbbT6_jjT7_P12ihipStream_tbENKUlT_T0_SK_SP_E_clISE_PiSF_SF_EEDaS13_S14_SK_SP_EUlS13_E_NS1_11comp_targetILNS1_3genE0ELNS1_11target_archE4294967295ELNS1_3gpuE0ELNS1_3repE0EEENS1_47radix_sort_onesweep_sort_config_static_selectorELNS0_4arch9wavefront6targetE1EEEvSK_, .Lfunc_end345-_ZN7rocprim17ROCPRIM_400000_NS6detail17trampoline_kernelINS0_14default_configENS1_35radix_sort_onesweep_config_selectorIiNS0_10empty_typeEEEZZNS1_29radix_sort_onesweep_iterationIS3_Lb1EN6thrust23THRUST_200600_302600_NS6detail15normal_iteratorINS9_10device_ptrIiEEEESE_PS5_SF_jNS0_19identity_decomposerENS1_16block_id_wrapperIjLb1EEEEE10hipError_tT1_PNSt15iterator_traitsISK_E10value_typeET2_T3_PNSL_ISQ_E10value_typeET4_T5_PSV_SW_PNS1_23onesweep_lookback_stateEbbT6_jjT7_P12ihipStream_tbENKUlT_T0_SK_SP_E_clISE_PiSF_SF_EEDaS13_S14_SK_SP_EUlS13_E_NS1_11comp_targetILNS1_3genE0ELNS1_11target_archE4294967295ELNS1_3gpuE0ELNS1_3repE0EEENS1_47radix_sort_onesweep_sort_config_static_selectorELNS0_4arch9wavefront6targetE1EEEvSK_
                                        ; -- End function
	.set _ZN7rocprim17ROCPRIM_400000_NS6detail17trampoline_kernelINS0_14default_configENS1_35radix_sort_onesweep_config_selectorIiNS0_10empty_typeEEEZZNS1_29radix_sort_onesweep_iterationIS3_Lb1EN6thrust23THRUST_200600_302600_NS6detail15normal_iteratorINS9_10device_ptrIiEEEESE_PS5_SF_jNS0_19identity_decomposerENS1_16block_id_wrapperIjLb1EEEEE10hipError_tT1_PNSt15iterator_traitsISK_E10value_typeET2_T3_PNSL_ISQ_E10value_typeET4_T5_PSV_SW_PNS1_23onesweep_lookback_stateEbbT6_jjT7_P12ihipStream_tbENKUlT_T0_SK_SP_E_clISE_PiSF_SF_EEDaS13_S14_SK_SP_EUlS13_E_NS1_11comp_targetILNS1_3genE0ELNS1_11target_archE4294967295ELNS1_3gpuE0ELNS1_3repE0EEENS1_47radix_sort_onesweep_sort_config_static_selectorELNS0_4arch9wavefront6targetE1EEEvSK_.num_vgpr, 0
	.set _ZN7rocprim17ROCPRIM_400000_NS6detail17trampoline_kernelINS0_14default_configENS1_35radix_sort_onesweep_config_selectorIiNS0_10empty_typeEEEZZNS1_29radix_sort_onesweep_iterationIS3_Lb1EN6thrust23THRUST_200600_302600_NS6detail15normal_iteratorINS9_10device_ptrIiEEEESE_PS5_SF_jNS0_19identity_decomposerENS1_16block_id_wrapperIjLb1EEEEE10hipError_tT1_PNSt15iterator_traitsISK_E10value_typeET2_T3_PNSL_ISQ_E10value_typeET4_T5_PSV_SW_PNS1_23onesweep_lookback_stateEbbT6_jjT7_P12ihipStream_tbENKUlT_T0_SK_SP_E_clISE_PiSF_SF_EEDaS13_S14_SK_SP_EUlS13_E_NS1_11comp_targetILNS1_3genE0ELNS1_11target_archE4294967295ELNS1_3gpuE0ELNS1_3repE0EEENS1_47radix_sort_onesweep_sort_config_static_selectorELNS0_4arch9wavefront6targetE1EEEvSK_.num_agpr, 0
	.set _ZN7rocprim17ROCPRIM_400000_NS6detail17trampoline_kernelINS0_14default_configENS1_35radix_sort_onesweep_config_selectorIiNS0_10empty_typeEEEZZNS1_29radix_sort_onesweep_iterationIS3_Lb1EN6thrust23THRUST_200600_302600_NS6detail15normal_iteratorINS9_10device_ptrIiEEEESE_PS5_SF_jNS0_19identity_decomposerENS1_16block_id_wrapperIjLb1EEEEE10hipError_tT1_PNSt15iterator_traitsISK_E10value_typeET2_T3_PNSL_ISQ_E10value_typeET4_T5_PSV_SW_PNS1_23onesweep_lookback_stateEbbT6_jjT7_P12ihipStream_tbENKUlT_T0_SK_SP_E_clISE_PiSF_SF_EEDaS13_S14_SK_SP_EUlS13_E_NS1_11comp_targetILNS1_3genE0ELNS1_11target_archE4294967295ELNS1_3gpuE0ELNS1_3repE0EEENS1_47radix_sort_onesweep_sort_config_static_selectorELNS0_4arch9wavefront6targetE1EEEvSK_.numbered_sgpr, 0
	.set _ZN7rocprim17ROCPRIM_400000_NS6detail17trampoline_kernelINS0_14default_configENS1_35radix_sort_onesweep_config_selectorIiNS0_10empty_typeEEEZZNS1_29radix_sort_onesweep_iterationIS3_Lb1EN6thrust23THRUST_200600_302600_NS6detail15normal_iteratorINS9_10device_ptrIiEEEESE_PS5_SF_jNS0_19identity_decomposerENS1_16block_id_wrapperIjLb1EEEEE10hipError_tT1_PNSt15iterator_traitsISK_E10value_typeET2_T3_PNSL_ISQ_E10value_typeET4_T5_PSV_SW_PNS1_23onesweep_lookback_stateEbbT6_jjT7_P12ihipStream_tbENKUlT_T0_SK_SP_E_clISE_PiSF_SF_EEDaS13_S14_SK_SP_EUlS13_E_NS1_11comp_targetILNS1_3genE0ELNS1_11target_archE4294967295ELNS1_3gpuE0ELNS1_3repE0EEENS1_47radix_sort_onesweep_sort_config_static_selectorELNS0_4arch9wavefront6targetE1EEEvSK_.num_named_barrier, 0
	.set _ZN7rocprim17ROCPRIM_400000_NS6detail17trampoline_kernelINS0_14default_configENS1_35radix_sort_onesweep_config_selectorIiNS0_10empty_typeEEEZZNS1_29radix_sort_onesweep_iterationIS3_Lb1EN6thrust23THRUST_200600_302600_NS6detail15normal_iteratorINS9_10device_ptrIiEEEESE_PS5_SF_jNS0_19identity_decomposerENS1_16block_id_wrapperIjLb1EEEEE10hipError_tT1_PNSt15iterator_traitsISK_E10value_typeET2_T3_PNSL_ISQ_E10value_typeET4_T5_PSV_SW_PNS1_23onesweep_lookback_stateEbbT6_jjT7_P12ihipStream_tbENKUlT_T0_SK_SP_E_clISE_PiSF_SF_EEDaS13_S14_SK_SP_EUlS13_E_NS1_11comp_targetILNS1_3genE0ELNS1_11target_archE4294967295ELNS1_3gpuE0ELNS1_3repE0EEENS1_47radix_sort_onesweep_sort_config_static_selectorELNS0_4arch9wavefront6targetE1EEEvSK_.private_seg_size, 0
	.set _ZN7rocprim17ROCPRIM_400000_NS6detail17trampoline_kernelINS0_14default_configENS1_35radix_sort_onesweep_config_selectorIiNS0_10empty_typeEEEZZNS1_29radix_sort_onesweep_iterationIS3_Lb1EN6thrust23THRUST_200600_302600_NS6detail15normal_iteratorINS9_10device_ptrIiEEEESE_PS5_SF_jNS0_19identity_decomposerENS1_16block_id_wrapperIjLb1EEEEE10hipError_tT1_PNSt15iterator_traitsISK_E10value_typeET2_T3_PNSL_ISQ_E10value_typeET4_T5_PSV_SW_PNS1_23onesweep_lookback_stateEbbT6_jjT7_P12ihipStream_tbENKUlT_T0_SK_SP_E_clISE_PiSF_SF_EEDaS13_S14_SK_SP_EUlS13_E_NS1_11comp_targetILNS1_3genE0ELNS1_11target_archE4294967295ELNS1_3gpuE0ELNS1_3repE0EEENS1_47radix_sort_onesweep_sort_config_static_selectorELNS0_4arch9wavefront6targetE1EEEvSK_.uses_vcc, 0
	.set _ZN7rocprim17ROCPRIM_400000_NS6detail17trampoline_kernelINS0_14default_configENS1_35radix_sort_onesweep_config_selectorIiNS0_10empty_typeEEEZZNS1_29radix_sort_onesweep_iterationIS3_Lb1EN6thrust23THRUST_200600_302600_NS6detail15normal_iteratorINS9_10device_ptrIiEEEESE_PS5_SF_jNS0_19identity_decomposerENS1_16block_id_wrapperIjLb1EEEEE10hipError_tT1_PNSt15iterator_traitsISK_E10value_typeET2_T3_PNSL_ISQ_E10value_typeET4_T5_PSV_SW_PNS1_23onesweep_lookback_stateEbbT6_jjT7_P12ihipStream_tbENKUlT_T0_SK_SP_E_clISE_PiSF_SF_EEDaS13_S14_SK_SP_EUlS13_E_NS1_11comp_targetILNS1_3genE0ELNS1_11target_archE4294967295ELNS1_3gpuE0ELNS1_3repE0EEENS1_47radix_sort_onesweep_sort_config_static_selectorELNS0_4arch9wavefront6targetE1EEEvSK_.uses_flat_scratch, 0
	.set _ZN7rocprim17ROCPRIM_400000_NS6detail17trampoline_kernelINS0_14default_configENS1_35radix_sort_onesweep_config_selectorIiNS0_10empty_typeEEEZZNS1_29radix_sort_onesweep_iterationIS3_Lb1EN6thrust23THRUST_200600_302600_NS6detail15normal_iteratorINS9_10device_ptrIiEEEESE_PS5_SF_jNS0_19identity_decomposerENS1_16block_id_wrapperIjLb1EEEEE10hipError_tT1_PNSt15iterator_traitsISK_E10value_typeET2_T3_PNSL_ISQ_E10value_typeET4_T5_PSV_SW_PNS1_23onesweep_lookback_stateEbbT6_jjT7_P12ihipStream_tbENKUlT_T0_SK_SP_E_clISE_PiSF_SF_EEDaS13_S14_SK_SP_EUlS13_E_NS1_11comp_targetILNS1_3genE0ELNS1_11target_archE4294967295ELNS1_3gpuE0ELNS1_3repE0EEENS1_47radix_sort_onesweep_sort_config_static_selectorELNS0_4arch9wavefront6targetE1EEEvSK_.has_dyn_sized_stack, 0
	.set _ZN7rocprim17ROCPRIM_400000_NS6detail17trampoline_kernelINS0_14default_configENS1_35radix_sort_onesweep_config_selectorIiNS0_10empty_typeEEEZZNS1_29radix_sort_onesweep_iterationIS3_Lb1EN6thrust23THRUST_200600_302600_NS6detail15normal_iteratorINS9_10device_ptrIiEEEESE_PS5_SF_jNS0_19identity_decomposerENS1_16block_id_wrapperIjLb1EEEEE10hipError_tT1_PNSt15iterator_traitsISK_E10value_typeET2_T3_PNSL_ISQ_E10value_typeET4_T5_PSV_SW_PNS1_23onesweep_lookback_stateEbbT6_jjT7_P12ihipStream_tbENKUlT_T0_SK_SP_E_clISE_PiSF_SF_EEDaS13_S14_SK_SP_EUlS13_E_NS1_11comp_targetILNS1_3genE0ELNS1_11target_archE4294967295ELNS1_3gpuE0ELNS1_3repE0EEENS1_47radix_sort_onesweep_sort_config_static_selectorELNS0_4arch9wavefront6targetE1EEEvSK_.has_recursion, 0
	.set _ZN7rocprim17ROCPRIM_400000_NS6detail17trampoline_kernelINS0_14default_configENS1_35radix_sort_onesweep_config_selectorIiNS0_10empty_typeEEEZZNS1_29radix_sort_onesweep_iterationIS3_Lb1EN6thrust23THRUST_200600_302600_NS6detail15normal_iteratorINS9_10device_ptrIiEEEESE_PS5_SF_jNS0_19identity_decomposerENS1_16block_id_wrapperIjLb1EEEEE10hipError_tT1_PNSt15iterator_traitsISK_E10value_typeET2_T3_PNSL_ISQ_E10value_typeET4_T5_PSV_SW_PNS1_23onesweep_lookback_stateEbbT6_jjT7_P12ihipStream_tbENKUlT_T0_SK_SP_E_clISE_PiSF_SF_EEDaS13_S14_SK_SP_EUlS13_E_NS1_11comp_targetILNS1_3genE0ELNS1_11target_archE4294967295ELNS1_3gpuE0ELNS1_3repE0EEENS1_47radix_sort_onesweep_sort_config_static_selectorELNS0_4arch9wavefront6targetE1EEEvSK_.has_indirect_call, 0
	.section	.AMDGPU.csdata,"",@progbits
; Kernel info:
; codeLenInByte = 0
; TotalNumSgprs: 6
; NumVgprs: 0
; NumAgprs: 0
; TotalNumVgprs: 0
; ScratchSize: 0
; MemoryBound: 0
; FloatMode: 240
; IeeeMode: 1
; LDSByteSize: 0 bytes/workgroup (compile time only)
; SGPRBlocks: 0
; VGPRBlocks: 0
; NumSGPRsForWavesPerEU: 6
; NumVGPRsForWavesPerEU: 1
; AccumOffset: 4
; Occupancy: 8
; WaveLimiterHint : 0
; COMPUTE_PGM_RSRC2:SCRATCH_EN: 0
; COMPUTE_PGM_RSRC2:USER_SGPR: 2
; COMPUTE_PGM_RSRC2:TRAP_HANDLER: 0
; COMPUTE_PGM_RSRC2:TGID_X_EN: 1
; COMPUTE_PGM_RSRC2:TGID_Y_EN: 0
; COMPUTE_PGM_RSRC2:TGID_Z_EN: 0
; COMPUTE_PGM_RSRC2:TIDIG_COMP_CNT: 0
; COMPUTE_PGM_RSRC3_GFX90A:ACCUM_OFFSET: 0
; COMPUTE_PGM_RSRC3_GFX90A:TG_SPLIT: 0
	.section	.text._ZN7rocprim17ROCPRIM_400000_NS6detail17trampoline_kernelINS0_14default_configENS1_35radix_sort_onesweep_config_selectorIiNS0_10empty_typeEEEZZNS1_29radix_sort_onesweep_iterationIS3_Lb1EN6thrust23THRUST_200600_302600_NS6detail15normal_iteratorINS9_10device_ptrIiEEEESE_PS5_SF_jNS0_19identity_decomposerENS1_16block_id_wrapperIjLb1EEEEE10hipError_tT1_PNSt15iterator_traitsISK_E10value_typeET2_T3_PNSL_ISQ_E10value_typeET4_T5_PSV_SW_PNS1_23onesweep_lookback_stateEbbT6_jjT7_P12ihipStream_tbENKUlT_T0_SK_SP_E_clISE_PiSF_SF_EEDaS13_S14_SK_SP_EUlS13_E_NS1_11comp_targetILNS1_3genE6ELNS1_11target_archE950ELNS1_3gpuE13ELNS1_3repE0EEENS1_47radix_sort_onesweep_sort_config_static_selectorELNS0_4arch9wavefront6targetE1EEEvSK_,"axG",@progbits,_ZN7rocprim17ROCPRIM_400000_NS6detail17trampoline_kernelINS0_14default_configENS1_35radix_sort_onesweep_config_selectorIiNS0_10empty_typeEEEZZNS1_29radix_sort_onesweep_iterationIS3_Lb1EN6thrust23THRUST_200600_302600_NS6detail15normal_iteratorINS9_10device_ptrIiEEEESE_PS5_SF_jNS0_19identity_decomposerENS1_16block_id_wrapperIjLb1EEEEE10hipError_tT1_PNSt15iterator_traitsISK_E10value_typeET2_T3_PNSL_ISQ_E10value_typeET4_T5_PSV_SW_PNS1_23onesweep_lookback_stateEbbT6_jjT7_P12ihipStream_tbENKUlT_T0_SK_SP_E_clISE_PiSF_SF_EEDaS13_S14_SK_SP_EUlS13_E_NS1_11comp_targetILNS1_3genE6ELNS1_11target_archE950ELNS1_3gpuE13ELNS1_3repE0EEENS1_47radix_sort_onesweep_sort_config_static_selectorELNS0_4arch9wavefront6targetE1EEEvSK_,comdat
	.protected	_ZN7rocprim17ROCPRIM_400000_NS6detail17trampoline_kernelINS0_14default_configENS1_35radix_sort_onesweep_config_selectorIiNS0_10empty_typeEEEZZNS1_29radix_sort_onesweep_iterationIS3_Lb1EN6thrust23THRUST_200600_302600_NS6detail15normal_iteratorINS9_10device_ptrIiEEEESE_PS5_SF_jNS0_19identity_decomposerENS1_16block_id_wrapperIjLb1EEEEE10hipError_tT1_PNSt15iterator_traitsISK_E10value_typeET2_T3_PNSL_ISQ_E10value_typeET4_T5_PSV_SW_PNS1_23onesweep_lookback_stateEbbT6_jjT7_P12ihipStream_tbENKUlT_T0_SK_SP_E_clISE_PiSF_SF_EEDaS13_S14_SK_SP_EUlS13_E_NS1_11comp_targetILNS1_3genE6ELNS1_11target_archE950ELNS1_3gpuE13ELNS1_3repE0EEENS1_47radix_sort_onesweep_sort_config_static_selectorELNS0_4arch9wavefront6targetE1EEEvSK_ ; -- Begin function _ZN7rocprim17ROCPRIM_400000_NS6detail17trampoline_kernelINS0_14default_configENS1_35radix_sort_onesweep_config_selectorIiNS0_10empty_typeEEEZZNS1_29radix_sort_onesweep_iterationIS3_Lb1EN6thrust23THRUST_200600_302600_NS6detail15normal_iteratorINS9_10device_ptrIiEEEESE_PS5_SF_jNS0_19identity_decomposerENS1_16block_id_wrapperIjLb1EEEEE10hipError_tT1_PNSt15iterator_traitsISK_E10value_typeET2_T3_PNSL_ISQ_E10value_typeET4_T5_PSV_SW_PNS1_23onesweep_lookback_stateEbbT6_jjT7_P12ihipStream_tbENKUlT_T0_SK_SP_E_clISE_PiSF_SF_EEDaS13_S14_SK_SP_EUlS13_E_NS1_11comp_targetILNS1_3genE6ELNS1_11target_archE950ELNS1_3gpuE13ELNS1_3repE0EEENS1_47radix_sort_onesweep_sort_config_static_selectorELNS0_4arch9wavefront6targetE1EEEvSK_
	.globl	_ZN7rocprim17ROCPRIM_400000_NS6detail17trampoline_kernelINS0_14default_configENS1_35radix_sort_onesweep_config_selectorIiNS0_10empty_typeEEEZZNS1_29radix_sort_onesweep_iterationIS3_Lb1EN6thrust23THRUST_200600_302600_NS6detail15normal_iteratorINS9_10device_ptrIiEEEESE_PS5_SF_jNS0_19identity_decomposerENS1_16block_id_wrapperIjLb1EEEEE10hipError_tT1_PNSt15iterator_traitsISK_E10value_typeET2_T3_PNSL_ISQ_E10value_typeET4_T5_PSV_SW_PNS1_23onesweep_lookback_stateEbbT6_jjT7_P12ihipStream_tbENKUlT_T0_SK_SP_E_clISE_PiSF_SF_EEDaS13_S14_SK_SP_EUlS13_E_NS1_11comp_targetILNS1_3genE6ELNS1_11target_archE950ELNS1_3gpuE13ELNS1_3repE0EEENS1_47radix_sort_onesweep_sort_config_static_selectorELNS0_4arch9wavefront6targetE1EEEvSK_
	.p2align	8
	.type	_ZN7rocprim17ROCPRIM_400000_NS6detail17trampoline_kernelINS0_14default_configENS1_35radix_sort_onesweep_config_selectorIiNS0_10empty_typeEEEZZNS1_29radix_sort_onesweep_iterationIS3_Lb1EN6thrust23THRUST_200600_302600_NS6detail15normal_iteratorINS9_10device_ptrIiEEEESE_PS5_SF_jNS0_19identity_decomposerENS1_16block_id_wrapperIjLb1EEEEE10hipError_tT1_PNSt15iterator_traitsISK_E10value_typeET2_T3_PNSL_ISQ_E10value_typeET4_T5_PSV_SW_PNS1_23onesweep_lookback_stateEbbT6_jjT7_P12ihipStream_tbENKUlT_T0_SK_SP_E_clISE_PiSF_SF_EEDaS13_S14_SK_SP_EUlS13_E_NS1_11comp_targetILNS1_3genE6ELNS1_11target_archE950ELNS1_3gpuE13ELNS1_3repE0EEENS1_47radix_sort_onesweep_sort_config_static_selectorELNS0_4arch9wavefront6targetE1EEEvSK_,@function
_ZN7rocprim17ROCPRIM_400000_NS6detail17trampoline_kernelINS0_14default_configENS1_35radix_sort_onesweep_config_selectorIiNS0_10empty_typeEEEZZNS1_29radix_sort_onesweep_iterationIS3_Lb1EN6thrust23THRUST_200600_302600_NS6detail15normal_iteratorINS9_10device_ptrIiEEEESE_PS5_SF_jNS0_19identity_decomposerENS1_16block_id_wrapperIjLb1EEEEE10hipError_tT1_PNSt15iterator_traitsISK_E10value_typeET2_T3_PNSL_ISQ_E10value_typeET4_T5_PSV_SW_PNS1_23onesweep_lookback_stateEbbT6_jjT7_P12ihipStream_tbENKUlT_T0_SK_SP_E_clISE_PiSF_SF_EEDaS13_S14_SK_SP_EUlS13_E_NS1_11comp_targetILNS1_3genE6ELNS1_11target_archE950ELNS1_3gpuE13ELNS1_3repE0EEENS1_47radix_sort_onesweep_sort_config_static_selectorELNS0_4arch9wavefront6targetE1EEEvSK_: ; @_ZN7rocprim17ROCPRIM_400000_NS6detail17trampoline_kernelINS0_14default_configENS1_35radix_sort_onesweep_config_selectorIiNS0_10empty_typeEEEZZNS1_29radix_sort_onesweep_iterationIS3_Lb1EN6thrust23THRUST_200600_302600_NS6detail15normal_iteratorINS9_10device_ptrIiEEEESE_PS5_SF_jNS0_19identity_decomposerENS1_16block_id_wrapperIjLb1EEEEE10hipError_tT1_PNSt15iterator_traitsISK_E10value_typeET2_T3_PNSL_ISQ_E10value_typeET4_T5_PSV_SW_PNS1_23onesweep_lookback_stateEbbT6_jjT7_P12ihipStream_tbENKUlT_T0_SK_SP_E_clISE_PiSF_SF_EEDaS13_S14_SK_SP_EUlS13_E_NS1_11comp_targetILNS1_3genE6ELNS1_11target_archE950ELNS1_3gpuE13ELNS1_3repE0EEENS1_47radix_sort_onesweep_sort_config_static_selectorELNS0_4arch9wavefront6targetE1EEEvSK_
; %bb.0:
	s_load_dwordx4 s[20:23], s[0:1], 0x28
	s_load_dwordx2 s[18:19], s[0:1], 0x38
	s_load_dwordx4 s[24:27], s[0:1], 0x44
	v_and_b32_e32 v10, 0x3ff, v0
	v_cmp_eq_u32_e64 s[10:11], 0, v10
	s_and_saveexec_b64 s[4:5], s[10:11]
	s_cbranch_execz .LBB346_4
; %bb.1:
	s_mov_b64 s[8:9], exec
	v_mbcnt_lo_u32_b32 v1, s8, 0
	v_mbcnt_hi_u32_b32 v1, s9, v1
	v_cmp_eq_u32_e32 vcc, 0, v1
                                        ; implicit-def: $vgpr2
	s_and_saveexec_b64 s[6:7], vcc
	s_cbranch_execz .LBB346_3
; %bb.2:
	s_load_dwordx2 s[12:13], s[0:1], 0x50
	s_bcnt1_i32_b64 s3, s[8:9]
	v_mov_b32_e32 v2, 0
	v_mov_b32_e32 v3, s3
	s_waitcnt lgkmcnt(0)
	global_atomic_add v2, v2, v3, s[12:13] sc0
.LBB346_3:
	s_or_b64 exec, exec, s[6:7]
	s_waitcnt vmcnt(0)
	v_readfirstlane_b32 s3, v2
	v_mov_b32_e32 v2, 0
	s_nop 0
	v_add_u32_e32 v1, s3, v1
	ds_write_b32 v2, v1 offset:20544
.LBB346_4:
	s_or_b64 exec, exec, s[4:5]
	v_mov_b32_e32 v3, 0
	s_load_dwordx4 s[28:31], s[0:1], 0x0
	s_load_dword s3, s[0:1], 0x20
	s_waitcnt lgkmcnt(0)
	s_barrier
	ds_read_b32 v1, v3 offset:20544
	s_mov_b64 s[4:5], -1
	s_waitcnt lgkmcnt(0)
	s_barrier
	v_cmp_le_u32_e32 vcc, s26, v1
	v_readfirstlane_b32 s27, v1
	v_mbcnt_lo_u32_b32 v1, -1, 0
	s_cbranch_vccz .LBB346_86
; %bb.5:
	s_lshl_b32 s4, s26, 13
	s_sub_i32 s3, s3, s4
	s_lshl_b32 s4, s27, 13
	s_mov_b32 s5, 0
	s_lshl_b64 s[4:5], s[4:5], 2
	v_mbcnt_hi_u32_b32 v16, -1, v1
	s_add_u32 s4, s28, s4
	v_and_b32_e32 v6, 63, v16
	v_lshlrev_b32_e32 v2, 3, v10
	s_addc_u32 s5, s29, s5
	v_and_b32_e32 v7, 0x1e00, v2
	v_lshlrev_b32_e32 v2, 2, v6
	v_lshl_add_u64 v[4:5], s[4:5], 0, v[2:3]
	v_lshlrev_b32_e32 v2, 2, v7
	v_lshl_add_u64 v[12:13], v[4:5], 0, v[2:3]
	v_or_b32_e32 v11, v6, v7
	v_bfrev_b32_e32 v2, 1
	v_cmp_gt_u32_e32 vcc, s3, v11
	v_mov_b32_e32 v3, v2
	v_mov_b32_e32 v4, v2
	v_mov_b32_e32 v5, v2
	v_mov_b32_e32 v6, v2
	v_mov_b32_e32 v7, v2
	v_mov_b32_e32 v8, v2
	v_mov_b32_e32 v9, v2
	s_and_saveexec_b64 s[4:5], vcc
	s_cbranch_execz .LBB346_7
; %bb.6:
	global_load_dword v18, v[12:13], off
	v_mov_b32_e32 v19, v2
	v_mov_b32_e32 v20, v2
	;; [unrolled: 1-line block ×7, first 2 shown]
	s_waitcnt vmcnt(0)
	v_mov_b64_e32 v[2:3], v[18:19]
	v_mov_b64_e32 v[4:5], v[20:21]
	;; [unrolled: 1-line block ×4, first 2 shown]
.LBB346_7:
	s_or_b64 exec, exec, s[4:5]
	v_or_b32_e32 v14, 64, v11
	v_cmp_gt_u32_e32 vcc, s3, v14
	s_and_saveexec_b64 s[4:5], vcc
	s_cbranch_execz .LBB346_9
; %bb.8:
	global_load_dword v3, v[12:13], off offset:256
.LBB346_9:
	s_or_b64 exec, exec, s[4:5]
	v_or_b32_e32 v14, 0x80, v11
	v_cmp_gt_u32_e32 vcc, s3, v14
	s_and_saveexec_b64 s[4:5], vcc
	s_cbranch_execz .LBB346_11
; %bb.10:
	global_load_dword v4, v[12:13], off offset:512
.LBB346_11:
	s_or_b64 exec, exec, s[4:5]
	v_or_b32_e32 v14, 0xc0, v11
	v_cmp_gt_u32_e32 vcc, s3, v14
	s_and_saveexec_b64 s[4:5], vcc
	s_cbranch_execz .LBB346_13
; %bb.12:
	global_load_dword v5, v[12:13], off offset:768
.LBB346_13:
	s_or_b64 exec, exec, s[4:5]
	v_or_b32_e32 v14, 0x100, v11
	v_cmp_gt_u32_e32 vcc, s3, v14
	s_and_saveexec_b64 s[4:5], vcc
	s_cbranch_execz .LBB346_15
; %bb.14:
	global_load_dword v6, v[12:13], off offset:1024
.LBB346_15:
	s_or_b64 exec, exec, s[4:5]
	v_or_b32_e32 v14, 0x140, v11
	v_cmp_gt_u32_e32 vcc, s3, v14
	s_and_saveexec_b64 s[4:5], vcc
	s_cbranch_execz .LBB346_17
; %bb.16:
	global_load_dword v7, v[12:13], off offset:1280
.LBB346_17:
	s_or_b64 exec, exec, s[4:5]
	v_or_b32_e32 v14, 0x180, v11
	v_cmp_gt_u32_e32 vcc, s3, v14
	s_and_saveexec_b64 s[4:5], vcc
	s_cbranch_execz .LBB346_19
; %bb.18:
	global_load_dword v8, v[12:13], off offset:1536
.LBB346_19:
	s_or_b64 exec, exec, s[4:5]
	v_or_b32_e32 v11, 0x1c0, v11
	v_cmp_gt_u32_e32 vcc, s3, v11
	s_and_saveexec_b64 s[4:5], vcc
	s_cbranch_execz .LBB346_21
; %bb.20:
	global_load_dword v9, v[12:13], off offset:1792
.LBB346_21:
	s_or_b64 exec, exec, s[4:5]
	s_load_dword s4, s[0:1], 0x64
	s_load_dword s26, s[0:1], 0x58
	s_add_u32 s5, s0, 0x58
	s_addc_u32 s6, s1, 0
	v_mov_b32_e32 v13, 0
	s_waitcnt lgkmcnt(0)
	s_lshr_b32 s7, s4, 16
	s_cmp_lt_u32 s2, s26
	s_cselect_b32 s4, 12, 18
	s_add_u32 s4, s5, s4
	s_addc_u32 s5, s6, 0
	global_load_ushort v30, v13, s[4:5]
	v_xor_b32_e32 v11, 0x7fffffff, v2
	v_lshrrev_b32_e32 v15, s24, v11
	s_lshl_b32 s4, -1, s25
	v_bfe_u32 v2, v0, 10, 10
	v_bfe_u32 v12, v0, 20, 10
	v_bitop3_b32 v31, v15, s4, v15 bitop3:0x30
	v_mad_u32_u24 v2, v12, s7, v2
	v_and_b32_e32 v12, 1, v31
	v_lshlrev_b32_e32 v15, 30, v31
	v_mov_b32_e32 v14, v13
	v_mov_b32_e32 v20, v13
	v_lshlrev_b32_e32 v19, 29, v31
	v_lshlrev_b32_e32 v21, 28, v31
	v_lshl_add_u64 v[28:29], v[12:13], 0, -1
	v_cmp_ne_u32_e32 vcc, 0, v12
	v_not_b32_e32 v12, v15
	v_mov_b32_e32 v18, v13
	v_mov_b32_e32 v22, v13
	s_not_b32 s33, s4
	v_lshlrev_b32_e32 v23, 27, v31
	v_cmp_gt_i64_e64 s[4:5], 0, v[14:15]
	v_not_b32_e32 v14, v19
	v_cmp_gt_i64_e64 s[8:9], 0, v[20:21]
	v_not_b32_e32 v15, v21
	v_xor_b32_e32 v21, vcc_hi, v29
	v_ashrrev_i32_e32 v12, 31, v12
	v_mov_b32_e32 v24, v13
	v_lshlrev_b32_e32 v25, 26, v31
	v_cmp_gt_i64_e64 s[6:7], 0, v[18:19]
	v_cmp_gt_i64_e64 s[12:13], 0, v[22:23]
	v_not_b32_e32 v18, v23
	v_xor_b32_e32 v22, vcc_lo, v28
	v_ashrrev_i32_e32 v14, 31, v14
	v_and_b32_e32 v21, exec_hi, v21
	v_xor_b32_e32 v23, s5, v12
	v_cmp_gt_i64_e64 s[14:15], 0, v[24:25]
	v_ashrrev_i32_e32 v15, 31, v15
	v_and_b32_e32 v22, exec_lo, v22
	v_xor_b32_e32 v12, s4, v12
	v_xor_b32_e32 v24, s7, v14
	v_and_b32_e32 v21, v21, v23
	v_mov_b32_e32 v26, v13
	v_lshlrev_b32_e32 v27, 25, v31
	v_not_b32_e32 v19, v25
	v_ashrrev_i32_e32 v18, 31, v18
	v_xor_b32_e32 v14, s6, v14
	v_xor_b32_e32 v25, s9, v15
	v_and_b32_e32 v12, v22, v12
	v_and_b32_e32 v21, v21, v24
	v_cmp_gt_i64_e64 s[16:17], 0, v[26:27]
	v_not_b32_e32 v20, v27
	v_ashrrev_i32_e32 v19, 31, v19
	v_xor_b32_e32 v26, s13, v18
	v_and_b32_e32 v12, v12, v14
	v_and_b32_e32 v14, v21, v25
	v_ashrrev_i32_e32 v20, 31, v20
	v_xor_b32_e32 v15, s8, v15
	v_xor_b32_e32 v27, s15, v19
	v_and_b32_e32 v14, v14, v26
	v_xor_b32_e32 v18, s12, v18
	v_xor_b32_e32 v28, s17, v20
	v_and_b32_e32 v12, v12, v15
	v_and_b32_e32 v14, v14, v27
	;; [unrolled: 1-line block ×4, first 2 shown]
	v_xor_b32_e32 v19, s14, v19
	v_xor_b32_e32 v20, s16, v20
	v_and_b32_e32 v12, v12, v19
	v_and_b32_e32 v12, v12, v20
	s_movk_i32 s34, 0x44
	v_mul_lo_u32 v32, v31, s34
	v_mul_u32_u24_e32 v17, 20, v10
	ds_write2_b32 v17, v13, v13 offset0:16 offset1:17
	ds_write2_b32 v17, v13, v13 offset0:18 offset1:19
	ds_write_b32 v17, v13 offset:80
	s_waitcnt lgkmcnt(0)
	s_barrier
	s_waitcnt vmcnt(0)
	; wave barrier
	v_mad_u64_u32 v[14:15], s[4:5], v2, v30, v[10:11]
	v_lshrrev_b32_e32 v2, 4, v14
	v_lshlrev_b32_e32 v15, 24, v31
	v_and_b32_e32 v30, 0xffffffc, v2
	v_mov_b32_e32 v14, v13
	v_not_b32_e32 v2, v15
	v_cmp_gt_i64_e32 vcc, 0, v[14:15]
	v_ashrrev_i32_e32 v2, 31, v2
	v_add_u32_e32 v22, v30, v32
	v_xor_b32_e32 v14, vcc_hi, v2
	v_xor_b32_e32 v2, vcc_lo, v2
	v_and_b32_e32 v15, v18, v14
	v_and_b32_e32 v14, v12, v2
	v_mbcnt_lo_u32_b32 v2, v14, 0
	v_mbcnt_hi_u32_b32 v18, v15, v2
	v_cmp_eq_u32_e32 vcc, 0, v18
	v_cmp_ne_u64_e64 s[4:5], 0, v[14:15]
	s_and_b64 s[6:7], s[4:5], vcc
	s_and_saveexec_b64 s[4:5], s[6:7]
; %bb.22:
	v_bcnt_u32_b32 v2, v14, 0
	v_bcnt_u32_b32 v2, v15, v2
	ds_write_b32 v22, v2 offset:64
; %bb.23:
	s_or_b64 exec, exec, s[4:5]
	v_xor_b32_e32 v14, 0x7fffffff, v3
	v_lshrrev_b32_e32 v2, s24, v14
	v_and_b32_e32 v15, s33, v2
	v_mul_lo_u32 v2, v15, s34
	v_and_b32_e32 v12, 1, v15
	v_add_u32_e32 v23, v30, v2
	v_lshl_add_u64 v[2:3], v[12:13], 0, -1
	v_cmp_ne_u32_e32 vcc, 0, v12
	; wave barrier
	s_nop 1
	v_xor_b32_e32 v3, vcc_hi, v3
	v_xor_b32_e32 v2, vcc_lo, v2
	v_and_b32_e32 v12, exec_hi, v3
	v_and_b32_e32 v20, exec_lo, v2
	v_lshlrev_b32_e32 v3, 30, v15
	v_mov_b32_e32 v2, v13
	v_cmp_gt_i64_e32 vcc, 0, v[2:3]
	v_not_b32_e32 v2, v3
	v_ashrrev_i32_e32 v2, 31, v2
	v_xor_b32_e32 v3, vcc_hi, v2
	v_xor_b32_e32 v2, vcc_lo, v2
	v_and_b32_e32 v12, v12, v3
	v_and_b32_e32 v20, v20, v2
	v_lshlrev_b32_e32 v3, 29, v15
	v_mov_b32_e32 v2, v13
	v_cmp_gt_i64_e32 vcc, 0, v[2:3]
	v_not_b32_e32 v2, v3
	v_ashrrev_i32_e32 v2, 31, v2
	v_xor_b32_e32 v3, vcc_hi, v2
	v_xor_b32_e32 v2, vcc_lo, v2
	v_and_b32_e32 v12, v12, v3
	v_and_b32_e32 v20, v20, v2
	;; [unrolled: 9-line block ×6, first 2 shown]
	v_lshlrev_b32_e32 v3, 24, v15
	v_mov_b32_e32 v2, v13
	v_cmp_gt_i64_e32 vcc, 0, v[2:3]
	v_not_b32_e32 v2, v3
	v_ashrrev_i32_e32 v2, 31, v2
	v_xor_b32_e32 v3, vcc_hi, v2
	v_xor_b32_e32 v2, vcc_lo, v2
	ds_read_b32 v19, v23 offset:64
	v_and_b32_e32 v2, v20, v2
	v_and_b32_e32 v3, v12, v3
	v_mbcnt_lo_u32_b32 v12, v2, 0
	v_mbcnt_hi_u32_b32 v20, v3, v12
	v_cmp_eq_u32_e32 vcc, 0, v20
	v_cmp_ne_u64_e64 s[4:5], 0, v[2:3]
	s_and_b64 s[6:7], s[4:5], vcc
	; wave barrier
	s_and_saveexec_b64 s[4:5], s[6:7]
	s_cbranch_execz .LBB346_25
; %bb.24:
	v_bcnt_u32_b32 v2, v2, 0
	v_bcnt_u32_b32 v2, v3, v2
	s_waitcnt lgkmcnt(0)
	v_add_u32_e32 v2, v19, v2
	ds_write_b32 v23, v2 offset:64
.LBB346_25:
	s_or_b64 exec, exec, s[4:5]
	v_xor_b32_e32 v15, 0x7fffffff, v4
	v_lshrrev_b32_e32 v2, s24, v15
	v_and_b32_e32 v4, s33, v2
	s_movk_i32 s6, 0x44
	v_mul_lo_u32 v2, v4, s6
	v_add_u32_e32 v27, v30, v2
	v_and_b32_e32 v2, 1, v4
	v_mov_b32_e32 v3, 0
	v_lshl_add_u64 v[12:13], v[2:3], 0, -1
	v_cmp_ne_u32_e32 vcc, 0, v2
	; wave barrier
	s_nop 1
	v_xor_b32_e32 v12, vcc_lo, v12
	v_xor_b32_e32 v2, vcc_hi, v13
	v_and_b32_e32 v24, exec_lo, v12
	v_lshlrev_b32_e32 v13, 30, v4
	v_mov_b32_e32 v12, v3
	v_cmp_gt_i64_e32 vcc, 0, v[12:13]
	v_not_b32_e32 v12, v13
	v_ashrrev_i32_e32 v12, 31, v12
	v_and_b32_e32 v2, exec_hi, v2
	v_xor_b32_e32 v13, vcc_hi, v12
	v_xor_b32_e32 v12, vcc_lo, v12
	v_and_b32_e32 v2, v2, v13
	v_and_b32_e32 v24, v24, v12
	v_lshlrev_b32_e32 v13, 29, v4
	v_mov_b32_e32 v12, v3
	v_cmp_gt_i64_e32 vcc, 0, v[12:13]
	v_not_b32_e32 v12, v13
	v_ashrrev_i32_e32 v12, 31, v12
	v_xor_b32_e32 v13, vcc_hi, v12
	v_xor_b32_e32 v12, vcc_lo, v12
	v_and_b32_e32 v2, v2, v13
	v_and_b32_e32 v24, v24, v12
	v_lshlrev_b32_e32 v13, 28, v4
	v_mov_b32_e32 v12, v3
	v_cmp_gt_i64_e32 vcc, 0, v[12:13]
	v_not_b32_e32 v12, v13
	v_ashrrev_i32_e32 v12, 31, v12
	;; [unrolled: 9-line block ×5, first 2 shown]
	v_xor_b32_e32 v13, vcc_hi, v12
	v_xor_b32_e32 v12, vcc_lo, v12
	v_and_b32_e32 v2, v2, v13
	v_lshlrev_b32_e32 v13, 24, v4
	v_and_b32_e32 v24, v24, v12
	v_mov_b32_e32 v12, v3
	v_not_b32_e32 v4, v13
	v_cmp_gt_i64_e32 vcc, 0, v[12:13]
	v_ashrrev_i32_e32 v4, 31, v4
	ds_read_b32 v21, v27 offset:64
	v_xor_b32_e32 v12, vcc_hi, v4
	v_xor_b32_e32 v4, vcc_lo, v4
	v_and_b32_e32 v13, v2, v12
	v_and_b32_e32 v12, v24, v4
	v_mbcnt_lo_u32_b32 v2, v12, 0
	v_mbcnt_hi_u32_b32 v25, v13, v2
	v_cmp_eq_u32_e32 vcc, 0, v25
	v_cmp_ne_u64_e64 s[4:5], 0, v[12:13]
	s_and_b64 s[8:9], s[4:5], vcc
	; wave barrier
	s_and_saveexec_b64 s[4:5], s[8:9]
	s_cbranch_execz .LBB346_27
; %bb.26:
	v_bcnt_u32_b32 v2, v12, 0
	v_bcnt_u32_b32 v2, v13, v2
	s_waitcnt lgkmcnt(0)
	v_add_u32_e32 v2, v21, v2
	ds_write_b32 v27, v2 offset:64
.LBB346_27:
	s_or_b64 exec, exec, s[4:5]
	v_xor_b32_e32 v12, 0x7fffffff, v5
	v_lshrrev_b32_e32 v2, s24, v12
	v_and_b32_e32 v13, s33, v2
	v_mul_lo_u32 v2, v13, s6
	v_add_u32_e32 v31, v30, v2
	v_and_b32_e32 v2, 1, v13
	v_lshl_add_u64 v[4:5], v[2:3], 0, -1
	v_cmp_ne_u32_e32 vcc, 0, v2
	; wave barrier
	s_nop 1
	v_xor_b32_e32 v4, vcc_lo, v4
	v_xor_b32_e32 v2, vcc_hi, v5
	v_and_b32_e32 v24, exec_lo, v4
	v_lshlrev_b32_e32 v5, 30, v13
	v_mov_b32_e32 v4, v3
	v_cmp_gt_i64_e32 vcc, 0, v[4:5]
	v_not_b32_e32 v4, v5
	v_ashrrev_i32_e32 v4, 31, v4
	v_and_b32_e32 v2, exec_hi, v2
	v_xor_b32_e32 v5, vcc_hi, v4
	v_xor_b32_e32 v4, vcc_lo, v4
	v_and_b32_e32 v2, v2, v5
	v_and_b32_e32 v24, v24, v4
	v_lshlrev_b32_e32 v5, 29, v13
	v_mov_b32_e32 v4, v3
	v_cmp_gt_i64_e32 vcc, 0, v[4:5]
	v_not_b32_e32 v4, v5
	v_ashrrev_i32_e32 v4, 31, v4
	v_xor_b32_e32 v5, vcc_hi, v4
	v_xor_b32_e32 v4, vcc_lo, v4
	v_and_b32_e32 v2, v2, v5
	v_and_b32_e32 v24, v24, v4
	v_lshlrev_b32_e32 v5, 28, v13
	v_mov_b32_e32 v4, v3
	v_cmp_gt_i64_e32 vcc, 0, v[4:5]
	v_not_b32_e32 v4, v5
	v_ashrrev_i32_e32 v4, 31, v4
	;; [unrolled: 9-line block ×5, first 2 shown]
	v_xor_b32_e32 v5, vcc_hi, v4
	v_xor_b32_e32 v4, vcc_lo, v4
	v_and_b32_e32 v2, v2, v5
	v_lshlrev_b32_e32 v5, 24, v13
	v_and_b32_e32 v24, v24, v4
	v_mov_b32_e32 v4, v3
	v_not_b32_e32 v3, v5
	v_cmp_gt_i64_e32 vcc, 0, v[4:5]
	v_ashrrev_i32_e32 v3, 31, v3
	ds_read_b32 v26, v31 offset:64
	v_xor_b32_e32 v4, vcc_hi, v3
	v_xor_b32_e32 v5, vcc_lo, v3
	v_and_b32_e32 v3, v2, v4
	v_and_b32_e32 v2, v24, v5
	v_mbcnt_lo_u32_b32 v4, v2, 0
	v_mbcnt_hi_u32_b32 v28, v3, v4
	v_cmp_eq_u32_e32 vcc, 0, v28
	v_cmp_ne_u64_e64 s[4:5], 0, v[2:3]
	s_and_b64 s[6:7], s[4:5], vcc
	; wave barrier
	s_and_saveexec_b64 s[4:5], s[6:7]
	s_cbranch_execz .LBB346_29
; %bb.28:
	v_bcnt_u32_b32 v2, v2, 0
	v_bcnt_u32_b32 v2, v3, v2
	s_waitcnt lgkmcnt(0)
	v_add_u32_e32 v2, v26, v2
	ds_write_b32 v31, v2 offset:64
.LBB346_29:
	s_or_b64 exec, exec, s[4:5]
	v_xor_b32_e32 v13, 0x7fffffff, v6
	v_lshrrev_b32_e32 v2, s24, v13
	v_and_b32_e32 v24, s33, v2
	s_movk_i32 s6, 0x44
	v_mul_lo_u32 v2, v24, s6
	v_add_u32_e32 v6, v30, v2
	v_and_b32_e32 v2, 1, v24
	v_mov_b32_e32 v3, 0
	v_lshl_add_u64 v[4:5], v[2:3], 0, -1
	v_cmp_ne_u32_e32 vcc, 0, v2
	; wave barrier
	s_nop 1
	v_xor_b32_e32 v4, vcc_lo, v4
	v_xor_b32_e32 v2, vcc_hi, v5
	v_and_b32_e32 v32, exec_lo, v4
	v_lshlrev_b32_e32 v5, 30, v24
	v_mov_b32_e32 v4, v3
	v_cmp_gt_i64_e32 vcc, 0, v[4:5]
	v_not_b32_e32 v4, v5
	v_ashrrev_i32_e32 v4, 31, v4
	v_and_b32_e32 v2, exec_hi, v2
	v_xor_b32_e32 v5, vcc_hi, v4
	v_xor_b32_e32 v4, vcc_lo, v4
	v_and_b32_e32 v2, v2, v5
	v_and_b32_e32 v32, v32, v4
	v_lshlrev_b32_e32 v5, 29, v24
	v_mov_b32_e32 v4, v3
	v_cmp_gt_i64_e32 vcc, 0, v[4:5]
	v_not_b32_e32 v4, v5
	v_ashrrev_i32_e32 v4, 31, v4
	v_xor_b32_e32 v5, vcc_hi, v4
	v_xor_b32_e32 v4, vcc_lo, v4
	v_and_b32_e32 v2, v2, v5
	v_and_b32_e32 v32, v32, v4
	v_lshlrev_b32_e32 v5, 28, v24
	v_mov_b32_e32 v4, v3
	v_cmp_gt_i64_e32 vcc, 0, v[4:5]
	v_not_b32_e32 v4, v5
	v_ashrrev_i32_e32 v4, 31, v4
	;; [unrolled: 9-line block ×6, first 2 shown]
	v_xor_b32_e32 v5, vcc_hi, v4
	v_xor_b32_e32 v4, vcc_lo, v4
	ds_read_b32 v29, v6 offset:64
	v_and_b32_e32 v4, v32, v4
	v_and_b32_e32 v5, v2, v5
	v_mbcnt_lo_u32_b32 v2, v4, 0
	v_mbcnt_hi_u32_b32 v32, v5, v2
	v_cmp_eq_u32_e32 vcc, 0, v32
	v_cmp_ne_u64_e64 s[4:5], 0, v[4:5]
	s_and_b64 s[8:9], s[4:5], vcc
	; wave barrier
	s_and_saveexec_b64 s[4:5], s[8:9]
	s_cbranch_execz .LBB346_31
; %bb.30:
	v_bcnt_u32_b32 v2, v4, 0
	v_bcnt_u32_b32 v2, v5, v2
	s_waitcnt lgkmcnt(0)
	v_add_u32_e32 v2, v29, v2
	ds_write_b32 v6, v2 offset:64
.LBB346_31:
	s_or_b64 exec, exec, s[4:5]
	v_xor_b32_e32 v24, 0x7fffffff, v7
	v_lshrrev_b32_e32 v2, s24, v24
	v_and_b32_e32 v34, s33, v2
	v_mul_lo_u32 v2, v34, s6
	v_add_u32_e32 v7, v30, v2
	v_and_b32_e32 v2, 1, v34
	v_lshl_add_u64 v[4:5], v[2:3], 0, -1
	v_cmp_ne_u32_e32 vcc, 0, v2
	; wave barrier
	s_nop 1
	v_xor_b32_e32 v4, vcc_lo, v4
	v_xor_b32_e32 v2, vcc_hi, v5
	v_and_b32_e32 v35, exec_lo, v4
	v_lshlrev_b32_e32 v5, 30, v34
	v_mov_b32_e32 v4, v3
	v_cmp_gt_i64_e32 vcc, 0, v[4:5]
	v_not_b32_e32 v4, v5
	v_ashrrev_i32_e32 v4, 31, v4
	v_and_b32_e32 v2, exec_hi, v2
	v_xor_b32_e32 v5, vcc_hi, v4
	v_xor_b32_e32 v4, vcc_lo, v4
	v_and_b32_e32 v2, v2, v5
	v_and_b32_e32 v35, v35, v4
	v_lshlrev_b32_e32 v5, 29, v34
	v_mov_b32_e32 v4, v3
	v_cmp_gt_i64_e32 vcc, 0, v[4:5]
	v_not_b32_e32 v4, v5
	v_ashrrev_i32_e32 v4, 31, v4
	v_xor_b32_e32 v5, vcc_hi, v4
	v_xor_b32_e32 v4, vcc_lo, v4
	v_and_b32_e32 v2, v2, v5
	v_and_b32_e32 v35, v35, v4
	v_lshlrev_b32_e32 v5, 28, v34
	v_mov_b32_e32 v4, v3
	v_cmp_gt_i64_e32 vcc, 0, v[4:5]
	v_not_b32_e32 v4, v5
	v_ashrrev_i32_e32 v4, 31, v4
	;; [unrolled: 9-line block ×5, first 2 shown]
	v_xor_b32_e32 v5, vcc_hi, v4
	v_xor_b32_e32 v4, vcc_lo, v4
	v_and_b32_e32 v2, v2, v5
	v_lshlrev_b32_e32 v5, 24, v34
	v_and_b32_e32 v35, v35, v4
	v_mov_b32_e32 v4, v3
	v_not_b32_e32 v3, v5
	v_cmp_gt_i64_e32 vcc, 0, v[4:5]
	v_ashrrev_i32_e32 v3, 31, v3
	ds_read_b32 v33, v7 offset:64
	v_xor_b32_e32 v4, vcc_hi, v3
	v_xor_b32_e32 v5, vcc_lo, v3
	v_and_b32_e32 v3, v2, v4
	v_and_b32_e32 v2, v35, v5
	v_mbcnt_lo_u32_b32 v4, v2, 0
	v_mbcnt_hi_u32_b32 v34, v3, v4
	v_cmp_eq_u32_e32 vcc, 0, v34
	v_cmp_ne_u64_e64 s[4:5], 0, v[2:3]
	s_and_b64 s[6:7], s[4:5], vcc
	; wave barrier
	s_and_saveexec_b64 s[4:5], s[6:7]
	s_cbranch_execz .LBB346_33
; %bb.32:
	v_bcnt_u32_b32 v2, v2, 0
	v_bcnt_u32_b32 v2, v3, v2
	s_waitcnt lgkmcnt(0)
	v_add_u32_e32 v2, v33, v2
	ds_write_b32 v7, v2 offset:64
.LBB346_33:
	s_or_b64 exec, exec, s[4:5]
	v_xor_b32_e32 v8, 0x7fffffff, v8
	v_lshrrev_b32_e32 v2, s24, v8
	v_and_b32_e32 v36, s33, v2
	s_movk_i32 s6, 0x44
	v_mul_lo_u32 v2, v36, s6
	v_add_u32_e32 v37, v30, v2
	v_and_b32_e32 v2, 1, v36
	v_mov_b32_e32 v3, 0
	v_lshl_add_u64 v[4:5], v[2:3], 0, -1
	v_cmp_ne_u32_e32 vcc, 0, v2
	; wave barrier
	s_nop 1
	v_xor_b32_e32 v4, vcc_lo, v4
	v_xor_b32_e32 v2, vcc_hi, v5
	v_and_b32_e32 v38, exec_lo, v4
	v_lshlrev_b32_e32 v5, 30, v36
	v_mov_b32_e32 v4, v3
	v_cmp_gt_i64_e32 vcc, 0, v[4:5]
	v_not_b32_e32 v4, v5
	v_ashrrev_i32_e32 v4, 31, v4
	v_and_b32_e32 v2, exec_hi, v2
	v_xor_b32_e32 v5, vcc_hi, v4
	v_xor_b32_e32 v4, vcc_lo, v4
	v_and_b32_e32 v2, v2, v5
	v_and_b32_e32 v38, v38, v4
	v_lshlrev_b32_e32 v5, 29, v36
	v_mov_b32_e32 v4, v3
	v_cmp_gt_i64_e32 vcc, 0, v[4:5]
	v_not_b32_e32 v4, v5
	v_ashrrev_i32_e32 v4, 31, v4
	v_xor_b32_e32 v5, vcc_hi, v4
	v_xor_b32_e32 v4, vcc_lo, v4
	v_and_b32_e32 v2, v2, v5
	v_and_b32_e32 v38, v38, v4
	v_lshlrev_b32_e32 v5, 28, v36
	v_mov_b32_e32 v4, v3
	v_cmp_gt_i64_e32 vcc, 0, v[4:5]
	v_not_b32_e32 v4, v5
	v_ashrrev_i32_e32 v4, 31, v4
	;; [unrolled: 9-line block ×6, first 2 shown]
	v_xor_b32_e32 v5, vcc_hi, v4
	v_xor_b32_e32 v4, vcc_lo, v4
	ds_read_b32 v35, v37 offset:64
	v_and_b32_e32 v4, v38, v4
	v_and_b32_e32 v5, v2, v5
	v_mbcnt_lo_u32_b32 v2, v4, 0
	v_mbcnt_hi_u32_b32 v36, v5, v2
	v_cmp_eq_u32_e32 vcc, 0, v36
	v_cmp_ne_u64_e64 s[4:5], 0, v[4:5]
	s_and_b64 s[8:9], s[4:5], vcc
	; wave barrier
	s_and_saveexec_b64 s[4:5], s[8:9]
	s_cbranch_execz .LBB346_35
; %bb.34:
	v_bcnt_u32_b32 v2, v4, 0
	v_bcnt_u32_b32 v2, v5, v2
	s_waitcnt lgkmcnt(0)
	v_add_u32_e32 v2, v35, v2
	ds_write_b32 v37, v2 offset:64
.LBB346_35:
	s_or_b64 exec, exec, s[4:5]
	v_xor_b32_e32 v9, 0x7fffffff, v9
	v_lshrrev_b32_e32 v2, s24, v9
	v_and_b32_e32 v38, s33, v2
	v_mul_lo_u32 v2, v38, s6
	v_add_u32_e32 v39, v30, v2
	v_and_b32_e32 v2, 1, v38
	v_lshl_add_u64 v[4:5], v[2:3], 0, -1
	v_cmp_ne_u32_e32 vcc, 0, v2
	; wave barrier
	s_nop 1
	v_xor_b32_e32 v4, vcc_lo, v4
	v_xor_b32_e32 v2, vcc_hi, v5
	v_and_b32_e32 v40, exec_lo, v4
	v_lshlrev_b32_e32 v5, 30, v38
	v_mov_b32_e32 v4, v3
	v_cmp_gt_i64_e32 vcc, 0, v[4:5]
	v_not_b32_e32 v4, v5
	v_ashrrev_i32_e32 v4, 31, v4
	v_and_b32_e32 v2, exec_hi, v2
	v_xor_b32_e32 v5, vcc_hi, v4
	v_xor_b32_e32 v4, vcc_lo, v4
	v_and_b32_e32 v2, v2, v5
	v_and_b32_e32 v40, v40, v4
	v_lshlrev_b32_e32 v5, 29, v38
	v_mov_b32_e32 v4, v3
	v_cmp_gt_i64_e32 vcc, 0, v[4:5]
	v_not_b32_e32 v4, v5
	v_ashrrev_i32_e32 v4, 31, v4
	v_xor_b32_e32 v5, vcc_hi, v4
	v_xor_b32_e32 v4, vcc_lo, v4
	v_and_b32_e32 v2, v2, v5
	v_and_b32_e32 v40, v40, v4
	v_lshlrev_b32_e32 v5, 28, v38
	v_mov_b32_e32 v4, v3
	v_cmp_gt_i64_e32 vcc, 0, v[4:5]
	v_not_b32_e32 v4, v5
	v_ashrrev_i32_e32 v4, 31, v4
	v_xor_b32_e32 v5, vcc_hi, v4
	v_xor_b32_e32 v4, vcc_lo, v4
	v_and_b32_e32 v2, v2, v5
	v_and_b32_e32 v40, v40, v4
	v_lshlrev_b32_e32 v5, 27, v38
	v_mov_b32_e32 v4, v3
	v_cmp_gt_i64_e32 vcc, 0, v[4:5]
	v_not_b32_e32 v4, v5
	v_ashrrev_i32_e32 v4, 31, v4
	v_xor_b32_e32 v5, vcc_hi, v4
	v_xor_b32_e32 v4, vcc_lo, v4
	v_and_b32_e32 v2, v2, v5
	v_and_b32_e32 v40, v40, v4
	v_lshlrev_b32_e32 v5, 26, v38
	v_mov_b32_e32 v4, v3
	v_cmp_gt_i64_e32 vcc, 0, v[4:5]
	v_not_b32_e32 v4, v5
	v_ashrrev_i32_e32 v4, 31, v4
	v_xor_b32_e32 v5, vcc_hi, v4
	v_xor_b32_e32 v4, vcc_lo, v4
	v_and_b32_e32 v2, v2, v5
	v_and_b32_e32 v40, v40, v4
	v_lshlrev_b32_e32 v5, 25, v38
	v_mov_b32_e32 v4, v3
	v_cmp_gt_i64_e32 vcc, 0, v[4:5]
	v_not_b32_e32 v4, v5
	v_ashrrev_i32_e32 v4, 31, v4
	v_xor_b32_e32 v5, vcc_hi, v4
	v_xor_b32_e32 v4, vcc_lo, v4
	v_and_b32_e32 v2, v2, v5
	v_lshlrev_b32_e32 v5, 24, v38
	v_and_b32_e32 v40, v40, v4
	v_mov_b32_e32 v4, v3
	v_not_b32_e32 v3, v5
	v_cmp_gt_i64_e32 vcc, 0, v[4:5]
	v_ashrrev_i32_e32 v3, 31, v3
	ds_read_b32 v30, v39 offset:64
	v_xor_b32_e32 v4, vcc_hi, v3
	v_xor_b32_e32 v5, vcc_lo, v3
	v_and_b32_e32 v3, v2, v4
	v_and_b32_e32 v2, v40, v5
	v_mbcnt_lo_u32_b32 v4, v2, 0
	v_mbcnt_hi_u32_b32 v38, v3, v4
	v_cmp_eq_u32_e32 vcc, 0, v38
	v_cmp_ne_u64_e64 s[4:5], 0, v[2:3]
	s_and_b64 s[6:7], s[4:5], vcc
	; wave barrier
	s_and_saveexec_b64 s[4:5], s[6:7]
	s_cbranch_execz .LBB346_37
; %bb.36:
	v_bcnt_u32_b32 v2, v2, 0
	v_bcnt_u32_b32 v2, v3, v2
	s_waitcnt lgkmcnt(0)
	v_add_u32_e32 v2, v30, v2
	ds_write_b32 v39, v2 offset:64
.LBB346_37:
	s_or_b64 exec, exec, s[4:5]
	; wave barrier
	s_waitcnt lgkmcnt(0)
	s_barrier
	ds_read2_b32 v[4:5], v17 offset0:16 offset1:17
	ds_read2_b32 v[2:3], v17 offset0:18 offset1:19
	ds_read_b32 v40, v17 offset:80
	v_cmp_lt_u32_e64 s[12:13], 31, v16
	s_waitcnt lgkmcnt(1)
	v_add3_u32 v41, v5, v4, v2
	s_waitcnt lgkmcnt(0)
	v_add3_u32 v40, v41, v3, v40
	v_and_b32_e32 v41, 15, v16
	v_cmp_eq_u32_e32 vcc, 0, v41
	v_mov_b32_dpp v42, v40 row_shr:1 row_mask:0xf bank_mask:0xf
	v_cmp_lt_u32_e64 s[4:5], 1, v41
	v_cndmask_b32_e64 v42, v42, 0, vcc
	v_add_u32_e32 v40, v42, v40
	v_cmp_lt_u32_e64 s[6:7], 3, v41
	v_cmp_lt_u32_e64 s[8:9], 7, v41
	v_mov_b32_dpp v42, v40 row_shr:2 row_mask:0xf bank_mask:0xf
	v_cndmask_b32_e64 v42, 0, v42, s[4:5]
	v_add_u32_e32 v40, v40, v42
	s_nop 1
	v_mov_b32_dpp v42, v40 row_shr:4 row_mask:0xf bank_mask:0xf
	v_cndmask_b32_e64 v42, 0, v42, s[6:7]
	v_add_u32_e32 v40, v40, v42
	s_nop 1
	v_mov_b32_dpp v42, v40 row_shr:8 row_mask:0xf bank_mask:0xf
	v_cndmask_b32_e64 v41, 0, v42, s[8:9]
	v_add_u32_e32 v40, v40, v41
	v_bfe_i32 v42, v16, 4, 1
	s_nop 0
	v_mov_b32_dpp v41, v40 row_bcast:15 row_mask:0xf bank_mask:0xf
	v_and_b32_e32 v41, v42, v41
	v_add_u32_e32 v40, v40, v41
	v_and_b32_e32 v42, 63, v10
	s_nop 0
	v_mov_b32_dpp v41, v40 row_bcast:31 row_mask:0xf bank_mask:0xf
	v_cndmask_b32_e64 v41, 0, v41, s[12:13]
	v_add_u32_e32 v40, v40, v41
	v_lshrrev_b32_e32 v41, 6, v10
	v_cmp_eq_u32_e64 s[12:13], 63, v42
	s_and_saveexec_b64 s[14:15], s[12:13]
; %bb.38:
	v_lshlrev_b32_e32 v42, 2, v41
	ds_write_b32 v42, v40
; %bb.39:
	s_or_b64 exec, exec, s[14:15]
	v_cmp_gt_u32_e64 s[12:13], 16, v10
	s_waitcnt lgkmcnt(0)
	s_barrier
	s_and_saveexec_b64 s[14:15], s[12:13]
	s_cbranch_execz .LBB346_41
; %bb.40:
	v_lshlrev_b32_e32 v42, 2, v10
	ds_read_b32 v43, v42
	s_waitcnt lgkmcnt(0)
	s_nop 0
	v_mov_b32_dpp v44, v43 row_shr:1 row_mask:0xf bank_mask:0xf
	v_cndmask_b32_e64 v44, v44, 0, vcc
	v_add_u32_e32 v43, v44, v43
	s_nop 1
	v_mov_b32_dpp v44, v43 row_shr:2 row_mask:0xf bank_mask:0xf
	v_cndmask_b32_e64 v44, 0, v44, s[4:5]
	v_add_u32_e32 v43, v43, v44
	s_nop 1
	v_mov_b32_dpp v44, v43 row_shr:4 row_mask:0xf bank_mask:0xf
	v_cndmask_b32_e64 v44, 0, v44, s[6:7]
	;; [unrolled: 4-line block ×3, first 2 shown]
	v_add_u32_e32 v43, v43, v44
	ds_write_b32 v42, v43
.LBB346_41:
	s_or_b64 exec, exec, s[14:15]
	v_cmp_lt_u32_e32 vcc, 63, v10
	v_mov_b32_e32 v42, 0
	s_waitcnt lgkmcnt(0)
	s_barrier
	s_and_saveexec_b64 s[4:5], vcc
; %bb.42:
	v_lshl_add_u32 v41, v41, 2, -4
	ds_read_b32 v42, v41
; %bb.43:
	s_or_b64 exec, exec, s[4:5]
	v_subrev_co_u32_e32 v41, vcc, 1, v16
	v_and_b32_e32 v43, 64, v16
	v_cmp_lt_i32_e64 s[4:5], v41, v43
	s_waitcnt lgkmcnt(0)
	v_add_u32_e32 v40, v42, v40
	s_movk_i32 s6, 0x100
	v_cndmask_b32_e64 v16, v41, v16, s[4:5]
	v_lshlrev_b32_e32 v16, 2, v16
	ds_bpermute_b32 v16, v16, v40
	s_movk_i32 s4, 0xff
	v_cmp_lt_u32_e64 s[4:5], s4, v10
	s_waitcnt lgkmcnt(0)
	v_cndmask_b32_e32 v16, v16, v42, vcc
	v_cndmask_b32_e64 v16, v16, 0, s[10:11]
	v_add_u32_e32 v4, v16, v4
	v_add_u32_e32 v5, v4, v5
	v_add_u32_e32 v2, v5, v2
	v_add_u32_e32 v3, v2, v3
	ds_write2_b32 v17, v16, v4 offset0:16 offset1:17
	ds_write2_b32 v17, v5, v2 offset0:18 offset1:19
	ds_write_b32 v17, v3 offset:80
	s_waitcnt lgkmcnt(0)
	s_barrier
	ds_read_b32 v40, v22 offset:64
	ds_read_b32 v23, v23 offset:64
	;; [unrolled: 1-line block ×8, first 2 shown]
	v_cmp_gt_u32_e32 vcc, s6, v10
                                        ; implicit-def: $vgpr16
                                        ; implicit-def: $vgpr17
	s_and_saveexec_b64 s[8:9], vcc
	s_cbranch_execz .LBB346_47
; %bb.44:
	v_mul_u32_u24_e32 v2, 0x44, v10
	ds_read_b32 v16, v2 offset:64
	v_add_u32_e32 v3, 1, v10
	v_cmp_ne_u32_e64 s[6:7], s6, v3
	v_mov_b32_e32 v2, 0x2000
	s_and_saveexec_b64 s[12:13], s[6:7]
; %bb.45:
	v_mul_u32_u24_e32 v2, 0x44, v3
	ds_read_b32 v2, v2 offset:64
; %bb.46:
	s_or_b64 exec, exec, s[12:13]
	s_waitcnt lgkmcnt(0)
	v_sub_u32_e32 v17, v2, v16
.LBB346_47:
	s_or_b64 exec, exec, s[8:9]
	v_mov_b32_e32 v3, 0
	v_lshlrev_b32_e32 v22, 2, v10
	s_waitcnt lgkmcnt(0)
	s_barrier
	s_and_saveexec_b64 s[6:7], vcc
	s_cbranch_execz .LBB346_57
; %bb.48:
	v_lshl_add_u32 v2, s27, 8, v10
	v_lshl_add_u64 v[4:5], v[2:3], 2, s[18:19]
	v_or_b32_e32 v2, 2.0, v17
	s_mov_b64 s[8:9], 0
	s_brev_b32 s16, -4
	s_mov_b32 s17, s27
	v_mov_b32_e32 v43, 0
	global_store_dword v[4:5], v2, off sc1
                                        ; implicit-def: $sgpr12_sgpr13
	s_branch .LBB346_51
.LBB346_49:                             ;   in Loop: Header=BB346_51 Depth=1
	s_or_b64 exec, exec, s[14:15]
.LBB346_50:                             ;   in Loop: Header=BB346_51 Depth=1
	s_or_b64 exec, exec, s[12:13]
	v_and_b32_e32 v6, 0x3fffffff, v2
	v_add_u32_e32 v43, v6, v43
	v_cmp_gt_i32_e64 s[12:13], -2.0, v2
	s_and_b64 s[14:15], exec, s[12:13]
	s_or_b64 s[8:9], s[14:15], s[8:9]
	s_andn2_b64 exec, exec, s[8:9]
	s_cbranch_execz .LBB346_56
.LBB346_51:                             ; =>This Loop Header: Depth=1
                                        ;     Child Loop BB346_54 Depth 2
	s_or_b64 s[12:13], s[12:13], exec
	s_cmp_eq_u32 s17, 0
	s_cbranch_scc1 .LBB346_55
; %bb.52:                               ;   in Loop: Header=BB346_51 Depth=1
	s_add_i32 s17, s17, -1
	v_lshl_or_b32 v2, s17, 8, v10
	v_lshl_add_u64 v[6:7], v[2:3], 2, s[18:19]
	global_load_dword v2, v[6:7], off sc1
	s_waitcnt vmcnt(0)
	v_cmp_gt_u32_e32 vcc, 2.0, v2
	s_and_saveexec_b64 s[12:13], vcc
	s_cbranch_execz .LBB346_50
; %bb.53:                               ;   in Loop: Header=BB346_51 Depth=1
	s_mov_b64 s[14:15], 0
.LBB346_54:                             ;   Parent Loop BB346_51 Depth=1
                                        ; =>  This Inner Loop Header: Depth=2
	global_load_dword v2, v[6:7], off sc1
	s_waitcnt vmcnt(0)
	v_cmp_lt_u32_e32 vcc, s16, v2
	s_or_b64 s[14:15], vcc, s[14:15]
	s_andn2_b64 exec, exec, s[14:15]
	s_cbranch_execnz .LBB346_54
	s_branch .LBB346_49
.LBB346_55:                             ;   in Loop: Header=BB346_51 Depth=1
                                        ; implicit-def: $sgpr17
	s_and_b64 s[14:15], exec, s[12:13]
	s_or_b64 s[8:9], s[14:15], s[8:9]
	s_andn2_b64 exec, exec, s[8:9]
	s_cbranch_execnz .LBB346_51
.LBB346_56:
	s_or_b64 exec, exec, s[8:9]
	v_add_u32_e32 v2, v43, v17
	v_or_b32_e32 v2, 0x80000000, v2
	global_store_dword v[4:5], v2, off sc1
	global_load_dword v2, v22, s[20:21]
	v_sub_u32_e32 v3, v43, v16
	s_waitcnt vmcnt(0)
	v_add_u32_e32 v2, v3, v2
	ds_write_b32 v22, v2
.LBB346_57:
	s_or_b64 exec, exec, s[6:7]
	v_add_u32_e32 v4, v40, v18
	v_add3_u32 v5, v20, v19, v23
	v_add3_u32 v6, v25, v21, v27
	;; [unrolled: 1-line block ×7, first 2 shown]
	v_lshlrev_b32_e32 v23, 2, v21
	v_lshlrev_b32_e32 v25, 2, v20
	;; [unrolled: 1-line block ×8, first 2 shown]
	s_mov_b64 s[6:7], -1
	s_mov_b32 s12, 0
	v_mov_b32_e32 v3, 0
	s_movk_i32 s13, 0x400
	s_movk_i32 s14, 0x800
	;; [unrolled: 1-line block ×3, first 2 shown]
	v_mov_b32_e32 v32, v10
	s_branch .LBB346_59
.LBB346_58:                             ;   in Loop: Header=BB346_59 Depth=1
	s_or_b64 exec, exec, s[8:9]
	s_xor_b64 s[8:9], s[6:7], -1
	s_addk_i32 s12, 0xc000
	v_add_u32_e32 v32, 0x1000, v32
	s_mov_b64 s[6:7], 0
	s_and_b64 vcc, exec, s[8:9]
	s_barrier
	s_cbranch_vccnz .LBB346_83
.LBB346_59:                             ; =>This Inner Loop Header: Depth=1
	v_subrev_co_u32_e32 v4, vcc, 0x1000, v4
	s_and_saveexec_b64 s[8:9], vcc
	s_cbranch_execz .LBB346_67
; %bb.60:                               ;   in Loop: Header=BB346_59 Depth=1
	v_add_u32_e32 v2, s12, v31
	ds_write_b32 v2, v11 offset:1024
	s_or_b64 exec, exec, s[8:9]
	v_subrev_co_u32_e32 v5, vcc, 0x1000, v5
	s_and_saveexec_b64 s[8:9], vcc
	s_cbranch_execnz .LBB346_68
.LBB346_61:                             ;   in Loop: Header=BB346_59 Depth=1
	s_or_b64 exec, exec, s[8:9]
	v_subrev_co_u32_e32 v6, vcc, 0x1000, v6
	s_and_saveexec_b64 s[8:9], vcc
	s_cbranch_execz .LBB346_69
.LBB346_62:                             ;   in Loop: Header=BB346_59 Depth=1
	v_add_u32_e32 v2, s12, v29
	ds_write_b32 v2, v15 offset:1024
	s_or_b64 exec, exec, s[8:9]
	v_subrev_co_u32_e32 v7, vcc, 0x1000, v7
	s_and_saveexec_b64 s[8:9], vcc
	s_cbranch_execnz .LBB346_70
.LBB346_63:                             ;   in Loop: Header=BB346_59 Depth=1
	s_or_b64 exec, exec, s[8:9]
	v_subrev_co_u32_e32 v18, vcc, 0x1000, v18
	s_and_saveexec_b64 s[8:9], vcc
	s_cbranch_execz .LBB346_71
.LBB346_64:                             ;   in Loop: Header=BB346_59 Depth=1
	v_add_u32_e32 v2, s12, v27
	ds_write_b32 v2, v13 offset:1024
	s_or_b64 exec, exec, s[8:9]
	v_subrev_co_u32_e32 v19, vcc, 0x1000, v19
	s_and_saveexec_b64 s[8:9], vcc
	s_cbranch_execnz .LBB346_72
.LBB346_65:                             ;   in Loop: Header=BB346_59 Depth=1
	s_or_b64 exec, exec, s[8:9]
	v_subrev_co_u32_e32 v20, vcc, 0x1000, v20
	s_and_saveexec_b64 s[8:9], vcc
	s_cbranch_execz .LBB346_73
.LBB346_66:                             ;   in Loop: Header=BB346_59 Depth=1
	v_add_u32_e32 v2, s12, v25
	ds_write_b32 v2, v8 offset:1024
	s_or_b64 exec, exec, s[8:9]
	v_subrev_co_u32_e32 v21, vcc, 0x1000, v21
	s_and_saveexec_b64 s[8:9], vcc
	s_cbranch_execnz .LBB346_74
	s_branch .LBB346_75
.LBB346_67:                             ;   in Loop: Header=BB346_59 Depth=1
	s_or_b64 exec, exec, s[8:9]
	v_subrev_co_u32_e32 v5, vcc, 0x1000, v5
	s_and_saveexec_b64 s[8:9], vcc
	s_cbranch_execz .LBB346_61
.LBB346_68:                             ;   in Loop: Header=BB346_59 Depth=1
	v_add_u32_e32 v2, s12, v30
	ds_write_b32 v2, v14 offset:1024
	s_or_b64 exec, exec, s[8:9]
	v_subrev_co_u32_e32 v6, vcc, 0x1000, v6
	s_and_saveexec_b64 s[8:9], vcc
	s_cbranch_execnz .LBB346_62
.LBB346_69:                             ;   in Loop: Header=BB346_59 Depth=1
	s_or_b64 exec, exec, s[8:9]
	v_subrev_co_u32_e32 v7, vcc, 0x1000, v7
	s_and_saveexec_b64 s[8:9], vcc
	s_cbranch_execz .LBB346_63
.LBB346_70:                             ;   in Loop: Header=BB346_59 Depth=1
	v_add_u32_e32 v2, s12, v28
	ds_write_b32 v2, v12 offset:1024
	s_or_b64 exec, exec, s[8:9]
	v_subrev_co_u32_e32 v18, vcc, 0x1000, v18
	s_and_saveexec_b64 s[8:9], vcc
	s_cbranch_execnz .LBB346_64
.LBB346_71:                             ;   in Loop: Header=BB346_59 Depth=1
	s_or_b64 exec, exec, s[8:9]
	v_subrev_co_u32_e32 v19, vcc, 0x1000, v19
	s_and_saveexec_b64 s[8:9], vcc
	s_cbranch_execz .LBB346_65
.LBB346_72:                             ;   in Loop: Header=BB346_59 Depth=1
	v_add_u32_e32 v2, s12, v26
	ds_write_b32 v2, v24 offset:1024
	s_or_b64 exec, exec, s[8:9]
	v_subrev_co_u32_e32 v20, vcc, 0x1000, v20
	s_and_saveexec_b64 s[8:9], vcc
	s_cbranch_execnz .LBB346_66
.LBB346_73:                             ;   in Loop: Header=BB346_59 Depth=1
	s_or_b64 exec, exec, s[8:9]
	v_subrev_co_u32_e32 v21, vcc, 0x1000, v21
	s_and_saveexec_b64 s[8:9], vcc
.LBB346_74:                             ;   in Loop: Header=BB346_59 Depth=1
	v_add_u32_e32 v2, s12, v23
	ds_write_b32 v2, v9 offset:1024
.LBB346_75:                             ;   in Loop: Header=BB346_59 Depth=1
	s_or_b64 exec, exec, s[8:9]
	v_cmp_gt_u32_e32 vcc, s3, v32
	s_waitcnt lgkmcnt(0)
	s_barrier
	s_and_saveexec_b64 s[8:9], vcc
	s_cbranch_execz .LBB346_77
; %bb.76:                               ;   in Loop: Header=BB346_59 Depth=1
	ds_read_b32 v2, v22 offset:1024
	s_waitcnt lgkmcnt(0)
	v_lshrrev_b32_e32 v33, s24, v2
	v_and_b32_e32 v33, s33, v33
	v_lshlrev_b32_e32 v33, 2, v33
	ds_read_b32 v33, v33
	v_xor_b32_e32 v36, 0x7fffffff, v2
	s_waitcnt lgkmcnt(0)
	v_add_u32_e32 v2, v32, v33
	v_lshl_add_u64 v[34:35], v[2:3], 2, s[30:31]
	global_store_dword v[34:35], v36, off
.LBB346_77:                             ;   in Loop: Header=BB346_59 Depth=1
	s_or_b64 exec, exec, s[8:9]
	v_add_u32_e32 v2, 0x400, v32
	v_cmp_gt_u32_e32 vcc, s3, v2
	s_and_saveexec_b64 s[8:9], vcc
	s_cbranch_execz .LBB346_79
; %bb.78:                               ;   in Loop: Header=BB346_59 Depth=1
	ds_read_b32 v2, v22 offset:5120
	s_waitcnt lgkmcnt(0)
	v_lshrrev_b32_e32 v33, s24, v2
	v_and_b32_e32 v33, s33, v33
	v_lshlrev_b32_e32 v33, 2, v33
	ds_read_b32 v33, v33
	v_xor_b32_e32 v36, 0x7fffffff, v2
	s_waitcnt lgkmcnt(0)
	v_add3_u32 v2, v32, v33, s13
	v_lshl_add_u64 v[34:35], v[2:3], 2, s[30:31]
	global_store_dword v[34:35], v36, off
.LBB346_79:                             ;   in Loop: Header=BB346_59 Depth=1
	s_or_b64 exec, exec, s[8:9]
	v_add_u32_e32 v2, 0x800, v32
	v_cmp_gt_u32_e32 vcc, s3, v2
	s_and_saveexec_b64 s[8:9], vcc
	s_cbranch_execz .LBB346_81
; %bb.80:                               ;   in Loop: Header=BB346_59 Depth=1
	ds_read_b32 v2, v22 offset:9216
	s_waitcnt lgkmcnt(0)
	v_lshrrev_b32_e32 v33, s24, v2
	v_and_b32_e32 v33, s33, v33
	v_lshlrev_b32_e32 v33, 2, v33
	ds_read_b32 v33, v33
	v_xor_b32_e32 v36, 0x7fffffff, v2
	s_waitcnt lgkmcnt(0)
	v_add3_u32 v2, v32, v33, s14
	v_lshl_add_u64 v[34:35], v[2:3], 2, s[30:31]
	global_store_dword v[34:35], v36, off
.LBB346_81:                             ;   in Loop: Header=BB346_59 Depth=1
	s_or_b64 exec, exec, s[8:9]
	v_add_u32_e32 v2, 0xc00, v32
	v_cmp_gt_u32_e32 vcc, s3, v2
	s_and_saveexec_b64 s[8:9], vcc
	s_cbranch_execz .LBB346_58
; %bb.82:                               ;   in Loop: Header=BB346_59 Depth=1
	ds_read_b32 v2, v22 offset:13312
	s_waitcnt lgkmcnt(0)
	v_lshrrev_b32_e32 v33, s24, v2
	v_and_b32_e32 v33, s33, v33
	v_lshlrev_b32_e32 v33, 2, v33
	ds_read_b32 v33, v33
	v_xor_b32_e32 v36, 0x7fffffff, v2
	s_waitcnt lgkmcnt(0)
	v_add3_u32 v2, v32, v33, s15
	v_lshl_add_u64 v[34:35], v[2:3], 2, s[30:31]
	global_store_dword v[34:35], v36, off
	s_branch .LBB346_58
.LBB346_83:
	s_add_i32 s26, s26, -1
	s_cmp_eq_u32 s27, s26
	s_cselect_b64 s[6:7], -1, 0
	s_xor_b64 s[4:5], s[4:5], -1
	s_and_b64 s[6:7], s[4:5], s[6:7]
	s_and_saveexec_b64 s[4:5], s[6:7]
	s_cbranch_execz .LBB346_85
; %bb.84:
	ds_read_b32 v2, v22
	s_waitcnt lgkmcnt(0)
	v_add3_u32 v2, v16, v17, v2
	global_store_dword v22, v2, s[22:23]
.LBB346_85:
	s_or_b64 exec, exec, s[4:5]
	s_mov_b64 s[4:5], 0
.LBB346_86:
	s_and_b64 vcc, exec, s[4:5]
	s_cbranch_vccz .LBB346_143
; %bb.87:
	s_lshl_b32 s4, s27, 13
	s_mov_b32 s5, 0
	s_lshl_b64 s[4:5], s[4:5], 2
	v_mbcnt_hi_u32_b32 v4, -1, v1
	s_add_u32 s4, s28, s4
	v_and_b32_e32 v1, 63, v4
	s_addc_u32 s5, s29, s5
	v_lshlrev_b32_e32 v2, 2, v1
	v_mov_b32_e32 v3, 0
	v_lshlrev_b32_e32 v1, 5, v10
	v_lshl_add_u64 v[6:7], s[4:5], 0, v[2:3]
	v_and_b32_e32 v2, 0x7800, v1
	v_lshl_add_u64 v[16:17], v[6:7], 0, v[2:3]
	global_load_dword v1, v[16:17], off
	s_load_dword s3, s[0:1], 0x64
	s_load_dword s12, s[0:1], 0x58
	s_add_u32 s0, s0, 0x58
	s_addc_u32 s1, s1, 0
	v_mul_u32_u24_e32 v5, 20, v10
	s_waitcnt lgkmcnt(0)
	s_lshr_b32 s3, s3, 16
	s_cmp_lt_u32 s2, s12
	s_cselect_b32 s2, 12, 18
	s_add_u32 s0, s0, s2
	s_addc_u32 s1, s1, 0
	global_load_ushort v9, v3, s[0:1]
	ds_write2_b32 v5, v3, v3 offset0:16 offset1:17
	ds_write2_b32 v5, v3, v3 offset0:18 offset1:19
	ds_write_b32 v5, v3 offset:80
	global_load_dword v7, v[16:17], off offset:256
	global_load_dword v8, v[16:17], off offset:512
	;; [unrolled: 1-line block ×7, first 2 shown]
	v_bfe_u32 v2, v0, 10, 10
	v_bfe_u32 v6, v0, 20, 10
	v_mad_u32_u24 v11, v6, s3, v2
	s_lshl_b32 s0, -1, s25
	v_mov_b32_e32 v0, v3
	s_not_b32 s13, s0
	v_mov_b32_e32 v18, v3
	v_mov_b32_e32 v24, v3
	;; [unrolled: 1-line block ×4, first 2 shown]
	s_movk_i32 s8, 0x44
	s_waitcnt lgkmcnt(0)
	s_barrier
	s_waitcnt vmcnt(8)
	; wave barrier
	v_xor_b32_e32 v6, 0x7fffffff, v1
	v_lshrrev_b32_e32 v1, s24, v6
	v_bitop3_b32 v13, v1, s0, v1 bitop3:0x30
	v_and_b32_e32 v2, 1, v13
	v_lshlrev_b32_e32 v1, 30, v13
	v_lshlrev_b32_e32 v19, 29, v13
	v_lshl_add_u64 v[32:33], v[2:3], 0, -1
	v_cmp_ne_u32_e32 vcc, 0, v2
	v_lshlrev_b32_e32 v25, 28, v13
	v_cmp_gt_i64_e64 s[2:3], 0, v[18:19]
	s_waitcnt vmcnt(7)
	v_mad_u64_u32 v[16:17], s[0:1], v11, v9, v[10:11]
	v_cmp_gt_i64_e64 s[0:1], 0, v[0:1]
	v_not_b32_e32 v0, v1
	v_not_b32_e32 v1, v19
	v_lshrrev_b32_e32 v11, 4, v16
	v_xor_b32_e32 v16, vcc_hi, v33
	v_xor_b32_e32 v17, vcc_lo, v32
	v_ashrrev_i32_e32 v0, 31, v0
	v_cmp_gt_i64_e64 s[4:5], 0, v[24:25]
	v_not_b32_e32 v2, v25
	v_ashrrev_i32_e32 v1, 31, v1
	v_and_b32_e32 v24, 0xffffffc, v11
	v_and_b32_e32 v11, exec_hi, v16
	v_and_b32_e32 v16, exec_lo, v17
	v_xor_b32_e32 v17, s1, v0
	v_xor_b32_e32 v0, s0, v0
	v_lshlrev_b32_e32 v29, 27, v13
	v_ashrrev_i32_e32 v2, 31, v2
	v_xor_b32_e32 v18, s3, v1
	v_xor_b32_e32 v1, s2, v1
	v_and_b32_e32 v0, v16, v0
	v_lshlrev_b32_e32 v31, 26, v13
	v_not_b32_e32 v9, v29
	v_xor_b32_e32 v19, s5, v2
	v_xor_b32_e32 v2, s4, v2
	v_and_b32_e32 v11, v11, v17
	v_and_b32_e32 v0, v0, v1
	v_cmp_gt_i64_e64 s[6:7], 0, v[28:29]
	v_ashrrev_i32_e32 v9, 31, v9
	v_and_b32_e32 v11, v11, v18
	v_and_b32_e32 v0, v0, v2
	v_not_b32_e32 v2, v31
	v_xor_b32_e32 v21, s7, v9
	v_xor_b32_e32 v9, s6, v9
	v_and_b32_e32 v1, v11, v19
	v_cmp_gt_i64_e32 vcc, 0, v[30:31]
	v_ashrrev_i32_e32 v2, 31, v2
	v_and_b32_e32 v1, v1, v21
	v_and_b32_e32 v0, v0, v9
	v_xor_b32_e32 v9, vcc_hi, v2
	v_xor_b32_e32 v2, vcc_lo, v2
	v_and_b32_e32 v9, v1, v9
	v_and_b32_e32 v2, v0, v2
	v_lshlrev_b32_e32 v1, 25, v13
	v_mov_b32_e32 v0, v3
	v_cmp_gt_i64_e32 vcc, 0, v[0:1]
	v_not_b32_e32 v0, v1
	v_ashrrev_i32_e32 v0, 31, v0
	v_xor_b32_e32 v1, vcc_hi, v0
	v_xor_b32_e32 v0, vcc_lo, v0
	v_and_b32_e32 v9, v9, v1
	v_and_b32_e32 v2, v2, v0
	v_lshlrev_b32_e32 v1, 24, v13
	v_mov_b32_e32 v0, v3
	v_cmp_gt_i64_e32 vcc, 0, v[0:1]
	v_not_b32_e32 v0, v1
	v_ashrrev_i32_e32 v0, 31, v0
	v_xor_b32_e32 v1, vcc_hi, v0
	v_xor_b32_e32 v0, vcc_lo, v0
	v_and_b32_e32 v0, v2, v0
	v_and_b32_e32 v1, v9, v1
	v_mbcnt_lo_u32_b32 v2, v0, 0
	v_mbcnt_hi_u32_b32 v9, v1, v2
	v_mul_lo_u32 v14, v13, s8
	v_cmp_eq_u32_e32 vcc, 0, v9
	v_cmp_ne_u64_e64 s[0:1], 0, v[0:1]
	s_and_b64 s[2:3], s[0:1], vcc
	v_add_u32_e32 v16, v24, v14
	s_and_saveexec_b64 s[0:1], s[2:3]
; %bb.88:
	v_bcnt_u32_b32 v0, v0, 0
	v_bcnt_u32_b32 v0, v1, v0
	ds_write_b32 v16, v0 offset:64
; %bb.89:
	s_or_b64 exec, exec, s[0:1]
	s_waitcnt vmcnt(6)
	v_xor_b32_e32 v7, 0x7fffffff, v7
	v_lshrrev_b32_e32 v0, s24, v7
	v_and_b32_e32 v13, s13, v0
	v_mul_lo_u32 v0, v13, s8
	v_and_b32_e32 v2, 1, v13
	v_add_u32_e32 v17, v24, v0
	v_lshl_add_u64 v[0:1], v[2:3], 0, -1
	v_cmp_ne_u32_e32 vcc, 0, v2
	; wave barrier
	s_nop 1
	v_xor_b32_e32 v1, vcc_hi, v1
	v_xor_b32_e32 v0, vcc_lo, v0
	v_and_b32_e32 v2, exec_hi, v1
	v_and_b32_e32 v14, exec_lo, v0
	v_lshlrev_b32_e32 v1, 30, v13
	v_mov_b32_e32 v0, v3
	v_cmp_gt_i64_e32 vcc, 0, v[0:1]
	v_not_b32_e32 v0, v1
	v_ashrrev_i32_e32 v0, 31, v0
	v_xor_b32_e32 v1, vcc_hi, v0
	v_xor_b32_e32 v0, vcc_lo, v0
	v_and_b32_e32 v2, v2, v1
	v_and_b32_e32 v14, v14, v0
	v_lshlrev_b32_e32 v1, 29, v13
	v_mov_b32_e32 v0, v3
	v_cmp_gt_i64_e32 vcc, 0, v[0:1]
	v_not_b32_e32 v0, v1
	v_ashrrev_i32_e32 v0, 31, v0
	v_xor_b32_e32 v1, vcc_hi, v0
	v_xor_b32_e32 v0, vcc_lo, v0
	v_and_b32_e32 v2, v2, v1
	v_and_b32_e32 v14, v14, v0
	;; [unrolled: 9-line block ×6, first 2 shown]
	v_lshlrev_b32_e32 v1, 24, v13
	v_mov_b32_e32 v0, v3
	v_cmp_gt_i64_e32 vcc, 0, v[0:1]
	v_not_b32_e32 v0, v1
	v_ashrrev_i32_e32 v0, 31, v0
	v_xor_b32_e32 v1, vcc_hi, v0
	v_xor_b32_e32 v0, vcc_lo, v0
	ds_read_b32 v11, v17 offset:64
	v_and_b32_e32 v0, v14, v0
	v_and_b32_e32 v1, v2, v1
	v_mbcnt_lo_u32_b32 v2, v0, 0
	v_mbcnt_hi_u32_b32 v13, v1, v2
	v_cmp_eq_u32_e32 vcc, 0, v13
	v_cmp_ne_u64_e64 s[0:1], 0, v[0:1]
	s_and_b64 s[2:3], s[0:1], vcc
	; wave barrier
	s_and_saveexec_b64 s[0:1], s[2:3]
	s_cbranch_execz .LBB346_91
; %bb.90:
	v_bcnt_u32_b32 v0, v0, 0
	v_bcnt_u32_b32 v0, v1, v0
	s_waitcnt lgkmcnt(0)
	v_add_u32_e32 v0, v11, v0
	ds_write_b32 v17, v0 offset:64
.LBB346_91:
	s_or_b64 exec, exec, s[0:1]
	s_waitcnt vmcnt(5)
	v_xor_b32_e32 v8, 0x7fffffff, v8
	v_lshrrev_b32_e32 v0, s24, v8
	v_and_b32_e32 v18, s13, v0
	s_movk_i32 s2, 0x44
	v_mul_lo_u32 v0, v18, s2
	v_add_u32_e32 v21, v24, v0
	v_and_b32_e32 v0, 1, v18
	v_mov_b32_e32 v1, 0
	v_lshl_add_u64 v[2:3], v[0:1], 0, -1
	v_cmp_ne_u32_e32 vcc, 0, v0
	; wave barrier
	s_nop 1
	v_xor_b32_e32 v2, vcc_lo, v2
	v_xor_b32_e32 v0, vcc_hi, v3
	v_and_b32_e32 v19, exec_lo, v2
	v_lshlrev_b32_e32 v3, 30, v18
	v_mov_b32_e32 v2, v1
	v_cmp_gt_i64_e32 vcc, 0, v[2:3]
	v_not_b32_e32 v2, v3
	v_ashrrev_i32_e32 v2, 31, v2
	v_and_b32_e32 v0, exec_hi, v0
	v_xor_b32_e32 v3, vcc_hi, v2
	v_xor_b32_e32 v2, vcc_lo, v2
	v_and_b32_e32 v0, v0, v3
	v_and_b32_e32 v19, v19, v2
	v_lshlrev_b32_e32 v3, 29, v18
	v_mov_b32_e32 v2, v1
	v_cmp_gt_i64_e32 vcc, 0, v[2:3]
	v_not_b32_e32 v2, v3
	v_ashrrev_i32_e32 v2, 31, v2
	v_xor_b32_e32 v3, vcc_hi, v2
	v_xor_b32_e32 v2, vcc_lo, v2
	v_and_b32_e32 v0, v0, v3
	v_and_b32_e32 v19, v19, v2
	v_lshlrev_b32_e32 v3, 28, v18
	v_mov_b32_e32 v2, v1
	v_cmp_gt_i64_e32 vcc, 0, v[2:3]
	v_not_b32_e32 v2, v3
	v_ashrrev_i32_e32 v2, 31, v2
	;; [unrolled: 9-line block ×6, first 2 shown]
	v_xor_b32_e32 v3, vcc_hi, v2
	v_xor_b32_e32 v2, vcc_lo, v2
	ds_read_b32 v14, v21 offset:64
	v_and_b32_e32 v2, v19, v2
	v_and_b32_e32 v3, v0, v3
	v_mbcnt_lo_u32_b32 v0, v2, 0
	v_mbcnt_hi_u32_b32 v18, v3, v0
	v_cmp_eq_u32_e32 vcc, 0, v18
	v_cmp_ne_u64_e64 s[0:1], 0, v[2:3]
	s_and_b64 s[4:5], s[0:1], vcc
	; wave barrier
	s_and_saveexec_b64 s[0:1], s[4:5]
	s_cbranch_execz .LBB346_93
; %bb.92:
	v_bcnt_u32_b32 v0, v2, 0
	v_bcnt_u32_b32 v0, v3, v0
	s_waitcnt lgkmcnt(0)
	v_add_u32_e32 v0, v14, v0
	ds_write_b32 v21, v0 offset:64
.LBB346_93:
	s_or_b64 exec, exec, s[0:1]
	s_waitcnt vmcnt(4)
	v_xor_b32_e32 v12, 0x7fffffff, v12
	v_lshrrev_b32_e32 v0, s24, v12
	v_and_b32_e32 v23, s13, v0
	v_mul_lo_u32 v0, v23, s2
	v_add_u32_e32 v27, v24, v0
	v_and_b32_e32 v0, 1, v23
	v_lshl_add_u64 v[2:3], v[0:1], 0, -1
	v_cmp_ne_u32_e32 vcc, 0, v0
	; wave barrier
	s_nop 1
	v_xor_b32_e32 v2, vcc_lo, v2
	v_xor_b32_e32 v0, vcc_hi, v3
	v_and_b32_e32 v25, exec_lo, v2
	v_lshlrev_b32_e32 v3, 30, v23
	v_mov_b32_e32 v2, v1
	v_cmp_gt_i64_e32 vcc, 0, v[2:3]
	v_not_b32_e32 v2, v3
	v_ashrrev_i32_e32 v2, 31, v2
	v_and_b32_e32 v0, exec_hi, v0
	v_xor_b32_e32 v3, vcc_hi, v2
	v_xor_b32_e32 v2, vcc_lo, v2
	v_and_b32_e32 v0, v0, v3
	v_and_b32_e32 v25, v25, v2
	v_lshlrev_b32_e32 v3, 29, v23
	v_mov_b32_e32 v2, v1
	v_cmp_gt_i64_e32 vcc, 0, v[2:3]
	v_not_b32_e32 v2, v3
	v_ashrrev_i32_e32 v2, 31, v2
	v_xor_b32_e32 v3, vcc_hi, v2
	v_xor_b32_e32 v2, vcc_lo, v2
	v_and_b32_e32 v0, v0, v3
	v_and_b32_e32 v25, v25, v2
	v_lshlrev_b32_e32 v3, 28, v23
	v_mov_b32_e32 v2, v1
	v_cmp_gt_i64_e32 vcc, 0, v[2:3]
	v_not_b32_e32 v2, v3
	v_ashrrev_i32_e32 v2, 31, v2
	;; [unrolled: 9-line block ×5, first 2 shown]
	v_xor_b32_e32 v3, vcc_hi, v2
	v_xor_b32_e32 v2, vcc_lo, v2
	v_and_b32_e32 v0, v0, v3
	v_lshlrev_b32_e32 v3, 24, v23
	v_and_b32_e32 v25, v25, v2
	v_mov_b32_e32 v2, v1
	v_not_b32_e32 v1, v3
	v_cmp_gt_i64_e32 vcc, 0, v[2:3]
	v_ashrrev_i32_e32 v1, 31, v1
	ds_read_b32 v19, v27 offset:64
	v_xor_b32_e32 v2, vcc_hi, v1
	v_xor_b32_e32 v3, vcc_lo, v1
	v_and_b32_e32 v1, v0, v2
	v_and_b32_e32 v0, v25, v3
	v_mbcnt_lo_u32_b32 v2, v0, 0
	v_mbcnt_hi_u32_b32 v23, v1, v2
	v_cmp_eq_u32_e32 vcc, 0, v23
	v_cmp_ne_u64_e64 s[0:1], 0, v[0:1]
	s_and_b64 s[2:3], s[0:1], vcc
	; wave barrier
	s_and_saveexec_b64 s[0:1], s[2:3]
	s_cbranch_execz .LBB346_95
; %bb.94:
	v_bcnt_u32_b32 v0, v0, 0
	v_bcnt_u32_b32 v0, v1, v0
	s_waitcnt lgkmcnt(0)
	v_add_u32_e32 v0, v19, v0
	ds_write_b32 v27, v0 offset:64
.LBB346_95:
	s_or_b64 exec, exec, s[0:1]
	s_waitcnt vmcnt(3)
	v_xor_b32_e32 v15, 0x7fffffff, v15
	v_lshrrev_b32_e32 v0, s24, v15
	v_and_b32_e32 v28, s13, v0
	s_movk_i32 s2, 0x44
	v_mul_lo_u32 v0, v28, s2
	v_add_u32_e32 v30, v24, v0
	v_and_b32_e32 v0, 1, v28
	v_mov_b32_e32 v1, 0
	v_lshl_add_u64 v[2:3], v[0:1], 0, -1
	v_cmp_ne_u32_e32 vcc, 0, v0
	; wave barrier
	s_nop 1
	v_xor_b32_e32 v2, vcc_lo, v2
	v_xor_b32_e32 v0, vcc_hi, v3
	v_and_b32_e32 v29, exec_lo, v2
	v_lshlrev_b32_e32 v3, 30, v28
	v_mov_b32_e32 v2, v1
	v_cmp_gt_i64_e32 vcc, 0, v[2:3]
	v_not_b32_e32 v2, v3
	v_ashrrev_i32_e32 v2, 31, v2
	v_and_b32_e32 v0, exec_hi, v0
	v_xor_b32_e32 v3, vcc_hi, v2
	v_xor_b32_e32 v2, vcc_lo, v2
	v_and_b32_e32 v0, v0, v3
	v_and_b32_e32 v29, v29, v2
	v_lshlrev_b32_e32 v3, 29, v28
	v_mov_b32_e32 v2, v1
	v_cmp_gt_i64_e32 vcc, 0, v[2:3]
	v_not_b32_e32 v2, v3
	v_ashrrev_i32_e32 v2, 31, v2
	v_xor_b32_e32 v3, vcc_hi, v2
	v_xor_b32_e32 v2, vcc_lo, v2
	v_and_b32_e32 v0, v0, v3
	v_and_b32_e32 v29, v29, v2
	v_lshlrev_b32_e32 v3, 28, v28
	v_mov_b32_e32 v2, v1
	v_cmp_gt_i64_e32 vcc, 0, v[2:3]
	v_not_b32_e32 v2, v3
	v_ashrrev_i32_e32 v2, 31, v2
	;; [unrolled: 9-line block ×6, first 2 shown]
	v_xor_b32_e32 v3, vcc_hi, v2
	v_xor_b32_e32 v2, vcc_lo, v2
	ds_read_b32 v25, v30 offset:64
	v_and_b32_e32 v2, v29, v2
	v_and_b32_e32 v3, v0, v3
	v_mbcnt_lo_u32_b32 v0, v2, 0
	v_mbcnt_hi_u32_b32 v28, v3, v0
	v_cmp_eq_u32_e32 vcc, 0, v28
	v_cmp_ne_u64_e64 s[0:1], 0, v[2:3]
	s_and_b64 s[4:5], s[0:1], vcc
	; wave barrier
	s_and_saveexec_b64 s[0:1], s[4:5]
	s_cbranch_execz .LBB346_97
; %bb.96:
	v_bcnt_u32_b32 v0, v2, 0
	v_bcnt_u32_b32 v0, v3, v0
	s_waitcnt lgkmcnt(0)
	v_add_u32_e32 v0, v25, v0
	ds_write_b32 v30, v0 offset:64
.LBB346_97:
	s_or_b64 exec, exec, s[0:1]
	s_waitcnt vmcnt(2)
	v_xor_b32_e32 v20, 0x7fffffff, v20
	v_lshrrev_b32_e32 v0, s24, v20
	v_and_b32_e32 v31, s13, v0
	v_mul_lo_u32 v0, v31, s2
	v_add_u32_e32 v33, v24, v0
	v_and_b32_e32 v0, 1, v31
	v_lshl_add_u64 v[2:3], v[0:1], 0, -1
	v_cmp_ne_u32_e32 vcc, 0, v0
	; wave barrier
	s_nop 1
	v_xor_b32_e32 v2, vcc_lo, v2
	v_xor_b32_e32 v0, vcc_hi, v3
	v_and_b32_e32 v32, exec_lo, v2
	v_lshlrev_b32_e32 v3, 30, v31
	v_mov_b32_e32 v2, v1
	v_cmp_gt_i64_e32 vcc, 0, v[2:3]
	v_not_b32_e32 v2, v3
	v_ashrrev_i32_e32 v2, 31, v2
	v_and_b32_e32 v0, exec_hi, v0
	v_xor_b32_e32 v3, vcc_hi, v2
	v_xor_b32_e32 v2, vcc_lo, v2
	v_and_b32_e32 v0, v0, v3
	v_and_b32_e32 v32, v32, v2
	v_lshlrev_b32_e32 v3, 29, v31
	v_mov_b32_e32 v2, v1
	v_cmp_gt_i64_e32 vcc, 0, v[2:3]
	v_not_b32_e32 v2, v3
	v_ashrrev_i32_e32 v2, 31, v2
	v_xor_b32_e32 v3, vcc_hi, v2
	v_xor_b32_e32 v2, vcc_lo, v2
	v_and_b32_e32 v0, v0, v3
	v_and_b32_e32 v32, v32, v2
	v_lshlrev_b32_e32 v3, 28, v31
	v_mov_b32_e32 v2, v1
	v_cmp_gt_i64_e32 vcc, 0, v[2:3]
	v_not_b32_e32 v2, v3
	v_ashrrev_i32_e32 v2, 31, v2
	;; [unrolled: 9-line block ×5, first 2 shown]
	v_xor_b32_e32 v3, vcc_hi, v2
	v_xor_b32_e32 v2, vcc_lo, v2
	v_and_b32_e32 v0, v0, v3
	v_lshlrev_b32_e32 v3, 24, v31
	v_and_b32_e32 v32, v32, v2
	v_mov_b32_e32 v2, v1
	v_not_b32_e32 v1, v3
	v_cmp_gt_i64_e32 vcc, 0, v[2:3]
	v_ashrrev_i32_e32 v1, 31, v1
	ds_read_b32 v29, v33 offset:64
	v_xor_b32_e32 v2, vcc_hi, v1
	v_xor_b32_e32 v3, vcc_lo, v1
	v_and_b32_e32 v1, v0, v2
	v_and_b32_e32 v0, v32, v3
	v_mbcnt_lo_u32_b32 v2, v0, 0
	v_mbcnt_hi_u32_b32 v31, v1, v2
	v_cmp_eq_u32_e32 vcc, 0, v31
	v_cmp_ne_u64_e64 s[0:1], 0, v[0:1]
	s_and_b64 s[2:3], s[0:1], vcc
	; wave barrier
	s_and_saveexec_b64 s[0:1], s[2:3]
	s_cbranch_execz .LBB346_99
; %bb.98:
	v_bcnt_u32_b32 v0, v0, 0
	v_bcnt_u32_b32 v0, v1, v0
	s_waitcnt lgkmcnt(0)
	v_add_u32_e32 v0, v29, v0
	ds_write_b32 v33, v0 offset:64
.LBB346_99:
	s_or_b64 exec, exec, s[0:1]
	s_waitcnt vmcnt(1)
	v_xor_b32_e32 v26, 0x7fffffff, v26
	v_lshrrev_b32_e32 v0, s24, v26
	v_and_b32_e32 v34, s13, v0
	s_movk_i32 s2, 0x44
	v_mul_lo_u32 v0, v34, s2
	v_add_u32_e32 v36, v24, v0
	v_and_b32_e32 v0, 1, v34
	v_mov_b32_e32 v1, 0
	v_lshl_add_u64 v[2:3], v[0:1], 0, -1
	v_cmp_ne_u32_e32 vcc, 0, v0
	; wave barrier
	s_nop 1
	v_xor_b32_e32 v2, vcc_lo, v2
	v_xor_b32_e32 v0, vcc_hi, v3
	v_and_b32_e32 v35, exec_lo, v2
	v_lshlrev_b32_e32 v3, 30, v34
	v_mov_b32_e32 v2, v1
	v_cmp_gt_i64_e32 vcc, 0, v[2:3]
	v_not_b32_e32 v2, v3
	v_ashrrev_i32_e32 v2, 31, v2
	v_and_b32_e32 v0, exec_hi, v0
	v_xor_b32_e32 v3, vcc_hi, v2
	v_xor_b32_e32 v2, vcc_lo, v2
	v_and_b32_e32 v0, v0, v3
	v_and_b32_e32 v35, v35, v2
	v_lshlrev_b32_e32 v3, 29, v34
	v_mov_b32_e32 v2, v1
	v_cmp_gt_i64_e32 vcc, 0, v[2:3]
	v_not_b32_e32 v2, v3
	v_ashrrev_i32_e32 v2, 31, v2
	v_xor_b32_e32 v3, vcc_hi, v2
	v_xor_b32_e32 v2, vcc_lo, v2
	v_and_b32_e32 v0, v0, v3
	v_and_b32_e32 v35, v35, v2
	v_lshlrev_b32_e32 v3, 28, v34
	v_mov_b32_e32 v2, v1
	v_cmp_gt_i64_e32 vcc, 0, v[2:3]
	v_not_b32_e32 v2, v3
	v_ashrrev_i32_e32 v2, 31, v2
	;; [unrolled: 9-line block ×6, first 2 shown]
	v_xor_b32_e32 v3, vcc_hi, v2
	v_xor_b32_e32 v2, vcc_lo, v2
	ds_read_b32 v32, v36 offset:64
	v_and_b32_e32 v2, v35, v2
	v_and_b32_e32 v3, v0, v3
	v_mbcnt_lo_u32_b32 v0, v2, 0
	v_mbcnt_hi_u32_b32 v34, v3, v0
	v_cmp_eq_u32_e32 vcc, 0, v34
	v_cmp_ne_u64_e64 s[0:1], 0, v[2:3]
	s_and_b64 s[4:5], s[0:1], vcc
	; wave barrier
	s_and_saveexec_b64 s[0:1], s[4:5]
	s_cbranch_execz .LBB346_101
; %bb.100:
	v_bcnt_u32_b32 v0, v2, 0
	v_bcnt_u32_b32 v0, v3, v0
	s_waitcnt lgkmcnt(0)
	v_add_u32_e32 v0, v32, v0
	ds_write_b32 v36, v0 offset:64
.LBB346_101:
	s_or_b64 exec, exec, s[0:1]
	s_waitcnt vmcnt(0)
	v_xor_b32_e32 v22, 0x7fffffff, v22
	v_lshrrev_b32_e32 v0, s24, v22
	v_and_b32_e32 v37, s13, v0
	v_mul_lo_u32 v0, v37, s2
	v_add_u32_e32 v38, v24, v0
	v_and_b32_e32 v0, 1, v37
	v_lshl_add_u64 v[2:3], v[0:1], 0, -1
	v_cmp_ne_u32_e32 vcc, 0, v0
	; wave barrier
	s_nop 1
	v_xor_b32_e32 v2, vcc_lo, v2
	v_xor_b32_e32 v0, vcc_hi, v3
	v_and_b32_e32 v24, exec_lo, v2
	v_lshlrev_b32_e32 v3, 30, v37
	v_mov_b32_e32 v2, v1
	v_cmp_gt_i64_e32 vcc, 0, v[2:3]
	v_not_b32_e32 v2, v3
	v_ashrrev_i32_e32 v2, 31, v2
	v_and_b32_e32 v0, exec_hi, v0
	v_xor_b32_e32 v3, vcc_hi, v2
	v_xor_b32_e32 v2, vcc_lo, v2
	v_and_b32_e32 v0, v0, v3
	v_and_b32_e32 v24, v24, v2
	v_lshlrev_b32_e32 v3, 29, v37
	v_mov_b32_e32 v2, v1
	v_cmp_gt_i64_e32 vcc, 0, v[2:3]
	v_not_b32_e32 v2, v3
	v_ashrrev_i32_e32 v2, 31, v2
	v_xor_b32_e32 v3, vcc_hi, v2
	v_xor_b32_e32 v2, vcc_lo, v2
	v_and_b32_e32 v0, v0, v3
	v_and_b32_e32 v24, v24, v2
	v_lshlrev_b32_e32 v3, 28, v37
	v_mov_b32_e32 v2, v1
	v_cmp_gt_i64_e32 vcc, 0, v[2:3]
	v_not_b32_e32 v2, v3
	v_ashrrev_i32_e32 v2, 31, v2
	v_xor_b32_e32 v3, vcc_hi, v2
	v_xor_b32_e32 v2, vcc_lo, v2
	v_and_b32_e32 v0, v0, v3
	v_and_b32_e32 v24, v24, v2
	v_lshlrev_b32_e32 v3, 27, v37
	v_mov_b32_e32 v2, v1
	v_cmp_gt_i64_e32 vcc, 0, v[2:3]
	v_not_b32_e32 v2, v3
	v_ashrrev_i32_e32 v2, 31, v2
	v_xor_b32_e32 v3, vcc_hi, v2
	v_xor_b32_e32 v2, vcc_lo, v2
	v_and_b32_e32 v0, v0, v3
	v_and_b32_e32 v24, v24, v2
	v_lshlrev_b32_e32 v3, 26, v37
	v_mov_b32_e32 v2, v1
	v_cmp_gt_i64_e32 vcc, 0, v[2:3]
	v_not_b32_e32 v2, v3
	v_ashrrev_i32_e32 v2, 31, v2
	v_xor_b32_e32 v3, vcc_hi, v2
	v_xor_b32_e32 v2, vcc_lo, v2
	v_and_b32_e32 v0, v0, v3
	v_and_b32_e32 v24, v24, v2
	v_lshlrev_b32_e32 v3, 25, v37
	v_mov_b32_e32 v2, v1
	v_cmp_gt_i64_e32 vcc, 0, v[2:3]
	v_not_b32_e32 v2, v3
	v_ashrrev_i32_e32 v2, 31, v2
	v_xor_b32_e32 v3, vcc_hi, v2
	v_xor_b32_e32 v2, vcc_lo, v2
	v_and_b32_e32 v0, v0, v3
	v_lshlrev_b32_e32 v3, 24, v37
	v_and_b32_e32 v24, v24, v2
	v_mov_b32_e32 v2, v1
	v_not_b32_e32 v1, v3
	v_cmp_gt_i64_e32 vcc, 0, v[2:3]
	v_ashrrev_i32_e32 v1, 31, v1
	ds_read_b32 v35, v38 offset:64
	v_xor_b32_e32 v2, vcc_hi, v1
	v_xor_b32_e32 v3, vcc_lo, v1
	v_and_b32_e32 v1, v0, v2
	v_and_b32_e32 v0, v24, v3
	v_mbcnt_lo_u32_b32 v2, v0, 0
	v_mbcnt_hi_u32_b32 v37, v1, v2
	v_cmp_eq_u32_e32 vcc, 0, v37
	v_cmp_ne_u64_e64 s[0:1], 0, v[0:1]
	s_and_b64 s[2:3], s[0:1], vcc
	; wave barrier
	s_and_saveexec_b64 s[0:1], s[2:3]
	s_cbranch_execz .LBB346_103
; %bb.102:
	v_bcnt_u32_b32 v0, v0, 0
	v_bcnt_u32_b32 v0, v1, v0
	s_waitcnt lgkmcnt(0)
	v_add_u32_e32 v0, v35, v0
	ds_write_b32 v38, v0 offset:64
.LBB346_103:
	s_or_b64 exec, exec, s[0:1]
	; wave barrier
	s_waitcnt lgkmcnt(0)
	s_barrier
	ds_read2_b32 v[2:3], v5 offset0:16 offset1:17
	ds_read2_b32 v[0:1], v5 offset0:18 offset1:19
	ds_read_b32 v24, v5 offset:80
	v_cmp_lt_u32_e64 s[2:3], 31, v4
	s_waitcnt lgkmcnt(1)
	v_add3_u32 v39, v3, v2, v0
	s_waitcnt lgkmcnt(0)
	v_add3_u32 v24, v39, v1, v24
	v_and_b32_e32 v39, 15, v4
	v_cmp_eq_u32_e32 vcc, 0, v39
	v_mov_b32_dpp v40, v24 row_shr:1 row_mask:0xf bank_mask:0xf
	v_cmp_lt_u32_e64 s[0:1], 1, v39
	v_cndmask_b32_e64 v40, v40, 0, vcc
	v_add_u32_e32 v24, v40, v24
	v_cmp_lt_u32_e64 s[4:5], 3, v39
	v_cmp_lt_u32_e64 s[6:7], 7, v39
	v_mov_b32_dpp v40, v24 row_shr:2 row_mask:0xf bank_mask:0xf
	v_cndmask_b32_e64 v40, 0, v40, s[0:1]
	v_add_u32_e32 v24, v24, v40
	s_nop 1
	v_mov_b32_dpp v40, v24 row_shr:4 row_mask:0xf bank_mask:0xf
	v_cndmask_b32_e64 v40, 0, v40, s[4:5]
	v_add_u32_e32 v24, v24, v40
	s_nop 1
	v_mov_b32_dpp v40, v24 row_shr:8 row_mask:0xf bank_mask:0xf
	v_cndmask_b32_e64 v39, 0, v40, s[6:7]
	v_add_u32_e32 v24, v24, v39
	v_bfe_i32 v40, v4, 4, 1
	s_nop 0
	v_mov_b32_dpp v39, v24 row_bcast:15 row_mask:0xf bank_mask:0xf
	v_and_b32_e32 v39, v40, v39
	v_add_u32_e32 v24, v24, v39
	v_lshrrev_b32_e32 v40, 6, v10
	s_nop 0
	v_mov_b32_dpp v39, v24 row_bcast:31 row_mask:0xf bank_mask:0xf
	v_cndmask_b32_e64 v39, 0, v39, s[2:3]
	v_add_u32_e32 v39, v24, v39
	v_and_b32_e32 v24, 63, v10
	v_cmp_eq_u32_e64 s[2:3], 63, v24
	s_and_saveexec_b64 s[8:9], s[2:3]
; %bb.104:
	v_lshlrev_b32_e32 v24, 2, v40
	ds_write_b32 v24, v39
; %bb.105:
	s_or_b64 exec, exec, s[8:9]
	v_cmp_gt_u32_e64 s[2:3], 16, v10
	v_lshlrev_b32_e32 v24, 2, v10
	s_waitcnt lgkmcnt(0)
	s_barrier
	s_and_saveexec_b64 s[8:9], s[2:3]
	s_cbranch_execz .LBB346_107
; %bb.106:
	ds_read_b32 v41, v24
	s_waitcnt lgkmcnt(0)
	s_nop 0
	v_mov_b32_dpp v42, v41 row_shr:1 row_mask:0xf bank_mask:0xf
	v_cndmask_b32_e64 v42, v42, 0, vcc
	v_add_u32_e32 v41, v42, v41
	s_nop 1
	v_mov_b32_dpp v42, v41 row_shr:2 row_mask:0xf bank_mask:0xf
	v_cndmask_b32_e64 v42, 0, v42, s[0:1]
	v_add_u32_e32 v41, v41, v42
	s_nop 1
	v_mov_b32_dpp v42, v41 row_shr:4 row_mask:0xf bank_mask:0xf
	v_cndmask_b32_e64 v42, 0, v42, s[4:5]
	;; [unrolled: 4-line block ×3, first 2 shown]
	v_add_u32_e32 v41, v41, v42
	ds_write_b32 v24, v41
.LBB346_107:
	s_or_b64 exec, exec, s[8:9]
	v_cmp_lt_u32_e32 vcc, 63, v10
	v_mov_b32_e32 v41, 0
	s_waitcnt lgkmcnt(0)
	s_barrier
	s_and_saveexec_b64 s[0:1], vcc
; %bb.108:
	v_lshl_add_u32 v40, v40, 2, -4
	ds_read_b32 v41, v40
; %bb.109:
	s_or_b64 exec, exec, s[0:1]
	v_subrev_co_u32_e32 v40, vcc, 1, v4
	v_and_b32_e32 v42, 64, v4
	v_cmp_lt_i32_e64 s[0:1], v40, v42
	s_waitcnt lgkmcnt(0)
	v_add_u32_e32 v39, v41, v39
	s_movk_i32 s2, 0x100
	v_cndmask_b32_e64 v4, v40, v4, s[0:1]
	v_lshlrev_b32_e32 v4, 2, v4
	ds_bpermute_b32 v4, v4, v39
	s_movk_i32 s0, 0xff
	v_cmp_lt_u32_e64 s[0:1], s0, v10
	s_waitcnt lgkmcnt(0)
	v_cndmask_b32_e32 v4, v4, v41, vcc
	v_cndmask_b32_e64 v4, v4, 0, s[10:11]
	v_add_u32_e32 v2, v4, v2
	v_add_u32_e32 v3, v2, v3
	;; [unrolled: 1-line block ×4, first 2 shown]
	ds_write2_b32 v5, v4, v2 offset0:16 offset1:17
	ds_write2_b32 v5, v3, v0 offset0:18 offset1:19
	ds_write_b32 v5, v1 offset:80
	s_waitcnt lgkmcnt(0)
	s_barrier
	ds_read_b32 v42, v16 offset:64
	ds_read_b32 v39, v17 offset:64
	;; [unrolled: 1-line block ×8, first 2 shown]
	v_cmp_gt_u32_e32 vcc, s2, v10
                                        ; implicit-def: $vgpr16
                                        ; implicit-def: $vgpr17
	s_and_saveexec_b64 s[4:5], vcc
	s_cbranch_execz .LBB346_113
; %bb.110:
	v_mul_u32_u24_e32 v0, 0x44, v10
	ds_read_b32 v16, v0 offset:64
	v_add_u32_e32 v1, 1, v10
	v_cmp_ne_u32_e64 s[2:3], s2, v1
	v_mov_b32_e32 v0, 0x2000
	s_and_saveexec_b64 s[6:7], s[2:3]
; %bb.111:
	v_mul_u32_u24_e32 v0, 0x44, v1
	ds_read_b32 v0, v0 offset:64
; %bb.112:
	s_or_b64 exec, exec, s[6:7]
	s_waitcnt lgkmcnt(0)
	v_sub_u32_e32 v17, v0, v16
.LBB346_113:
	s_or_b64 exec, exec, s[4:5]
	v_mov_b32_e32 v1, 0
	s_waitcnt lgkmcnt(0)
	s_barrier
	s_and_saveexec_b64 s[2:3], vcc
	s_cbranch_execz .LBB346_123
; %bb.114:
	v_lshl_add_u32 v0, s27, 8, v10
	v_lshl_add_u64 v[2:3], v[0:1], 2, s[18:19]
	v_or_b32_e32 v0, 2.0, v17
	s_mov_b64 s[4:5], 0
	s_brev_b32 s10, -4
	s_mov_b32 s11, s27
	v_mov_b32_e32 v36, 0
	global_store_dword v[2:3], v0, off sc1
                                        ; implicit-def: $sgpr6_sgpr7
	s_branch .LBB346_117
.LBB346_115:                            ;   in Loop: Header=BB346_117 Depth=1
	s_or_b64 exec, exec, s[8:9]
.LBB346_116:                            ;   in Loop: Header=BB346_117 Depth=1
	s_or_b64 exec, exec, s[6:7]
	v_and_b32_e32 v4, 0x3fffffff, v0
	v_add_u32_e32 v36, v4, v36
	v_cmp_gt_i32_e64 s[6:7], -2.0, v0
	s_and_b64 s[8:9], exec, s[6:7]
	s_or_b64 s[4:5], s[8:9], s[4:5]
	s_andn2_b64 exec, exec, s[4:5]
	s_cbranch_execz .LBB346_122
.LBB346_117:                            ; =>This Loop Header: Depth=1
                                        ;     Child Loop BB346_120 Depth 2
	s_or_b64 s[6:7], s[6:7], exec
	s_cmp_eq_u32 s11, 0
	s_cbranch_scc1 .LBB346_121
; %bb.118:                              ;   in Loop: Header=BB346_117 Depth=1
	s_add_i32 s11, s11, -1
	v_lshl_or_b32 v0, s11, 8, v10
	v_lshl_add_u64 v[4:5], v[0:1], 2, s[18:19]
	global_load_dword v0, v[4:5], off sc1
	s_waitcnt vmcnt(0)
	v_cmp_gt_u32_e32 vcc, 2.0, v0
	s_and_saveexec_b64 s[6:7], vcc
	s_cbranch_execz .LBB346_116
; %bb.119:                              ;   in Loop: Header=BB346_117 Depth=1
	s_mov_b64 s[8:9], 0
.LBB346_120:                            ;   Parent Loop BB346_117 Depth=1
                                        ; =>  This Inner Loop Header: Depth=2
	global_load_dword v0, v[4:5], off sc1
	s_waitcnt vmcnt(0)
	v_cmp_lt_u32_e32 vcc, s10, v0
	s_or_b64 s[8:9], vcc, s[8:9]
	s_andn2_b64 exec, exec, s[8:9]
	s_cbranch_execnz .LBB346_120
	s_branch .LBB346_115
.LBB346_121:                            ;   in Loop: Header=BB346_117 Depth=1
                                        ; implicit-def: $sgpr11
	s_and_b64 s[8:9], exec, s[6:7]
	s_or_b64 s[4:5], s[8:9], s[4:5]
	s_andn2_b64 exec, exec, s[4:5]
	s_cbranch_execnz .LBB346_117
.LBB346_122:
	s_or_b64 exec, exec, s[4:5]
	v_add_u32_e32 v0, v36, v17
	v_or_b32_e32 v0, 0x80000000, v0
	global_store_dword v[2:3], v0, off sc1
	global_load_dword v0, v24, s[20:21]
	v_sub_u32_e32 v1, v36, v16
	s_waitcnt vmcnt(0)
	v_add_u32_e32 v0, v1, v0
	ds_write_b32 v24, v0
.LBB346_123:
	s_or_b64 exec, exec, s[2:3]
	v_add_u32_e32 v0, v37, v35
	v_add_u32_e32 v1, v34, v32
	;; [unrolled: 1-line block ×8, first 2 shown]
	v_add_lshl_u32 v3, v0, v33, 2
	v_add3_u32 v4, v37, v33, v35
	v_add_lshl_u32 v5, v1, v21, 2
	v_add3_u32 v9, v34, v21, v32
	;; [unrolled: 2-line block ×7, first 2 shown]
	v_lshlrev_b32_e32 v13, 2, v2
	s_mov_b64 s[2:3], -1
	s_mov_b32 s6, 0
	s_movk_i32 s7, 0x1000
	v_mov_b32_e32 v1, 0
	s_movk_i32 s8, 0x400
	s_movk_i32 s9, 0x800
	;; [unrolled: 1-line block ×3, first 2 shown]
	s_mov_b32 s11, 0
	s_branch .LBB346_125
.LBB346_124:                            ;   in Loop: Header=BB346_125 Depth=1
	s_or_b64 exec, exec, s[4:5]
	s_waitcnt lgkmcnt(0)
	s_barrier
	ds_read2st64_b32 v[30:31], v24 offset0:4 offset1:20
	s_xor_b64 s[4:5], s[2:3], -1
	s_addk_i32 s11, 0xc000
	s_addk_i32 s6, 0xf000
	s_mov_b64 s[2:3], 0
	s_waitcnt lgkmcnt(0)
	v_lshrrev_b32_e32 v0, s24, v30
	v_and_b32_e32 v0, s13, v0
	v_lshlrev_b32_e32 v0, 2, v0
	ds_read2st64_b32 v[32:33], v24 offset0:36 offset1:52
	ds_read_b32 v0, v0
	v_lshrrev_b32_e32 v34, s24, v31
	v_and_b32_e32 v34, s13, v34
	v_lshlrev_b32_e32 v34, 2, v34
	s_waitcnt lgkmcnt(1)
	v_lshrrev_b32_e32 v36, s24, v33
	v_lshrrev_b32_e32 v35, s24, v32
	v_and_b32_e32 v36, s13, v36
	v_and_b32_e32 v35, s13, v35
	v_lshlrev_b32_e32 v36, 2, v36
	v_lshlrev_b32_e32 v35, 2, v35
	ds_read_b32 v37, v34
	ds_read_b32 v38, v35
	;; [unrolled: 1-line block ×3, first 2 shown]
	s_waitcnt lgkmcnt(3)
	v_add_u32_e32 v0, v10, v0
	v_xor_b32_e32 v30, 0x7fffffff, v30
	v_lshl_add_u64 v[34:35], v[0:1], 2, s[30:31]
	s_waitcnt lgkmcnt(2)
	v_add3_u32 v0, v10, v37, s8
	global_store_dword v[34:35], v30, off
	v_xor_b32_e32 v34, 0x7fffffff, v31
	v_lshl_add_u64 v[30:31], v[0:1], 2, s[30:31]
	s_waitcnt lgkmcnt(1)
	v_add3_u32 v0, v10, v38, s9
	global_store_dword v[30:31], v34, off
	;; [unrolled: 5-line block ×3, first 2 shown]
	v_xor_b32_e32 v32, 0x7fffffff, v33
	v_lshl_add_u64 v[30:31], v[0:1], 2, s[30:31]
	v_add_u32_e32 v10, 0x1000, v10
	s_and_b64 vcc, exec, s[4:5]
	global_store_dword v[30:31], v32, off
	s_barrier
	s_cbranch_vccnz .LBB346_141
.LBB346_125:                            ; =>This Inner Loop Header: Depth=1
	v_add_u32_e32 v0, s6, v2
	v_cmp_gt_u32_e32 vcc, s7, v0
	s_and_saveexec_b64 s[4:5], vcc
; %bb.126:                              ;   in Loop: Header=BB346_125 Depth=1
	v_add_u32_e32 v0, s11, v13
	ds_write_b32 v0, v6 offset:1024
; %bb.127:                              ;   in Loop: Header=BB346_125 Depth=1
	s_or_b64 exec, exec, s[4:5]
	v_add_u32_e32 v0, s6, v11
	v_cmp_gt_u32_e32 vcc, s7, v0
	s_and_saveexec_b64 s[4:5], vcc
; %bb.128:                              ;   in Loop: Header=BB346_125 Depth=1
	v_add_u32_e32 v0, s11, v18
	ds_write_b32 v0, v7 offset:1024
; %bb.129:                              ;   in Loop: Header=BB346_125 Depth=1
	s_or_b64 exec, exec, s[4:5]
	;; [unrolled: 8-line block ×7, first 2 shown]
	v_add_u32_e32 v0, s6, v4
	v_cmp_gt_u32_e32 vcc, s7, v0
	s_and_saveexec_b64 s[4:5], vcc
	s_cbranch_execz .LBB346_124
; %bb.140:                              ;   in Loop: Header=BB346_125 Depth=1
	v_add_u32_e32 v0, s11, v3
	ds_write_b32 v0, v22 offset:1024
	s_branch .LBB346_124
.LBB346_141:
	s_add_i32 s12, s12, -1
	s_cmp_eq_u32 s27, s12
	s_cselect_b64 s[2:3], -1, 0
	s_xor_b64 s[0:1], s[0:1], -1
	s_and_b64 s[0:1], s[0:1], s[2:3]
	s_and_saveexec_b64 s[2:3], s[0:1]
	s_cbranch_execz .LBB346_143
; %bb.142:
	ds_read_b32 v0, v24
	s_waitcnt lgkmcnt(0)
	v_add3_u32 v0, v16, v17, v0
	global_store_dword v24, v0, s[22:23]
.LBB346_143:
	s_endpgm
	.section	.rodata,"a",@progbits
	.p2align	6, 0x0
	.amdhsa_kernel _ZN7rocprim17ROCPRIM_400000_NS6detail17trampoline_kernelINS0_14default_configENS1_35radix_sort_onesweep_config_selectorIiNS0_10empty_typeEEEZZNS1_29radix_sort_onesweep_iterationIS3_Lb1EN6thrust23THRUST_200600_302600_NS6detail15normal_iteratorINS9_10device_ptrIiEEEESE_PS5_SF_jNS0_19identity_decomposerENS1_16block_id_wrapperIjLb1EEEEE10hipError_tT1_PNSt15iterator_traitsISK_E10value_typeET2_T3_PNSL_ISQ_E10value_typeET4_T5_PSV_SW_PNS1_23onesweep_lookback_stateEbbT6_jjT7_P12ihipStream_tbENKUlT_T0_SK_SP_E_clISE_PiSF_SF_EEDaS13_S14_SK_SP_EUlS13_E_NS1_11comp_targetILNS1_3genE6ELNS1_11target_archE950ELNS1_3gpuE13ELNS1_3repE0EEENS1_47radix_sort_onesweep_sort_config_static_selectorELNS0_4arch9wavefront6targetE1EEEvSK_
		.amdhsa_group_segment_fixed_size 20552
		.amdhsa_private_segment_fixed_size 0
		.amdhsa_kernarg_size 344
		.amdhsa_user_sgpr_count 2
		.amdhsa_user_sgpr_dispatch_ptr 0
		.amdhsa_user_sgpr_queue_ptr 0
		.amdhsa_user_sgpr_kernarg_segment_ptr 1
		.amdhsa_user_sgpr_dispatch_id 0
		.amdhsa_user_sgpr_kernarg_preload_length 0
		.amdhsa_user_sgpr_kernarg_preload_offset 0
		.amdhsa_user_sgpr_private_segment_size 0
		.amdhsa_uses_dynamic_stack 0
		.amdhsa_enable_private_segment 0
		.amdhsa_system_sgpr_workgroup_id_x 1
		.amdhsa_system_sgpr_workgroup_id_y 0
		.amdhsa_system_sgpr_workgroup_id_z 0
		.amdhsa_system_sgpr_workgroup_info 0
		.amdhsa_system_vgpr_workitem_id 2
		.amdhsa_next_free_vgpr 46
		.amdhsa_next_free_sgpr 35
		.amdhsa_accum_offset 48
		.amdhsa_reserve_vcc 1
		.amdhsa_float_round_mode_32 0
		.amdhsa_float_round_mode_16_64 0
		.amdhsa_float_denorm_mode_32 3
		.amdhsa_float_denorm_mode_16_64 3
		.amdhsa_dx10_clamp 1
		.amdhsa_ieee_mode 1
		.amdhsa_fp16_overflow 0
		.amdhsa_tg_split 0
		.amdhsa_exception_fp_ieee_invalid_op 0
		.amdhsa_exception_fp_denorm_src 0
		.amdhsa_exception_fp_ieee_div_zero 0
		.amdhsa_exception_fp_ieee_overflow 0
		.amdhsa_exception_fp_ieee_underflow 0
		.amdhsa_exception_fp_ieee_inexact 0
		.amdhsa_exception_int_div_zero 0
	.end_amdhsa_kernel
	.section	.text._ZN7rocprim17ROCPRIM_400000_NS6detail17trampoline_kernelINS0_14default_configENS1_35radix_sort_onesweep_config_selectorIiNS0_10empty_typeEEEZZNS1_29radix_sort_onesweep_iterationIS3_Lb1EN6thrust23THRUST_200600_302600_NS6detail15normal_iteratorINS9_10device_ptrIiEEEESE_PS5_SF_jNS0_19identity_decomposerENS1_16block_id_wrapperIjLb1EEEEE10hipError_tT1_PNSt15iterator_traitsISK_E10value_typeET2_T3_PNSL_ISQ_E10value_typeET4_T5_PSV_SW_PNS1_23onesweep_lookback_stateEbbT6_jjT7_P12ihipStream_tbENKUlT_T0_SK_SP_E_clISE_PiSF_SF_EEDaS13_S14_SK_SP_EUlS13_E_NS1_11comp_targetILNS1_3genE6ELNS1_11target_archE950ELNS1_3gpuE13ELNS1_3repE0EEENS1_47radix_sort_onesweep_sort_config_static_selectorELNS0_4arch9wavefront6targetE1EEEvSK_,"axG",@progbits,_ZN7rocprim17ROCPRIM_400000_NS6detail17trampoline_kernelINS0_14default_configENS1_35radix_sort_onesweep_config_selectorIiNS0_10empty_typeEEEZZNS1_29radix_sort_onesweep_iterationIS3_Lb1EN6thrust23THRUST_200600_302600_NS6detail15normal_iteratorINS9_10device_ptrIiEEEESE_PS5_SF_jNS0_19identity_decomposerENS1_16block_id_wrapperIjLb1EEEEE10hipError_tT1_PNSt15iterator_traitsISK_E10value_typeET2_T3_PNSL_ISQ_E10value_typeET4_T5_PSV_SW_PNS1_23onesweep_lookback_stateEbbT6_jjT7_P12ihipStream_tbENKUlT_T0_SK_SP_E_clISE_PiSF_SF_EEDaS13_S14_SK_SP_EUlS13_E_NS1_11comp_targetILNS1_3genE6ELNS1_11target_archE950ELNS1_3gpuE13ELNS1_3repE0EEENS1_47radix_sort_onesweep_sort_config_static_selectorELNS0_4arch9wavefront6targetE1EEEvSK_,comdat
.Lfunc_end346:
	.size	_ZN7rocprim17ROCPRIM_400000_NS6detail17trampoline_kernelINS0_14default_configENS1_35radix_sort_onesweep_config_selectorIiNS0_10empty_typeEEEZZNS1_29radix_sort_onesweep_iterationIS3_Lb1EN6thrust23THRUST_200600_302600_NS6detail15normal_iteratorINS9_10device_ptrIiEEEESE_PS5_SF_jNS0_19identity_decomposerENS1_16block_id_wrapperIjLb1EEEEE10hipError_tT1_PNSt15iterator_traitsISK_E10value_typeET2_T3_PNSL_ISQ_E10value_typeET4_T5_PSV_SW_PNS1_23onesweep_lookback_stateEbbT6_jjT7_P12ihipStream_tbENKUlT_T0_SK_SP_E_clISE_PiSF_SF_EEDaS13_S14_SK_SP_EUlS13_E_NS1_11comp_targetILNS1_3genE6ELNS1_11target_archE950ELNS1_3gpuE13ELNS1_3repE0EEENS1_47radix_sort_onesweep_sort_config_static_selectorELNS0_4arch9wavefront6targetE1EEEvSK_, .Lfunc_end346-_ZN7rocprim17ROCPRIM_400000_NS6detail17trampoline_kernelINS0_14default_configENS1_35radix_sort_onesweep_config_selectorIiNS0_10empty_typeEEEZZNS1_29radix_sort_onesweep_iterationIS3_Lb1EN6thrust23THRUST_200600_302600_NS6detail15normal_iteratorINS9_10device_ptrIiEEEESE_PS5_SF_jNS0_19identity_decomposerENS1_16block_id_wrapperIjLb1EEEEE10hipError_tT1_PNSt15iterator_traitsISK_E10value_typeET2_T3_PNSL_ISQ_E10value_typeET4_T5_PSV_SW_PNS1_23onesweep_lookback_stateEbbT6_jjT7_P12ihipStream_tbENKUlT_T0_SK_SP_E_clISE_PiSF_SF_EEDaS13_S14_SK_SP_EUlS13_E_NS1_11comp_targetILNS1_3genE6ELNS1_11target_archE950ELNS1_3gpuE13ELNS1_3repE0EEENS1_47radix_sort_onesweep_sort_config_static_selectorELNS0_4arch9wavefront6targetE1EEEvSK_
                                        ; -- End function
	.set _ZN7rocprim17ROCPRIM_400000_NS6detail17trampoline_kernelINS0_14default_configENS1_35radix_sort_onesweep_config_selectorIiNS0_10empty_typeEEEZZNS1_29radix_sort_onesweep_iterationIS3_Lb1EN6thrust23THRUST_200600_302600_NS6detail15normal_iteratorINS9_10device_ptrIiEEEESE_PS5_SF_jNS0_19identity_decomposerENS1_16block_id_wrapperIjLb1EEEEE10hipError_tT1_PNSt15iterator_traitsISK_E10value_typeET2_T3_PNSL_ISQ_E10value_typeET4_T5_PSV_SW_PNS1_23onesweep_lookback_stateEbbT6_jjT7_P12ihipStream_tbENKUlT_T0_SK_SP_E_clISE_PiSF_SF_EEDaS13_S14_SK_SP_EUlS13_E_NS1_11comp_targetILNS1_3genE6ELNS1_11target_archE950ELNS1_3gpuE13ELNS1_3repE0EEENS1_47radix_sort_onesweep_sort_config_static_selectorELNS0_4arch9wavefront6targetE1EEEvSK_.num_vgpr, 46
	.set _ZN7rocprim17ROCPRIM_400000_NS6detail17trampoline_kernelINS0_14default_configENS1_35radix_sort_onesweep_config_selectorIiNS0_10empty_typeEEEZZNS1_29radix_sort_onesweep_iterationIS3_Lb1EN6thrust23THRUST_200600_302600_NS6detail15normal_iteratorINS9_10device_ptrIiEEEESE_PS5_SF_jNS0_19identity_decomposerENS1_16block_id_wrapperIjLb1EEEEE10hipError_tT1_PNSt15iterator_traitsISK_E10value_typeET2_T3_PNSL_ISQ_E10value_typeET4_T5_PSV_SW_PNS1_23onesweep_lookback_stateEbbT6_jjT7_P12ihipStream_tbENKUlT_T0_SK_SP_E_clISE_PiSF_SF_EEDaS13_S14_SK_SP_EUlS13_E_NS1_11comp_targetILNS1_3genE6ELNS1_11target_archE950ELNS1_3gpuE13ELNS1_3repE0EEENS1_47radix_sort_onesweep_sort_config_static_selectorELNS0_4arch9wavefront6targetE1EEEvSK_.num_agpr, 0
	.set _ZN7rocprim17ROCPRIM_400000_NS6detail17trampoline_kernelINS0_14default_configENS1_35radix_sort_onesweep_config_selectorIiNS0_10empty_typeEEEZZNS1_29radix_sort_onesweep_iterationIS3_Lb1EN6thrust23THRUST_200600_302600_NS6detail15normal_iteratorINS9_10device_ptrIiEEEESE_PS5_SF_jNS0_19identity_decomposerENS1_16block_id_wrapperIjLb1EEEEE10hipError_tT1_PNSt15iterator_traitsISK_E10value_typeET2_T3_PNSL_ISQ_E10value_typeET4_T5_PSV_SW_PNS1_23onesweep_lookback_stateEbbT6_jjT7_P12ihipStream_tbENKUlT_T0_SK_SP_E_clISE_PiSF_SF_EEDaS13_S14_SK_SP_EUlS13_E_NS1_11comp_targetILNS1_3genE6ELNS1_11target_archE950ELNS1_3gpuE13ELNS1_3repE0EEENS1_47radix_sort_onesweep_sort_config_static_selectorELNS0_4arch9wavefront6targetE1EEEvSK_.numbered_sgpr, 35
	.set _ZN7rocprim17ROCPRIM_400000_NS6detail17trampoline_kernelINS0_14default_configENS1_35radix_sort_onesweep_config_selectorIiNS0_10empty_typeEEEZZNS1_29radix_sort_onesweep_iterationIS3_Lb1EN6thrust23THRUST_200600_302600_NS6detail15normal_iteratorINS9_10device_ptrIiEEEESE_PS5_SF_jNS0_19identity_decomposerENS1_16block_id_wrapperIjLb1EEEEE10hipError_tT1_PNSt15iterator_traitsISK_E10value_typeET2_T3_PNSL_ISQ_E10value_typeET4_T5_PSV_SW_PNS1_23onesweep_lookback_stateEbbT6_jjT7_P12ihipStream_tbENKUlT_T0_SK_SP_E_clISE_PiSF_SF_EEDaS13_S14_SK_SP_EUlS13_E_NS1_11comp_targetILNS1_3genE6ELNS1_11target_archE950ELNS1_3gpuE13ELNS1_3repE0EEENS1_47radix_sort_onesweep_sort_config_static_selectorELNS0_4arch9wavefront6targetE1EEEvSK_.num_named_barrier, 0
	.set _ZN7rocprim17ROCPRIM_400000_NS6detail17trampoline_kernelINS0_14default_configENS1_35radix_sort_onesweep_config_selectorIiNS0_10empty_typeEEEZZNS1_29radix_sort_onesweep_iterationIS3_Lb1EN6thrust23THRUST_200600_302600_NS6detail15normal_iteratorINS9_10device_ptrIiEEEESE_PS5_SF_jNS0_19identity_decomposerENS1_16block_id_wrapperIjLb1EEEEE10hipError_tT1_PNSt15iterator_traitsISK_E10value_typeET2_T3_PNSL_ISQ_E10value_typeET4_T5_PSV_SW_PNS1_23onesweep_lookback_stateEbbT6_jjT7_P12ihipStream_tbENKUlT_T0_SK_SP_E_clISE_PiSF_SF_EEDaS13_S14_SK_SP_EUlS13_E_NS1_11comp_targetILNS1_3genE6ELNS1_11target_archE950ELNS1_3gpuE13ELNS1_3repE0EEENS1_47radix_sort_onesweep_sort_config_static_selectorELNS0_4arch9wavefront6targetE1EEEvSK_.private_seg_size, 0
	.set _ZN7rocprim17ROCPRIM_400000_NS6detail17trampoline_kernelINS0_14default_configENS1_35radix_sort_onesweep_config_selectorIiNS0_10empty_typeEEEZZNS1_29radix_sort_onesweep_iterationIS3_Lb1EN6thrust23THRUST_200600_302600_NS6detail15normal_iteratorINS9_10device_ptrIiEEEESE_PS5_SF_jNS0_19identity_decomposerENS1_16block_id_wrapperIjLb1EEEEE10hipError_tT1_PNSt15iterator_traitsISK_E10value_typeET2_T3_PNSL_ISQ_E10value_typeET4_T5_PSV_SW_PNS1_23onesweep_lookback_stateEbbT6_jjT7_P12ihipStream_tbENKUlT_T0_SK_SP_E_clISE_PiSF_SF_EEDaS13_S14_SK_SP_EUlS13_E_NS1_11comp_targetILNS1_3genE6ELNS1_11target_archE950ELNS1_3gpuE13ELNS1_3repE0EEENS1_47radix_sort_onesweep_sort_config_static_selectorELNS0_4arch9wavefront6targetE1EEEvSK_.uses_vcc, 1
	.set _ZN7rocprim17ROCPRIM_400000_NS6detail17trampoline_kernelINS0_14default_configENS1_35radix_sort_onesweep_config_selectorIiNS0_10empty_typeEEEZZNS1_29radix_sort_onesweep_iterationIS3_Lb1EN6thrust23THRUST_200600_302600_NS6detail15normal_iteratorINS9_10device_ptrIiEEEESE_PS5_SF_jNS0_19identity_decomposerENS1_16block_id_wrapperIjLb1EEEEE10hipError_tT1_PNSt15iterator_traitsISK_E10value_typeET2_T3_PNSL_ISQ_E10value_typeET4_T5_PSV_SW_PNS1_23onesweep_lookback_stateEbbT6_jjT7_P12ihipStream_tbENKUlT_T0_SK_SP_E_clISE_PiSF_SF_EEDaS13_S14_SK_SP_EUlS13_E_NS1_11comp_targetILNS1_3genE6ELNS1_11target_archE950ELNS1_3gpuE13ELNS1_3repE0EEENS1_47radix_sort_onesweep_sort_config_static_selectorELNS0_4arch9wavefront6targetE1EEEvSK_.uses_flat_scratch, 0
	.set _ZN7rocprim17ROCPRIM_400000_NS6detail17trampoline_kernelINS0_14default_configENS1_35radix_sort_onesweep_config_selectorIiNS0_10empty_typeEEEZZNS1_29radix_sort_onesweep_iterationIS3_Lb1EN6thrust23THRUST_200600_302600_NS6detail15normal_iteratorINS9_10device_ptrIiEEEESE_PS5_SF_jNS0_19identity_decomposerENS1_16block_id_wrapperIjLb1EEEEE10hipError_tT1_PNSt15iterator_traitsISK_E10value_typeET2_T3_PNSL_ISQ_E10value_typeET4_T5_PSV_SW_PNS1_23onesweep_lookback_stateEbbT6_jjT7_P12ihipStream_tbENKUlT_T0_SK_SP_E_clISE_PiSF_SF_EEDaS13_S14_SK_SP_EUlS13_E_NS1_11comp_targetILNS1_3genE6ELNS1_11target_archE950ELNS1_3gpuE13ELNS1_3repE0EEENS1_47radix_sort_onesweep_sort_config_static_selectorELNS0_4arch9wavefront6targetE1EEEvSK_.has_dyn_sized_stack, 0
	.set _ZN7rocprim17ROCPRIM_400000_NS6detail17trampoline_kernelINS0_14default_configENS1_35radix_sort_onesweep_config_selectorIiNS0_10empty_typeEEEZZNS1_29radix_sort_onesweep_iterationIS3_Lb1EN6thrust23THRUST_200600_302600_NS6detail15normal_iteratorINS9_10device_ptrIiEEEESE_PS5_SF_jNS0_19identity_decomposerENS1_16block_id_wrapperIjLb1EEEEE10hipError_tT1_PNSt15iterator_traitsISK_E10value_typeET2_T3_PNSL_ISQ_E10value_typeET4_T5_PSV_SW_PNS1_23onesweep_lookback_stateEbbT6_jjT7_P12ihipStream_tbENKUlT_T0_SK_SP_E_clISE_PiSF_SF_EEDaS13_S14_SK_SP_EUlS13_E_NS1_11comp_targetILNS1_3genE6ELNS1_11target_archE950ELNS1_3gpuE13ELNS1_3repE0EEENS1_47radix_sort_onesweep_sort_config_static_selectorELNS0_4arch9wavefront6targetE1EEEvSK_.has_recursion, 0
	.set _ZN7rocprim17ROCPRIM_400000_NS6detail17trampoline_kernelINS0_14default_configENS1_35radix_sort_onesweep_config_selectorIiNS0_10empty_typeEEEZZNS1_29radix_sort_onesweep_iterationIS3_Lb1EN6thrust23THRUST_200600_302600_NS6detail15normal_iteratorINS9_10device_ptrIiEEEESE_PS5_SF_jNS0_19identity_decomposerENS1_16block_id_wrapperIjLb1EEEEE10hipError_tT1_PNSt15iterator_traitsISK_E10value_typeET2_T3_PNSL_ISQ_E10value_typeET4_T5_PSV_SW_PNS1_23onesweep_lookback_stateEbbT6_jjT7_P12ihipStream_tbENKUlT_T0_SK_SP_E_clISE_PiSF_SF_EEDaS13_S14_SK_SP_EUlS13_E_NS1_11comp_targetILNS1_3genE6ELNS1_11target_archE950ELNS1_3gpuE13ELNS1_3repE0EEENS1_47radix_sort_onesweep_sort_config_static_selectorELNS0_4arch9wavefront6targetE1EEEvSK_.has_indirect_call, 0
	.section	.AMDGPU.csdata,"",@progbits
; Kernel info:
; codeLenInByte = 11324
; TotalNumSgprs: 41
; NumVgprs: 46
; NumAgprs: 0
; TotalNumVgprs: 46
; ScratchSize: 0
; MemoryBound: 0
; FloatMode: 240
; IeeeMode: 1
; LDSByteSize: 20552 bytes/workgroup (compile time only)
; SGPRBlocks: 5
; VGPRBlocks: 5
; NumSGPRsForWavesPerEU: 41
; NumVGPRsForWavesPerEU: 46
; AccumOffset: 48
; Occupancy: 8
; WaveLimiterHint : 1
; COMPUTE_PGM_RSRC2:SCRATCH_EN: 0
; COMPUTE_PGM_RSRC2:USER_SGPR: 2
; COMPUTE_PGM_RSRC2:TRAP_HANDLER: 0
; COMPUTE_PGM_RSRC2:TGID_X_EN: 1
; COMPUTE_PGM_RSRC2:TGID_Y_EN: 0
; COMPUTE_PGM_RSRC2:TGID_Z_EN: 0
; COMPUTE_PGM_RSRC2:TIDIG_COMP_CNT: 2
; COMPUTE_PGM_RSRC3_GFX90A:ACCUM_OFFSET: 11
; COMPUTE_PGM_RSRC3_GFX90A:TG_SPLIT: 0
	.section	.text._ZN7rocprim17ROCPRIM_400000_NS6detail17trampoline_kernelINS0_14default_configENS1_35radix_sort_onesweep_config_selectorIiNS0_10empty_typeEEEZZNS1_29radix_sort_onesweep_iterationIS3_Lb1EN6thrust23THRUST_200600_302600_NS6detail15normal_iteratorINS9_10device_ptrIiEEEESE_PS5_SF_jNS0_19identity_decomposerENS1_16block_id_wrapperIjLb1EEEEE10hipError_tT1_PNSt15iterator_traitsISK_E10value_typeET2_T3_PNSL_ISQ_E10value_typeET4_T5_PSV_SW_PNS1_23onesweep_lookback_stateEbbT6_jjT7_P12ihipStream_tbENKUlT_T0_SK_SP_E_clISE_PiSF_SF_EEDaS13_S14_SK_SP_EUlS13_E_NS1_11comp_targetILNS1_3genE5ELNS1_11target_archE942ELNS1_3gpuE9ELNS1_3repE0EEENS1_47radix_sort_onesweep_sort_config_static_selectorELNS0_4arch9wavefront6targetE1EEEvSK_,"axG",@progbits,_ZN7rocprim17ROCPRIM_400000_NS6detail17trampoline_kernelINS0_14default_configENS1_35radix_sort_onesweep_config_selectorIiNS0_10empty_typeEEEZZNS1_29radix_sort_onesweep_iterationIS3_Lb1EN6thrust23THRUST_200600_302600_NS6detail15normal_iteratorINS9_10device_ptrIiEEEESE_PS5_SF_jNS0_19identity_decomposerENS1_16block_id_wrapperIjLb1EEEEE10hipError_tT1_PNSt15iterator_traitsISK_E10value_typeET2_T3_PNSL_ISQ_E10value_typeET4_T5_PSV_SW_PNS1_23onesweep_lookback_stateEbbT6_jjT7_P12ihipStream_tbENKUlT_T0_SK_SP_E_clISE_PiSF_SF_EEDaS13_S14_SK_SP_EUlS13_E_NS1_11comp_targetILNS1_3genE5ELNS1_11target_archE942ELNS1_3gpuE9ELNS1_3repE0EEENS1_47radix_sort_onesweep_sort_config_static_selectorELNS0_4arch9wavefront6targetE1EEEvSK_,comdat
	.protected	_ZN7rocprim17ROCPRIM_400000_NS6detail17trampoline_kernelINS0_14default_configENS1_35radix_sort_onesweep_config_selectorIiNS0_10empty_typeEEEZZNS1_29radix_sort_onesweep_iterationIS3_Lb1EN6thrust23THRUST_200600_302600_NS6detail15normal_iteratorINS9_10device_ptrIiEEEESE_PS5_SF_jNS0_19identity_decomposerENS1_16block_id_wrapperIjLb1EEEEE10hipError_tT1_PNSt15iterator_traitsISK_E10value_typeET2_T3_PNSL_ISQ_E10value_typeET4_T5_PSV_SW_PNS1_23onesweep_lookback_stateEbbT6_jjT7_P12ihipStream_tbENKUlT_T0_SK_SP_E_clISE_PiSF_SF_EEDaS13_S14_SK_SP_EUlS13_E_NS1_11comp_targetILNS1_3genE5ELNS1_11target_archE942ELNS1_3gpuE9ELNS1_3repE0EEENS1_47radix_sort_onesweep_sort_config_static_selectorELNS0_4arch9wavefront6targetE1EEEvSK_ ; -- Begin function _ZN7rocprim17ROCPRIM_400000_NS6detail17trampoline_kernelINS0_14default_configENS1_35radix_sort_onesweep_config_selectorIiNS0_10empty_typeEEEZZNS1_29radix_sort_onesweep_iterationIS3_Lb1EN6thrust23THRUST_200600_302600_NS6detail15normal_iteratorINS9_10device_ptrIiEEEESE_PS5_SF_jNS0_19identity_decomposerENS1_16block_id_wrapperIjLb1EEEEE10hipError_tT1_PNSt15iterator_traitsISK_E10value_typeET2_T3_PNSL_ISQ_E10value_typeET4_T5_PSV_SW_PNS1_23onesweep_lookback_stateEbbT6_jjT7_P12ihipStream_tbENKUlT_T0_SK_SP_E_clISE_PiSF_SF_EEDaS13_S14_SK_SP_EUlS13_E_NS1_11comp_targetILNS1_3genE5ELNS1_11target_archE942ELNS1_3gpuE9ELNS1_3repE0EEENS1_47radix_sort_onesweep_sort_config_static_selectorELNS0_4arch9wavefront6targetE1EEEvSK_
	.globl	_ZN7rocprim17ROCPRIM_400000_NS6detail17trampoline_kernelINS0_14default_configENS1_35radix_sort_onesweep_config_selectorIiNS0_10empty_typeEEEZZNS1_29radix_sort_onesweep_iterationIS3_Lb1EN6thrust23THRUST_200600_302600_NS6detail15normal_iteratorINS9_10device_ptrIiEEEESE_PS5_SF_jNS0_19identity_decomposerENS1_16block_id_wrapperIjLb1EEEEE10hipError_tT1_PNSt15iterator_traitsISK_E10value_typeET2_T3_PNSL_ISQ_E10value_typeET4_T5_PSV_SW_PNS1_23onesweep_lookback_stateEbbT6_jjT7_P12ihipStream_tbENKUlT_T0_SK_SP_E_clISE_PiSF_SF_EEDaS13_S14_SK_SP_EUlS13_E_NS1_11comp_targetILNS1_3genE5ELNS1_11target_archE942ELNS1_3gpuE9ELNS1_3repE0EEENS1_47radix_sort_onesweep_sort_config_static_selectorELNS0_4arch9wavefront6targetE1EEEvSK_
	.p2align	8
	.type	_ZN7rocprim17ROCPRIM_400000_NS6detail17trampoline_kernelINS0_14default_configENS1_35radix_sort_onesweep_config_selectorIiNS0_10empty_typeEEEZZNS1_29radix_sort_onesweep_iterationIS3_Lb1EN6thrust23THRUST_200600_302600_NS6detail15normal_iteratorINS9_10device_ptrIiEEEESE_PS5_SF_jNS0_19identity_decomposerENS1_16block_id_wrapperIjLb1EEEEE10hipError_tT1_PNSt15iterator_traitsISK_E10value_typeET2_T3_PNSL_ISQ_E10value_typeET4_T5_PSV_SW_PNS1_23onesweep_lookback_stateEbbT6_jjT7_P12ihipStream_tbENKUlT_T0_SK_SP_E_clISE_PiSF_SF_EEDaS13_S14_SK_SP_EUlS13_E_NS1_11comp_targetILNS1_3genE5ELNS1_11target_archE942ELNS1_3gpuE9ELNS1_3repE0EEENS1_47radix_sort_onesweep_sort_config_static_selectorELNS0_4arch9wavefront6targetE1EEEvSK_,@function
_ZN7rocprim17ROCPRIM_400000_NS6detail17trampoline_kernelINS0_14default_configENS1_35radix_sort_onesweep_config_selectorIiNS0_10empty_typeEEEZZNS1_29radix_sort_onesweep_iterationIS3_Lb1EN6thrust23THRUST_200600_302600_NS6detail15normal_iteratorINS9_10device_ptrIiEEEESE_PS5_SF_jNS0_19identity_decomposerENS1_16block_id_wrapperIjLb1EEEEE10hipError_tT1_PNSt15iterator_traitsISK_E10value_typeET2_T3_PNSL_ISQ_E10value_typeET4_T5_PSV_SW_PNS1_23onesweep_lookback_stateEbbT6_jjT7_P12ihipStream_tbENKUlT_T0_SK_SP_E_clISE_PiSF_SF_EEDaS13_S14_SK_SP_EUlS13_E_NS1_11comp_targetILNS1_3genE5ELNS1_11target_archE942ELNS1_3gpuE9ELNS1_3repE0EEENS1_47radix_sort_onesweep_sort_config_static_selectorELNS0_4arch9wavefront6targetE1EEEvSK_: ; @_ZN7rocprim17ROCPRIM_400000_NS6detail17trampoline_kernelINS0_14default_configENS1_35radix_sort_onesweep_config_selectorIiNS0_10empty_typeEEEZZNS1_29radix_sort_onesweep_iterationIS3_Lb1EN6thrust23THRUST_200600_302600_NS6detail15normal_iteratorINS9_10device_ptrIiEEEESE_PS5_SF_jNS0_19identity_decomposerENS1_16block_id_wrapperIjLb1EEEEE10hipError_tT1_PNSt15iterator_traitsISK_E10value_typeET2_T3_PNSL_ISQ_E10value_typeET4_T5_PSV_SW_PNS1_23onesweep_lookback_stateEbbT6_jjT7_P12ihipStream_tbENKUlT_T0_SK_SP_E_clISE_PiSF_SF_EEDaS13_S14_SK_SP_EUlS13_E_NS1_11comp_targetILNS1_3genE5ELNS1_11target_archE942ELNS1_3gpuE9ELNS1_3repE0EEENS1_47radix_sort_onesweep_sort_config_static_selectorELNS0_4arch9wavefront6targetE1EEEvSK_
; %bb.0:
	.section	.rodata,"a",@progbits
	.p2align	6, 0x0
	.amdhsa_kernel _ZN7rocprim17ROCPRIM_400000_NS6detail17trampoline_kernelINS0_14default_configENS1_35radix_sort_onesweep_config_selectorIiNS0_10empty_typeEEEZZNS1_29radix_sort_onesweep_iterationIS3_Lb1EN6thrust23THRUST_200600_302600_NS6detail15normal_iteratorINS9_10device_ptrIiEEEESE_PS5_SF_jNS0_19identity_decomposerENS1_16block_id_wrapperIjLb1EEEEE10hipError_tT1_PNSt15iterator_traitsISK_E10value_typeET2_T3_PNSL_ISQ_E10value_typeET4_T5_PSV_SW_PNS1_23onesweep_lookback_stateEbbT6_jjT7_P12ihipStream_tbENKUlT_T0_SK_SP_E_clISE_PiSF_SF_EEDaS13_S14_SK_SP_EUlS13_E_NS1_11comp_targetILNS1_3genE5ELNS1_11target_archE942ELNS1_3gpuE9ELNS1_3repE0EEENS1_47radix_sort_onesweep_sort_config_static_selectorELNS0_4arch9wavefront6targetE1EEEvSK_
		.amdhsa_group_segment_fixed_size 0
		.amdhsa_private_segment_fixed_size 0
		.amdhsa_kernarg_size 88
		.amdhsa_user_sgpr_count 2
		.amdhsa_user_sgpr_dispatch_ptr 0
		.amdhsa_user_sgpr_queue_ptr 0
		.amdhsa_user_sgpr_kernarg_segment_ptr 1
		.amdhsa_user_sgpr_dispatch_id 0
		.amdhsa_user_sgpr_kernarg_preload_length 0
		.amdhsa_user_sgpr_kernarg_preload_offset 0
		.amdhsa_user_sgpr_private_segment_size 0
		.amdhsa_uses_dynamic_stack 0
		.amdhsa_enable_private_segment 0
		.amdhsa_system_sgpr_workgroup_id_x 1
		.amdhsa_system_sgpr_workgroup_id_y 0
		.amdhsa_system_sgpr_workgroup_id_z 0
		.amdhsa_system_sgpr_workgroup_info 0
		.amdhsa_system_vgpr_workitem_id 0
		.amdhsa_next_free_vgpr 1
		.amdhsa_next_free_sgpr 0
		.amdhsa_accum_offset 4
		.amdhsa_reserve_vcc 0
		.amdhsa_float_round_mode_32 0
		.amdhsa_float_round_mode_16_64 0
		.amdhsa_float_denorm_mode_32 3
		.amdhsa_float_denorm_mode_16_64 3
		.amdhsa_dx10_clamp 1
		.amdhsa_ieee_mode 1
		.amdhsa_fp16_overflow 0
		.amdhsa_tg_split 0
		.amdhsa_exception_fp_ieee_invalid_op 0
		.amdhsa_exception_fp_denorm_src 0
		.amdhsa_exception_fp_ieee_div_zero 0
		.amdhsa_exception_fp_ieee_overflow 0
		.amdhsa_exception_fp_ieee_underflow 0
		.amdhsa_exception_fp_ieee_inexact 0
		.amdhsa_exception_int_div_zero 0
	.end_amdhsa_kernel
	.section	.text._ZN7rocprim17ROCPRIM_400000_NS6detail17trampoline_kernelINS0_14default_configENS1_35radix_sort_onesweep_config_selectorIiNS0_10empty_typeEEEZZNS1_29radix_sort_onesweep_iterationIS3_Lb1EN6thrust23THRUST_200600_302600_NS6detail15normal_iteratorINS9_10device_ptrIiEEEESE_PS5_SF_jNS0_19identity_decomposerENS1_16block_id_wrapperIjLb1EEEEE10hipError_tT1_PNSt15iterator_traitsISK_E10value_typeET2_T3_PNSL_ISQ_E10value_typeET4_T5_PSV_SW_PNS1_23onesweep_lookback_stateEbbT6_jjT7_P12ihipStream_tbENKUlT_T0_SK_SP_E_clISE_PiSF_SF_EEDaS13_S14_SK_SP_EUlS13_E_NS1_11comp_targetILNS1_3genE5ELNS1_11target_archE942ELNS1_3gpuE9ELNS1_3repE0EEENS1_47radix_sort_onesweep_sort_config_static_selectorELNS0_4arch9wavefront6targetE1EEEvSK_,"axG",@progbits,_ZN7rocprim17ROCPRIM_400000_NS6detail17trampoline_kernelINS0_14default_configENS1_35radix_sort_onesweep_config_selectorIiNS0_10empty_typeEEEZZNS1_29radix_sort_onesweep_iterationIS3_Lb1EN6thrust23THRUST_200600_302600_NS6detail15normal_iteratorINS9_10device_ptrIiEEEESE_PS5_SF_jNS0_19identity_decomposerENS1_16block_id_wrapperIjLb1EEEEE10hipError_tT1_PNSt15iterator_traitsISK_E10value_typeET2_T3_PNSL_ISQ_E10value_typeET4_T5_PSV_SW_PNS1_23onesweep_lookback_stateEbbT6_jjT7_P12ihipStream_tbENKUlT_T0_SK_SP_E_clISE_PiSF_SF_EEDaS13_S14_SK_SP_EUlS13_E_NS1_11comp_targetILNS1_3genE5ELNS1_11target_archE942ELNS1_3gpuE9ELNS1_3repE0EEENS1_47radix_sort_onesweep_sort_config_static_selectorELNS0_4arch9wavefront6targetE1EEEvSK_,comdat
.Lfunc_end347:
	.size	_ZN7rocprim17ROCPRIM_400000_NS6detail17trampoline_kernelINS0_14default_configENS1_35radix_sort_onesweep_config_selectorIiNS0_10empty_typeEEEZZNS1_29radix_sort_onesweep_iterationIS3_Lb1EN6thrust23THRUST_200600_302600_NS6detail15normal_iteratorINS9_10device_ptrIiEEEESE_PS5_SF_jNS0_19identity_decomposerENS1_16block_id_wrapperIjLb1EEEEE10hipError_tT1_PNSt15iterator_traitsISK_E10value_typeET2_T3_PNSL_ISQ_E10value_typeET4_T5_PSV_SW_PNS1_23onesweep_lookback_stateEbbT6_jjT7_P12ihipStream_tbENKUlT_T0_SK_SP_E_clISE_PiSF_SF_EEDaS13_S14_SK_SP_EUlS13_E_NS1_11comp_targetILNS1_3genE5ELNS1_11target_archE942ELNS1_3gpuE9ELNS1_3repE0EEENS1_47radix_sort_onesweep_sort_config_static_selectorELNS0_4arch9wavefront6targetE1EEEvSK_, .Lfunc_end347-_ZN7rocprim17ROCPRIM_400000_NS6detail17trampoline_kernelINS0_14default_configENS1_35radix_sort_onesweep_config_selectorIiNS0_10empty_typeEEEZZNS1_29radix_sort_onesweep_iterationIS3_Lb1EN6thrust23THRUST_200600_302600_NS6detail15normal_iteratorINS9_10device_ptrIiEEEESE_PS5_SF_jNS0_19identity_decomposerENS1_16block_id_wrapperIjLb1EEEEE10hipError_tT1_PNSt15iterator_traitsISK_E10value_typeET2_T3_PNSL_ISQ_E10value_typeET4_T5_PSV_SW_PNS1_23onesweep_lookback_stateEbbT6_jjT7_P12ihipStream_tbENKUlT_T0_SK_SP_E_clISE_PiSF_SF_EEDaS13_S14_SK_SP_EUlS13_E_NS1_11comp_targetILNS1_3genE5ELNS1_11target_archE942ELNS1_3gpuE9ELNS1_3repE0EEENS1_47radix_sort_onesweep_sort_config_static_selectorELNS0_4arch9wavefront6targetE1EEEvSK_
                                        ; -- End function
	.set _ZN7rocprim17ROCPRIM_400000_NS6detail17trampoline_kernelINS0_14default_configENS1_35radix_sort_onesweep_config_selectorIiNS0_10empty_typeEEEZZNS1_29radix_sort_onesweep_iterationIS3_Lb1EN6thrust23THRUST_200600_302600_NS6detail15normal_iteratorINS9_10device_ptrIiEEEESE_PS5_SF_jNS0_19identity_decomposerENS1_16block_id_wrapperIjLb1EEEEE10hipError_tT1_PNSt15iterator_traitsISK_E10value_typeET2_T3_PNSL_ISQ_E10value_typeET4_T5_PSV_SW_PNS1_23onesweep_lookback_stateEbbT6_jjT7_P12ihipStream_tbENKUlT_T0_SK_SP_E_clISE_PiSF_SF_EEDaS13_S14_SK_SP_EUlS13_E_NS1_11comp_targetILNS1_3genE5ELNS1_11target_archE942ELNS1_3gpuE9ELNS1_3repE0EEENS1_47radix_sort_onesweep_sort_config_static_selectorELNS0_4arch9wavefront6targetE1EEEvSK_.num_vgpr, 0
	.set _ZN7rocprim17ROCPRIM_400000_NS6detail17trampoline_kernelINS0_14default_configENS1_35radix_sort_onesweep_config_selectorIiNS0_10empty_typeEEEZZNS1_29radix_sort_onesweep_iterationIS3_Lb1EN6thrust23THRUST_200600_302600_NS6detail15normal_iteratorINS9_10device_ptrIiEEEESE_PS5_SF_jNS0_19identity_decomposerENS1_16block_id_wrapperIjLb1EEEEE10hipError_tT1_PNSt15iterator_traitsISK_E10value_typeET2_T3_PNSL_ISQ_E10value_typeET4_T5_PSV_SW_PNS1_23onesweep_lookback_stateEbbT6_jjT7_P12ihipStream_tbENKUlT_T0_SK_SP_E_clISE_PiSF_SF_EEDaS13_S14_SK_SP_EUlS13_E_NS1_11comp_targetILNS1_3genE5ELNS1_11target_archE942ELNS1_3gpuE9ELNS1_3repE0EEENS1_47radix_sort_onesweep_sort_config_static_selectorELNS0_4arch9wavefront6targetE1EEEvSK_.num_agpr, 0
	.set _ZN7rocprim17ROCPRIM_400000_NS6detail17trampoline_kernelINS0_14default_configENS1_35radix_sort_onesweep_config_selectorIiNS0_10empty_typeEEEZZNS1_29radix_sort_onesweep_iterationIS3_Lb1EN6thrust23THRUST_200600_302600_NS6detail15normal_iteratorINS9_10device_ptrIiEEEESE_PS5_SF_jNS0_19identity_decomposerENS1_16block_id_wrapperIjLb1EEEEE10hipError_tT1_PNSt15iterator_traitsISK_E10value_typeET2_T3_PNSL_ISQ_E10value_typeET4_T5_PSV_SW_PNS1_23onesweep_lookback_stateEbbT6_jjT7_P12ihipStream_tbENKUlT_T0_SK_SP_E_clISE_PiSF_SF_EEDaS13_S14_SK_SP_EUlS13_E_NS1_11comp_targetILNS1_3genE5ELNS1_11target_archE942ELNS1_3gpuE9ELNS1_3repE0EEENS1_47radix_sort_onesweep_sort_config_static_selectorELNS0_4arch9wavefront6targetE1EEEvSK_.numbered_sgpr, 0
	.set _ZN7rocprim17ROCPRIM_400000_NS6detail17trampoline_kernelINS0_14default_configENS1_35radix_sort_onesweep_config_selectorIiNS0_10empty_typeEEEZZNS1_29radix_sort_onesweep_iterationIS3_Lb1EN6thrust23THRUST_200600_302600_NS6detail15normal_iteratorINS9_10device_ptrIiEEEESE_PS5_SF_jNS0_19identity_decomposerENS1_16block_id_wrapperIjLb1EEEEE10hipError_tT1_PNSt15iterator_traitsISK_E10value_typeET2_T3_PNSL_ISQ_E10value_typeET4_T5_PSV_SW_PNS1_23onesweep_lookback_stateEbbT6_jjT7_P12ihipStream_tbENKUlT_T0_SK_SP_E_clISE_PiSF_SF_EEDaS13_S14_SK_SP_EUlS13_E_NS1_11comp_targetILNS1_3genE5ELNS1_11target_archE942ELNS1_3gpuE9ELNS1_3repE0EEENS1_47radix_sort_onesweep_sort_config_static_selectorELNS0_4arch9wavefront6targetE1EEEvSK_.num_named_barrier, 0
	.set _ZN7rocprim17ROCPRIM_400000_NS6detail17trampoline_kernelINS0_14default_configENS1_35radix_sort_onesweep_config_selectorIiNS0_10empty_typeEEEZZNS1_29radix_sort_onesweep_iterationIS3_Lb1EN6thrust23THRUST_200600_302600_NS6detail15normal_iteratorINS9_10device_ptrIiEEEESE_PS5_SF_jNS0_19identity_decomposerENS1_16block_id_wrapperIjLb1EEEEE10hipError_tT1_PNSt15iterator_traitsISK_E10value_typeET2_T3_PNSL_ISQ_E10value_typeET4_T5_PSV_SW_PNS1_23onesweep_lookback_stateEbbT6_jjT7_P12ihipStream_tbENKUlT_T0_SK_SP_E_clISE_PiSF_SF_EEDaS13_S14_SK_SP_EUlS13_E_NS1_11comp_targetILNS1_3genE5ELNS1_11target_archE942ELNS1_3gpuE9ELNS1_3repE0EEENS1_47radix_sort_onesweep_sort_config_static_selectorELNS0_4arch9wavefront6targetE1EEEvSK_.private_seg_size, 0
	.set _ZN7rocprim17ROCPRIM_400000_NS6detail17trampoline_kernelINS0_14default_configENS1_35radix_sort_onesweep_config_selectorIiNS0_10empty_typeEEEZZNS1_29radix_sort_onesweep_iterationIS3_Lb1EN6thrust23THRUST_200600_302600_NS6detail15normal_iteratorINS9_10device_ptrIiEEEESE_PS5_SF_jNS0_19identity_decomposerENS1_16block_id_wrapperIjLb1EEEEE10hipError_tT1_PNSt15iterator_traitsISK_E10value_typeET2_T3_PNSL_ISQ_E10value_typeET4_T5_PSV_SW_PNS1_23onesweep_lookback_stateEbbT6_jjT7_P12ihipStream_tbENKUlT_T0_SK_SP_E_clISE_PiSF_SF_EEDaS13_S14_SK_SP_EUlS13_E_NS1_11comp_targetILNS1_3genE5ELNS1_11target_archE942ELNS1_3gpuE9ELNS1_3repE0EEENS1_47radix_sort_onesweep_sort_config_static_selectorELNS0_4arch9wavefront6targetE1EEEvSK_.uses_vcc, 0
	.set _ZN7rocprim17ROCPRIM_400000_NS6detail17trampoline_kernelINS0_14default_configENS1_35radix_sort_onesweep_config_selectorIiNS0_10empty_typeEEEZZNS1_29radix_sort_onesweep_iterationIS3_Lb1EN6thrust23THRUST_200600_302600_NS6detail15normal_iteratorINS9_10device_ptrIiEEEESE_PS5_SF_jNS0_19identity_decomposerENS1_16block_id_wrapperIjLb1EEEEE10hipError_tT1_PNSt15iterator_traitsISK_E10value_typeET2_T3_PNSL_ISQ_E10value_typeET4_T5_PSV_SW_PNS1_23onesweep_lookback_stateEbbT6_jjT7_P12ihipStream_tbENKUlT_T0_SK_SP_E_clISE_PiSF_SF_EEDaS13_S14_SK_SP_EUlS13_E_NS1_11comp_targetILNS1_3genE5ELNS1_11target_archE942ELNS1_3gpuE9ELNS1_3repE0EEENS1_47radix_sort_onesweep_sort_config_static_selectorELNS0_4arch9wavefront6targetE1EEEvSK_.uses_flat_scratch, 0
	.set _ZN7rocprim17ROCPRIM_400000_NS6detail17trampoline_kernelINS0_14default_configENS1_35radix_sort_onesweep_config_selectorIiNS0_10empty_typeEEEZZNS1_29radix_sort_onesweep_iterationIS3_Lb1EN6thrust23THRUST_200600_302600_NS6detail15normal_iteratorINS9_10device_ptrIiEEEESE_PS5_SF_jNS0_19identity_decomposerENS1_16block_id_wrapperIjLb1EEEEE10hipError_tT1_PNSt15iterator_traitsISK_E10value_typeET2_T3_PNSL_ISQ_E10value_typeET4_T5_PSV_SW_PNS1_23onesweep_lookback_stateEbbT6_jjT7_P12ihipStream_tbENKUlT_T0_SK_SP_E_clISE_PiSF_SF_EEDaS13_S14_SK_SP_EUlS13_E_NS1_11comp_targetILNS1_3genE5ELNS1_11target_archE942ELNS1_3gpuE9ELNS1_3repE0EEENS1_47radix_sort_onesweep_sort_config_static_selectorELNS0_4arch9wavefront6targetE1EEEvSK_.has_dyn_sized_stack, 0
	.set _ZN7rocprim17ROCPRIM_400000_NS6detail17trampoline_kernelINS0_14default_configENS1_35radix_sort_onesweep_config_selectorIiNS0_10empty_typeEEEZZNS1_29radix_sort_onesweep_iterationIS3_Lb1EN6thrust23THRUST_200600_302600_NS6detail15normal_iteratorINS9_10device_ptrIiEEEESE_PS5_SF_jNS0_19identity_decomposerENS1_16block_id_wrapperIjLb1EEEEE10hipError_tT1_PNSt15iterator_traitsISK_E10value_typeET2_T3_PNSL_ISQ_E10value_typeET4_T5_PSV_SW_PNS1_23onesweep_lookback_stateEbbT6_jjT7_P12ihipStream_tbENKUlT_T0_SK_SP_E_clISE_PiSF_SF_EEDaS13_S14_SK_SP_EUlS13_E_NS1_11comp_targetILNS1_3genE5ELNS1_11target_archE942ELNS1_3gpuE9ELNS1_3repE0EEENS1_47radix_sort_onesweep_sort_config_static_selectorELNS0_4arch9wavefront6targetE1EEEvSK_.has_recursion, 0
	.set _ZN7rocprim17ROCPRIM_400000_NS6detail17trampoline_kernelINS0_14default_configENS1_35radix_sort_onesweep_config_selectorIiNS0_10empty_typeEEEZZNS1_29radix_sort_onesweep_iterationIS3_Lb1EN6thrust23THRUST_200600_302600_NS6detail15normal_iteratorINS9_10device_ptrIiEEEESE_PS5_SF_jNS0_19identity_decomposerENS1_16block_id_wrapperIjLb1EEEEE10hipError_tT1_PNSt15iterator_traitsISK_E10value_typeET2_T3_PNSL_ISQ_E10value_typeET4_T5_PSV_SW_PNS1_23onesweep_lookback_stateEbbT6_jjT7_P12ihipStream_tbENKUlT_T0_SK_SP_E_clISE_PiSF_SF_EEDaS13_S14_SK_SP_EUlS13_E_NS1_11comp_targetILNS1_3genE5ELNS1_11target_archE942ELNS1_3gpuE9ELNS1_3repE0EEENS1_47radix_sort_onesweep_sort_config_static_selectorELNS0_4arch9wavefront6targetE1EEEvSK_.has_indirect_call, 0
	.section	.AMDGPU.csdata,"",@progbits
; Kernel info:
; codeLenInByte = 0
; TotalNumSgprs: 6
; NumVgprs: 0
; NumAgprs: 0
; TotalNumVgprs: 0
; ScratchSize: 0
; MemoryBound: 0
; FloatMode: 240
; IeeeMode: 1
; LDSByteSize: 0 bytes/workgroup (compile time only)
; SGPRBlocks: 0
; VGPRBlocks: 0
; NumSGPRsForWavesPerEU: 6
; NumVGPRsForWavesPerEU: 1
; AccumOffset: 4
; Occupancy: 8
; WaveLimiterHint : 0
; COMPUTE_PGM_RSRC2:SCRATCH_EN: 0
; COMPUTE_PGM_RSRC2:USER_SGPR: 2
; COMPUTE_PGM_RSRC2:TRAP_HANDLER: 0
; COMPUTE_PGM_RSRC2:TGID_X_EN: 1
; COMPUTE_PGM_RSRC2:TGID_Y_EN: 0
; COMPUTE_PGM_RSRC2:TGID_Z_EN: 0
; COMPUTE_PGM_RSRC2:TIDIG_COMP_CNT: 0
; COMPUTE_PGM_RSRC3_GFX90A:ACCUM_OFFSET: 0
; COMPUTE_PGM_RSRC3_GFX90A:TG_SPLIT: 0
	.section	.text._ZN7rocprim17ROCPRIM_400000_NS6detail17trampoline_kernelINS0_14default_configENS1_35radix_sort_onesweep_config_selectorIiNS0_10empty_typeEEEZZNS1_29radix_sort_onesweep_iterationIS3_Lb1EN6thrust23THRUST_200600_302600_NS6detail15normal_iteratorINS9_10device_ptrIiEEEESE_PS5_SF_jNS0_19identity_decomposerENS1_16block_id_wrapperIjLb1EEEEE10hipError_tT1_PNSt15iterator_traitsISK_E10value_typeET2_T3_PNSL_ISQ_E10value_typeET4_T5_PSV_SW_PNS1_23onesweep_lookback_stateEbbT6_jjT7_P12ihipStream_tbENKUlT_T0_SK_SP_E_clISE_PiSF_SF_EEDaS13_S14_SK_SP_EUlS13_E_NS1_11comp_targetILNS1_3genE2ELNS1_11target_archE906ELNS1_3gpuE6ELNS1_3repE0EEENS1_47radix_sort_onesweep_sort_config_static_selectorELNS0_4arch9wavefront6targetE1EEEvSK_,"axG",@progbits,_ZN7rocprim17ROCPRIM_400000_NS6detail17trampoline_kernelINS0_14default_configENS1_35radix_sort_onesweep_config_selectorIiNS0_10empty_typeEEEZZNS1_29radix_sort_onesweep_iterationIS3_Lb1EN6thrust23THRUST_200600_302600_NS6detail15normal_iteratorINS9_10device_ptrIiEEEESE_PS5_SF_jNS0_19identity_decomposerENS1_16block_id_wrapperIjLb1EEEEE10hipError_tT1_PNSt15iterator_traitsISK_E10value_typeET2_T3_PNSL_ISQ_E10value_typeET4_T5_PSV_SW_PNS1_23onesweep_lookback_stateEbbT6_jjT7_P12ihipStream_tbENKUlT_T0_SK_SP_E_clISE_PiSF_SF_EEDaS13_S14_SK_SP_EUlS13_E_NS1_11comp_targetILNS1_3genE2ELNS1_11target_archE906ELNS1_3gpuE6ELNS1_3repE0EEENS1_47radix_sort_onesweep_sort_config_static_selectorELNS0_4arch9wavefront6targetE1EEEvSK_,comdat
	.protected	_ZN7rocprim17ROCPRIM_400000_NS6detail17trampoline_kernelINS0_14default_configENS1_35radix_sort_onesweep_config_selectorIiNS0_10empty_typeEEEZZNS1_29radix_sort_onesweep_iterationIS3_Lb1EN6thrust23THRUST_200600_302600_NS6detail15normal_iteratorINS9_10device_ptrIiEEEESE_PS5_SF_jNS0_19identity_decomposerENS1_16block_id_wrapperIjLb1EEEEE10hipError_tT1_PNSt15iterator_traitsISK_E10value_typeET2_T3_PNSL_ISQ_E10value_typeET4_T5_PSV_SW_PNS1_23onesweep_lookback_stateEbbT6_jjT7_P12ihipStream_tbENKUlT_T0_SK_SP_E_clISE_PiSF_SF_EEDaS13_S14_SK_SP_EUlS13_E_NS1_11comp_targetILNS1_3genE2ELNS1_11target_archE906ELNS1_3gpuE6ELNS1_3repE0EEENS1_47radix_sort_onesweep_sort_config_static_selectorELNS0_4arch9wavefront6targetE1EEEvSK_ ; -- Begin function _ZN7rocprim17ROCPRIM_400000_NS6detail17trampoline_kernelINS0_14default_configENS1_35radix_sort_onesweep_config_selectorIiNS0_10empty_typeEEEZZNS1_29radix_sort_onesweep_iterationIS3_Lb1EN6thrust23THRUST_200600_302600_NS6detail15normal_iteratorINS9_10device_ptrIiEEEESE_PS5_SF_jNS0_19identity_decomposerENS1_16block_id_wrapperIjLb1EEEEE10hipError_tT1_PNSt15iterator_traitsISK_E10value_typeET2_T3_PNSL_ISQ_E10value_typeET4_T5_PSV_SW_PNS1_23onesweep_lookback_stateEbbT6_jjT7_P12ihipStream_tbENKUlT_T0_SK_SP_E_clISE_PiSF_SF_EEDaS13_S14_SK_SP_EUlS13_E_NS1_11comp_targetILNS1_3genE2ELNS1_11target_archE906ELNS1_3gpuE6ELNS1_3repE0EEENS1_47radix_sort_onesweep_sort_config_static_selectorELNS0_4arch9wavefront6targetE1EEEvSK_
	.globl	_ZN7rocprim17ROCPRIM_400000_NS6detail17trampoline_kernelINS0_14default_configENS1_35radix_sort_onesweep_config_selectorIiNS0_10empty_typeEEEZZNS1_29radix_sort_onesweep_iterationIS3_Lb1EN6thrust23THRUST_200600_302600_NS6detail15normal_iteratorINS9_10device_ptrIiEEEESE_PS5_SF_jNS0_19identity_decomposerENS1_16block_id_wrapperIjLb1EEEEE10hipError_tT1_PNSt15iterator_traitsISK_E10value_typeET2_T3_PNSL_ISQ_E10value_typeET4_T5_PSV_SW_PNS1_23onesweep_lookback_stateEbbT6_jjT7_P12ihipStream_tbENKUlT_T0_SK_SP_E_clISE_PiSF_SF_EEDaS13_S14_SK_SP_EUlS13_E_NS1_11comp_targetILNS1_3genE2ELNS1_11target_archE906ELNS1_3gpuE6ELNS1_3repE0EEENS1_47radix_sort_onesweep_sort_config_static_selectorELNS0_4arch9wavefront6targetE1EEEvSK_
	.p2align	8
	.type	_ZN7rocprim17ROCPRIM_400000_NS6detail17trampoline_kernelINS0_14default_configENS1_35radix_sort_onesweep_config_selectorIiNS0_10empty_typeEEEZZNS1_29radix_sort_onesweep_iterationIS3_Lb1EN6thrust23THRUST_200600_302600_NS6detail15normal_iteratorINS9_10device_ptrIiEEEESE_PS5_SF_jNS0_19identity_decomposerENS1_16block_id_wrapperIjLb1EEEEE10hipError_tT1_PNSt15iterator_traitsISK_E10value_typeET2_T3_PNSL_ISQ_E10value_typeET4_T5_PSV_SW_PNS1_23onesweep_lookback_stateEbbT6_jjT7_P12ihipStream_tbENKUlT_T0_SK_SP_E_clISE_PiSF_SF_EEDaS13_S14_SK_SP_EUlS13_E_NS1_11comp_targetILNS1_3genE2ELNS1_11target_archE906ELNS1_3gpuE6ELNS1_3repE0EEENS1_47radix_sort_onesweep_sort_config_static_selectorELNS0_4arch9wavefront6targetE1EEEvSK_,@function
_ZN7rocprim17ROCPRIM_400000_NS6detail17trampoline_kernelINS0_14default_configENS1_35radix_sort_onesweep_config_selectorIiNS0_10empty_typeEEEZZNS1_29radix_sort_onesweep_iterationIS3_Lb1EN6thrust23THRUST_200600_302600_NS6detail15normal_iteratorINS9_10device_ptrIiEEEESE_PS5_SF_jNS0_19identity_decomposerENS1_16block_id_wrapperIjLb1EEEEE10hipError_tT1_PNSt15iterator_traitsISK_E10value_typeET2_T3_PNSL_ISQ_E10value_typeET4_T5_PSV_SW_PNS1_23onesweep_lookback_stateEbbT6_jjT7_P12ihipStream_tbENKUlT_T0_SK_SP_E_clISE_PiSF_SF_EEDaS13_S14_SK_SP_EUlS13_E_NS1_11comp_targetILNS1_3genE2ELNS1_11target_archE906ELNS1_3gpuE6ELNS1_3repE0EEENS1_47radix_sort_onesweep_sort_config_static_selectorELNS0_4arch9wavefront6targetE1EEEvSK_: ; @_ZN7rocprim17ROCPRIM_400000_NS6detail17trampoline_kernelINS0_14default_configENS1_35radix_sort_onesweep_config_selectorIiNS0_10empty_typeEEEZZNS1_29radix_sort_onesweep_iterationIS3_Lb1EN6thrust23THRUST_200600_302600_NS6detail15normal_iteratorINS9_10device_ptrIiEEEESE_PS5_SF_jNS0_19identity_decomposerENS1_16block_id_wrapperIjLb1EEEEE10hipError_tT1_PNSt15iterator_traitsISK_E10value_typeET2_T3_PNSL_ISQ_E10value_typeET4_T5_PSV_SW_PNS1_23onesweep_lookback_stateEbbT6_jjT7_P12ihipStream_tbENKUlT_T0_SK_SP_E_clISE_PiSF_SF_EEDaS13_S14_SK_SP_EUlS13_E_NS1_11comp_targetILNS1_3genE2ELNS1_11target_archE906ELNS1_3gpuE6ELNS1_3repE0EEENS1_47radix_sort_onesweep_sort_config_static_selectorELNS0_4arch9wavefront6targetE1EEEvSK_
; %bb.0:
	.section	.rodata,"a",@progbits
	.p2align	6, 0x0
	.amdhsa_kernel _ZN7rocprim17ROCPRIM_400000_NS6detail17trampoline_kernelINS0_14default_configENS1_35radix_sort_onesweep_config_selectorIiNS0_10empty_typeEEEZZNS1_29radix_sort_onesweep_iterationIS3_Lb1EN6thrust23THRUST_200600_302600_NS6detail15normal_iteratorINS9_10device_ptrIiEEEESE_PS5_SF_jNS0_19identity_decomposerENS1_16block_id_wrapperIjLb1EEEEE10hipError_tT1_PNSt15iterator_traitsISK_E10value_typeET2_T3_PNSL_ISQ_E10value_typeET4_T5_PSV_SW_PNS1_23onesweep_lookback_stateEbbT6_jjT7_P12ihipStream_tbENKUlT_T0_SK_SP_E_clISE_PiSF_SF_EEDaS13_S14_SK_SP_EUlS13_E_NS1_11comp_targetILNS1_3genE2ELNS1_11target_archE906ELNS1_3gpuE6ELNS1_3repE0EEENS1_47radix_sort_onesweep_sort_config_static_selectorELNS0_4arch9wavefront6targetE1EEEvSK_
		.amdhsa_group_segment_fixed_size 0
		.amdhsa_private_segment_fixed_size 0
		.amdhsa_kernarg_size 88
		.amdhsa_user_sgpr_count 2
		.amdhsa_user_sgpr_dispatch_ptr 0
		.amdhsa_user_sgpr_queue_ptr 0
		.amdhsa_user_sgpr_kernarg_segment_ptr 1
		.amdhsa_user_sgpr_dispatch_id 0
		.amdhsa_user_sgpr_kernarg_preload_length 0
		.amdhsa_user_sgpr_kernarg_preload_offset 0
		.amdhsa_user_sgpr_private_segment_size 0
		.amdhsa_uses_dynamic_stack 0
		.amdhsa_enable_private_segment 0
		.amdhsa_system_sgpr_workgroup_id_x 1
		.amdhsa_system_sgpr_workgroup_id_y 0
		.amdhsa_system_sgpr_workgroup_id_z 0
		.amdhsa_system_sgpr_workgroup_info 0
		.amdhsa_system_vgpr_workitem_id 0
		.amdhsa_next_free_vgpr 1
		.amdhsa_next_free_sgpr 0
		.amdhsa_accum_offset 4
		.amdhsa_reserve_vcc 0
		.amdhsa_float_round_mode_32 0
		.amdhsa_float_round_mode_16_64 0
		.amdhsa_float_denorm_mode_32 3
		.amdhsa_float_denorm_mode_16_64 3
		.amdhsa_dx10_clamp 1
		.amdhsa_ieee_mode 1
		.amdhsa_fp16_overflow 0
		.amdhsa_tg_split 0
		.amdhsa_exception_fp_ieee_invalid_op 0
		.amdhsa_exception_fp_denorm_src 0
		.amdhsa_exception_fp_ieee_div_zero 0
		.amdhsa_exception_fp_ieee_overflow 0
		.amdhsa_exception_fp_ieee_underflow 0
		.amdhsa_exception_fp_ieee_inexact 0
		.amdhsa_exception_int_div_zero 0
	.end_amdhsa_kernel
	.section	.text._ZN7rocprim17ROCPRIM_400000_NS6detail17trampoline_kernelINS0_14default_configENS1_35radix_sort_onesweep_config_selectorIiNS0_10empty_typeEEEZZNS1_29radix_sort_onesweep_iterationIS3_Lb1EN6thrust23THRUST_200600_302600_NS6detail15normal_iteratorINS9_10device_ptrIiEEEESE_PS5_SF_jNS0_19identity_decomposerENS1_16block_id_wrapperIjLb1EEEEE10hipError_tT1_PNSt15iterator_traitsISK_E10value_typeET2_T3_PNSL_ISQ_E10value_typeET4_T5_PSV_SW_PNS1_23onesweep_lookback_stateEbbT6_jjT7_P12ihipStream_tbENKUlT_T0_SK_SP_E_clISE_PiSF_SF_EEDaS13_S14_SK_SP_EUlS13_E_NS1_11comp_targetILNS1_3genE2ELNS1_11target_archE906ELNS1_3gpuE6ELNS1_3repE0EEENS1_47radix_sort_onesweep_sort_config_static_selectorELNS0_4arch9wavefront6targetE1EEEvSK_,"axG",@progbits,_ZN7rocprim17ROCPRIM_400000_NS6detail17trampoline_kernelINS0_14default_configENS1_35radix_sort_onesweep_config_selectorIiNS0_10empty_typeEEEZZNS1_29radix_sort_onesweep_iterationIS3_Lb1EN6thrust23THRUST_200600_302600_NS6detail15normal_iteratorINS9_10device_ptrIiEEEESE_PS5_SF_jNS0_19identity_decomposerENS1_16block_id_wrapperIjLb1EEEEE10hipError_tT1_PNSt15iterator_traitsISK_E10value_typeET2_T3_PNSL_ISQ_E10value_typeET4_T5_PSV_SW_PNS1_23onesweep_lookback_stateEbbT6_jjT7_P12ihipStream_tbENKUlT_T0_SK_SP_E_clISE_PiSF_SF_EEDaS13_S14_SK_SP_EUlS13_E_NS1_11comp_targetILNS1_3genE2ELNS1_11target_archE906ELNS1_3gpuE6ELNS1_3repE0EEENS1_47radix_sort_onesweep_sort_config_static_selectorELNS0_4arch9wavefront6targetE1EEEvSK_,comdat
.Lfunc_end348:
	.size	_ZN7rocprim17ROCPRIM_400000_NS6detail17trampoline_kernelINS0_14default_configENS1_35radix_sort_onesweep_config_selectorIiNS0_10empty_typeEEEZZNS1_29radix_sort_onesweep_iterationIS3_Lb1EN6thrust23THRUST_200600_302600_NS6detail15normal_iteratorINS9_10device_ptrIiEEEESE_PS5_SF_jNS0_19identity_decomposerENS1_16block_id_wrapperIjLb1EEEEE10hipError_tT1_PNSt15iterator_traitsISK_E10value_typeET2_T3_PNSL_ISQ_E10value_typeET4_T5_PSV_SW_PNS1_23onesweep_lookback_stateEbbT6_jjT7_P12ihipStream_tbENKUlT_T0_SK_SP_E_clISE_PiSF_SF_EEDaS13_S14_SK_SP_EUlS13_E_NS1_11comp_targetILNS1_3genE2ELNS1_11target_archE906ELNS1_3gpuE6ELNS1_3repE0EEENS1_47radix_sort_onesweep_sort_config_static_selectorELNS0_4arch9wavefront6targetE1EEEvSK_, .Lfunc_end348-_ZN7rocprim17ROCPRIM_400000_NS6detail17trampoline_kernelINS0_14default_configENS1_35radix_sort_onesweep_config_selectorIiNS0_10empty_typeEEEZZNS1_29radix_sort_onesweep_iterationIS3_Lb1EN6thrust23THRUST_200600_302600_NS6detail15normal_iteratorINS9_10device_ptrIiEEEESE_PS5_SF_jNS0_19identity_decomposerENS1_16block_id_wrapperIjLb1EEEEE10hipError_tT1_PNSt15iterator_traitsISK_E10value_typeET2_T3_PNSL_ISQ_E10value_typeET4_T5_PSV_SW_PNS1_23onesweep_lookback_stateEbbT6_jjT7_P12ihipStream_tbENKUlT_T0_SK_SP_E_clISE_PiSF_SF_EEDaS13_S14_SK_SP_EUlS13_E_NS1_11comp_targetILNS1_3genE2ELNS1_11target_archE906ELNS1_3gpuE6ELNS1_3repE0EEENS1_47radix_sort_onesweep_sort_config_static_selectorELNS0_4arch9wavefront6targetE1EEEvSK_
                                        ; -- End function
	.set _ZN7rocprim17ROCPRIM_400000_NS6detail17trampoline_kernelINS0_14default_configENS1_35radix_sort_onesweep_config_selectorIiNS0_10empty_typeEEEZZNS1_29radix_sort_onesweep_iterationIS3_Lb1EN6thrust23THRUST_200600_302600_NS6detail15normal_iteratorINS9_10device_ptrIiEEEESE_PS5_SF_jNS0_19identity_decomposerENS1_16block_id_wrapperIjLb1EEEEE10hipError_tT1_PNSt15iterator_traitsISK_E10value_typeET2_T3_PNSL_ISQ_E10value_typeET4_T5_PSV_SW_PNS1_23onesweep_lookback_stateEbbT6_jjT7_P12ihipStream_tbENKUlT_T0_SK_SP_E_clISE_PiSF_SF_EEDaS13_S14_SK_SP_EUlS13_E_NS1_11comp_targetILNS1_3genE2ELNS1_11target_archE906ELNS1_3gpuE6ELNS1_3repE0EEENS1_47radix_sort_onesweep_sort_config_static_selectorELNS0_4arch9wavefront6targetE1EEEvSK_.num_vgpr, 0
	.set _ZN7rocprim17ROCPRIM_400000_NS6detail17trampoline_kernelINS0_14default_configENS1_35radix_sort_onesweep_config_selectorIiNS0_10empty_typeEEEZZNS1_29radix_sort_onesweep_iterationIS3_Lb1EN6thrust23THRUST_200600_302600_NS6detail15normal_iteratorINS9_10device_ptrIiEEEESE_PS5_SF_jNS0_19identity_decomposerENS1_16block_id_wrapperIjLb1EEEEE10hipError_tT1_PNSt15iterator_traitsISK_E10value_typeET2_T3_PNSL_ISQ_E10value_typeET4_T5_PSV_SW_PNS1_23onesweep_lookback_stateEbbT6_jjT7_P12ihipStream_tbENKUlT_T0_SK_SP_E_clISE_PiSF_SF_EEDaS13_S14_SK_SP_EUlS13_E_NS1_11comp_targetILNS1_3genE2ELNS1_11target_archE906ELNS1_3gpuE6ELNS1_3repE0EEENS1_47radix_sort_onesweep_sort_config_static_selectorELNS0_4arch9wavefront6targetE1EEEvSK_.num_agpr, 0
	.set _ZN7rocprim17ROCPRIM_400000_NS6detail17trampoline_kernelINS0_14default_configENS1_35radix_sort_onesweep_config_selectorIiNS0_10empty_typeEEEZZNS1_29radix_sort_onesweep_iterationIS3_Lb1EN6thrust23THRUST_200600_302600_NS6detail15normal_iteratorINS9_10device_ptrIiEEEESE_PS5_SF_jNS0_19identity_decomposerENS1_16block_id_wrapperIjLb1EEEEE10hipError_tT1_PNSt15iterator_traitsISK_E10value_typeET2_T3_PNSL_ISQ_E10value_typeET4_T5_PSV_SW_PNS1_23onesweep_lookback_stateEbbT6_jjT7_P12ihipStream_tbENKUlT_T0_SK_SP_E_clISE_PiSF_SF_EEDaS13_S14_SK_SP_EUlS13_E_NS1_11comp_targetILNS1_3genE2ELNS1_11target_archE906ELNS1_3gpuE6ELNS1_3repE0EEENS1_47radix_sort_onesweep_sort_config_static_selectorELNS0_4arch9wavefront6targetE1EEEvSK_.numbered_sgpr, 0
	.set _ZN7rocprim17ROCPRIM_400000_NS6detail17trampoline_kernelINS0_14default_configENS1_35radix_sort_onesweep_config_selectorIiNS0_10empty_typeEEEZZNS1_29radix_sort_onesweep_iterationIS3_Lb1EN6thrust23THRUST_200600_302600_NS6detail15normal_iteratorINS9_10device_ptrIiEEEESE_PS5_SF_jNS0_19identity_decomposerENS1_16block_id_wrapperIjLb1EEEEE10hipError_tT1_PNSt15iterator_traitsISK_E10value_typeET2_T3_PNSL_ISQ_E10value_typeET4_T5_PSV_SW_PNS1_23onesweep_lookback_stateEbbT6_jjT7_P12ihipStream_tbENKUlT_T0_SK_SP_E_clISE_PiSF_SF_EEDaS13_S14_SK_SP_EUlS13_E_NS1_11comp_targetILNS1_3genE2ELNS1_11target_archE906ELNS1_3gpuE6ELNS1_3repE0EEENS1_47radix_sort_onesweep_sort_config_static_selectorELNS0_4arch9wavefront6targetE1EEEvSK_.num_named_barrier, 0
	.set _ZN7rocprim17ROCPRIM_400000_NS6detail17trampoline_kernelINS0_14default_configENS1_35radix_sort_onesweep_config_selectorIiNS0_10empty_typeEEEZZNS1_29radix_sort_onesweep_iterationIS3_Lb1EN6thrust23THRUST_200600_302600_NS6detail15normal_iteratorINS9_10device_ptrIiEEEESE_PS5_SF_jNS0_19identity_decomposerENS1_16block_id_wrapperIjLb1EEEEE10hipError_tT1_PNSt15iterator_traitsISK_E10value_typeET2_T3_PNSL_ISQ_E10value_typeET4_T5_PSV_SW_PNS1_23onesweep_lookback_stateEbbT6_jjT7_P12ihipStream_tbENKUlT_T0_SK_SP_E_clISE_PiSF_SF_EEDaS13_S14_SK_SP_EUlS13_E_NS1_11comp_targetILNS1_3genE2ELNS1_11target_archE906ELNS1_3gpuE6ELNS1_3repE0EEENS1_47radix_sort_onesweep_sort_config_static_selectorELNS0_4arch9wavefront6targetE1EEEvSK_.private_seg_size, 0
	.set _ZN7rocprim17ROCPRIM_400000_NS6detail17trampoline_kernelINS0_14default_configENS1_35radix_sort_onesweep_config_selectorIiNS0_10empty_typeEEEZZNS1_29radix_sort_onesweep_iterationIS3_Lb1EN6thrust23THRUST_200600_302600_NS6detail15normal_iteratorINS9_10device_ptrIiEEEESE_PS5_SF_jNS0_19identity_decomposerENS1_16block_id_wrapperIjLb1EEEEE10hipError_tT1_PNSt15iterator_traitsISK_E10value_typeET2_T3_PNSL_ISQ_E10value_typeET4_T5_PSV_SW_PNS1_23onesweep_lookback_stateEbbT6_jjT7_P12ihipStream_tbENKUlT_T0_SK_SP_E_clISE_PiSF_SF_EEDaS13_S14_SK_SP_EUlS13_E_NS1_11comp_targetILNS1_3genE2ELNS1_11target_archE906ELNS1_3gpuE6ELNS1_3repE0EEENS1_47radix_sort_onesweep_sort_config_static_selectorELNS0_4arch9wavefront6targetE1EEEvSK_.uses_vcc, 0
	.set _ZN7rocprim17ROCPRIM_400000_NS6detail17trampoline_kernelINS0_14default_configENS1_35radix_sort_onesweep_config_selectorIiNS0_10empty_typeEEEZZNS1_29radix_sort_onesweep_iterationIS3_Lb1EN6thrust23THRUST_200600_302600_NS6detail15normal_iteratorINS9_10device_ptrIiEEEESE_PS5_SF_jNS0_19identity_decomposerENS1_16block_id_wrapperIjLb1EEEEE10hipError_tT1_PNSt15iterator_traitsISK_E10value_typeET2_T3_PNSL_ISQ_E10value_typeET4_T5_PSV_SW_PNS1_23onesweep_lookback_stateEbbT6_jjT7_P12ihipStream_tbENKUlT_T0_SK_SP_E_clISE_PiSF_SF_EEDaS13_S14_SK_SP_EUlS13_E_NS1_11comp_targetILNS1_3genE2ELNS1_11target_archE906ELNS1_3gpuE6ELNS1_3repE0EEENS1_47radix_sort_onesweep_sort_config_static_selectorELNS0_4arch9wavefront6targetE1EEEvSK_.uses_flat_scratch, 0
	.set _ZN7rocprim17ROCPRIM_400000_NS6detail17trampoline_kernelINS0_14default_configENS1_35radix_sort_onesweep_config_selectorIiNS0_10empty_typeEEEZZNS1_29radix_sort_onesweep_iterationIS3_Lb1EN6thrust23THRUST_200600_302600_NS6detail15normal_iteratorINS9_10device_ptrIiEEEESE_PS5_SF_jNS0_19identity_decomposerENS1_16block_id_wrapperIjLb1EEEEE10hipError_tT1_PNSt15iterator_traitsISK_E10value_typeET2_T3_PNSL_ISQ_E10value_typeET4_T5_PSV_SW_PNS1_23onesweep_lookback_stateEbbT6_jjT7_P12ihipStream_tbENKUlT_T0_SK_SP_E_clISE_PiSF_SF_EEDaS13_S14_SK_SP_EUlS13_E_NS1_11comp_targetILNS1_3genE2ELNS1_11target_archE906ELNS1_3gpuE6ELNS1_3repE0EEENS1_47radix_sort_onesweep_sort_config_static_selectorELNS0_4arch9wavefront6targetE1EEEvSK_.has_dyn_sized_stack, 0
	.set _ZN7rocprim17ROCPRIM_400000_NS6detail17trampoline_kernelINS0_14default_configENS1_35radix_sort_onesweep_config_selectorIiNS0_10empty_typeEEEZZNS1_29radix_sort_onesweep_iterationIS3_Lb1EN6thrust23THRUST_200600_302600_NS6detail15normal_iteratorINS9_10device_ptrIiEEEESE_PS5_SF_jNS0_19identity_decomposerENS1_16block_id_wrapperIjLb1EEEEE10hipError_tT1_PNSt15iterator_traitsISK_E10value_typeET2_T3_PNSL_ISQ_E10value_typeET4_T5_PSV_SW_PNS1_23onesweep_lookback_stateEbbT6_jjT7_P12ihipStream_tbENKUlT_T0_SK_SP_E_clISE_PiSF_SF_EEDaS13_S14_SK_SP_EUlS13_E_NS1_11comp_targetILNS1_3genE2ELNS1_11target_archE906ELNS1_3gpuE6ELNS1_3repE0EEENS1_47radix_sort_onesweep_sort_config_static_selectorELNS0_4arch9wavefront6targetE1EEEvSK_.has_recursion, 0
	.set _ZN7rocprim17ROCPRIM_400000_NS6detail17trampoline_kernelINS0_14default_configENS1_35radix_sort_onesweep_config_selectorIiNS0_10empty_typeEEEZZNS1_29radix_sort_onesweep_iterationIS3_Lb1EN6thrust23THRUST_200600_302600_NS6detail15normal_iteratorINS9_10device_ptrIiEEEESE_PS5_SF_jNS0_19identity_decomposerENS1_16block_id_wrapperIjLb1EEEEE10hipError_tT1_PNSt15iterator_traitsISK_E10value_typeET2_T3_PNSL_ISQ_E10value_typeET4_T5_PSV_SW_PNS1_23onesweep_lookback_stateEbbT6_jjT7_P12ihipStream_tbENKUlT_T0_SK_SP_E_clISE_PiSF_SF_EEDaS13_S14_SK_SP_EUlS13_E_NS1_11comp_targetILNS1_3genE2ELNS1_11target_archE906ELNS1_3gpuE6ELNS1_3repE0EEENS1_47radix_sort_onesweep_sort_config_static_selectorELNS0_4arch9wavefront6targetE1EEEvSK_.has_indirect_call, 0
	.section	.AMDGPU.csdata,"",@progbits
; Kernel info:
; codeLenInByte = 0
; TotalNumSgprs: 6
; NumVgprs: 0
; NumAgprs: 0
; TotalNumVgprs: 0
; ScratchSize: 0
; MemoryBound: 0
; FloatMode: 240
; IeeeMode: 1
; LDSByteSize: 0 bytes/workgroup (compile time only)
; SGPRBlocks: 0
; VGPRBlocks: 0
; NumSGPRsForWavesPerEU: 6
; NumVGPRsForWavesPerEU: 1
; AccumOffset: 4
; Occupancy: 8
; WaveLimiterHint : 0
; COMPUTE_PGM_RSRC2:SCRATCH_EN: 0
; COMPUTE_PGM_RSRC2:USER_SGPR: 2
; COMPUTE_PGM_RSRC2:TRAP_HANDLER: 0
; COMPUTE_PGM_RSRC2:TGID_X_EN: 1
; COMPUTE_PGM_RSRC2:TGID_Y_EN: 0
; COMPUTE_PGM_RSRC2:TGID_Z_EN: 0
; COMPUTE_PGM_RSRC2:TIDIG_COMP_CNT: 0
; COMPUTE_PGM_RSRC3_GFX90A:ACCUM_OFFSET: 0
; COMPUTE_PGM_RSRC3_GFX90A:TG_SPLIT: 0
	.section	.text._ZN7rocprim17ROCPRIM_400000_NS6detail17trampoline_kernelINS0_14default_configENS1_35radix_sort_onesweep_config_selectorIiNS0_10empty_typeEEEZZNS1_29radix_sort_onesweep_iterationIS3_Lb1EN6thrust23THRUST_200600_302600_NS6detail15normal_iteratorINS9_10device_ptrIiEEEESE_PS5_SF_jNS0_19identity_decomposerENS1_16block_id_wrapperIjLb1EEEEE10hipError_tT1_PNSt15iterator_traitsISK_E10value_typeET2_T3_PNSL_ISQ_E10value_typeET4_T5_PSV_SW_PNS1_23onesweep_lookback_stateEbbT6_jjT7_P12ihipStream_tbENKUlT_T0_SK_SP_E_clISE_PiSF_SF_EEDaS13_S14_SK_SP_EUlS13_E_NS1_11comp_targetILNS1_3genE4ELNS1_11target_archE910ELNS1_3gpuE8ELNS1_3repE0EEENS1_47radix_sort_onesweep_sort_config_static_selectorELNS0_4arch9wavefront6targetE1EEEvSK_,"axG",@progbits,_ZN7rocprim17ROCPRIM_400000_NS6detail17trampoline_kernelINS0_14default_configENS1_35radix_sort_onesweep_config_selectorIiNS0_10empty_typeEEEZZNS1_29radix_sort_onesweep_iterationIS3_Lb1EN6thrust23THRUST_200600_302600_NS6detail15normal_iteratorINS9_10device_ptrIiEEEESE_PS5_SF_jNS0_19identity_decomposerENS1_16block_id_wrapperIjLb1EEEEE10hipError_tT1_PNSt15iterator_traitsISK_E10value_typeET2_T3_PNSL_ISQ_E10value_typeET4_T5_PSV_SW_PNS1_23onesweep_lookback_stateEbbT6_jjT7_P12ihipStream_tbENKUlT_T0_SK_SP_E_clISE_PiSF_SF_EEDaS13_S14_SK_SP_EUlS13_E_NS1_11comp_targetILNS1_3genE4ELNS1_11target_archE910ELNS1_3gpuE8ELNS1_3repE0EEENS1_47radix_sort_onesweep_sort_config_static_selectorELNS0_4arch9wavefront6targetE1EEEvSK_,comdat
	.protected	_ZN7rocprim17ROCPRIM_400000_NS6detail17trampoline_kernelINS0_14default_configENS1_35radix_sort_onesweep_config_selectorIiNS0_10empty_typeEEEZZNS1_29radix_sort_onesweep_iterationIS3_Lb1EN6thrust23THRUST_200600_302600_NS6detail15normal_iteratorINS9_10device_ptrIiEEEESE_PS5_SF_jNS0_19identity_decomposerENS1_16block_id_wrapperIjLb1EEEEE10hipError_tT1_PNSt15iterator_traitsISK_E10value_typeET2_T3_PNSL_ISQ_E10value_typeET4_T5_PSV_SW_PNS1_23onesweep_lookback_stateEbbT6_jjT7_P12ihipStream_tbENKUlT_T0_SK_SP_E_clISE_PiSF_SF_EEDaS13_S14_SK_SP_EUlS13_E_NS1_11comp_targetILNS1_3genE4ELNS1_11target_archE910ELNS1_3gpuE8ELNS1_3repE0EEENS1_47radix_sort_onesweep_sort_config_static_selectorELNS0_4arch9wavefront6targetE1EEEvSK_ ; -- Begin function _ZN7rocprim17ROCPRIM_400000_NS6detail17trampoline_kernelINS0_14default_configENS1_35radix_sort_onesweep_config_selectorIiNS0_10empty_typeEEEZZNS1_29radix_sort_onesweep_iterationIS3_Lb1EN6thrust23THRUST_200600_302600_NS6detail15normal_iteratorINS9_10device_ptrIiEEEESE_PS5_SF_jNS0_19identity_decomposerENS1_16block_id_wrapperIjLb1EEEEE10hipError_tT1_PNSt15iterator_traitsISK_E10value_typeET2_T3_PNSL_ISQ_E10value_typeET4_T5_PSV_SW_PNS1_23onesweep_lookback_stateEbbT6_jjT7_P12ihipStream_tbENKUlT_T0_SK_SP_E_clISE_PiSF_SF_EEDaS13_S14_SK_SP_EUlS13_E_NS1_11comp_targetILNS1_3genE4ELNS1_11target_archE910ELNS1_3gpuE8ELNS1_3repE0EEENS1_47radix_sort_onesweep_sort_config_static_selectorELNS0_4arch9wavefront6targetE1EEEvSK_
	.globl	_ZN7rocprim17ROCPRIM_400000_NS6detail17trampoline_kernelINS0_14default_configENS1_35radix_sort_onesweep_config_selectorIiNS0_10empty_typeEEEZZNS1_29radix_sort_onesweep_iterationIS3_Lb1EN6thrust23THRUST_200600_302600_NS6detail15normal_iteratorINS9_10device_ptrIiEEEESE_PS5_SF_jNS0_19identity_decomposerENS1_16block_id_wrapperIjLb1EEEEE10hipError_tT1_PNSt15iterator_traitsISK_E10value_typeET2_T3_PNSL_ISQ_E10value_typeET4_T5_PSV_SW_PNS1_23onesweep_lookback_stateEbbT6_jjT7_P12ihipStream_tbENKUlT_T0_SK_SP_E_clISE_PiSF_SF_EEDaS13_S14_SK_SP_EUlS13_E_NS1_11comp_targetILNS1_3genE4ELNS1_11target_archE910ELNS1_3gpuE8ELNS1_3repE0EEENS1_47radix_sort_onesweep_sort_config_static_selectorELNS0_4arch9wavefront6targetE1EEEvSK_
	.p2align	8
	.type	_ZN7rocprim17ROCPRIM_400000_NS6detail17trampoline_kernelINS0_14default_configENS1_35radix_sort_onesweep_config_selectorIiNS0_10empty_typeEEEZZNS1_29radix_sort_onesweep_iterationIS3_Lb1EN6thrust23THRUST_200600_302600_NS6detail15normal_iteratorINS9_10device_ptrIiEEEESE_PS5_SF_jNS0_19identity_decomposerENS1_16block_id_wrapperIjLb1EEEEE10hipError_tT1_PNSt15iterator_traitsISK_E10value_typeET2_T3_PNSL_ISQ_E10value_typeET4_T5_PSV_SW_PNS1_23onesweep_lookback_stateEbbT6_jjT7_P12ihipStream_tbENKUlT_T0_SK_SP_E_clISE_PiSF_SF_EEDaS13_S14_SK_SP_EUlS13_E_NS1_11comp_targetILNS1_3genE4ELNS1_11target_archE910ELNS1_3gpuE8ELNS1_3repE0EEENS1_47radix_sort_onesweep_sort_config_static_selectorELNS0_4arch9wavefront6targetE1EEEvSK_,@function
_ZN7rocprim17ROCPRIM_400000_NS6detail17trampoline_kernelINS0_14default_configENS1_35radix_sort_onesweep_config_selectorIiNS0_10empty_typeEEEZZNS1_29radix_sort_onesweep_iterationIS3_Lb1EN6thrust23THRUST_200600_302600_NS6detail15normal_iteratorINS9_10device_ptrIiEEEESE_PS5_SF_jNS0_19identity_decomposerENS1_16block_id_wrapperIjLb1EEEEE10hipError_tT1_PNSt15iterator_traitsISK_E10value_typeET2_T3_PNSL_ISQ_E10value_typeET4_T5_PSV_SW_PNS1_23onesweep_lookback_stateEbbT6_jjT7_P12ihipStream_tbENKUlT_T0_SK_SP_E_clISE_PiSF_SF_EEDaS13_S14_SK_SP_EUlS13_E_NS1_11comp_targetILNS1_3genE4ELNS1_11target_archE910ELNS1_3gpuE8ELNS1_3repE0EEENS1_47radix_sort_onesweep_sort_config_static_selectorELNS0_4arch9wavefront6targetE1EEEvSK_: ; @_ZN7rocprim17ROCPRIM_400000_NS6detail17trampoline_kernelINS0_14default_configENS1_35radix_sort_onesweep_config_selectorIiNS0_10empty_typeEEEZZNS1_29radix_sort_onesweep_iterationIS3_Lb1EN6thrust23THRUST_200600_302600_NS6detail15normal_iteratorINS9_10device_ptrIiEEEESE_PS5_SF_jNS0_19identity_decomposerENS1_16block_id_wrapperIjLb1EEEEE10hipError_tT1_PNSt15iterator_traitsISK_E10value_typeET2_T3_PNSL_ISQ_E10value_typeET4_T5_PSV_SW_PNS1_23onesweep_lookback_stateEbbT6_jjT7_P12ihipStream_tbENKUlT_T0_SK_SP_E_clISE_PiSF_SF_EEDaS13_S14_SK_SP_EUlS13_E_NS1_11comp_targetILNS1_3genE4ELNS1_11target_archE910ELNS1_3gpuE8ELNS1_3repE0EEENS1_47radix_sort_onesweep_sort_config_static_selectorELNS0_4arch9wavefront6targetE1EEEvSK_
; %bb.0:
	.section	.rodata,"a",@progbits
	.p2align	6, 0x0
	.amdhsa_kernel _ZN7rocprim17ROCPRIM_400000_NS6detail17trampoline_kernelINS0_14default_configENS1_35radix_sort_onesweep_config_selectorIiNS0_10empty_typeEEEZZNS1_29radix_sort_onesweep_iterationIS3_Lb1EN6thrust23THRUST_200600_302600_NS6detail15normal_iteratorINS9_10device_ptrIiEEEESE_PS5_SF_jNS0_19identity_decomposerENS1_16block_id_wrapperIjLb1EEEEE10hipError_tT1_PNSt15iterator_traitsISK_E10value_typeET2_T3_PNSL_ISQ_E10value_typeET4_T5_PSV_SW_PNS1_23onesweep_lookback_stateEbbT6_jjT7_P12ihipStream_tbENKUlT_T0_SK_SP_E_clISE_PiSF_SF_EEDaS13_S14_SK_SP_EUlS13_E_NS1_11comp_targetILNS1_3genE4ELNS1_11target_archE910ELNS1_3gpuE8ELNS1_3repE0EEENS1_47radix_sort_onesweep_sort_config_static_selectorELNS0_4arch9wavefront6targetE1EEEvSK_
		.amdhsa_group_segment_fixed_size 0
		.amdhsa_private_segment_fixed_size 0
		.amdhsa_kernarg_size 88
		.amdhsa_user_sgpr_count 2
		.amdhsa_user_sgpr_dispatch_ptr 0
		.amdhsa_user_sgpr_queue_ptr 0
		.amdhsa_user_sgpr_kernarg_segment_ptr 1
		.amdhsa_user_sgpr_dispatch_id 0
		.amdhsa_user_sgpr_kernarg_preload_length 0
		.amdhsa_user_sgpr_kernarg_preload_offset 0
		.amdhsa_user_sgpr_private_segment_size 0
		.amdhsa_uses_dynamic_stack 0
		.amdhsa_enable_private_segment 0
		.amdhsa_system_sgpr_workgroup_id_x 1
		.amdhsa_system_sgpr_workgroup_id_y 0
		.amdhsa_system_sgpr_workgroup_id_z 0
		.amdhsa_system_sgpr_workgroup_info 0
		.amdhsa_system_vgpr_workitem_id 0
		.amdhsa_next_free_vgpr 1
		.amdhsa_next_free_sgpr 0
		.amdhsa_accum_offset 4
		.amdhsa_reserve_vcc 0
		.amdhsa_float_round_mode_32 0
		.amdhsa_float_round_mode_16_64 0
		.amdhsa_float_denorm_mode_32 3
		.amdhsa_float_denorm_mode_16_64 3
		.amdhsa_dx10_clamp 1
		.amdhsa_ieee_mode 1
		.amdhsa_fp16_overflow 0
		.amdhsa_tg_split 0
		.amdhsa_exception_fp_ieee_invalid_op 0
		.amdhsa_exception_fp_denorm_src 0
		.amdhsa_exception_fp_ieee_div_zero 0
		.amdhsa_exception_fp_ieee_overflow 0
		.amdhsa_exception_fp_ieee_underflow 0
		.amdhsa_exception_fp_ieee_inexact 0
		.amdhsa_exception_int_div_zero 0
	.end_amdhsa_kernel
	.section	.text._ZN7rocprim17ROCPRIM_400000_NS6detail17trampoline_kernelINS0_14default_configENS1_35radix_sort_onesweep_config_selectorIiNS0_10empty_typeEEEZZNS1_29radix_sort_onesweep_iterationIS3_Lb1EN6thrust23THRUST_200600_302600_NS6detail15normal_iteratorINS9_10device_ptrIiEEEESE_PS5_SF_jNS0_19identity_decomposerENS1_16block_id_wrapperIjLb1EEEEE10hipError_tT1_PNSt15iterator_traitsISK_E10value_typeET2_T3_PNSL_ISQ_E10value_typeET4_T5_PSV_SW_PNS1_23onesweep_lookback_stateEbbT6_jjT7_P12ihipStream_tbENKUlT_T0_SK_SP_E_clISE_PiSF_SF_EEDaS13_S14_SK_SP_EUlS13_E_NS1_11comp_targetILNS1_3genE4ELNS1_11target_archE910ELNS1_3gpuE8ELNS1_3repE0EEENS1_47radix_sort_onesweep_sort_config_static_selectorELNS0_4arch9wavefront6targetE1EEEvSK_,"axG",@progbits,_ZN7rocprim17ROCPRIM_400000_NS6detail17trampoline_kernelINS0_14default_configENS1_35radix_sort_onesweep_config_selectorIiNS0_10empty_typeEEEZZNS1_29radix_sort_onesweep_iterationIS3_Lb1EN6thrust23THRUST_200600_302600_NS6detail15normal_iteratorINS9_10device_ptrIiEEEESE_PS5_SF_jNS0_19identity_decomposerENS1_16block_id_wrapperIjLb1EEEEE10hipError_tT1_PNSt15iterator_traitsISK_E10value_typeET2_T3_PNSL_ISQ_E10value_typeET4_T5_PSV_SW_PNS1_23onesweep_lookback_stateEbbT6_jjT7_P12ihipStream_tbENKUlT_T0_SK_SP_E_clISE_PiSF_SF_EEDaS13_S14_SK_SP_EUlS13_E_NS1_11comp_targetILNS1_3genE4ELNS1_11target_archE910ELNS1_3gpuE8ELNS1_3repE0EEENS1_47radix_sort_onesweep_sort_config_static_selectorELNS0_4arch9wavefront6targetE1EEEvSK_,comdat
.Lfunc_end349:
	.size	_ZN7rocprim17ROCPRIM_400000_NS6detail17trampoline_kernelINS0_14default_configENS1_35radix_sort_onesweep_config_selectorIiNS0_10empty_typeEEEZZNS1_29radix_sort_onesweep_iterationIS3_Lb1EN6thrust23THRUST_200600_302600_NS6detail15normal_iteratorINS9_10device_ptrIiEEEESE_PS5_SF_jNS0_19identity_decomposerENS1_16block_id_wrapperIjLb1EEEEE10hipError_tT1_PNSt15iterator_traitsISK_E10value_typeET2_T3_PNSL_ISQ_E10value_typeET4_T5_PSV_SW_PNS1_23onesweep_lookback_stateEbbT6_jjT7_P12ihipStream_tbENKUlT_T0_SK_SP_E_clISE_PiSF_SF_EEDaS13_S14_SK_SP_EUlS13_E_NS1_11comp_targetILNS1_3genE4ELNS1_11target_archE910ELNS1_3gpuE8ELNS1_3repE0EEENS1_47radix_sort_onesweep_sort_config_static_selectorELNS0_4arch9wavefront6targetE1EEEvSK_, .Lfunc_end349-_ZN7rocprim17ROCPRIM_400000_NS6detail17trampoline_kernelINS0_14default_configENS1_35radix_sort_onesweep_config_selectorIiNS0_10empty_typeEEEZZNS1_29radix_sort_onesweep_iterationIS3_Lb1EN6thrust23THRUST_200600_302600_NS6detail15normal_iteratorINS9_10device_ptrIiEEEESE_PS5_SF_jNS0_19identity_decomposerENS1_16block_id_wrapperIjLb1EEEEE10hipError_tT1_PNSt15iterator_traitsISK_E10value_typeET2_T3_PNSL_ISQ_E10value_typeET4_T5_PSV_SW_PNS1_23onesweep_lookback_stateEbbT6_jjT7_P12ihipStream_tbENKUlT_T0_SK_SP_E_clISE_PiSF_SF_EEDaS13_S14_SK_SP_EUlS13_E_NS1_11comp_targetILNS1_3genE4ELNS1_11target_archE910ELNS1_3gpuE8ELNS1_3repE0EEENS1_47radix_sort_onesweep_sort_config_static_selectorELNS0_4arch9wavefront6targetE1EEEvSK_
                                        ; -- End function
	.set _ZN7rocprim17ROCPRIM_400000_NS6detail17trampoline_kernelINS0_14default_configENS1_35radix_sort_onesweep_config_selectorIiNS0_10empty_typeEEEZZNS1_29radix_sort_onesweep_iterationIS3_Lb1EN6thrust23THRUST_200600_302600_NS6detail15normal_iteratorINS9_10device_ptrIiEEEESE_PS5_SF_jNS0_19identity_decomposerENS1_16block_id_wrapperIjLb1EEEEE10hipError_tT1_PNSt15iterator_traitsISK_E10value_typeET2_T3_PNSL_ISQ_E10value_typeET4_T5_PSV_SW_PNS1_23onesweep_lookback_stateEbbT6_jjT7_P12ihipStream_tbENKUlT_T0_SK_SP_E_clISE_PiSF_SF_EEDaS13_S14_SK_SP_EUlS13_E_NS1_11comp_targetILNS1_3genE4ELNS1_11target_archE910ELNS1_3gpuE8ELNS1_3repE0EEENS1_47radix_sort_onesweep_sort_config_static_selectorELNS0_4arch9wavefront6targetE1EEEvSK_.num_vgpr, 0
	.set _ZN7rocprim17ROCPRIM_400000_NS6detail17trampoline_kernelINS0_14default_configENS1_35radix_sort_onesweep_config_selectorIiNS0_10empty_typeEEEZZNS1_29radix_sort_onesweep_iterationIS3_Lb1EN6thrust23THRUST_200600_302600_NS6detail15normal_iteratorINS9_10device_ptrIiEEEESE_PS5_SF_jNS0_19identity_decomposerENS1_16block_id_wrapperIjLb1EEEEE10hipError_tT1_PNSt15iterator_traitsISK_E10value_typeET2_T3_PNSL_ISQ_E10value_typeET4_T5_PSV_SW_PNS1_23onesweep_lookback_stateEbbT6_jjT7_P12ihipStream_tbENKUlT_T0_SK_SP_E_clISE_PiSF_SF_EEDaS13_S14_SK_SP_EUlS13_E_NS1_11comp_targetILNS1_3genE4ELNS1_11target_archE910ELNS1_3gpuE8ELNS1_3repE0EEENS1_47radix_sort_onesweep_sort_config_static_selectorELNS0_4arch9wavefront6targetE1EEEvSK_.num_agpr, 0
	.set _ZN7rocprim17ROCPRIM_400000_NS6detail17trampoline_kernelINS0_14default_configENS1_35radix_sort_onesweep_config_selectorIiNS0_10empty_typeEEEZZNS1_29radix_sort_onesweep_iterationIS3_Lb1EN6thrust23THRUST_200600_302600_NS6detail15normal_iteratorINS9_10device_ptrIiEEEESE_PS5_SF_jNS0_19identity_decomposerENS1_16block_id_wrapperIjLb1EEEEE10hipError_tT1_PNSt15iterator_traitsISK_E10value_typeET2_T3_PNSL_ISQ_E10value_typeET4_T5_PSV_SW_PNS1_23onesweep_lookback_stateEbbT6_jjT7_P12ihipStream_tbENKUlT_T0_SK_SP_E_clISE_PiSF_SF_EEDaS13_S14_SK_SP_EUlS13_E_NS1_11comp_targetILNS1_3genE4ELNS1_11target_archE910ELNS1_3gpuE8ELNS1_3repE0EEENS1_47radix_sort_onesweep_sort_config_static_selectorELNS0_4arch9wavefront6targetE1EEEvSK_.numbered_sgpr, 0
	.set _ZN7rocprim17ROCPRIM_400000_NS6detail17trampoline_kernelINS0_14default_configENS1_35radix_sort_onesweep_config_selectorIiNS0_10empty_typeEEEZZNS1_29radix_sort_onesweep_iterationIS3_Lb1EN6thrust23THRUST_200600_302600_NS6detail15normal_iteratorINS9_10device_ptrIiEEEESE_PS5_SF_jNS0_19identity_decomposerENS1_16block_id_wrapperIjLb1EEEEE10hipError_tT1_PNSt15iterator_traitsISK_E10value_typeET2_T3_PNSL_ISQ_E10value_typeET4_T5_PSV_SW_PNS1_23onesweep_lookback_stateEbbT6_jjT7_P12ihipStream_tbENKUlT_T0_SK_SP_E_clISE_PiSF_SF_EEDaS13_S14_SK_SP_EUlS13_E_NS1_11comp_targetILNS1_3genE4ELNS1_11target_archE910ELNS1_3gpuE8ELNS1_3repE0EEENS1_47radix_sort_onesweep_sort_config_static_selectorELNS0_4arch9wavefront6targetE1EEEvSK_.num_named_barrier, 0
	.set _ZN7rocprim17ROCPRIM_400000_NS6detail17trampoline_kernelINS0_14default_configENS1_35radix_sort_onesweep_config_selectorIiNS0_10empty_typeEEEZZNS1_29radix_sort_onesweep_iterationIS3_Lb1EN6thrust23THRUST_200600_302600_NS6detail15normal_iteratorINS9_10device_ptrIiEEEESE_PS5_SF_jNS0_19identity_decomposerENS1_16block_id_wrapperIjLb1EEEEE10hipError_tT1_PNSt15iterator_traitsISK_E10value_typeET2_T3_PNSL_ISQ_E10value_typeET4_T5_PSV_SW_PNS1_23onesweep_lookback_stateEbbT6_jjT7_P12ihipStream_tbENKUlT_T0_SK_SP_E_clISE_PiSF_SF_EEDaS13_S14_SK_SP_EUlS13_E_NS1_11comp_targetILNS1_3genE4ELNS1_11target_archE910ELNS1_3gpuE8ELNS1_3repE0EEENS1_47radix_sort_onesweep_sort_config_static_selectorELNS0_4arch9wavefront6targetE1EEEvSK_.private_seg_size, 0
	.set _ZN7rocprim17ROCPRIM_400000_NS6detail17trampoline_kernelINS0_14default_configENS1_35radix_sort_onesweep_config_selectorIiNS0_10empty_typeEEEZZNS1_29radix_sort_onesweep_iterationIS3_Lb1EN6thrust23THRUST_200600_302600_NS6detail15normal_iteratorINS9_10device_ptrIiEEEESE_PS5_SF_jNS0_19identity_decomposerENS1_16block_id_wrapperIjLb1EEEEE10hipError_tT1_PNSt15iterator_traitsISK_E10value_typeET2_T3_PNSL_ISQ_E10value_typeET4_T5_PSV_SW_PNS1_23onesweep_lookback_stateEbbT6_jjT7_P12ihipStream_tbENKUlT_T0_SK_SP_E_clISE_PiSF_SF_EEDaS13_S14_SK_SP_EUlS13_E_NS1_11comp_targetILNS1_3genE4ELNS1_11target_archE910ELNS1_3gpuE8ELNS1_3repE0EEENS1_47radix_sort_onesweep_sort_config_static_selectorELNS0_4arch9wavefront6targetE1EEEvSK_.uses_vcc, 0
	.set _ZN7rocprim17ROCPRIM_400000_NS6detail17trampoline_kernelINS0_14default_configENS1_35radix_sort_onesweep_config_selectorIiNS0_10empty_typeEEEZZNS1_29radix_sort_onesweep_iterationIS3_Lb1EN6thrust23THRUST_200600_302600_NS6detail15normal_iteratorINS9_10device_ptrIiEEEESE_PS5_SF_jNS0_19identity_decomposerENS1_16block_id_wrapperIjLb1EEEEE10hipError_tT1_PNSt15iterator_traitsISK_E10value_typeET2_T3_PNSL_ISQ_E10value_typeET4_T5_PSV_SW_PNS1_23onesweep_lookback_stateEbbT6_jjT7_P12ihipStream_tbENKUlT_T0_SK_SP_E_clISE_PiSF_SF_EEDaS13_S14_SK_SP_EUlS13_E_NS1_11comp_targetILNS1_3genE4ELNS1_11target_archE910ELNS1_3gpuE8ELNS1_3repE0EEENS1_47radix_sort_onesweep_sort_config_static_selectorELNS0_4arch9wavefront6targetE1EEEvSK_.uses_flat_scratch, 0
	.set _ZN7rocprim17ROCPRIM_400000_NS6detail17trampoline_kernelINS0_14default_configENS1_35radix_sort_onesweep_config_selectorIiNS0_10empty_typeEEEZZNS1_29radix_sort_onesweep_iterationIS3_Lb1EN6thrust23THRUST_200600_302600_NS6detail15normal_iteratorINS9_10device_ptrIiEEEESE_PS5_SF_jNS0_19identity_decomposerENS1_16block_id_wrapperIjLb1EEEEE10hipError_tT1_PNSt15iterator_traitsISK_E10value_typeET2_T3_PNSL_ISQ_E10value_typeET4_T5_PSV_SW_PNS1_23onesweep_lookback_stateEbbT6_jjT7_P12ihipStream_tbENKUlT_T0_SK_SP_E_clISE_PiSF_SF_EEDaS13_S14_SK_SP_EUlS13_E_NS1_11comp_targetILNS1_3genE4ELNS1_11target_archE910ELNS1_3gpuE8ELNS1_3repE0EEENS1_47radix_sort_onesweep_sort_config_static_selectorELNS0_4arch9wavefront6targetE1EEEvSK_.has_dyn_sized_stack, 0
	.set _ZN7rocprim17ROCPRIM_400000_NS6detail17trampoline_kernelINS0_14default_configENS1_35radix_sort_onesweep_config_selectorIiNS0_10empty_typeEEEZZNS1_29radix_sort_onesweep_iterationIS3_Lb1EN6thrust23THRUST_200600_302600_NS6detail15normal_iteratorINS9_10device_ptrIiEEEESE_PS5_SF_jNS0_19identity_decomposerENS1_16block_id_wrapperIjLb1EEEEE10hipError_tT1_PNSt15iterator_traitsISK_E10value_typeET2_T3_PNSL_ISQ_E10value_typeET4_T5_PSV_SW_PNS1_23onesweep_lookback_stateEbbT6_jjT7_P12ihipStream_tbENKUlT_T0_SK_SP_E_clISE_PiSF_SF_EEDaS13_S14_SK_SP_EUlS13_E_NS1_11comp_targetILNS1_3genE4ELNS1_11target_archE910ELNS1_3gpuE8ELNS1_3repE0EEENS1_47radix_sort_onesweep_sort_config_static_selectorELNS0_4arch9wavefront6targetE1EEEvSK_.has_recursion, 0
	.set _ZN7rocprim17ROCPRIM_400000_NS6detail17trampoline_kernelINS0_14default_configENS1_35radix_sort_onesweep_config_selectorIiNS0_10empty_typeEEEZZNS1_29radix_sort_onesweep_iterationIS3_Lb1EN6thrust23THRUST_200600_302600_NS6detail15normal_iteratorINS9_10device_ptrIiEEEESE_PS5_SF_jNS0_19identity_decomposerENS1_16block_id_wrapperIjLb1EEEEE10hipError_tT1_PNSt15iterator_traitsISK_E10value_typeET2_T3_PNSL_ISQ_E10value_typeET4_T5_PSV_SW_PNS1_23onesweep_lookback_stateEbbT6_jjT7_P12ihipStream_tbENKUlT_T0_SK_SP_E_clISE_PiSF_SF_EEDaS13_S14_SK_SP_EUlS13_E_NS1_11comp_targetILNS1_3genE4ELNS1_11target_archE910ELNS1_3gpuE8ELNS1_3repE0EEENS1_47radix_sort_onesweep_sort_config_static_selectorELNS0_4arch9wavefront6targetE1EEEvSK_.has_indirect_call, 0
	.section	.AMDGPU.csdata,"",@progbits
; Kernel info:
; codeLenInByte = 0
; TotalNumSgprs: 6
; NumVgprs: 0
; NumAgprs: 0
; TotalNumVgprs: 0
; ScratchSize: 0
; MemoryBound: 0
; FloatMode: 240
; IeeeMode: 1
; LDSByteSize: 0 bytes/workgroup (compile time only)
; SGPRBlocks: 0
; VGPRBlocks: 0
; NumSGPRsForWavesPerEU: 6
; NumVGPRsForWavesPerEU: 1
; AccumOffset: 4
; Occupancy: 8
; WaveLimiterHint : 0
; COMPUTE_PGM_RSRC2:SCRATCH_EN: 0
; COMPUTE_PGM_RSRC2:USER_SGPR: 2
; COMPUTE_PGM_RSRC2:TRAP_HANDLER: 0
; COMPUTE_PGM_RSRC2:TGID_X_EN: 1
; COMPUTE_PGM_RSRC2:TGID_Y_EN: 0
; COMPUTE_PGM_RSRC2:TGID_Z_EN: 0
; COMPUTE_PGM_RSRC2:TIDIG_COMP_CNT: 0
; COMPUTE_PGM_RSRC3_GFX90A:ACCUM_OFFSET: 0
; COMPUTE_PGM_RSRC3_GFX90A:TG_SPLIT: 0
	.section	.text._ZN7rocprim17ROCPRIM_400000_NS6detail17trampoline_kernelINS0_14default_configENS1_35radix_sort_onesweep_config_selectorIiNS0_10empty_typeEEEZZNS1_29radix_sort_onesweep_iterationIS3_Lb1EN6thrust23THRUST_200600_302600_NS6detail15normal_iteratorINS9_10device_ptrIiEEEESE_PS5_SF_jNS0_19identity_decomposerENS1_16block_id_wrapperIjLb1EEEEE10hipError_tT1_PNSt15iterator_traitsISK_E10value_typeET2_T3_PNSL_ISQ_E10value_typeET4_T5_PSV_SW_PNS1_23onesweep_lookback_stateEbbT6_jjT7_P12ihipStream_tbENKUlT_T0_SK_SP_E_clISE_PiSF_SF_EEDaS13_S14_SK_SP_EUlS13_E_NS1_11comp_targetILNS1_3genE3ELNS1_11target_archE908ELNS1_3gpuE7ELNS1_3repE0EEENS1_47radix_sort_onesweep_sort_config_static_selectorELNS0_4arch9wavefront6targetE1EEEvSK_,"axG",@progbits,_ZN7rocprim17ROCPRIM_400000_NS6detail17trampoline_kernelINS0_14default_configENS1_35radix_sort_onesweep_config_selectorIiNS0_10empty_typeEEEZZNS1_29radix_sort_onesweep_iterationIS3_Lb1EN6thrust23THRUST_200600_302600_NS6detail15normal_iteratorINS9_10device_ptrIiEEEESE_PS5_SF_jNS0_19identity_decomposerENS1_16block_id_wrapperIjLb1EEEEE10hipError_tT1_PNSt15iterator_traitsISK_E10value_typeET2_T3_PNSL_ISQ_E10value_typeET4_T5_PSV_SW_PNS1_23onesweep_lookback_stateEbbT6_jjT7_P12ihipStream_tbENKUlT_T0_SK_SP_E_clISE_PiSF_SF_EEDaS13_S14_SK_SP_EUlS13_E_NS1_11comp_targetILNS1_3genE3ELNS1_11target_archE908ELNS1_3gpuE7ELNS1_3repE0EEENS1_47radix_sort_onesweep_sort_config_static_selectorELNS0_4arch9wavefront6targetE1EEEvSK_,comdat
	.protected	_ZN7rocprim17ROCPRIM_400000_NS6detail17trampoline_kernelINS0_14default_configENS1_35radix_sort_onesweep_config_selectorIiNS0_10empty_typeEEEZZNS1_29radix_sort_onesweep_iterationIS3_Lb1EN6thrust23THRUST_200600_302600_NS6detail15normal_iteratorINS9_10device_ptrIiEEEESE_PS5_SF_jNS0_19identity_decomposerENS1_16block_id_wrapperIjLb1EEEEE10hipError_tT1_PNSt15iterator_traitsISK_E10value_typeET2_T3_PNSL_ISQ_E10value_typeET4_T5_PSV_SW_PNS1_23onesweep_lookback_stateEbbT6_jjT7_P12ihipStream_tbENKUlT_T0_SK_SP_E_clISE_PiSF_SF_EEDaS13_S14_SK_SP_EUlS13_E_NS1_11comp_targetILNS1_3genE3ELNS1_11target_archE908ELNS1_3gpuE7ELNS1_3repE0EEENS1_47radix_sort_onesweep_sort_config_static_selectorELNS0_4arch9wavefront6targetE1EEEvSK_ ; -- Begin function _ZN7rocprim17ROCPRIM_400000_NS6detail17trampoline_kernelINS0_14default_configENS1_35radix_sort_onesweep_config_selectorIiNS0_10empty_typeEEEZZNS1_29radix_sort_onesweep_iterationIS3_Lb1EN6thrust23THRUST_200600_302600_NS6detail15normal_iteratorINS9_10device_ptrIiEEEESE_PS5_SF_jNS0_19identity_decomposerENS1_16block_id_wrapperIjLb1EEEEE10hipError_tT1_PNSt15iterator_traitsISK_E10value_typeET2_T3_PNSL_ISQ_E10value_typeET4_T5_PSV_SW_PNS1_23onesweep_lookback_stateEbbT6_jjT7_P12ihipStream_tbENKUlT_T0_SK_SP_E_clISE_PiSF_SF_EEDaS13_S14_SK_SP_EUlS13_E_NS1_11comp_targetILNS1_3genE3ELNS1_11target_archE908ELNS1_3gpuE7ELNS1_3repE0EEENS1_47radix_sort_onesweep_sort_config_static_selectorELNS0_4arch9wavefront6targetE1EEEvSK_
	.globl	_ZN7rocprim17ROCPRIM_400000_NS6detail17trampoline_kernelINS0_14default_configENS1_35radix_sort_onesweep_config_selectorIiNS0_10empty_typeEEEZZNS1_29radix_sort_onesweep_iterationIS3_Lb1EN6thrust23THRUST_200600_302600_NS6detail15normal_iteratorINS9_10device_ptrIiEEEESE_PS5_SF_jNS0_19identity_decomposerENS1_16block_id_wrapperIjLb1EEEEE10hipError_tT1_PNSt15iterator_traitsISK_E10value_typeET2_T3_PNSL_ISQ_E10value_typeET4_T5_PSV_SW_PNS1_23onesweep_lookback_stateEbbT6_jjT7_P12ihipStream_tbENKUlT_T0_SK_SP_E_clISE_PiSF_SF_EEDaS13_S14_SK_SP_EUlS13_E_NS1_11comp_targetILNS1_3genE3ELNS1_11target_archE908ELNS1_3gpuE7ELNS1_3repE0EEENS1_47radix_sort_onesweep_sort_config_static_selectorELNS0_4arch9wavefront6targetE1EEEvSK_
	.p2align	8
	.type	_ZN7rocprim17ROCPRIM_400000_NS6detail17trampoline_kernelINS0_14default_configENS1_35radix_sort_onesweep_config_selectorIiNS0_10empty_typeEEEZZNS1_29radix_sort_onesweep_iterationIS3_Lb1EN6thrust23THRUST_200600_302600_NS6detail15normal_iteratorINS9_10device_ptrIiEEEESE_PS5_SF_jNS0_19identity_decomposerENS1_16block_id_wrapperIjLb1EEEEE10hipError_tT1_PNSt15iterator_traitsISK_E10value_typeET2_T3_PNSL_ISQ_E10value_typeET4_T5_PSV_SW_PNS1_23onesweep_lookback_stateEbbT6_jjT7_P12ihipStream_tbENKUlT_T0_SK_SP_E_clISE_PiSF_SF_EEDaS13_S14_SK_SP_EUlS13_E_NS1_11comp_targetILNS1_3genE3ELNS1_11target_archE908ELNS1_3gpuE7ELNS1_3repE0EEENS1_47radix_sort_onesweep_sort_config_static_selectorELNS0_4arch9wavefront6targetE1EEEvSK_,@function
_ZN7rocprim17ROCPRIM_400000_NS6detail17trampoline_kernelINS0_14default_configENS1_35radix_sort_onesweep_config_selectorIiNS0_10empty_typeEEEZZNS1_29radix_sort_onesweep_iterationIS3_Lb1EN6thrust23THRUST_200600_302600_NS6detail15normal_iteratorINS9_10device_ptrIiEEEESE_PS5_SF_jNS0_19identity_decomposerENS1_16block_id_wrapperIjLb1EEEEE10hipError_tT1_PNSt15iterator_traitsISK_E10value_typeET2_T3_PNSL_ISQ_E10value_typeET4_T5_PSV_SW_PNS1_23onesweep_lookback_stateEbbT6_jjT7_P12ihipStream_tbENKUlT_T0_SK_SP_E_clISE_PiSF_SF_EEDaS13_S14_SK_SP_EUlS13_E_NS1_11comp_targetILNS1_3genE3ELNS1_11target_archE908ELNS1_3gpuE7ELNS1_3repE0EEENS1_47radix_sort_onesweep_sort_config_static_selectorELNS0_4arch9wavefront6targetE1EEEvSK_: ; @_ZN7rocprim17ROCPRIM_400000_NS6detail17trampoline_kernelINS0_14default_configENS1_35radix_sort_onesweep_config_selectorIiNS0_10empty_typeEEEZZNS1_29radix_sort_onesweep_iterationIS3_Lb1EN6thrust23THRUST_200600_302600_NS6detail15normal_iteratorINS9_10device_ptrIiEEEESE_PS5_SF_jNS0_19identity_decomposerENS1_16block_id_wrapperIjLb1EEEEE10hipError_tT1_PNSt15iterator_traitsISK_E10value_typeET2_T3_PNSL_ISQ_E10value_typeET4_T5_PSV_SW_PNS1_23onesweep_lookback_stateEbbT6_jjT7_P12ihipStream_tbENKUlT_T0_SK_SP_E_clISE_PiSF_SF_EEDaS13_S14_SK_SP_EUlS13_E_NS1_11comp_targetILNS1_3genE3ELNS1_11target_archE908ELNS1_3gpuE7ELNS1_3repE0EEENS1_47radix_sort_onesweep_sort_config_static_selectorELNS0_4arch9wavefront6targetE1EEEvSK_
; %bb.0:
	.section	.rodata,"a",@progbits
	.p2align	6, 0x0
	.amdhsa_kernel _ZN7rocprim17ROCPRIM_400000_NS6detail17trampoline_kernelINS0_14default_configENS1_35radix_sort_onesweep_config_selectorIiNS0_10empty_typeEEEZZNS1_29radix_sort_onesweep_iterationIS3_Lb1EN6thrust23THRUST_200600_302600_NS6detail15normal_iteratorINS9_10device_ptrIiEEEESE_PS5_SF_jNS0_19identity_decomposerENS1_16block_id_wrapperIjLb1EEEEE10hipError_tT1_PNSt15iterator_traitsISK_E10value_typeET2_T3_PNSL_ISQ_E10value_typeET4_T5_PSV_SW_PNS1_23onesweep_lookback_stateEbbT6_jjT7_P12ihipStream_tbENKUlT_T0_SK_SP_E_clISE_PiSF_SF_EEDaS13_S14_SK_SP_EUlS13_E_NS1_11comp_targetILNS1_3genE3ELNS1_11target_archE908ELNS1_3gpuE7ELNS1_3repE0EEENS1_47radix_sort_onesweep_sort_config_static_selectorELNS0_4arch9wavefront6targetE1EEEvSK_
		.amdhsa_group_segment_fixed_size 0
		.amdhsa_private_segment_fixed_size 0
		.amdhsa_kernarg_size 88
		.amdhsa_user_sgpr_count 2
		.amdhsa_user_sgpr_dispatch_ptr 0
		.amdhsa_user_sgpr_queue_ptr 0
		.amdhsa_user_sgpr_kernarg_segment_ptr 1
		.amdhsa_user_sgpr_dispatch_id 0
		.amdhsa_user_sgpr_kernarg_preload_length 0
		.amdhsa_user_sgpr_kernarg_preload_offset 0
		.amdhsa_user_sgpr_private_segment_size 0
		.amdhsa_uses_dynamic_stack 0
		.amdhsa_enable_private_segment 0
		.amdhsa_system_sgpr_workgroup_id_x 1
		.amdhsa_system_sgpr_workgroup_id_y 0
		.amdhsa_system_sgpr_workgroup_id_z 0
		.amdhsa_system_sgpr_workgroup_info 0
		.amdhsa_system_vgpr_workitem_id 0
		.amdhsa_next_free_vgpr 1
		.amdhsa_next_free_sgpr 0
		.amdhsa_accum_offset 4
		.amdhsa_reserve_vcc 0
		.amdhsa_float_round_mode_32 0
		.amdhsa_float_round_mode_16_64 0
		.amdhsa_float_denorm_mode_32 3
		.amdhsa_float_denorm_mode_16_64 3
		.amdhsa_dx10_clamp 1
		.amdhsa_ieee_mode 1
		.amdhsa_fp16_overflow 0
		.amdhsa_tg_split 0
		.amdhsa_exception_fp_ieee_invalid_op 0
		.amdhsa_exception_fp_denorm_src 0
		.amdhsa_exception_fp_ieee_div_zero 0
		.amdhsa_exception_fp_ieee_overflow 0
		.amdhsa_exception_fp_ieee_underflow 0
		.amdhsa_exception_fp_ieee_inexact 0
		.amdhsa_exception_int_div_zero 0
	.end_amdhsa_kernel
	.section	.text._ZN7rocprim17ROCPRIM_400000_NS6detail17trampoline_kernelINS0_14default_configENS1_35radix_sort_onesweep_config_selectorIiNS0_10empty_typeEEEZZNS1_29radix_sort_onesweep_iterationIS3_Lb1EN6thrust23THRUST_200600_302600_NS6detail15normal_iteratorINS9_10device_ptrIiEEEESE_PS5_SF_jNS0_19identity_decomposerENS1_16block_id_wrapperIjLb1EEEEE10hipError_tT1_PNSt15iterator_traitsISK_E10value_typeET2_T3_PNSL_ISQ_E10value_typeET4_T5_PSV_SW_PNS1_23onesweep_lookback_stateEbbT6_jjT7_P12ihipStream_tbENKUlT_T0_SK_SP_E_clISE_PiSF_SF_EEDaS13_S14_SK_SP_EUlS13_E_NS1_11comp_targetILNS1_3genE3ELNS1_11target_archE908ELNS1_3gpuE7ELNS1_3repE0EEENS1_47radix_sort_onesweep_sort_config_static_selectorELNS0_4arch9wavefront6targetE1EEEvSK_,"axG",@progbits,_ZN7rocprim17ROCPRIM_400000_NS6detail17trampoline_kernelINS0_14default_configENS1_35radix_sort_onesweep_config_selectorIiNS0_10empty_typeEEEZZNS1_29radix_sort_onesweep_iterationIS3_Lb1EN6thrust23THRUST_200600_302600_NS6detail15normal_iteratorINS9_10device_ptrIiEEEESE_PS5_SF_jNS0_19identity_decomposerENS1_16block_id_wrapperIjLb1EEEEE10hipError_tT1_PNSt15iterator_traitsISK_E10value_typeET2_T3_PNSL_ISQ_E10value_typeET4_T5_PSV_SW_PNS1_23onesweep_lookback_stateEbbT6_jjT7_P12ihipStream_tbENKUlT_T0_SK_SP_E_clISE_PiSF_SF_EEDaS13_S14_SK_SP_EUlS13_E_NS1_11comp_targetILNS1_3genE3ELNS1_11target_archE908ELNS1_3gpuE7ELNS1_3repE0EEENS1_47radix_sort_onesweep_sort_config_static_selectorELNS0_4arch9wavefront6targetE1EEEvSK_,comdat
.Lfunc_end350:
	.size	_ZN7rocprim17ROCPRIM_400000_NS6detail17trampoline_kernelINS0_14default_configENS1_35radix_sort_onesweep_config_selectorIiNS0_10empty_typeEEEZZNS1_29radix_sort_onesweep_iterationIS3_Lb1EN6thrust23THRUST_200600_302600_NS6detail15normal_iteratorINS9_10device_ptrIiEEEESE_PS5_SF_jNS0_19identity_decomposerENS1_16block_id_wrapperIjLb1EEEEE10hipError_tT1_PNSt15iterator_traitsISK_E10value_typeET2_T3_PNSL_ISQ_E10value_typeET4_T5_PSV_SW_PNS1_23onesweep_lookback_stateEbbT6_jjT7_P12ihipStream_tbENKUlT_T0_SK_SP_E_clISE_PiSF_SF_EEDaS13_S14_SK_SP_EUlS13_E_NS1_11comp_targetILNS1_3genE3ELNS1_11target_archE908ELNS1_3gpuE7ELNS1_3repE0EEENS1_47radix_sort_onesweep_sort_config_static_selectorELNS0_4arch9wavefront6targetE1EEEvSK_, .Lfunc_end350-_ZN7rocprim17ROCPRIM_400000_NS6detail17trampoline_kernelINS0_14default_configENS1_35radix_sort_onesweep_config_selectorIiNS0_10empty_typeEEEZZNS1_29radix_sort_onesweep_iterationIS3_Lb1EN6thrust23THRUST_200600_302600_NS6detail15normal_iteratorINS9_10device_ptrIiEEEESE_PS5_SF_jNS0_19identity_decomposerENS1_16block_id_wrapperIjLb1EEEEE10hipError_tT1_PNSt15iterator_traitsISK_E10value_typeET2_T3_PNSL_ISQ_E10value_typeET4_T5_PSV_SW_PNS1_23onesweep_lookback_stateEbbT6_jjT7_P12ihipStream_tbENKUlT_T0_SK_SP_E_clISE_PiSF_SF_EEDaS13_S14_SK_SP_EUlS13_E_NS1_11comp_targetILNS1_3genE3ELNS1_11target_archE908ELNS1_3gpuE7ELNS1_3repE0EEENS1_47radix_sort_onesweep_sort_config_static_selectorELNS0_4arch9wavefront6targetE1EEEvSK_
                                        ; -- End function
	.set _ZN7rocprim17ROCPRIM_400000_NS6detail17trampoline_kernelINS0_14default_configENS1_35radix_sort_onesweep_config_selectorIiNS0_10empty_typeEEEZZNS1_29radix_sort_onesweep_iterationIS3_Lb1EN6thrust23THRUST_200600_302600_NS6detail15normal_iteratorINS9_10device_ptrIiEEEESE_PS5_SF_jNS0_19identity_decomposerENS1_16block_id_wrapperIjLb1EEEEE10hipError_tT1_PNSt15iterator_traitsISK_E10value_typeET2_T3_PNSL_ISQ_E10value_typeET4_T5_PSV_SW_PNS1_23onesweep_lookback_stateEbbT6_jjT7_P12ihipStream_tbENKUlT_T0_SK_SP_E_clISE_PiSF_SF_EEDaS13_S14_SK_SP_EUlS13_E_NS1_11comp_targetILNS1_3genE3ELNS1_11target_archE908ELNS1_3gpuE7ELNS1_3repE0EEENS1_47radix_sort_onesweep_sort_config_static_selectorELNS0_4arch9wavefront6targetE1EEEvSK_.num_vgpr, 0
	.set _ZN7rocprim17ROCPRIM_400000_NS6detail17trampoline_kernelINS0_14default_configENS1_35radix_sort_onesweep_config_selectorIiNS0_10empty_typeEEEZZNS1_29radix_sort_onesweep_iterationIS3_Lb1EN6thrust23THRUST_200600_302600_NS6detail15normal_iteratorINS9_10device_ptrIiEEEESE_PS5_SF_jNS0_19identity_decomposerENS1_16block_id_wrapperIjLb1EEEEE10hipError_tT1_PNSt15iterator_traitsISK_E10value_typeET2_T3_PNSL_ISQ_E10value_typeET4_T5_PSV_SW_PNS1_23onesweep_lookback_stateEbbT6_jjT7_P12ihipStream_tbENKUlT_T0_SK_SP_E_clISE_PiSF_SF_EEDaS13_S14_SK_SP_EUlS13_E_NS1_11comp_targetILNS1_3genE3ELNS1_11target_archE908ELNS1_3gpuE7ELNS1_3repE0EEENS1_47radix_sort_onesweep_sort_config_static_selectorELNS0_4arch9wavefront6targetE1EEEvSK_.num_agpr, 0
	.set _ZN7rocprim17ROCPRIM_400000_NS6detail17trampoline_kernelINS0_14default_configENS1_35radix_sort_onesweep_config_selectorIiNS0_10empty_typeEEEZZNS1_29radix_sort_onesweep_iterationIS3_Lb1EN6thrust23THRUST_200600_302600_NS6detail15normal_iteratorINS9_10device_ptrIiEEEESE_PS5_SF_jNS0_19identity_decomposerENS1_16block_id_wrapperIjLb1EEEEE10hipError_tT1_PNSt15iterator_traitsISK_E10value_typeET2_T3_PNSL_ISQ_E10value_typeET4_T5_PSV_SW_PNS1_23onesweep_lookback_stateEbbT6_jjT7_P12ihipStream_tbENKUlT_T0_SK_SP_E_clISE_PiSF_SF_EEDaS13_S14_SK_SP_EUlS13_E_NS1_11comp_targetILNS1_3genE3ELNS1_11target_archE908ELNS1_3gpuE7ELNS1_3repE0EEENS1_47radix_sort_onesweep_sort_config_static_selectorELNS0_4arch9wavefront6targetE1EEEvSK_.numbered_sgpr, 0
	.set _ZN7rocprim17ROCPRIM_400000_NS6detail17trampoline_kernelINS0_14default_configENS1_35radix_sort_onesweep_config_selectorIiNS0_10empty_typeEEEZZNS1_29radix_sort_onesweep_iterationIS3_Lb1EN6thrust23THRUST_200600_302600_NS6detail15normal_iteratorINS9_10device_ptrIiEEEESE_PS5_SF_jNS0_19identity_decomposerENS1_16block_id_wrapperIjLb1EEEEE10hipError_tT1_PNSt15iterator_traitsISK_E10value_typeET2_T3_PNSL_ISQ_E10value_typeET4_T5_PSV_SW_PNS1_23onesweep_lookback_stateEbbT6_jjT7_P12ihipStream_tbENKUlT_T0_SK_SP_E_clISE_PiSF_SF_EEDaS13_S14_SK_SP_EUlS13_E_NS1_11comp_targetILNS1_3genE3ELNS1_11target_archE908ELNS1_3gpuE7ELNS1_3repE0EEENS1_47radix_sort_onesweep_sort_config_static_selectorELNS0_4arch9wavefront6targetE1EEEvSK_.num_named_barrier, 0
	.set _ZN7rocprim17ROCPRIM_400000_NS6detail17trampoline_kernelINS0_14default_configENS1_35radix_sort_onesweep_config_selectorIiNS0_10empty_typeEEEZZNS1_29radix_sort_onesweep_iterationIS3_Lb1EN6thrust23THRUST_200600_302600_NS6detail15normal_iteratorINS9_10device_ptrIiEEEESE_PS5_SF_jNS0_19identity_decomposerENS1_16block_id_wrapperIjLb1EEEEE10hipError_tT1_PNSt15iterator_traitsISK_E10value_typeET2_T3_PNSL_ISQ_E10value_typeET4_T5_PSV_SW_PNS1_23onesweep_lookback_stateEbbT6_jjT7_P12ihipStream_tbENKUlT_T0_SK_SP_E_clISE_PiSF_SF_EEDaS13_S14_SK_SP_EUlS13_E_NS1_11comp_targetILNS1_3genE3ELNS1_11target_archE908ELNS1_3gpuE7ELNS1_3repE0EEENS1_47radix_sort_onesweep_sort_config_static_selectorELNS0_4arch9wavefront6targetE1EEEvSK_.private_seg_size, 0
	.set _ZN7rocprim17ROCPRIM_400000_NS6detail17trampoline_kernelINS0_14default_configENS1_35radix_sort_onesweep_config_selectorIiNS0_10empty_typeEEEZZNS1_29radix_sort_onesweep_iterationIS3_Lb1EN6thrust23THRUST_200600_302600_NS6detail15normal_iteratorINS9_10device_ptrIiEEEESE_PS5_SF_jNS0_19identity_decomposerENS1_16block_id_wrapperIjLb1EEEEE10hipError_tT1_PNSt15iterator_traitsISK_E10value_typeET2_T3_PNSL_ISQ_E10value_typeET4_T5_PSV_SW_PNS1_23onesweep_lookback_stateEbbT6_jjT7_P12ihipStream_tbENKUlT_T0_SK_SP_E_clISE_PiSF_SF_EEDaS13_S14_SK_SP_EUlS13_E_NS1_11comp_targetILNS1_3genE3ELNS1_11target_archE908ELNS1_3gpuE7ELNS1_3repE0EEENS1_47radix_sort_onesweep_sort_config_static_selectorELNS0_4arch9wavefront6targetE1EEEvSK_.uses_vcc, 0
	.set _ZN7rocprim17ROCPRIM_400000_NS6detail17trampoline_kernelINS0_14default_configENS1_35radix_sort_onesweep_config_selectorIiNS0_10empty_typeEEEZZNS1_29radix_sort_onesweep_iterationIS3_Lb1EN6thrust23THRUST_200600_302600_NS6detail15normal_iteratorINS9_10device_ptrIiEEEESE_PS5_SF_jNS0_19identity_decomposerENS1_16block_id_wrapperIjLb1EEEEE10hipError_tT1_PNSt15iterator_traitsISK_E10value_typeET2_T3_PNSL_ISQ_E10value_typeET4_T5_PSV_SW_PNS1_23onesweep_lookback_stateEbbT6_jjT7_P12ihipStream_tbENKUlT_T0_SK_SP_E_clISE_PiSF_SF_EEDaS13_S14_SK_SP_EUlS13_E_NS1_11comp_targetILNS1_3genE3ELNS1_11target_archE908ELNS1_3gpuE7ELNS1_3repE0EEENS1_47radix_sort_onesweep_sort_config_static_selectorELNS0_4arch9wavefront6targetE1EEEvSK_.uses_flat_scratch, 0
	.set _ZN7rocprim17ROCPRIM_400000_NS6detail17trampoline_kernelINS0_14default_configENS1_35radix_sort_onesweep_config_selectorIiNS0_10empty_typeEEEZZNS1_29radix_sort_onesweep_iterationIS3_Lb1EN6thrust23THRUST_200600_302600_NS6detail15normal_iteratorINS9_10device_ptrIiEEEESE_PS5_SF_jNS0_19identity_decomposerENS1_16block_id_wrapperIjLb1EEEEE10hipError_tT1_PNSt15iterator_traitsISK_E10value_typeET2_T3_PNSL_ISQ_E10value_typeET4_T5_PSV_SW_PNS1_23onesweep_lookback_stateEbbT6_jjT7_P12ihipStream_tbENKUlT_T0_SK_SP_E_clISE_PiSF_SF_EEDaS13_S14_SK_SP_EUlS13_E_NS1_11comp_targetILNS1_3genE3ELNS1_11target_archE908ELNS1_3gpuE7ELNS1_3repE0EEENS1_47radix_sort_onesweep_sort_config_static_selectorELNS0_4arch9wavefront6targetE1EEEvSK_.has_dyn_sized_stack, 0
	.set _ZN7rocprim17ROCPRIM_400000_NS6detail17trampoline_kernelINS0_14default_configENS1_35radix_sort_onesweep_config_selectorIiNS0_10empty_typeEEEZZNS1_29radix_sort_onesweep_iterationIS3_Lb1EN6thrust23THRUST_200600_302600_NS6detail15normal_iteratorINS9_10device_ptrIiEEEESE_PS5_SF_jNS0_19identity_decomposerENS1_16block_id_wrapperIjLb1EEEEE10hipError_tT1_PNSt15iterator_traitsISK_E10value_typeET2_T3_PNSL_ISQ_E10value_typeET4_T5_PSV_SW_PNS1_23onesweep_lookback_stateEbbT6_jjT7_P12ihipStream_tbENKUlT_T0_SK_SP_E_clISE_PiSF_SF_EEDaS13_S14_SK_SP_EUlS13_E_NS1_11comp_targetILNS1_3genE3ELNS1_11target_archE908ELNS1_3gpuE7ELNS1_3repE0EEENS1_47radix_sort_onesweep_sort_config_static_selectorELNS0_4arch9wavefront6targetE1EEEvSK_.has_recursion, 0
	.set _ZN7rocprim17ROCPRIM_400000_NS6detail17trampoline_kernelINS0_14default_configENS1_35radix_sort_onesweep_config_selectorIiNS0_10empty_typeEEEZZNS1_29radix_sort_onesweep_iterationIS3_Lb1EN6thrust23THRUST_200600_302600_NS6detail15normal_iteratorINS9_10device_ptrIiEEEESE_PS5_SF_jNS0_19identity_decomposerENS1_16block_id_wrapperIjLb1EEEEE10hipError_tT1_PNSt15iterator_traitsISK_E10value_typeET2_T3_PNSL_ISQ_E10value_typeET4_T5_PSV_SW_PNS1_23onesweep_lookback_stateEbbT6_jjT7_P12ihipStream_tbENKUlT_T0_SK_SP_E_clISE_PiSF_SF_EEDaS13_S14_SK_SP_EUlS13_E_NS1_11comp_targetILNS1_3genE3ELNS1_11target_archE908ELNS1_3gpuE7ELNS1_3repE0EEENS1_47radix_sort_onesweep_sort_config_static_selectorELNS0_4arch9wavefront6targetE1EEEvSK_.has_indirect_call, 0
	.section	.AMDGPU.csdata,"",@progbits
; Kernel info:
; codeLenInByte = 0
; TotalNumSgprs: 6
; NumVgprs: 0
; NumAgprs: 0
; TotalNumVgprs: 0
; ScratchSize: 0
; MemoryBound: 0
; FloatMode: 240
; IeeeMode: 1
; LDSByteSize: 0 bytes/workgroup (compile time only)
; SGPRBlocks: 0
; VGPRBlocks: 0
; NumSGPRsForWavesPerEU: 6
; NumVGPRsForWavesPerEU: 1
; AccumOffset: 4
; Occupancy: 8
; WaveLimiterHint : 0
; COMPUTE_PGM_RSRC2:SCRATCH_EN: 0
; COMPUTE_PGM_RSRC2:USER_SGPR: 2
; COMPUTE_PGM_RSRC2:TRAP_HANDLER: 0
; COMPUTE_PGM_RSRC2:TGID_X_EN: 1
; COMPUTE_PGM_RSRC2:TGID_Y_EN: 0
; COMPUTE_PGM_RSRC2:TGID_Z_EN: 0
; COMPUTE_PGM_RSRC2:TIDIG_COMP_CNT: 0
; COMPUTE_PGM_RSRC3_GFX90A:ACCUM_OFFSET: 0
; COMPUTE_PGM_RSRC3_GFX90A:TG_SPLIT: 0
	.section	.text._ZN7rocprim17ROCPRIM_400000_NS6detail17trampoline_kernelINS0_14default_configENS1_35radix_sort_onesweep_config_selectorIiNS0_10empty_typeEEEZZNS1_29radix_sort_onesweep_iterationIS3_Lb1EN6thrust23THRUST_200600_302600_NS6detail15normal_iteratorINS9_10device_ptrIiEEEESE_PS5_SF_jNS0_19identity_decomposerENS1_16block_id_wrapperIjLb1EEEEE10hipError_tT1_PNSt15iterator_traitsISK_E10value_typeET2_T3_PNSL_ISQ_E10value_typeET4_T5_PSV_SW_PNS1_23onesweep_lookback_stateEbbT6_jjT7_P12ihipStream_tbENKUlT_T0_SK_SP_E_clISE_PiSF_SF_EEDaS13_S14_SK_SP_EUlS13_E_NS1_11comp_targetILNS1_3genE10ELNS1_11target_archE1201ELNS1_3gpuE5ELNS1_3repE0EEENS1_47radix_sort_onesweep_sort_config_static_selectorELNS0_4arch9wavefront6targetE1EEEvSK_,"axG",@progbits,_ZN7rocprim17ROCPRIM_400000_NS6detail17trampoline_kernelINS0_14default_configENS1_35radix_sort_onesweep_config_selectorIiNS0_10empty_typeEEEZZNS1_29radix_sort_onesweep_iterationIS3_Lb1EN6thrust23THRUST_200600_302600_NS6detail15normal_iteratorINS9_10device_ptrIiEEEESE_PS5_SF_jNS0_19identity_decomposerENS1_16block_id_wrapperIjLb1EEEEE10hipError_tT1_PNSt15iterator_traitsISK_E10value_typeET2_T3_PNSL_ISQ_E10value_typeET4_T5_PSV_SW_PNS1_23onesweep_lookback_stateEbbT6_jjT7_P12ihipStream_tbENKUlT_T0_SK_SP_E_clISE_PiSF_SF_EEDaS13_S14_SK_SP_EUlS13_E_NS1_11comp_targetILNS1_3genE10ELNS1_11target_archE1201ELNS1_3gpuE5ELNS1_3repE0EEENS1_47radix_sort_onesweep_sort_config_static_selectorELNS0_4arch9wavefront6targetE1EEEvSK_,comdat
	.protected	_ZN7rocprim17ROCPRIM_400000_NS6detail17trampoline_kernelINS0_14default_configENS1_35radix_sort_onesweep_config_selectorIiNS0_10empty_typeEEEZZNS1_29radix_sort_onesweep_iterationIS3_Lb1EN6thrust23THRUST_200600_302600_NS6detail15normal_iteratorINS9_10device_ptrIiEEEESE_PS5_SF_jNS0_19identity_decomposerENS1_16block_id_wrapperIjLb1EEEEE10hipError_tT1_PNSt15iterator_traitsISK_E10value_typeET2_T3_PNSL_ISQ_E10value_typeET4_T5_PSV_SW_PNS1_23onesweep_lookback_stateEbbT6_jjT7_P12ihipStream_tbENKUlT_T0_SK_SP_E_clISE_PiSF_SF_EEDaS13_S14_SK_SP_EUlS13_E_NS1_11comp_targetILNS1_3genE10ELNS1_11target_archE1201ELNS1_3gpuE5ELNS1_3repE0EEENS1_47radix_sort_onesweep_sort_config_static_selectorELNS0_4arch9wavefront6targetE1EEEvSK_ ; -- Begin function _ZN7rocprim17ROCPRIM_400000_NS6detail17trampoline_kernelINS0_14default_configENS1_35radix_sort_onesweep_config_selectorIiNS0_10empty_typeEEEZZNS1_29radix_sort_onesweep_iterationIS3_Lb1EN6thrust23THRUST_200600_302600_NS6detail15normal_iteratorINS9_10device_ptrIiEEEESE_PS5_SF_jNS0_19identity_decomposerENS1_16block_id_wrapperIjLb1EEEEE10hipError_tT1_PNSt15iterator_traitsISK_E10value_typeET2_T3_PNSL_ISQ_E10value_typeET4_T5_PSV_SW_PNS1_23onesweep_lookback_stateEbbT6_jjT7_P12ihipStream_tbENKUlT_T0_SK_SP_E_clISE_PiSF_SF_EEDaS13_S14_SK_SP_EUlS13_E_NS1_11comp_targetILNS1_3genE10ELNS1_11target_archE1201ELNS1_3gpuE5ELNS1_3repE0EEENS1_47radix_sort_onesweep_sort_config_static_selectorELNS0_4arch9wavefront6targetE1EEEvSK_
	.globl	_ZN7rocprim17ROCPRIM_400000_NS6detail17trampoline_kernelINS0_14default_configENS1_35radix_sort_onesweep_config_selectorIiNS0_10empty_typeEEEZZNS1_29radix_sort_onesweep_iterationIS3_Lb1EN6thrust23THRUST_200600_302600_NS6detail15normal_iteratorINS9_10device_ptrIiEEEESE_PS5_SF_jNS0_19identity_decomposerENS1_16block_id_wrapperIjLb1EEEEE10hipError_tT1_PNSt15iterator_traitsISK_E10value_typeET2_T3_PNSL_ISQ_E10value_typeET4_T5_PSV_SW_PNS1_23onesweep_lookback_stateEbbT6_jjT7_P12ihipStream_tbENKUlT_T0_SK_SP_E_clISE_PiSF_SF_EEDaS13_S14_SK_SP_EUlS13_E_NS1_11comp_targetILNS1_3genE10ELNS1_11target_archE1201ELNS1_3gpuE5ELNS1_3repE0EEENS1_47radix_sort_onesweep_sort_config_static_selectorELNS0_4arch9wavefront6targetE1EEEvSK_
	.p2align	8
	.type	_ZN7rocprim17ROCPRIM_400000_NS6detail17trampoline_kernelINS0_14default_configENS1_35radix_sort_onesweep_config_selectorIiNS0_10empty_typeEEEZZNS1_29radix_sort_onesweep_iterationIS3_Lb1EN6thrust23THRUST_200600_302600_NS6detail15normal_iteratorINS9_10device_ptrIiEEEESE_PS5_SF_jNS0_19identity_decomposerENS1_16block_id_wrapperIjLb1EEEEE10hipError_tT1_PNSt15iterator_traitsISK_E10value_typeET2_T3_PNSL_ISQ_E10value_typeET4_T5_PSV_SW_PNS1_23onesweep_lookback_stateEbbT6_jjT7_P12ihipStream_tbENKUlT_T0_SK_SP_E_clISE_PiSF_SF_EEDaS13_S14_SK_SP_EUlS13_E_NS1_11comp_targetILNS1_3genE10ELNS1_11target_archE1201ELNS1_3gpuE5ELNS1_3repE0EEENS1_47radix_sort_onesweep_sort_config_static_selectorELNS0_4arch9wavefront6targetE1EEEvSK_,@function
_ZN7rocprim17ROCPRIM_400000_NS6detail17trampoline_kernelINS0_14default_configENS1_35radix_sort_onesweep_config_selectorIiNS0_10empty_typeEEEZZNS1_29radix_sort_onesweep_iterationIS3_Lb1EN6thrust23THRUST_200600_302600_NS6detail15normal_iteratorINS9_10device_ptrIiEEEESE_PS5_SF_jNS0_19identity_decomposerENS1_16block_id_wrapperIjLb1EEEEE10hipError_tT1_PNSt15iterator_traitsISK_E10value_typeET2_T3_PNSL_ISQ_E10value_typeET4_T5_PSV_SW_PNS1_23onesweep_lookback_stateEbbT6_jjT7_P12ihipStream_tbENKUlT_T0_SK_SP_E_clISE_PiSF_SF_EEDaS13_S14_SK_SP_EUlS13_E_NS1_11comp_targetILNS1_3genE10ELNS1_11target_archE1201ELNS1_3gpuE5ELNS1_3repE0EEENS1_47radix_sort_onesweep_sort_config_static_selectorELNS0_4arch9wavefront6targetE1EEEvSK_: ; @_ZN7rocprim17ROCPRIM_400000_NS6detail17trampoline_kernelINS0_14default_configENS1_35radix_sort_onesweep_config_selectorIiNS0_10empty_typeEEEZZNS1_29radix_sort_onesweep_iterationIS3_Lb1EN6thrust23THRUST_200600_302600_NS6detail15normal_iteratorINS9_10device_ptrIiEEEESE_PS5_SF_jNS0_19identity_decomposerENS1_16block_id_wrapperIjLb1EEEEE10hipError_tT1_PNSt15iterator_traitsISK_E10value_typeET2_T3_PNSL_ISQ_E10value_typeET4_T5_PSV_SW_PNS1_23onesweep_lookback_stateEbbT6_jjT7_P12ihipStream_tbENKUlT_T0_SK_SP_E_clISE_PiSF_SF_EEDaS13_S14_SK_SP_EUlS13_E_NS1_11comp_targetILNS1_3genE10ELNS1_11target_archE1201ELNS1_3gpuE5ELNS1_3repE0EEENS1_47radix_sort_onesweep_sort_config_static_selectorELNS0_4arch9wavefront6targetE1EEEvSK_
; %bb.0:
	.section	.rodata,"a",@progbits
	.p2align	6, 0x0
	.amdhsa_kernel _ZN7rocprim17ROCPRIM_400000_NS6detail17trampoline_kernelINS0_14default_configENS1_35radix_sort_onesweep_config_selectorIiNS0_10empty_typeEEEZZNS1_29radix_sort_onesweep_iterationIS3_Lb1EN6thrust23THRUST_200600_302600_NS6detail15normal_iteratorINS9_10device_ptrIiEEEESE_PS5_SF_jNS0_19identity_decomposerENS1_16block_id_wrapperIjLb1EEEEE10hipError_tT1_PNSt15iterator_traitsISK_E10value_typeET2_T3_PNSL_ISQ_E10value_typeET4_T5_PSV_SW_PNS1_23onesweep_lookback_stateEbbT6_jjT7_P12ihipStream_tbENKUlT_T0_SK_SP_E_clISE_PiSF_SF_EEDaS13_S14_SK_SP_EUlS13_E_NS1_11comp_targetILNS1_3genE10ELNS1_11target_archE1201ELNS1_3gpuE5ELNS1_3repE0EEENS1_47radix_sort_onesweep_sort_config_static_selectorELNS0_4arch9wavefront6targetE1EEEvSK_
		.amdhsa_group_segment_fixed_size 0
		.amdhsa_private_segment_fixed_size 0
		.amdhsa_kernarg_size 88
		.amdhsa_user_sgpr_count 2
		.amdhsa_user_sgpr_dispatch_ptr 0
		.amdhsa_user_sgpr_queue_ptr 0
		.amdhsa_user_sgpr_kernarg_segment_ptr 1
		.amdhsa_user_sgpr_dispatch_id 0
		.amdhsa_user_sgpr_kernarg_preload_length 0
		.amdhsa_user_sgpr_kernarg_preload_offset 0
		.amdhsa_user_sgpr_private_segment_size 0
		.amdhsa_uses_dynamic_stack 0
		.amdhsa_enable_private_segment 0
		.amdhsa_system_sgpr_workgroup_id_x 1
		.amdhsa_system_sgpr_workgroup_id_y 0
		.amdhsa_system_sgpr_workgroup_id_z 0
		.amdhsa_system_sgpr_workgroup_info 0
		.amdhsa_system_vgpr_workitem_id 0
		.amdhsa_next_free_vgpr 1
		.amdhsa_next_free_sgpr 0
		.amdhsa_accum_offset 4
		.amdhsa_reserve_vcc 0
		.amdhsa_float_round_mode_32 0
		.amdhsa_float_round_mode_16_64 0
		.amdhsa_float_denorm_mode_32 3
		.amdhsa_float_denorm_mode_16_64 3
		.amdhsa_dx10_clamp 1
		.amdhsa_ieee_mode 1
		.amdhsa_fp16_overflow 0
		.amdhsa_tg_split 0
		.amdhsa_exception_fp_ieee_invalid_op 0
		.amdhsa_exception_fp_denorm_src 0
		.amdhsa_exception_fp_ieee_div_zero 0
		.amdhsa_exception_fp_ieee_overflow 0
		.amdhsa_exception_fp_ieee_underflow 0
		.amdhsa_exception_fp_ieee_inexact 0
		.amdhsa_exception_int_div_zero 0
	.end_amdhsa_kernel
	.section	.text._ZN7rocprim17ROCPRIM_400000_NS6detail17trampoline_kernelINS0_14default_configENS1_35radix_sort_onesweep_config_selectorIiNS0_10empty_typeEEEZZNS1_29radix_sort_onesweep_iterationIS3_Lb1EN6thrust23THRUST_200600_302600_NS6detail15normal_iteratorINS9_10device_ptrIiEEEESE_PS5_SF_jNS0_19identity_decomposerENS1_16block_id_wrapperIjLb1EEEEE10hipError_tT1_PNSt15iterator_traitsISK_E10value_typeET2_T3_PNSL_ISQ_E10value_typeET4_T5_PSV_SW_PNS1_23onesweep_lookback_stateEbbT6_jjT7_P12ihipStream_tbENKUlT_T0_SK_SP_E_clISE_PiSF_SF_EEDaS13_S14_SK_SP_EUlS13_E_NS1_11comp_targetILNS1_3genE10ELNS1_11target_archE1201ELNS1_3gpuE5ELNS1_3repE0EEENS1_47radix_sort_onesweep_sort_config_static_selectorELNS0_4arch9wavefront6targetE1EEEvSK_,"axG",@progbits,_ZN7rocprim17ROCPRIM_400000_NS6detail17trampoline_kernelINS0_14default_configENS1_35radix_sort_onesweep_config_selectorIiNS0_10empty_typeEEEZZNS1_29radix_sort_onesweep_iterationIS3_Lb1EN6thrust23THRUST_200600_302600_NS6detail15normal_iteratorINS9_10device_ptrIiEEEESE_PS5_SF_jNS0_19identity_decomposerENS1_16block_id_wrapperIjLb1EEEEE10hipError_tT1_PNSt15iterator_traitsISK_E10value_typeET2_T3_PNSL_ISQ_E10value_typeET4_T5_PSV_SW_PNS1_23onesweep_lookback_stateEbbT6_jjT7_P12ihipStream_tbENKUlT_T0_SK_SP_E_clISE_PiSF_SF_EEDaS13_S14_SK_SP_EUlS13_E_NS1_11comp_targetILNS1_3genE10ELNS1_11target_archE1201ELNS1_3gpuE5ELNS1_3repE0EEENS1_47radix_sort_onesweep_sort_config_static_selectorELNS0_4arch9wavefront6targetE1EEEvSK_,comdat
.Lfunc_end351:
	.size	_ZN7rocprim17ROCPRIM_400000_NS6detail17trampoline_kernelINS0_14default_configENS1_35radix_sort_onesweep_config_selectorIiNS0_10empty_typeEEEZZNS1_29radix_sort_onesweep_iterationIS3_Lb1EN6thrust23THRUST_200600_302600_NS6detail15normal_iteratorINS9_10device_ptrIiEEEESE_PS5_SF_jNS0_19identity_decomposerENS1_16block_id_wrapperIjLb1EEEEE10hipError_tT1_PNSt15iterator_traitsISK_E10value_typeET2_T3_PNSL_ISQ_E10value_typeET4_T5_PSV_SW_PNS1_23onesweep_lookback_stateEbbT6_jjT7_P12ihipStream_tbENKUlT_T0_SK_SP_E_clISE_PiSF_SF_EEDaS13_S14_SK_SP_EUlS13_E_NS1_11comp_targetILNS1_3genE10ELNS1_11target_archE1201ELNS1_3gpuE5ELNS1_3repE0EEENS1_47radix_sort_onesweep_sort_config_static_selectorELNS0_4arch9wavefront6targetE1EEEvSK_, .Lfunc_end351-_ZN7rocprim17ROCPRIM_400000_NS6detail17trampoline_kernelINS0_14default_configENS1_35radix_sort_onesweep_config_selectorIiNS0_10empty_typeEEEZZNS1_29radix_sort_onesweep_iterationIS3_Lb1EN6thrust23THRUST_200600_302600_NS6detail15normal_iteratorINS9_10device_ptrIiEEEESE_PS5_SF_jNS0_19identity_decomposerENS1_16block_id_wrapperIjLb1EEEEE10hipError_tT1_PNSt15iterator_traitsISK_E10value_typeET2_T3_PNSL_ISQ_E10value_typeET4_T5_PSV_SW_PNS1_23onesweep_lookback_stateEbbT6_jjT7_P12ihipStream_tbENKUlT_T0_SK_SP_E_clISE_PiSF_SF_EEDaS13_S14_SK_SP_EUlS13_E_NS1_11comp_targetILNS1_3genE10ELNS1_11target_archE1201ELNS1_3gpuE5ELNS1_3repE0EEENS1_47radix_sort_onesweep_sort_config_static_selectorELNS0_4arch9wavefront6targetE1EEEvSK_
                                        ; -- End function
	.set _ZN7rocprim17ROCPRIM_400000_NS6detail17trampoline_kernelINS0_14default_configENS1_35radix_sort_onesweep_config_selectorIiNS0_10empty_typeEEEZZNS1_29radix_sort_onesweep_iterationIS3_Lb1EN6thrust23THRUST_200600_302600_NS6detail15normal_iteratorINS9_10device_ptrIiEEEESE_PS5_SF_jNS0_19identity_decomposerENS1_16block_id_wrapperIjLb1EEEEE10hipError_tT1_PNSt15iterator_traitsISK_E10value_typeET2_T3_PNSL_ISQ_E10value_typeET4_T5_PSV_SW_PNS1_23onesweep_lookback_stateEbbT6_jjT7_P12ihipStream_tbENKUlT_T0_SK_SP_E_clISE_PiSF_SF_EEDaS13_S14_SK_SP_EUlS13_E_NS1_11comp_targetILNS1_3genE10ELNS1_11target_archE1201ELNS1_3gpuE5ELNS1_3repE0EEENS1_47radix_sort_onesweep_sort_config_static_selectorELNS0_4arch9wavefront6targetE1EEEvSK_.num_vgpr, 0
	.set _ZN7rocprim17ROCPRIM_400000_NS6detail17trampoline_kernelINS0_14default_configENS1_35radix_sort_onesweep_config_selectorIiNS0_10empty_typeEEEZZNS1_29radix_sort_onesweep_iterationIS3_Lb1EN6thrust23THRUST_200600_302600_NS6detail15normal_iteratorINS9_10device_ptrIiEEEESE_PS5_SF_jNS0_19identity_decomposerENS1_16block_id_wrapperIjLb1EEEEE10hipError_tT1_PNSt15iterator_traitsISK_E10value_typeET2_T3_PNSL_ISQ_E10value_typeET4_T5_PSV_SW_PNS1_23onesweep_lookback_stateEbbT6_jjT7_P12ihipStream_tbENKUlT_T0_SK_SP_E_clISE_PiSF_SF_EEDaS13_S14_SK_SP_EUlS13_E_NS1_11comp_targetILNS1_3genE10ELNS1_11target_archE1201ELNS1_3gpuE5ELNS1_3repE0EEENS1_47radix_sort_onesweep_sort_config_static_selectorELNS0_4arch9wavefront6targetE1EEEvSK_.num_agpr, 0
	.set _ZN7rocprim17ROCPRIM_400000_NS6detail17trampoline_kernelINS0_14default_configENS1_35radix_sort_onesweep_config_selectorIiNS0_10empty_typeEEEZZNS1_29radix_sort_onesweep_iterationIS3_Lb1EN6thrust23THRUST_200600_302600_NS6detail15normal_iteratorINS9_10device_ptrIiEEEESE_PS5_SF_jNS0_19identity_decomposerENS1_16block_id_wrapperIjLb1EEEEE10hipError_tT1_PNSt15iterator_traitsISK_E10value_typeET2_T3_PNSL_ISQ_E10value_typeET4_T5_PSV_SW_PNS1_23onesweep_lookback_stateEbbT6_jjT7_P12ihipStream_tbENKUlT_T0_SK_SP_E_clISE_PiSF_SF_EEDaS13_S14_SK_SP_EUlS13_E_NS1_11comp_targetILNS1_3genE10ELNS1_11target_archE1201ELNS1_3gpuE5ELNS1_3repE0EEENS1_47radix_sort_onesweep_sort_config_static_selectorELNS0_4arch9wavefront6targetE1EEEvSK_.numbered_sgpr, 0
	.set _ZN7rocprim17ROCPRIM_400000_NS6detail17trampoline_kernelINS0_14default_configENS1_35radix_sort_onesweep_config_selectorIiNS0_10empty_typeEEEZZNS1_29radix_sort_onesweep_iterationIS3_Lb1EN6thrust23THRUST_200600_302600_NS6detail15normal_iteratorINS9_10device_ptrIiEEEESE_PS5_SF_jNS0_19identity_decomposerENS1_16block_id_wrapperIjLb1EEEEE10hipError_tT1_PNSt15iterator_traitsISK_E10value_typeET2_T3_PNSL_ISQ_E10value_typeET4_T5_PSV_SW_PNS1_23onesweep_lookback_stateEbbT6_jjT7_P12ihipStream_tbENKUlT_T0_SK_SP_E_clISE_PiSF_SF_EEDaS13_S14_SK_SP_EUlS13_E_NS1_11comp_targetILNS1_3genE10ELNS1_11target_archE1201ELNS1_3gpuE5ELNS1_3repE0EEENS1_47radix_sort_onesweep_sort_config_static_selectorELNS0_4arch9wavefront6targetE1EEEvSK_.num_named_barrier, 0
	.set _ZN7rocprim17ROCPRIM_400000_NS6detail17trampoline_kernelINS0_14default_configENS1_35radix_sort_onesweep_config_selectorIiNS0_10empty_typeEEEZZNS1_29radix_sort_onesweep_iterationIS3_Lb1EN6thrust23THRUST_200600_302600_NS6detail15normal_iteratorINS9_10device_ptrIiEEEESE_PS5_SF_jNS0_19identity_decomposerENS1_16block_id_wrapperIjLb1EEEEE10hipError_tT1_PNSt15iterator_traitsISK_E10value_typeET2_T3_PNSL_ISQ_E10value_typeET4_T5_PSV_SW_PNS1_23onesweep_lookback_stateEbbT6_jjT7_P12ihipStream_tbENKUlT_T0_SK_SP_E_clISE_PiSF_SF_EEDaS13_S14_SK_SP_EUlS13_E_NS1_11comp_targetILNS1_3genE10ELNS1_11target_archE1201ELNS1_3gpuE5ELNS1_3repE0EEENS1_47radix_sort_onesweep_sort_config_static_selectorELNS0_4arch9wavefront6targetE1EEEvSK_.private_seg_size, 0
	.set _ZN7rocprim17ROCPRIM_400000_NS6detail17trampoline_kernelINS0_14default_configENS1_35radix_sort_onesweep_config_selectorIiNS0_10empty_typeEEEZZNS1_29radix_sort_onesweep_iterationIS3_Lb1EN6thrust23THRUST_200600_302600_NS6detail15normal_iteratorINS9_10device_ptrIiEEEESE_PS5_SF_jNS0_19identity_decomposerENS1_16block_id_wrapperIjLb1EEEEE10hipError_tT1_PNSt15iterator_traitsISK_E10value_typeET2_T3_PNSL_ISQ_E10value_typeET4_T5_PSV_SW_PNS1_23onesweep_lookback_stateEbbT6_jjT7_P12ihipStream_tbENKUlT_T0_SK_SP_E_clISE_PiSF_SF_EEDaS13_S14_SK_SP_EUlS13_E_NS1_11comp_targetILNS1_3genE10ELNS1_11target_archE1201ELNS1_3gpuE5ELNS1_3repE0EEENS1_47radix_sort_onesweep_sort_config_static_selectorELNS0_4arch9wavefront6targetE1EEEvSK_.uses_vcc, 0
	.set _ZN7rocprim17ROCPRIM_400000_NS6detail17trampoline_kernelINS0_14default_configENS1_35radix_sort_onesweep_config_selectorIiNS0_10empty_typeEEEZZNS1_29radix_sort_onesweep_iterationIS3_Lb1EN6thrust23THRUST_200600_302600_NS6detail15normal_iteratorINS9_10device_ptrIiEEEESE_PS5_SF_jNS0_19identity_decomposerENS1_16block_id_wrapperIjLb1EEEEE10hipError_tT1_PNSt15iterator_traitsISK_E10value_typeET2_T3_PNSL_ISQ_E10value_typeET4_T5_PSV_SW_PNS1_23onesweep_lookback_stateEbbT6_jjT7_P12ihipStream_tbENKUlT_T0_SK_SP_E_clISE_PiSF_SF_EEDaS13_S14_SK_SP_EUlS13_E_NS1_11comp_targetILNS1_3genE10ELNS1_11target_archE1201ELNS1_3gpuE5ELNS1_3repE0EEENS1_47radix_sort_onesweep_sort_config_static_selectorELNS0_4arch9wavefront6targetE1EEEvSK_.uses_flat_scratch, 0
	.set _ZN7rocprim17ROCPRIM_400000_NS6detail17trampoline_kernelINS0_14default_configENS1_35radix_sort_onesweep_config_selectorIiNS0_10empty_typeEEEZZNS1_29radix_sort_onesweep_iterationIS3_Lb1EN6thrust23THRUST_200600_302600_NS6detail15normal_iteratorINS9_10device_ptrIiEEEESE_PS5_SF_jNS0_19identity_decomposerENS1_16block_id_wrapperIjLb1EEEEE10hipError_tT1_PNSt15iterator_traitsISK_E10value_typeET2_T3_PNSL_ISQ_E10value_typeET4_T5_PSV_SW_PNS1_23onesweep_lookback_stateEbbT6_jjT7_P12ihipStream_tbENKUlT_T0_SK_SP_E_clISE_PiSF_SF_EEDaS13_S14_SK_SP_EUlS13_E_NS1_11comp_targetILNS1_3genE10ELNS1_11target_archE1201ELNS1_3gpuE5ELNS1_3repE0EEENS1_47radix_sort_onesweep_sort_config_static_selectorELNS0_4arch9wavefront6targetE1EEEvSK_.has_dyn_sized_stack, 0
	.set _ZN7rocprim17ROCPRIM_400000_NS6detail17trampoline_kernelINS0_14default_configENS1_35radix_sort_onesweep_config_selectorIiNS0_10empty_typeEEEZZNS1_29radix_sort_onesweep_iterationIS3_Lb1EN6thrust23THRUST_200600_302600_NS6detail15normal_iteratorINS9_10device_ptrIiEEEESE_PS5_SF_jNS0_19identity_decomposerENS1_16block_id_wrapperIjLb1EEEEE10hipError_tT1_PNSt15iterator_traitsISK_E10value_typeET2_T3_PNSL_ISQ_E10value_typeET4_T5_PSV_SW_PNS1_23onesweep_lookback_stateEbbT6_jjT7_P12ihipStream_tbENKUlT_T0_SK_SP_E_clISE_PiSF_SF_EEDaS13_S14_SK_SP_EUlS13_E_NS1_11comp_targetILNS1_3genE10ELNS1_11target_archE1201ELNS1_3gpuE5ELNS1_3repE0EEENS1_47radix_sort_onesweep_sort_config_static_selectorELNS0_4arch9wavefront6targetE1EEEvSK_.has_recursion, 0
	.set _ZN7rocprim17ROCPRIM_400000_NS6detail17trampoline_kernelINS0_14default_configENS1_35radix_sort_onesweep_config_selectorIiNS0_10empty_typeEEEZZNS1_29radix_sort_onesweep_iterationIS3_Lb1EN6thrust23THRUST_200600_302600_NS6detail15normal_iteratorINS9_10device_ptrIiEEEESE_PS5_SF_jNS0_19identity_decomposerENS1_16block_id_wrapperIjLb1EEEEE10hipError_tT1_PNSt15iterator_traitsISK_E10value_typeET2_T3_PNSL_ISQ_E10value_typeET4_T5_PSV_SW_PNS1_23onesweep_lookback_stateEbbT6_jjT7_P12ihipStream_tbENKUlT_T0_SK_SP_E_clISE_PiSF_SF_EEDaS13_S14_SK_SP_EUlS13_E_NS1_11comp_targetILNS1_3genE10ELNS1_11target_archE1201ELNS1_3gpuE5ELNS1_3repE0EEENS1_47radix_sort_onesweep_sort_config_static_selectorELNS0_4arch9wavefront6targetE1EEEvSK_.has_indirect_call, 0
	.section	.AMDGPU.csdata,"",@progbits
; Kernel info:
; codeLenInByte = 0
; TotalNumSgprs: 6
; NumVgprs: 0
; NumAgprs: 0
; TotalNumVgprs: 0
; ScratchSize: 0
; MemoryBound: 0
; FloatMode: 240
; IeeeMode: 1
; LDSByteSize: 0 bytes/workgroup (compile time only)
; SGPRBlocks: 0
; VGPRBlocks: 0
; NumSGPRsForWavesPerEU: 6
; NumVGPRsForWavesPerEU: 1
; AccumOffset: 4
; Occupancy: 8
; WaveLimiterHint : 0
; COMPUTE_PGM_RSRC2:SCRATCH_EN: 0
; COMPUTE_PGM_RSRC2:USER_SGPR: 2
; COMPUTE_PGM_RSRC2:TRAP_HANDLER: 0
; COMPUTE_PGM_RSRC2:TGID_X_EN: 1
; COMPUTE_PGM_RSRC2:TGID_Y_EN: 0
; COMPUTE_PGM_RSRC2:TGID_Z_EN: 0
; COMPUTE_PGM_RSRC2:TIDIG_COMP_CNT: 0
; COMPUTE_PGM_RSRC3_GFX90A:ACCUM_OFFSET: 0
; COMPUTE_PGM_RSRC3_GFX90A:TG_SPLIT: 0
	.section	.text._ZN7rocprim17ROCPRIM_400000_NS6detail17trampoline_kernelINS0_14default_configENS1_35radix_sort_onesweep_config_selectorIiNS0_10empty_typeEEEZZNS1_29radix_sort_onesweep_iterationIS3_Lb1EN6thrust23THRUST_200600_302600_NS6detail15normal_iteratorINS9_10device_ptrIiEEEESE_PS5_SF_jNS0_19identity_decomposerENS1_16block_id_wrapperIjLb1EEEEE10hipError_tT1_PNSt15iterator_traitsISK_E10value_typeET2_T3_PNSL_ISQ_E10value_typeET4_T5_PSV_SW_PNS1_23onesweep_lookback_stateEbbT6_jjT7_P12ihipStream_tbENKUlT_T0_SK_SP_E_clISE_PiSF_SF_EEDaS13_S14_SK_SP_EUlS13_E_NS1_11comp_targetILNS1_3genE9ELNS1_11target_archE1100ELNS1_3gpuE3ELNS1_3repE0EEENS1_47radix_sort_onesweep_sort_config_static_selectorELNS0_4arch9wavefront6targetE1EEEvSK_,"axG",@progbits,_ZN7rocprim17ROCPRIM_400000_NS6detail17trampoline_kernelINS0_14default_configENS1_35radix_sort_onesweep_config_selectorIiNS0_10empty_typeEEEZZNS1_29radix_sort_onesweep_iterationIS3_Lb1EN6thrust23THRUST_200600_302600_NS6detail15normal_iteratorINS9_10device_ptrIiEEEESE_PS5_SF_jNS0_19identity_decomposerENS1_16block_id_wrapperIjLb1EEEEE10hipError_tT1_PNSt15iterator_traitsISK_E10value_typeET2_T3_PNSL_ISQ_E10value_typeET4_T5_PSV_SW_PNS1_23onesweep_lookback_stateEbbT6_jjT7_P12ihipStream_tbENKUlT_T0_SK_SP_E_clISE_PiSF_SF_EEDaS13_S14_SK_SP_EUlS13_E_NS1_11comp_targetILNS1_3genE9ELNS1_11target_archE1100ELNS1_3gpuE3ELNS1_3repE0EEENS1_47radix_sort_onesweep_sort_config_static_selectorELNS0_4arch9wavefront6targetE1EEEvSK_,comdat
	.protected	_ZN7rocprim17ROCPRIM_400000_NS6detail17trampoline_kernelINS0_14default_configENS1_35radix_sort_onesweep_config_selectorIiNS0_10empty_typeEEEZZNS1_29radix_sort_onesweep_iterationIS3_Lb1EN6thrust23THRUST_200600_302600_NS6detail15normal_iteratorINS9_10device_ptrIiEEEESE_PS5_SF_jNS0_19identity_decomposerENS1_16block_id_wrapperIjLb1EEEEE10hipError_tT1_PNSt15iterator_traitsISK_E10value_typeET2_T3_PNSL_ISQ_E10value_typeET4_T5_PSV_SW_PNS1_23onesweep_lookback_stateEbbT6_jjT7_P12ihipStream_tbENKUlT_T0_SK_SP_E_clISE_PiSF_SF_EEDaS13_S14_SK_SP_EUlS13_E_NS1_11comp_targetILNS1_3genE9ELNS1_11target_archE1100ELNS1_3gpuE3ELNS1_3repE0EEENS1_47radix_sort_onesweep_sort_config_static_selectorELNS0_4arch9wavefront6targetE1EEEvSK_ ; -- Begin function _ZN7rocprim17ROCPRIM_400000_NS6detail17trampoline_kernelINS0_14default_configENS1_35radix_sort_onesweep_config_selectorIiNS0_10empty_typeEEEZZNS1_29radix_sort_onesweep_iterationIS3_Lb1EN6thrust23THRUST_200600_302600_NS6detail15normal_iteratorINS9_10device_ptrIiEEEESE_PS5_SF_jNS0_19identity_decomposerENS1_16block_id_wrapperIjLb1EEEEE10hipError_tT1_PNSt15iterator_traitsISK_E10value_typeET2_T3_PNSL_ISQ_E10value_typeET4_T5_PSV_SW_PNS1_23onesweep_lookback_stateEbbT6_jjT7_P12ihipStream_tbENKUlT_T0_SK_SP_E_clISE_PiSF_SF_EEDaS13_S14_SK_SP_EUlS13_E_NS1_11comp_targetILNS1_3genE9ELNS1_11target_archE1100ELNS1_3gpuE3ELNS1_3repE0EEENS1_47radix_sort_onesweep_sort_config_static_selectorELNS0_4arch9wavefront6targetE1EEEvSK_
	.globl	_ZN7rocprim17ROCPRIM_400000_NS6detail17trampoline_kernelINS0_14default_configENS1_35radix_sort_onesweep_config_selectorIiNS0_10empty_typeEEEZZNS1_29radix_sort_onesweep_iterationIS3_Lb1EN6thrust23THRUST_200600_302600_NS6detail15normal_iteratorINS9_10device_ptrIiEEEESE_PS5_SF_jNS0_19identity_decomposerENS1_16block_id_wrapperIjLb1EEEEE10hipError_tT1_PNSt15iterator_traitsISK_E10value_typeET2_T3_PNSL_ISQ_E10value_typeET4_T5_PSV_SW_PNS1_23onesweep_lookback_stateEbbT6_jjT7_P12ihipStream_tbENKUlT_T0_SK_SP_E_clISE_PiSF_SF_EEDaS13_S14_SK_SP_EUlS13_E_NS1_11comp_targetILNS1_3genE9ELNS1_11target_archE1100ELNS1_3gpuE3ELNS1_3repE0EEENS1_47radix_sort_onesweep_sort_config_static_selectorELNS0_4arch9wavefront6targetE1EEEvSK_
	.p2align	8
	.type	_ZN7rocprim17ROCPRIM_400000_NS6detail17trampoline_kernelINS0_14default_configENS1_35radix_sort_onesweep_config_selectorIiNS0_10empty_typeEEEZZNS1_29radix_sort_onesweep_iterationIS3_Lb1EN6thrust23THRUST_200600_302600_NS6detail15normal_iteratorINS9_10device_ptrIiEEEESE_PS5_SF_jNS0_19identity_decomposerENS1_16block_id_wrapperIjLb1EEEEE10hipError_tT1_PNSt15iterator_traitsISK_E10value_typeET2_T3_PNSL_ISQ_E10value_typeET4_T5_PSV_SW_PNS1_23onesweep_lookback_stateEbbT6_jjT7_P12ihipStream_tbENKUlT_T0_SK_SP_E_clISE_PiSF_SF_EEDaS13_S14_SK_SP_EUlS13_E_NS1_11comp_targetILNS1_3genE9ELNS1_11target_archE1100ELNS1_3gpuE3ELNS1_3repE0EEENS1_47radix_sort_onesweep_sort_config_static_selectorELNS0_4arch9wavefront6targetE1EEEvSK_,@function
_ZN7rocprim17ROCPRIM_400000_NS6detail17trampoline_kernelINS0_14default_configENS1_35radix_sort_onesweep_config_selectorIiNS0_10empty_typeEEEZZNS1_29radix_sort_onesweep_iterationIS3_Lb1EN6thrust23THRUST_200600_302600_NS6detail15normal_iteratorINS9_10device_ptrIiEEEESE_PS5_SF_jNS0_19identity_decomposerENS1_16block_id_wrapperIjLb1EEEEE10hipError_tT1_PNSt15iterator_traitsISK_E10value_typeET2_T3_PNSL_ISQ_E10value_typeET4_T5_PSV_SW_PNS1_23onesweep_lookback_stateEbbT6_jjT7_P12ihipStream_tbENKUlT_T0_SK_SP_E_clISE_PiSF_SF_EEDaS13_S14_SK_SP_EUlS13_E_NS1_11comp_targetILNS1_3genE9ELNS1_11target_archE1100ELNS1_3gpuE3ELNS1_3repE0EEENS1_47radix_sort_onesweep_sort_config_static_selectorELNS0_4arch9wavefront6targetE1EEEvSK_: ; @_ZN7rocprim17ROCPRIM_400000_NS6detail17trampoline_kernelINS0_14default_configENS1_35radix_sort_onesweep_config_selectorIiNS0_10empty_typeEEEZZNS1_29radix_sort_onesweep_iterationIS3_Lb1EN6thrust23THRUST_200600_302600_NS6detail15normal_iteratorINS9_10device_ptrIiEEEESE_PS5_SF_jNS0_19identity_decomposerENS1_16block_id_wrapperIjLb1EEEEE10hipError_tT1_PNSt15iterator_traitsISK_E10value_typeET2_T3_PNSL_ISQ_E10value_typeET4_T5_PSV_SW_PNS1_23onesweep_lookback_stateEbbT6_jjT7_P12ihipStream_tbENKUlT_T0_SK_SP_E_clISE_PiSF_SF_EEDaS13_S14_SK_SP_EUlS13_E_NS1_11comp_targetILNS1_3genE9ELNS1_11target_archE1100ELNS1_3gpuE3ELNS1_3repE0EEENS1_47radix_sort_onesweep_sort_config_static_selectorELNS0_4arch9wavefront6targetE1EEEvSK_
; %bb.0:
	.section	.rodata,"a",@progbits
	.p2align	6, 0x0
	.amdhsa_kernel _ZN7rocprim17ROCPRIM_400000_NS6detail17trampoline_kernelINS0_14default_configENS1_35radix_sort_onesweep_config_selectorIiNS0_10empty_typeEEEZZNS1_29radix_sort_onesweep_iterationIS3_Lb1EN6thrust23THRUST_200600_302600_NS6detail15normal_iteratorINS9_10device_ptrIiEEEESE_PS5_SF_jNS0_19identity_decomposerENS1_16block_id_wrapperIjLb1EEEEE10hipError_tT1_PNSt15iterator_traitsISK_E10value_typeET2_T3_PNSL_ISQ_E10value_typeET4_T5_PSV_SW_PNS1_23onesweep_lookback_stateEbbT6_jjT7_P12ihipStream_tbENKUlT_T0_SK_SP_E_clISE_PiSF_SF_EEDaS13_S14_SK_SP_EUlS13_E_NS1_11comp_targetILNS1_3genE9ELNS1_11target_archE1100ELNS1_3gpuE3ELNS1_3repE0EEENS1_47radix_sort_onesweep_sort_config_static_selectorELNS0_4arch9wavefront6targetE1EEEvSK_
		.amdhsa_group_segment_fixed_size 0
		.amdhsa_private_segment_fixed_size 0
		.amdhsa_kernarg_size 88
		.amdhsa_user_sgpr_count 2
		.amdhsa_user_sgpr_dispatch_ptr 0
		.amdhsa_user_sgpr_queue_ptr 0
		.amdhsa_user_sgpr_kernarg_segment_ptr 1
		.amdhsa_user_sgpr_dispatch_id 0
		.amdhsa_user_sgpr_kernarg_preload_length 0
		.amdhsa_user_sgpr_kernarg_preload_offset 0
		.amdhsa_user_sgpr_private_segment_size 0
		.amdhsa_uses_dynamic_stack 0
		.amdhsa_enable_private_segment 0
		.amdhsa_system_sgpr_workgroup_id_x 1
		.amdhsa_system_sgpr_workgroup_id_y 0
		.amdhsa_system_sgpr_workgroup_id_z 0
		.amdhsa_system_sgpr_workgroup_info 0
		.amdhsa_system_vgpr_workitem_id 0
		.amdhsa_next_free_vgpr 1
		.amdhsa_next_free_sgpr 0
		.amdhsa_accum_offset 4
		.amdhsa_reserve_vcc 0
		.amdhsa_float_round_mode_32 0
		.amdhsa_float_round_mode_16_64 0
		.amdhsa_float_denorm_mode_32 3
		.amdhsa_float_denorm_mode_16_64 3
		.amdhsa_dx10_clamp 1
		.amdhsa_ieee_mode 1
		.amdhsa_fp16_overflow 0
		.amdhsa_tg_split 0
		.amdhsa_exception_fp_ieee_invalid_op 0
		.amdhsa_exception_fp_denorm_src 0
		.amdhsa_exception_fp_ieee_div_zero 0
		.amdhsa_exception_fp_ieee_overflow 0
		.amdhsa_exception_fp_ieee_underflow 0
		.amdhsa_exception_fp_ieee_inexact 0
		.amdhsa_exception_int_div_zero 0
	.end_amdhsa_kernel
	.section	.text._ZN7rocprim17ROCPRIM_400000_NS6detail17trampoline_kernelINS0_14default_configENS1_35radix_sort_onesweep_config_selectorIiNS0_10empty_typeEEEZZNS1_29radix_sort_onesweep_iterationIS3_Lb1EN6thrust23THRUST_200600_302600_NS6detail15normal_iteratorINS9_10device_ptrIiEEEESE_PS5_SF_jNS0_19identity_decomposerENS1_16block_id_wrapperIjLb1EEEEE10hipError_tT1_PNSt15iterator_traitsISK_E10value_typeET2_T3_PNSL_ISQ_E10value_typeET4_T5_PSV_SW_PNS1_23onesweep_lookback_stateEbbT6_jjT7_P12ihipStream_tbENKUlT_T0_SK_SP_E_clISE_PiSF_SF_EEDaS13_S14_SK_SP_EUlS13_E_NS1_11comp_targetILNS1_3genE9ELNS1_11target_archE1100ELNS1_3gpuE3ELNS1_3repE0EEENS1_47radix_sort_onesweep_sort_config_static_selectorELNS0_4arch9wavefront6targetE1EEEvSK_,"axG",@progbits,_ZN7rocprim17ROCPRIM_400000_NS6detail17trampoline_kernelINS0_14default_configENS1_35radix_sort_onesweep_config_selectorIiNS0_10empty_typeEEEZZNS1_29radix_sort_onesweep_iterationIS3_Lb1EN6thrust23THRUST_200600_302600_NS6detail15normal_iteratorINS9_10device_ptrIiEEEESE_PS5_SF_jNS0_19identity_decomposerENS1_16block_id_wrapperIjLb1EEEEE10hipError_tT1_PNSt15iterator_traitsISK_E10value_typeET2_T3_PNSL_ISQ_E10value_typeET4_T5_PSV_SW_PNS1_23onesweep_lookback_stateEbbT6_jjT7_P12ihipStream_tbENKUlT_T0_SK_SP_E_clISE_PiSF_SF_EEDaS13_S14_SK_SP_EUlS13_E_NS1_11comp_targetILNS1_3genE9ELNS1_11target_archE1100ELNS1_3gpuE3ELNS1_3repE0EEENS1_47radix_sort_onesweep_sort_config_static_selectorELNS0_4arch9wavefront6targetE1EEEvSK_,comdat
.Lfunc_end352:
	.size	_ZN7rocprim17ROCPRIM_400000_NS6detail17trampoline_kernelINS0_14default_configENS1_35radix_sort_onesweep_config_selectorIiNS0_10empty_typeEEEZZNS1_29radix_sort_onesweep_iterationIS3_Lb1EN6thrust23THRUST_200600_302600_NS6detail15normal_iteratorINS9_10device_ptrIiEEEESE_PS5_SF_jNS0_19identity_decomposerENS1_16block_id_wrapperIjLb1EEEEE10hipError_tT1_PNSt15iterator_traitsISK_E10value_typeET2_T3_PNSL_ISQ_E10value_typeET4_T5_PSV_SW_PNS1_23onesweep_lookback_stateEbbT6_jjT7_P12ihipStream_tbENKUlT_T0_SK_SP_E_clISE_PiSF_SF_EEDaS13_S14_SK_SP_EUlS13_E_NS1_11comp_targetILNS1_3genE9ELNS1_11target_archE1100ELNS1_3gpuE3ELNS1_3repE0EEENS1_47radix_sort_onesweep_sort_config_static_selectorELNS0_4arch9wavefront6targetE1EEEvSK_, .Lfunc_end352-_ZN7rocprim17ROCPRIM_400000_NS6detail17trampoline_kernelINS0_14default_configENS1_35radix_sort_onesweep_config_selectorIiNS0_10empty_typeEEEZZNS1_29radix_sort_onesweep_iterationIS3_Lb1EN6thrust23THRUST_200600_302600_NS6detail15normal_iteratorINS9_10device_ptrIiEEEESE_PS5_SF_jNS0_19identity_decomposerENS1_16block_id_wrapperIjLb1EEEEE10hipError_tT1_PNSt15iterator_traitsISK_E10value_typeET2_T3_PNSL_ISQ_E10value_typeET4_T5_PSV_SW_PNS1_23onesweep_lookback_stateEbbT6_jjT7_P12ihipStream_tbENKUlT_T0_SK_SP_E_clISE_PiSF_SF_EEDaS13_S14_SK_SP_EUlS13_E_NS1_11comp_targetILNS1_3genE9ELNS1_11target_archE1100ELNS1_3gpuE3ELNS1_3repE0EEENS1_47radix_sort_onesweep_sort_config_static_selectorELNS0_4arch9wavefront6targetE1EEEvSK_
                                        ; -- End function
	.set _ZN7rocprim17ROCPRIM_400000_NS6detail17trampoline_kernelINS0_14default_configENS1_35radix_sort_onesweep_config_selectorIiNS0_10empty_typeEEEZZNS1_29radix_sort_onesweep_iterationIS3_Lb1EN6thrust23THRUST_200600_302600_NS6detail15normal_iteratorINS9_10device_ptrIiEEEESE_PS5_SF_jNS0_19identity_decomposerENS1_16block_id_wrapperIjLb1EEEEE10hipError_tT1_PNSt15iterator_traitsISK_E10value_typeET2_T3_PNSL_ISQ_E10value_typeET4_T5_PSV_SW_PNS1_23onesweep_lookback_stateEbbT6_jjT7_P12ihipStream_tbENKUlT_T0_SK_SP_E_clISE_PiSF_SF_EEDaS13_S14_SK_SP_EUlS13_E_NS1_11comp_targetILNS1_3genE9ELNS1_11target_archE1100ELNS1_3gpuE3ELNS1_3repE0EEENS1_47radix_sort_onesweep_sort_config_static_selectorELNS0_4arch9wavefront6targetE1EEEvSK_.num_vgpr, 0
	.set _ZN7rocprim17ROCPRIM_400000_NS6detail17trampoline_kernelINS0_14default_configENS1_35radix_sort_onesweep_config_selectorIiNS0_10empty_typeEEEZZNS1_29radix_sort_onesweep_iterationIS3_Lb1EN6thrust23THRUST_200600_302600_NS6detail15normal_iteratorINS9_10device_ptrIiEEEESE_PS5_SF_jNS0_19identity_decomposerENS1_16block_id_wrapperIjLb1EEEEE10hipError_tT1_PNSt15iterator_traitsISK_E10value_typeET2_T3_PNSL_ISQ_E10value_typeET4_T5_PSV_SW_PNS1_23onesweep_lookback_stateEbbT6_jjT7_P12ihipStream_tbENKUlT_T0_SK_SP_E_clISE_PiSF_SF_EEDaS13_S14_SK_SP_EUlS13_E_NS1_11comp_targetILNS1_3genE9ELNS1_11target_archE1100ELNS1_3gpuE3ELNS1_3repE0EEENS1_47radix_sort_onesweep_sort_config_static_selectorELNS0_4arch9wavefront6targetE1EEEvSK_.num_agpr, 0
	.set _ZN7rocprim17ROCPRIM_400000_NS6detail17trampoline_kernelINS0_14default_configENS1_35radix_sort_onesweep_config_selectorIiNS0_10empty_typeEEEZZNS1_29radix_sort_onesweep_iterationIS3_Lb1EN6thrust23THRUST_200600_302600_NS6detail15normal_iteratorINS9_10device_ptrIiEEEESE_PS5_SF_jNS0_19identity_decomposerENS1_16block_id_wrapperIjLb1EEEEE10hipError_tT1_PNSt15iterator_traitsISK_E10value_typeET2_T3_PNSL_ISQ_E10value_typeET4_T5_PSV_SW_PNS1_23onesweep_lookback_stateEbbT6_jjT7_P12ihipStream_tbENKUlT_T0_SK_SP_E_clISE_PiSF_SF_EEDaS13_S14_SK_SP_EUlS13_E_NS1_11comp_targetILNS1_3genE9ELNS1_11target_archE1100ELNS1_3gpuE3ELNS1_3repE0EEENS1_47radix_sort_onesweep_sort_config_static_selectorELNS0_4arch9wavefront6targetE1EEEvSK_.numbered_sgpr, 0
	.set _ZN7rocprim17ROCPRIM_400000_NS6detail17trampoline_kernelINS0_14default_configENS1_35radix_sort_onesweep_config_selectorIiNS0_10empty_typeEEEZZNS1_29radix_sort_onesweep_iterationIS3_Lb1EN6thrust23THRUST_200600_302600_NS6detail15normal_iteratorINS9_10device_ptrIiEEEESE_PS5_SF_jNS0_19identity_decomposerENS1_16block_id_wrapperIjLb1EEEEE10hipError_tT1_PNSt15iterator_traitsISK_E10value_typeET2_T3_PNSL_ISQ_E10value_typeET4_T5_PSV_SW_PNS1_23onesweep_lookback_stateEbbT6_jjT7_P12ihipStream_tbENKUlT_T0_SK_SP_E_clISE_PiSF_SF_EEDaS13_S14_SK_SP_EUlS13_E_NS1_11comp_targetILNS1_3genE9ELNS1_11target_archE1100ELNS1_3gpuE3ELNS1_3repE0EEENS1_47radix_sort_onesweep_sort_config_static_selectorELNS0_4arch9wavefront6targetE1EEEvSK_.num_named_barrier, 0
	.set _ZN7rocprim17ROCPRIM_400000_NS6detail17trampoline_kernelINS0_14default_configENS1_35radix_sort_onesweep_config_selectorIiNS0_10empty_typeEEEZZNS1_29radix_sort_onesweep_iterationIS3_Lb1EN6thrust23THRUST_200600_302600_NS6detail15normal_iteratorINS9_10device_ptrIiEEEESE_PS5_SF_jNS0_19identity_decomposerENS1_16block_id_wrapperIjLb1EEEEE10hipError_tT1_PNSt15iterator_traitsISK_E10value_typeET2_T3_PNSL_ISQ_E10value_typeET4_T5_PSV_SW_PNS1_23onesweep_lookback_stateEbbT6_jjT7_P12ihipStream_tbENKUlT_T0_SK_SP_E_clISE_PiSF_SF_EEDaS13_S14_SK_SP_EUlS13_E_NS1_11comp_targetILNS1_3genE9ELNS1_11target_archE1100ELNS1_3gpuE3ELNS1_3repE0EEENS1_47radix_sort_onesweep_sort_config_static_selectorELNS0_4arch9wavefront6targetE1EEEvSK_.private_seg_size, 0
	.set _ZN7rocprim17ROCPRIM_400000_NS6detail17trampoline_kernelINS0_14default_configENS1_35radix_sort_onesweep_config_selectorIiNS0_10empty_typeEEEZZNS1_29radix_sort_onesweep_iterationIS3_Lb1EN6thrust23THRUST_200600_302600_NS6detail15normal_iteratorINS9_10device_ptrIiEEEESE_PS5_SF_jNS0_19identity_decomposerENS1_16block_id_wrapperIjLb1EEEEE10hipError_tT1_PNSt15iterator_traitsISK_E10value_typeET2_T3_PNSL_ISQ_E10value_typeET4_T5_PSV_SW_PNS1_23onesweep_lookback_stateEbbT6_jjT7_P12ihipStream_tbENKUlT_T0_SK_SP_E_clISE_PiSF_SF_EEDaS13_S14_SK_SP_EUlS13_E_NS1_11comp_targetILNS1_3genE9ELNS1_11target_archE1100ELNS1_3gpuE3ELNS1_3repE0EEENS1_47radix_sort_onesweep_sort_config_static_selectorELNS0_4arch9wavefront6targetE1EEEvSK_.uses_vcc, 0
	.set _ZN7rocprim17ROCPRIM_400000_NS6detail17trampoline_kernelINS0_14default_configENS1_35radix_sort_onesweep_config_selectorIiNS0_10empty_typeEEEZZNS1_29radix_sort_onesweep_iterationIS3_Lb1EN6thrust23THRUST_200600_302600_NS6detail15normal_iteratorINS9_10device_ptrIiEEEESE_PS5_SF_jNS0_19identity_decomposerENS1_16block_id_wrapperIjLb1EEEEE10hipError_tT1_PNSt15iterator_traitsISK_E10value_typeET2_T3_PNSL_ISQ_E10value_typeET4_T5_PSV_SW_PNS1_23onesweep_lookback_stateEbbT6_jjT7_P12ihipStream_tbENKUlT_T0_SK_SP_E_clISE_PiSF_SF_EEDaS13_S14_SK_SP_EUlS13_E_NS1_11comp_targetILNS1_3genE9ELNS1_11target_archE1100ELNS1_3gpuE3ELNS1_3repE0EEENS1_47radix_sort_onesweep_sort_config_static_selectorELNS0_4arch9wavefront6targetE1EEEvSK_.uses_flat_scratch, 0
	.set _ZN7rocprim17ROCPRIM_400000_NS6detail17trampoline_kernelINS0_14default_configENS1_35radix_sort_onesweep_config_selectorIiNS0_10empty_typeEEEZZNS1_29radix_sort_onesweep_iterationIS3_Lb1EN6thrust23THRUST_200600_302600_NS6detail15normal_iteratorINS9_10device_ptrIiEEEESE_PS5_SF_jNS0_19identity_decomposerENS1_16block_id_wrapperIjLb1EEEEE10hipError_tT1_PNSt15iterator_traitsISK_E10value_typeET2_T3_PNSL_ISQ_E10value_typeET4_T5_PSV_SW_PNS1_23onesweep_lookback_stateEbbT6_jjT7_P12ihipStream_tbENKUlT_T0_SK_SP_E_clISE_PiSF_SF_EEDaS13_S14_SK_SP_EUlS13_E_NS1_11comp_targetILNS1_3genE9ELNS1_11target_archE1100ELNS1_3gpuE3ELNS1_3repE0EEENS1_47radix_sort_onesweep_sort_config_static_selectorELNS0_4arch9wavefront6targetE1EEEvSK_.has_dyn_sized_stack, 0
	.set _ZN7rocprim17ROCPRIM_400000_NS6detail17trampoline_kernelINS0_14default_configENS1_35radix_sort_onesweep_config_selectorIiNS0_10empty_typeEEEZZNS1_29radix_sort_onesweep_iterationIS3_Lb1EN6thrust23THRUST_200600_302600_NS6detail15normal_iteratorINS9_10device_ptrIiEEEESE_PS5_SF_jNS0_19identity_decomposerENS1_16block_id_wrapperIjLb1EEEEE10hipError_tT1_PNSt15iterator_traitsISK_E10value_typeET2_T3_PNSL_ISQ_E10value_typeET4_T5_PSV_SW_PNS1_23onesweep_lookback_stateEbbT6_jjT7_P12ihipStream_tbENKUlT_T0_SK_SP_E_clISE_PiSF_SF_EEDaS13_S14_SK_SP_EUlS13_E_NS1_11comp_targetILNS1_3genE9ELNS1_11target_archE1100ELNS1_3gpuE3ELNS1_3repE0EEENS1_47radix_sort_onesweep_sort_config_static_selectorELNS0_4arch9wavefront6targetE1EEEvSK_.has_recursion, 0
	.set _ZN7rocprim17ROCPRIM_400000_NS6detail17trampoline_kernelINS0_14default_configENS1_35radix_sort_onesweep_config_selectorIiNS0_10empty_typeEEEZZNS1_29radix_sort_onesweep_iterationIS3_Lb1EN6thrust23THRUST_200600_302600_NS6detail15normal_iteratorINS9_10device_ptrIiEEEESE_PS5_SF_jNS0_19identity_decomposerENS1_16block_id_wrapperIjLb1EEEEE10hipError_tT1_PNSt15iterator_traitsISK_E10value_typeET2_T3_PNSL_ISQ_E10value_typeET4_T5_PSV_SW_PNS1_23onesweep_lookback_stateEbbT6_jjT7_P12ihipStream_tbENKUlT_T0_SK_SP_E_clISE_PiSF_SF_EEDaS13_S14_SK_SP_EUlS13_E_NS1_11comp_targetILNS1_3genE9ELNS1_11target_archE1100ELNS1_3gpuE3ELNS1_3repE0EEENS1_47radix_sort_onesweep_sort_config_static_selectorELNS0_4arch9wavefront6targetE1EEEvSK_.has_indirect_call, 0
	.section	.AMDGPU.csdata,"",@progbits
; Kernel info:
; codeLenInByte = 0
; TotalNumSgprs: 6
; NumVgprs: 0
; NumAgprs: 0
; TotalNumVgprs: 0
; ScratchSize: 0
; MemoryBound: 0
; FloatMode: 240
; IeeeMode: 1
; LDSByteSize: 0 bytes/workgroup (compile time only)
; SGPRBlocks: 0
; VGPRBlocks: 0
; NumSGPRsForWavesPerEU: 6
; NumVGPRsForWavesPerEU: 1
; AccumOffset: 4
; Occupancy: 8
; WaveLimiterHint : 0
; COMPUTE_PGM_RSRC2:SCRATCH_EN: 0
; COMPUTE_PGM_RSRC2:USER_SGPR: 2
; COMPUTE_PGM_RSRC2:TRAP_HANDLER: 0
; COMPUTE_PGM_RSRC2:TGID_X_EN: 1
; COMPUTE_PGM_RSRC2:TGID_Y_EN: 0
; COMPUTE_PGM_RSRC2:TGID_Z_EN: 0
; COMPUTE_PGM_RSRC2:TIDIG_COMP_CNT: 0
; COMPUTE_PGM_RSRC3_GFX90A:ACCUM_OFFSET: 0
; COMPUTE_PGM_RSRC3_GFX90A:TG_SPLIT: 0
	.section	.text._ZN7rocprim17ROCPRIM_400000_NS6detail17trampoline_kernelINS0_14default_configENS1_35radix_sort_onesweep_config_selectorIiNS0_10empty_typeEEEZZNS1_29radix_sort_onesweep_iterationIS3_Lb1EN6thrust23THRUST_200600_302600_NS6detail15normal_iteratorINS9_10device_ptrIiEEEESE_PS5_SF_jNS0_19identity_decomposerENS1_16block_id_wrapperIjLb1EEEEE10hipError_tT1_PNSt15iterator_traitsISK_E10value_typeET2_T3_PNSL_ISQ_E10value_typeET4_T5_PSV_SW_PNS1_23onesweep_lookback_stateEbbT6_jjT7_P12ihipStream_tbENKUlT_T0_SK_SP_E_clISE_PiSF_SF_EEDaS13_S14_SK_SP_EUlS13_E_NS1_11comp_targetILNS1_3genE8ELNS1_11target_archE1030ELNS1_3gpuE2ELNS1_3repE0EEENS1_47radix_sort_onesweep_sort_config_static_selectorELNS0_4arch9wavefront6targetE1EEEvSK_,"axG",@progbits,_ZN7rocprim17ROCPRIM_400000_NS6detail17trampoline_kernelINS0_14default_configENS1_35radix_sort_onesweep_config_selectorIiNS0_10empty_typeEEEZZNS1_29radix_sort_onesweep_iterationIS3_Lb1EN6thrust23THRUST_200600_302600_NS6detail15normal_iteratorINS9_10device_ptrIiEEEESE_PS5_SF_jNS0_19identity_decomposerENS1_16block_id_wrapperIjLb1EEEEE10hipError_tT1_PNSt15iterator_traitsISK_E10value_typeET2_T3_PNSL_ISQ_E10value_typeET4_T5_PSV_SW_PNS1_23onesweep_lookback_stateEbbT6_jjT7_P12ihipStream_tbENKUlT_T0_SK_SP_E_clISE_PiSF_SF_EEDaS13_S14_SK_SP_EUlS13_E_NS1_11comp_targetILNS1_3genE8ELNS1_11target_archE1030ELNS1_3gpuE2ELNS1_3repE0EEENS1_47radix_sort_onesweep_sort_config_static_selectorELNS0_4arch9wavefront6targetE1EEEvSK_,comdat
	.protected	_ZN7rocprim17ROCPRIM_400000_NS6detail17trampoline_kernelINS0_14default_configENS1_35radix_sort_onesweep_config_selectorIiNS0_10empty_typeEEEZZNS1_29radix_sort_onesweep_iterationIS3_Lb1EN6thrust23THRUST_200600_302600_NS6detail15normal_iteratorINS9_10device_ptrIiEEEESE_PS5_SF_jNS0_19identity_decomposerENS1_16block_id_wrapperIjLb1EEEEE10hipError_tT1_PNSt15iterator_traitsISK_E10value_typeET2_T3_PNSL_ISQ_E10value_typeET4_T5_PSV_SW_PNS1_23onesweep_lookback_stateEbbT6_jjT7_P12ihipStream_tbENKUlT_T0_SK_SP_E_clISE_PiSF_SF_EEDaS13_S14_SK_SP_EUlS13_E_NS1_11comp_targetILNS1_3genE8ELNS1_11target_archE1030ELNS1_3gpuE2ELNS1_3repE0EEENS1_47radix_sort_onesweep_sort_config_static_selectorELNS0_4arch9wavefront6targetE1EEEvSK_ ; -- Begin function _ZN7rocprim17ROCPRIM_400000_NS6detail17trampoline_kernelINS0_14default_configENS1_35radix_sort_onesweep_config_selectorIiNS0_10empty_typeEEEZZNS1_29radix_sort_onesweep_iterationIS3_Lb1EN6thrust23THRUST_200600_302600_NS6detail15normal_iteratorINS9_10device_ptrIiEEEESE_PS5_SF_jNS0_19identity_decomposerENS1_16block_id_wrapperIjLb1EEEEE10hipError_tT1_PNSt15iterator_traitsISK_E10value_typeET2_T3_PNSL_ISQ_E10value_typeET4_T5_PSV_SW_PNS1_23onesweep_lookback_stateEbbT6_jjT7_P12ihipStream_tbENKUlT_T0_SK_SP_E_clISE_PiSF_SF_EEDaS13_S14_SK_SP_EUlS13_E_NS1_11comp_targetILNS1_3genE8ELNS1_11target_archE1030ELNS1_3gpuE2ELNS1_3repE0EEENS1_47radix_sort_onesweep_sort_config_static_selectorELNS0_4arch9wavefront6targetE1EEEvSK_
	.globl	_ZN7rocprim17ROCPRIM_400000_NS6detail17trampoline_kernelINS0_14default_configENS1_35radix_sort_onesweep_config_selectorIiNS0_10empty_typeEEEZZNS1_29radix_sort_onesweep_iterationIS3_Lb1EN6thrust23THRUST_200600_302600_NS6detail15normal_iteratorINS9_10device_ptrIiEEEESE_PS5_SF_jNS0_19identity_decomposerENS1_16block_id_wrapperIjLb1EEEEE10hipError_tT1_PNSt15iterator_traitsISK_E10value_typeET2_T3_PNSL_ISQ_E10value_typeET4_T5_PSV_SW_PNS1_23onesweep_lookback_stateEbbT6_jjT7_P12ihipStream_tbENKUlT_T0_SK_SP_E_clISE_PiSF_SF_EEDaS13_S14_SK_SP_EUlS13_E_NS1_11comp_targetILNS1_3genE8ELNS1_11target_archE1030ELNS1_3gpuE2ELNS1_3repE0EEENS1_47radix_sort_onesweep_sort_config_static_selectorELNS0_4arch9wavefront6targetE1EEEvSK_
	.p2align	8
	.type	_ZN7rocprim17ROCPRIM_400000_NS6detail17trampoline_kernelINS0_14default_configENS1_35radix_sort_onesweep_config_selectorIiNS0_10empty_typeEEEZZNS1_29radix_sort_onesweep_iterationIS3_Lb1EN6thrust23THRUST_200600_302600_NS6detail15normal_iteratorINS9_10device_ptrIiEEEESE_PS5_SF_jNS0_19identity_decomposerENS1_16block_id_wrapperIjLb1EEEEE10hipError_tT1_PNSt15iterator_traitsISK_E10value_typeET2_T3_PNSL_ISQ_E10value_typeET4_T5_PSV_SW_PNS1_23onesweep_lookback_stateEbbT6_jjT7_P12ihipStream_tbENKUlT_T0_SK_SP_E_clISE_PiSF_SF_EEDaS13_S14_SK_SP_EUlS13_E_NS1_11comp_targetILNS1_3genE8ELNS1_11target_archE1030ELNS1_3gpuE2ELNS1_3repE0EEENS1_47radix_sort_onesweep_sort_config_static_selectorELNS0_4arch9wavefront6targetE1EEEvSK_,@function
_ZN7rocprim17ROCPRIM_400000_NS6detail17trampoline_kernelINS0_14default_configENS1_35radix_sort_onesweep_config_selectorIiNS0_10empty_typeEEEZZNS1_29radix_sort_onesweep_iterationIS3_Lb1EN6thrust23THRUST_200600_302600_NS6detail15normal_iteratorINS9_10device_ptrIiEEEESE_PS5_SF_jNS0_19identity_decomposerENS1_16block_id_wrapperIjLb1EEEEE10hipError_tT1_PNSt15iterator_traitsISK_E10value_typeET2_T3_PNSL_ISQ_E10value_typeET4_T5_PSV_SW_PNS1_23onesweep_lookback_stateEbbT6_jjT7_P12ihipStream_tbENKUlT_T0_SK_SP_E_clISE_PiSF_SF_EEDaS13_S14_SK_SP_EUlS13_E_NS1_11comp_targetILNS1_3genE8ELNS1_11target_archE1030ELNS1_3gpuE2ELNS1_3repE0EEENS1_47radix_sort_onesweep_sort_config_static_selectorELNS0_4arch9wavefront6targetE1EEEvSK_: ; @_ZN7rocprim17ROCPRIM_400000_NS6detail17trampoline_kernelINS0_14default_configENS1_35radix_sort_onesweep_config_selectorIiNS0_10empty_typeEEEZZNS1_29radix_sort_onesweep_iterationIS3_Lb1EN6thrust23THRUST_200600_302600_NS6detail15normal_iteratorINS9_10device_ptrIiEEEESE_PS5_SF_jNS0_19identity_decomposerENS1_16block_id_wrapperIjLb1EEEEE10hipError_tT1_PNSt15iterator_traitsISK_E10value_typeET2_T3_PNSL_ISQ_E10value_typeET4_T5_PSV_SW_PNS1_23onesweep_lookback_stateEbbT6_jjT7_P12ihipStream_tbENKUlT_T0_SK_SP_E_clISE_PiSF_SF_EEDaS13_S14_SK_SP_EUlS13_E_NS1_11comp_targetILNS1_3genE8ELNS1_11target_archE1030ELNS1_3gpuE2ELNS1_3repE0EEENS1_47radix_sort_onesweep_sort_config_static_selectorELNS0_4arch9wavefront6targetE1EEEvSK_
; %bb.0:
	.section	.rodata,"a",@progbits
	.p2align	6, 0x0
	.amdhsa_kernel _ZN7rocprim17ROCPRIM_400000_NS6detail17trampoline_kernelINS0_14default_configENS1_35radix_sort_onesweep_config_selectorIiNS0_10empty_typeEEEZZNS1_29radix_sort_onesweep_iterationIS3_Lb1EN6thrust23THRUST_200600_302600_NS6detail15normal_iteratorINS9_10device_ptrIiEEEESE_PS5_SF_jNS0_19identity_decomposerENS1_16block_id_wrapperIjLb1EEEEE10hipError_tT1_PNSt15iterator_traitsISK_E10value_typeET2_T3_PNSL_ISQ_E10value_typeET4_T5_PSV_SW_PNS1_23onesweep_lookback_stateEbbT6_jjT7_P12ihipStream_tbENKUlT_T0_SK_SP_E_clISE_PiSF_SF_EEDaS13_S14_SK_SP_EUlS13_E_NS1_11comp_targetILNS1_3genE8ELNS1_11target_archE1030ELNS1_3gpuE2ELNS1_3repE0EEENS1_47radix_sort_onesweep_sort_config_static_selectorELNS0_4arch9wavefront6targetE1EEEvSK_
		.amdhsa_group_segment_fixed_size 0
		.amdhsa_private_segment_fixed_size 0
		.amdhsa_kernarg_size 88
		.amdhsa_user_sgpr_count 2
		.amdhsa_user_sgpr_dispatch_ptr 0
		.amdhsa_user_sgpr_queue_ptr 0
		.amdhsa_user_sgpr_kernarg_segment_ptr 1
		.amdhsa_user_sgpr_dispatch_id 0
		.amdhsa_user_sgpr_kernarg_preload_length 0
		.amdhsa_user_sgpr_kernarg_preload_offset 0
		.amdhsa_user_sgpr_private_segment_size 0
		.amdhsa_uses_dynamic_stack 0
		.amdhsa_enable_private_segment 0
		.amdhsa_system_sgpr_workgroup_id_x 1
		.amdhsa_system_sgpr_workgroup_id_y 0
		.amdhsa_system_sgpr_workgroup_id_z 0
		.amdhsa_system_sgpr_workgroup_info 0
		.amdhsa_system_vgpr_workitem_id 0
		.amdhsa_next_free_vgpr 1
		.amdhsa_next_free_sgpr 0
		.amdhsa_accum_offset 4
		.amdhsa_reserve_vcc 0
		.amdhsa_float_round_mode_32 0
		.amdhsa_float_round_mode_16_64 0
		.amdhsa_float_denorm_mode_32 3
		.amdhsa_float_denorm_mode_16_64 3
		.amdhsa_dx10_clamp 1
		.amdhsa_ieee_mode 1
		.amdhsa_fp16_overflow 0
		.amdhsa_tg_split 0
		.amdhsa_exception_fp_ieee_invalid_op 0
		.amdhsa_exception_fp_denorm_src 0
		.amdhsa_exception_fp_ieee_div_zero 0
		.amdhsa_exception_fp_ieee_overflow 0
		.amdhsa_exception_fp_ieee_underflow 0
		.amdhsa_exception_fp_ieee_inexact 0
		.amdhsa_exception_int_div_zero 0
	.end_amdhsa_kernel
	.section	.text._ZN7rocprim17ROCPRIM_400000_NS6detail17trampoline_kernelINS0_14default_configENS1_35radix_sort_onesweep_config_selectorIiNS0_10empty_typeEEEZZNS1_29radix_sort_onesweep_iterationIS3_Lb1EN6thrust23THRUST_200600_302600_NS6detail15normal_iteratorINS9_10device_ptrIiEEEESE_PS5_SF_jNS0_19identity_decomposerENS1_16block_id_wrapperIjLb1EEEEE10hipError_tT1_PNSt15iterator_traitsISK_E10value_typeET2_T3_PNSL_ISQ_E10value_typeET4_T5_PSV_SW_PNS1_23onesweep_lookback_stateEbbT6_jjT7_P12ihipStream_tbENKUlT_T0_SK_SP_E_clISE_PiSF_SF_EEDaS13_S14_SK_SP_EUlS13_E_NS1_11comp_targetILNS1_3genE8ELNS1_11target_archE1030ELNS1_3gpuE2ELNS1_3repE0EEENS1_47radix_sort_onesweep_sort_config_static_selectorELNS0_4arch9wavefront6targetE1EEEvSK_,"axG",@progbits,_ZN7rocprim17ROCPRIM_400000_NS6detail17trampoline_kernelINS0_14default_configENS1_35radix_sort_onesweep_config_selectorIiNS0_10empty_typeEEEZZNS1_29radix_sort_onesweep_iterationIS3_Lb1EN6thrust23THRUST_200600_302600_NS6detail15normal_iteratorINS9_10device_ptrIiEEEESE_PS5_SF_jNS0_19identity_decomposerENS1_16block_id_wrapperIjLb1EEEEE10hipError_tT1_PNSt15iterator_traitsISK_E10value_typeET2_T3_PNSL_ISQ_E10value_typeET4_T5_PSV_SW_PNS1_23onesweep_lookback_stateEbbT6_jjT7_P12ihipStream_tbENKUlT_T0_SK_SP_E_clISE_PiSF_SF_EEDaS13_S14_SK_SP_EUlS13_E_NS1_11comp_targetILNS1_3genE8ELNS1_11target_archE1030ELNS1_3gpuE2ELNS1_3repE0EEENS1_47radix_sort_onesweep_sort_config_static_selectorELNS0_4arch9wavefront6targetE1EEEvSK_,comdat
.Lfunc_end353:
	.size	_ZN7rocprim17ROCPRIM_400000_NS6detail17trampoline_kernelINS0_14default_configENS1_35radix_sort_onesweep_config_selectorIiNS0_10empty_typeEEEZZNS1_29radix_sort_onesweep_iterationIS3_Lb1EN6thrust23THRUST_200600_302600_NS6detail15normal_iteratorINS9_10device_ptrIiEEEESE_PS5_SF_jNS0_19identity_decomposerENS1_16block_id_wrapperIjLb1EEEEE10hipError_tT1_PNSt15iterator_traitsISK_E10value_typeET2_T3_PNSL_ISQ_E10value_typeET4_T5_PSV_SW_PNS1_23onesweep_lookback_stateEbbT6_jjT7_P12ihipStream_tbENKUlT_T0_SK_SP_E_clISE_PiSF_SF_EEDaS13_S14_SK_SP_EUlS13_E_NS1_11comp_targetILNS1_3genE8ELNS1_11target_archE1030ELNS1_3gpuE2ELNS1_3repE0EEENS1_47radix_sort_onesweep_sort_config_static_selectorELNS0_4arch9wavefront6targetE1EEEvSK_, .Lfunc_end353-_ZN7rocprim17ROCPRIM_400000_NS6detail17trampoline_kernelINS0_14default_configENS1_35radix_sort_onesweep_config_selectorIiNS0_10empty_typeEEEZZNS1_29radix_sort_onesweep_iterationIS3_Lb1EN6thrust23THRUST_200600_302600_NS6detail15normal_iteratorINS9_10device_ptrIiEEEESE_PS5_SF_jNS0_19identity_decomposerENS1_16block_id_wrapperIjLb1EEEEE10hipError_tT1_PNSt15iterator_traitsISK_E10value_typeET2_T3_PNSL_ISQ_E10value_typeET4_T5_PSV_SW_PNS1_23onesweep_lookback_stateEbbT6_jjT7_P12ihipStream_tbENKUlT_T0_SK_SP_E_clISE_PiSF_SF_EEDaS13_S14_SK_SP_EUlS13_E_NS1_11comp_targetILNS1_3genE8ELNS1_11target_archE1030ELNS1_3gpuE2ELNS1_3repE0EEENS1_47radix_sort_onesweep_sort_config_static_selectorELNS0_4arch9wavefront6targetE1EEEvSK_
                                        ; -- End function
	.set _ZN7rocprim17ROCPRIM_400000_NS6detail17trampoline_kernelINS0_14default_configENS1_35radix_sort_onesweep_config_selectorIiNS0_10empty_typeEEEZZNS1_29radix_sort_onesweep_iterationIS3_Lb1EN6thrust23THRUST_200600_302600_NS6detail15normal_iteratorINS9_10device_ptrIiEEEESE_PS5_SF_jNS0_19identity_decomposerENS1_16block_id_wrapperIjLb1EEEEE10hipError_tT1_PNSt15iterator_traitsISK_E10value_typeET2_T3_PNSL_ISQ_E10value_typeET4_T5_PSV_SW_PNS1_23onesweep_lookback_stateEbbT6_jjT7_P12ihipStream_tbENKUlT_T0_SK_SP_E_clISE_PiSF_SF_EEDaS13_S14_SK_SP_EUlS13_E_NS1_11comp_targetILNS1_3genE8ELNS1_11target_archE1030ELNS1_3gpuE2ELNS1_3repE0EEENS1_47radix_sort_onesweep_sort_config_static_selectorELNS0_4arch9wavefront6targetE1EEEvSK_.num_vgpr, 0
	.set _ZN7rocprim17ROCPRIM_400000_NS6detail17trampoline_kernelINS0_14default_configENS1_35radix_sort_onesweep_config_selectorIiNS0_10empty_typeEEEZZNS1_29radix_sort_onesweep_iterationIS3_Lb1EN6thrust23THRUST_200600_302600_NS6detail15normal_iteratorINS9_10device_ptrIiEEEESE_PS5_SF_jNS0_19identity_decomposerENS1_16block_id_wrapperIjLb1EEEEE10hipError_tT1_PNSt15iterator_traitsISK_E10value_typeET2_T3_PNSL_ISQ_E10value_typeET4_T5_PSV_SW_PNS1_23onesweep_lookback_stateEbbT6_jjT7_P12ihipStream_tbENKUlT_T0_SK_SP_E_clISE_PiSF_SF_EEDaS13_S14_SK_SP_EUlS13_E_NS1_11comp_targetILNS1_3genE8ELNS1_11target_archE1030ELNS1_3gpuE2ELNS1_3repE0EEENS1_47radix_sort_onesweep_sort_config_static_selectorELNS0_4arch9wavefront6targetE1EEEvSK_.num_agpr, 0
	.set _ZN7rocprim17ROCPRIM_400000_NS6detail17trampoline_kernelINS0_14default_configENS1_35radix_sort_onesweep_config_selectorIiNS0_10empty_typeEEEZZNS1_29radix_sort_onesweep_iterationIS3_Lb1EN6thrust23THRUST_200600_302600_NS6detail15normal_iteratorINS9_10device_ptrIiEEEESE_PS5_SF_jNS0_19identity_decomposerENS1_16block_id_wrapperIjLb1EEEEE10hipError_tT1_PNSt15iterator_traitsISK_E10value_typeET2_T3_PNSL_ISQ_E10value_typeET4_T5_PSV_SW_PNS1_23onesweep_lookback_stateEbbT6_jjT7_P12ihipStream_tbENKUlT_T0_SK_SP_E_clISE_PiSF_SF_EEDaS13_S14_SK_SP_EUlS13_E_NS1_11comp_targetILNS1_3genE8ELNS1_11target_archE1030ELNS1_3gpuE2ELNS1_3repE0EEENS1_47radix_sort_onesweep_sort_config_static_selectorELNS0_4arch9wavefront6targetE1EEEvSK_.numbered_sgpr, 0
	.set _ZN7rocprim17ROCPRIM_400000_NS6detail17trampoline_kernelINS0_14default_configENS1_35radix_sort_onesweep_config_selectorIiNS0_10empty_typeEEEZZNS1_29radix_sort_onesweep_iterationIS3_Lb1EN6thrust23THRUST_200600_302600_NS6detail15normal_iteratorINS9_10device_ptrIiEEEESE_PS5_SF_jNS0_19identity_decomposerENS1_16block_id_wrapperIjLb1EEEEE10hipError_tT1_PNSt15iterator_traitsISK_E10value_typeET2_T3_PNSL_ISQ_E10value_typeET4_T5_PSV_SW_PNS1_23onesweep_lookback_stateEbbT6_jjT7_P12ihipStream_tbENKUlT_T0_SK_SP_E_clISE_PiSF_SF_EEDaS13_S14_SK_SP_EUlS13_E_NS1_11comp_targetILNS1_3genE8ELNS1_11target_archE1030ELNS1_3gpuE2ELNS1_3repE0EEENS1_47radix_sort_onesweep_sort_config_static_selectorELNS0_4arch9wavefront6targetE1EEEvSK_.num_named_barrier, 0
	.set _ZN7rocprim17ROCPRIM_400000_NS6detail17trampoline_kernelINS0_14default_configENS1_35radix_sort_onesweep_config_selectorIiNS0_10empty_typeEEEZZNS1_29radix_sort_onesweep_iterationIS3_Lb1EN6thrust23THRUST_200600_302600_NS6detail15normal_iteratorINS9_10device_ptrIiEEEESE_PS5_SF_jNS0_19identity_decomposerENS1_16block_id_wrapperIjLb1EEEEE10hipError_tT1_PNSt15iterator_traitsISK_E10value_typeET2_T3_PNSL_ISQ_E10value_typeET4_T5_PSV_SW_PNS1_23onesweep_lookback_stateEbbT6_jjT7_P12ihipStream_tbENKUlT_T0_SK_SP_E_clISE_PiSF_SF_EEDaS13_S14_SK_SP_EUlS13_E_NS1_11comp_targetILNS1_3genE8ELNS1_11target_archE1030ELNS1_3gpuE2ELNS1_3repE0EEENS1_47radix_sort_onesweep_sort_config_static_selectorELNS0_4arch9wavefront6targetE1EEEvSK_.private_seg_size, 0
	.set _ZN7rocprim17ROCPRIM_400000_NS6detail17trampoline_kernelINS0_14default_configENS1_35radix_sort_onesweep_config_selectorIiNS0_10empty_typeEEEZZNS1_29radix_sort_onesweep_iterationIS3_Lb1EN6thrust23THRUST_200600_302600_NS6detail15normal_iteratorINS9_10device_ptrIiEEEESE_PS5_SF_jNS0_19identity_decomposerENS1_16block_id_wrapperIjLb1EEEEE10hipError_tT1_PNSt15iterator_traitsISK_E10value_typeET2_T3_PNSL_ISQ_E10value_typeET4_T5_PSV_SW_PNS1_23onesweep_lookback_stateEbbT6_jjT7_P12ihipStream_tbENKUlT_T0_SK_SP_E_clISE_PiSF_SF_EEDaS13_S14_SK_SP_EUlS13_E_NS1_11comp_targetILNS1_3genE8ELNS1_11target_archE1030ELNS1_3gpuE2ELNS1_3repE0EEENS1_47radix_sort_onesweep_sort_config_static_selectorELNS0_4arch9wavefront6targetE1EEEvSK_.uses_vcc, 0
	.set _ZN7rocprim17ROCPRIM_400000_NS6detail17trampoline_kernelINS0_14default_configENS1_35radix_sort_onesweep_config_selectorIiNS0_10empty_typeEEEZZNS1_29radix_sort_onesweep_iterationIS3_Lb1EN6thrust23THRUST_200600_302600_NS6detail15normal_iteratorINS9_10device_ptrIiEEEESE_PS5_SF_jNS0_19identity_decomposerENS1_16block_id_wrapperIjLb1EEEEE10hipError_tT1_PNSt15iterator_traitsISK_E10value_typeET2_T3_PNSL_ISQ_E10value_typeET4_T5_PSV_SW_PNS1_23onesweep_lookback_stateEbbT6_jjT7_P12ihipStream_tbENKUlT_T0_SK_SP_E_clISE_PiSF_SF_EEDaS13_S14_SK_SP_EUlS13_E_NS1_11comp_targetILNS1_3genE8ELNS1_11target_archE1030ELNS1_3gpuE2ELNS1_3repE0EEENS1_47radix_sort_onesweep_sort_config_static_selectorELNS0_4arch9wavefront6targetE1EEEvSK_.uses_flat_scratch, 0
	.set _ZN7rocprim17ROCPRIM_400000_NS6detail17trampoline_kernelINS0_14default_configENS1_35radix_sort_onesweep_config_selectorIiNS0_10empty_typeEEEZZNS1_29radix_sort_onesweep_iterationIS3_Lb1EN6thrust23THRUST_200600_302600_NS6detail15normal_iteratorINS9_10device_ptrIiEEEESE_PS5_SF_jNS0_19identity_decomposerENS1_16block_id_wrapperIjLb1EEEEE10hipError_tT1_PNSt15iterator_traitsISK_E10value_typeET2_T3_PNSL_ISQ_E10value_typeET4_T5_PSV_SW_PNS1_23onesweep_lookback_stateEbbT6_jjT7_P12ihipStream_tbENKUlT_T0_SK_SP_E_clISE_PiSF_SF_EEDaS13_S14_SK_SP_EUlS13_E_NS1_11comp_targetILNS1_3genE8ELNS1_11target_archE1030ELNS1_3gpuE2ELNS1_3repE0EEENS1_47radix_sort_onesweep_sort_config_static_selectorELNS0_4arch9wavefront6targetE1EEEvSK_.has_dyn_sized_stack, 0
	.set _ZN7rocprim17ROCPRIM_400000_NS6detail17trampoline_kernelINS0_14default_configENS1_35radix_sort_onesweep_config_selectorIiNS0_10empty_typeEEEZZNS1_29radix_sort_onesweep_iterationIS3_Lb1EN6thrust23THRUST_200600_302600_NS6detail15normal_iteratorINS9_10device_ptrIiEEEESE_PS5_SF_jNS0_19identity_decomposerENS1_16block_id_wrapperIjLb1EEEEE10hipError_tT1_PNSt15iterator_traitsISK_E10value_typeET2_T3_PNSL_ISQ_E10value_typeET4_T5_PSV_SW_PNS1_23onesweep_lookback_stateEbbT6_jjT7_P12ihipStream_tbENKUlT_T0_SK_SP_E_clISE_PiSF_SF_EEDaS13_S14_SK_SP_EUlS13_E_NS1_11comp_targetILNS1_3genE8ELNS1_11target_archE1030ELNS1_3gpuE2ELNS1_3repE0EEENS1_47radix_sort_onesweep_sort_config_static_selectorELNS0_4arch9wavefront6targetE1EEEvSK_.has_recursion, 0
	.set _ZN7rocprim17ROCPRIM_400000_NS6detail17trampoline_kernelINS0_14default_configENS1_35radix_sort_onesweep_config_selectorIiNS0_10empty_typeEEEZZNS1_29radix_sort_onesweep_iterationIS3_Lb1EN6thrust23THRUST_200600_302600_NS6detail15normal_iteratorINS9_10device_ptrIiEEEESE_PS5_SF_jNS0_19identity_decomposerENS1_16block_id_wrapperIjLb1EEEEE10hipError_tT1_PNSt15iterator_traitsISK_E10value_typeET2_T3_PNSL_ISQ_E10value_typeET4_T5_PSV_SW_PNS1_23onesweep_lookback_stateEbbT6_jjT7_P12ihipStream_tbENKUlT_T0_SK_SP_E_clISE_PiSF_SF_EEDaS13_S14_SK_SP_EUlS13_E_NS1_11comp_targetILNS1_3genE8ELNS1_11target_archE1030ELNS1_3gpuE2ELNS1_3repE0EEENS1_47radix_sort_onesweep_sort_config_static_selectorELNS0_4arch9wavefront6targetE1EEEvSK_.has_indirect_call, 0
	.section	.AMDGPU.csdata,"",@progbits
; Kernel info:
; codeLenInByte = 0
; TotalNumSgprs: 6
; NumVgprs: 0
; NumAgprs: 0
; TotalNumVgprs: 0
; ScratchSize: 0
; MemoryBound: 0
; FloatMode: 240
; IeeeMode: 1
; LDSByteSize: 0 bytes/workgroup (compile time only)
; SGPRBlocks: 0
; VGPRBlocks: 0
; NumSGPRsForWavesPerEU: 6
; NumVGPRsForWavesPerEU: 1
; AccumOffset: 4
; Occupancy: 8
; WaveLimiterHint : 0
; COMPUTE_PGM_RSRC2:SCRATCH_EN: 0
; COMPUTE_PGM_RSRC2:USER_SGPR: 2
; COMPUTE_PGM_RSRC2:TRAP_HANDLER: 0
; COMPUTE_PGM_RSRC2:TGID_X_EN: 1
; COMPUTE_PGM_RSRC2:TGID_Y_EN: 0
; COMPUTE_PGM_RSRC2:TGID_Z_EN: 0
; COMPUTE_PGM_RSRC2:TIDIG_COMP_CNT: 0
; COMPUTE_PGM_RSRC3_GFX90A:ACCUM_OFFSET: 0
; COMPUTE_PGM_RSRC3_GFX90A:TG_SPLIT: 0
	.section	.text._ZN7rocprim17ROCPRIM_400000_NS6detail17trampoline_kernelINS0_14default_configENS1_35radix_sort_onesweep_config_selectorIiNS0_10empty_typeEEEZZNS1_29radix_sort_onesweep_iterationIS3_Lb1EN6thrust23THRUST_200600_302600_NS6detail15normal_iteratorINS9_10device_ptrIiEEEESE_PS5_SF_jNS0_19identity_decomposerENS1_16block_id_wrapperIjLb1EEEEE10hipError_tT1_PNSt15iterator_traitsISK_E10value_typeET2_T3_PNSL_ISQ_E10value_typeET4_T5_PSV_SW_PNS1_23onesweep_lookback_stateEbbT6_jjT7_P12ihipStream_tbENKUlT_T0_SK_SP_E_clIPiSE_SF_SF_EEDaS13_S14_SK_SP_EUlS13_E_NS1_11comp_targetILNS1_3genE0ELNS1_11target_archE4294967295ELNS1_3gpuE0ELNS1_3repE0EEENS1_47radix_sort_onesweep_sort_config_static_selectorELNS0_4arch9wavefront6targetE1EEEvSK_,"axG",@progbits,_ZN7rocprim17ROCPRIM_400000_NS6detail17trampoline_kernelINS0_14default_configENS1_35radix_sort_onesweep_config_selectorIiNS0_10empty_typeEEEZZNS1_29radix_sort_onesweep_iterationIS3_Lb1EN6thrust23THRUST_200600_302600_NS6detail15normal_iteratorINS9_10device_ptrIiEEEESE_PS5_SF_jNS0_19identity_decomposerENS1_16block_id_wrapperIjLb1EEEEE10hipError_tT1_PNSt15iterator_traitsISK_E10value_typeET2_T3_PNSL_ISQ_E10value_typeET4_T5_PSV_SW_PNS1_23onesweep_lookback_stateEbbT6_jjT7_P12ihipStream_tbENKUlT_T0_SK_SP_E_clIPiSE_SF_SF_EEDaS13_S14_SK_SP_EUlS13_E_NS1_11comp_targetILNS1_3genE0ELNS1_11target_archE4294967295ELNS1_3gpuE0ELNS1_3repE0EEENS1_47radix_sort_onesweep_sort_config_static_selectorELNS0_4arch9wavefront6targetE1EEEvSK_,comdat
	.protected	_ZN7rocprim17ROCPRIM_400000_NS6detail17trampoline_kernelINS0_14default_configENS1_35radix_sort_onesweep_config_selectorIiNS0_10empty_typeEEEZZNS1_29radix_sort_onesweep_iterationIS3_Lb1EN6thrust23THRUST_200600_302600_NS6detail15normal_iteratorINS9_10device_ptrIiEEEESE_PS5_SF_jNS0_19identity_decomposerENS1_16block_id_wrapperIjLb1EEEEE10hipError_tT1_PNSt15iterator_traitsISK_E10value_typeET2_T3_PNSL_ISQ_E10value_typeET4_T5_PSV_SW_PNS1_23onesweep_lookback_stateEbbT6_jjT7_P12ihipStream_tbENKUlT_T0_SK_SP_E_clIPiSE_SF_SF_EEDaS13_S14_SK_SP_EUlS13_E_NS1_11comp_targetILNS1_3genE0ELNS1_11target_archE4294967295ELNS1_3gpuE0ELNS1_3repE0EEENS1_47radix_sort_onesweep_sort_config_static_selectorELNS0_4arch9wavefront6targetE1EEEvSK_ ; -- Begin function _ZN7rocprim17ROCPRIM_400000_NS6detail17trampoline_kernelINS0_14default_configENS1_35radix_sort_onesweep_config_selectorIiNS0_10empty_typeEEEZZNS1_29radix_sort_onesweep_iterationIS3_Lb1EN6thrust23THRUST_200600_302600_NS6detail15normal_iteratorINS9_10device_ptrIiEEEESE_PS5_SF_jNS0_19identity_decomposerENS1_16block_id_wrapperIjLb1EEEEE10hipError_tT1_PNSt15iterator_traitsISK_E10value_typeET2_T3_PNSL_ISQ_E10value_typeET4_T5_PSV_SW_PNS1_23onesweep_lookback_stateEbbT6_jjT7_P12ihipStream_tbENKUlT_T0_SK_SP_E_clIPiSE_SF_SF_EEDaS13_S14_SK_SP_EUlS13_E_NS1_11comp_targetILNS1_3genE0ELNS1_11target_archE4294967295ELNS1_3gpuE0ELNS1_3repE0EEENS1_47radix_sort_onesweep_sort_config_static_selectorELNS0_4arch9wavefront6targetE1EEEvSK_
	.globl	_ZN7rocprim17ROCPRIM_400000_NS6detail17trampoline_kernelINS0_14default_configENS1_35radix_sort_onesweep_config_selectorIiNS0_10empty_typeEEEZZNS1_29radix_sort_onesweep_iterationIS3_Lb1EN6thrust23THRUST_200600_302600_NS6detail15normal_iteratorINS9_10device_ptrIiEEEESE_PS5_SF_jNS0_19identity_decomposerENS1_16block_id_wrapperIjLb1EEEEE10hipError_tT1_PNSt15iterator_traitsISK_E10value_typeET2_T3_PNSL_ISQ_E10value_typeET4_T5_PSV_SW_PNS1_23onesweep_lookback_stateEbbT6_jjT7_P12ihipStream_tbENKUlT_T0_SK_SP_E_clIPiSE_SF_SF_EEDaS13_S14_SK_SP_EUlS13_E_NS1_11comp_targetILNS1_3genE0ELNS1_11target_archE4294967295ELNS1_3gpuE0ELNS1_3repE0EEENS1_47radix_sort_onesweep_sort_config_static_selectorELNS0_4arch9wavefront6targetE1EEEvSK_
	.p2align	8
	.type	_ZN7rocprim17ROCPRIM_400000_NS6detail17trampoline_kernelINS0_14default_configENS1_35radix_sort_onesweep_config_selectorIiNS0_10empty_typeEEEZZNS1_29radix_sort_onesweep_iterationIS3_Lb1EN6thrust23THRUST_200600_302600_NS6detail15normal_iteratorINS9_10device_ptrIiEEEESE_PS5_SF_jNS0_19identity_decomposerENS1_16block_id_wrapperIjLb1EEEEE10hipError_tT1_PNSt15iterator_traitsISK_E10value_typeET2_T3_PNSL_ISQ_E10value_typeET4_T5_PSV_SW_PNS1_23onesweep_lookback_stateEbbT6_jjT7_P12ihipStream_tbENKUlT_T0_SK_SP_E_clIPiSE_SF_SF_EEDaS13_S14_SK_SP_EUlS13_E_NS1_11comp_targetILNS1_3genE0ELNS1_11target_archE4294967295ELNS1_3gpuE0ELNS1_3repE0EEENS1_47radix_sort_onesweep_sort_config_static_selectorELNS0_4arch9wavefront6targetE1EEEvSK_,@function
_ZN7rocprim17ROCPRIM_400000_NS6detail17trampoline_kernelINS0_14default_configENS1_35radix_sort_onesweep_config_selectorIiNS0_10empty_typeEEEZZNS1_29radix_sort_onesweep_iterationIS3_Lb1EN6thrust23THRUST_200600_302600_NS6detail15normal_iteratorINS9_10device_ptrIiEEEESE_PS5_SF_jNS0_19identity_decomposerENS1_16block_id_wrapperIjLb1EEEEE10hipError_tT1_PNSt15iterator_traitsISK_E10value_typeET2_T3_PNSL_ISQ_E10value_typeET4_T5_PSV_SW_PNS1_23onesweep_lookback_stateEbbT6_jjT7_P12ihipStream_tbENKUlT_T0_SK_SP_E_clIPiSE_SF_SF_EEDaS13_S14_SK_SP_EUlS13_E_NS1_11comp_targetILNS1_3genE0ELNS1_11target_archE4294967295ELNS1_3gpuE0ELNS1_3repE0EEENS1_47radix_sort_onesweep_sort_config_static_selectorELNS0_4arch9wavefront6targetE1EEEvSK_: ; @_ZN7rocprim17ROCPRIM_400000_NS6detail17trampoline_kernelINS0_14default_configENS1_35radix_sort_onesweep_config_selectorIiNS0_10empty_typeEEEZZNS1_29radix_sort_onesweep_iterationIS3_Lb1EN6thrust23THRUST_200600_302600_NS6detail15normal_iteratorINS9_10device_ptrIiEEEESE_PS5_SF_jNS0_19identity_decomposerENS1_16block_id_wrapperIjLb1EEEEE10hipError_tT1_PNSt15iterator_traitsISK_E10value_typeET2_T3_PNSL_ISQ_E10value_typeET4_T5_PSV_SW_PNS1_23onesweep_lookback_stateEbbT6_jjT7_P12ihipStream_tbENKUlT_T0_SK_SP_E_clIPiSE_SF_SF_EEDaS13_S14_SK_SP_EUlS13_E_NS1_11comp_targetILNS1_3genE0ELNS1_11target_archE4294967295ELNS1_3gpuE0ELNS1_3repE0EEENS1_47radix_sort_onesweep_sort_config_static_selectorELNS0_4arch9wavefront6targetE1EEEvSK_
; %bb.0:
	.section	.rodata,"a",@progbits
	.p2align	6, 0x0
	.amdhsa_kernel _ZN7rocprim17ROCPRIM_400000_NS6detail17trampoline_kernelINS0_14default_configENS1_35radix_sort_onesweep_config_selectorIiNS0_10empty_typeEEEZZNS1_29radix_sort_onesweep_iterationIS3_Lb1EN6thrust23THRUST_200600_302600_NS6detail15normal_iteratorINS9_10device_ptrIiEEEESE_PS5_SF_jNS0_19identity_decomposerENS1_16block_id_wrapperIjLb1EEEEE10hipError_tT1_PNSt15iterator_traitsISK_E10value_typeET2_T3_PNSL_ISQ_E10value_typeET4_T5_PSV_SW_PNS1_23onesweep_lookback_stateEbbT6_jjT7_P12ihipStream_tbENKUlT_T0_SK_SP_E_clIPiSE_SF_SF_EEDaS13_S14_SK_SP_EUlS13_E_NS1_11comp_targetILNS1_3genE0ELNS1_11target_archE4294967295ELNS1_3gpuE0ELNS1_3repE0EEENS1_47radix_sort_onesweep_sort_config_static_selectorELNS0_4arch9wavefront6targetE1EEEvSK_
		.amdhsa_group_segment_fixed_size 0
		.amdhsa_private_segment_fixed_size 0
		.amdhsa_kernarg_size 88
		.amdhsa_user_sgpr_count 2
		.amdhsa_user_sgpr_dispatch_ptr 0
		.amdhsa_user_sgpr_queue_ptr 0
		.amdhsa_user_sgpr_kernarg_segment_ptr 1
		.amdhsa_user_sgpr_dispatch_id 0
		.amdhsa_user_sgpr_kernarg_preload_length 0
		.amdhsa_user_sgpr_kernarg_preload_offset 0
		.amdhsa_user_sgpr_private_segment_size 0
		.amdhsa_uses_dynamic_stack 0
		.amdhsa_enable_private_segment 0
		.amdhsa_system_sgpr_workgroup_id_x 1
		.amdhsa_system_sgpr_workgroup_id_y 0
		.amdhsa_system_sgpr_workgroup_id_z 0
		.amdhsa_system_sgpr_workgroup_info 0
		.amdhsa_system_vgpr_workitem_id 0
		.amdhsa_next_free_vgpr 1
		.amdhsa_next_free_sgpr 0
		.amdhsa_accum_offset 4
		.amdhsa_reserve_vcc 0
		.amdhsa_float_round_mode_32 0
		.amdhsa_float_round_mode_16_64 0
		.amdhsa_float_denorm_mode_32 3
		.amdhsa_float_denorm_mode_16_64 3
		.amdhsa_dx10_clamp 1
		.amdhsa_ieee_mode 1
		.amdhsa_fp16_overflow 0
		.amdhsa_tg_split 0
		.amdhsa_exception_fp_ieee_invalid_op 0
		.amdhsa_exception_fp_denorm_src 0
		.amdhsa_exception_fp_ieee_div_zero 0
		.amdhsa_exception_fp_ieee_overflow 0
		.amdhsa_exception_fp_ieee_underflow 0
		.amdhsa_exception_fp_ieee_inexact 0
		.amdhsa_exception_int_div_zero 0
	.end_amdhsa_kernel
	.section	.text._ZN7rocprim17ROCPRIM_400000_NS6detail17trampoline_kernelINS0_14default_configENS1_35radix_sort_onesweep_config_selectorIiNS0_10empty_typeEEEZZNS1_29radix_sort_onesweep_iterationIS3_Lb1EN6thrust23THRUST_200600_302600_NS6detail15normal_iteratorINS9_10device_ptrIiEEEESE_PS5_SF_jNS0_19identity_decomposerENS1_16block_id_wrapperIjLb1EEEEE10hipError_tT1_PNSt15iterator_traitsISK_E10value_typeET2_T3_PNSL_ISQ_E10value_typeET4_T5_PSV_SW_PNS1_23onesweep_lookback_stateEbbT6_jjT7_P12ihipStream_tbENKUlT_T0_SK_SP_E_clIPiSE_SF_SF_EEDaS13_S14_SK_SP_EUlS13_E_NS1_11comp_targetILNS1_3genE0ELNS1_11target_archE4294967295ELNS1_3gpuE0ELNS1_3repE0EEENS1_47radix_sort_onesweep_sort_config_static_selectorELNS0_4arch9wavefront6targetE1EEEvSK_,"axG",@progbits,_ZN7rocprim17ROCPRIM_400000_NS6detail17trampoline_kernelINS0_14default_configENS1_35radix_sort_onesweep_config_selectorIiNS0_10empty_typeEEEZZNS1_29radix_sort_onesweep_iterationIS3_Lb1EN6thrust23THRUST_200600_302600_NS6detail15normal_iteratorINS9_10device_ptrIiEEEESE_PS5_SF_jNS0_19identity_decomposerENS1_16block_id_wrapperIjLb1EEEEE10hipError_tT1_PNSt15iterator_traitsISK_E10value_typeET2_T3_PNSL_ISQ_E10value_typeET4_T5_PSV_SW_PNS1_23onesweep_lookback_stateEbbT6_jjT7_P12ihipStream_tbENKUlT_T0_SK_SP_E_clIPiSE_SF_SF_EEDaS13_S14_SK_SP_EUlS13_E_NS1_11comp_targetILNS1_3genE0ELNS1_11target_archE4294967295ELNS1_3gpuE0ELNS1_3repE0EEENS1_47radix_sort_onesweep_sort_config_static_selectorELNS0_4arch9wavefront6targetE1EEEvSK_,comdat
.Lfunc_end354:
	.size	_ZN7rocprim17ROCPRIM_400000_NS6detail17trampoline_kernelINS0_14default_configENS1_35radix_sort_onesweep_config_selectorIiNS0_10empty_typeEEEZZNS1_29radix_sort_onesweep_iterationIS3_Lb1EN6thrust23THRUST_200600_302600_NS6detail15normal_iteratorINS9_10device_ptrIiEEEESE_PS5_SF_jNS0_19identity_decomposerENS1_16block_id_wrapperIjLb1EEEEE10hipError_tT1_PNSt15iterator_traitsISK_E10value_typeET2_T3_PNSL_ISQ_E10value_typeET4_T5_PSV_SW_PNS1_23onesweep_lookback_stateEbbT6_jjT7_P12ihipStream_tbENKUlT_T0_SK_SP_E_clIPiSE_SF_SF_EEDaS13_S14_SK_SP_EUlS13_E_NS1_11comp_targetILNS1_3genE0ELNS1_11target_archE4294967295ELNS1_3gpuE0ELNS1_3repE0EEENS1_47radix_sort_onesweep_sort_config_static_selectorELNS0_4arch9wavefront6targetE1EEEvSK_, .Lfunc_end354-_ZN7rocprim17ROCPRIM_400000_NS6detail17trampoline_kernelINS0_14default_configENS1_35radix_sort_onesweep_config_selectorIiNS0_10empty_typeEEEZZNS1_29radix_sort_onesweep_iterationIS3_Lb1EN6thrust23THRUST_200600_302600_NS6detail15normal_iteratorINS9_10device_ptrIiEEEESE_PS5_SF_jNS0_19identity_decomposerENS1_16block_id_wrapperIjLb1EEEEE10hipError_tT1_PNSt15iterator_traitsISK_E10value_typeET2_T3_PNSL_ISQ_E10value_typeET4_T5_PSV_SW_PNS1_23onesweep_lookback_stateEbbT6_jjT7_P12ihipStream_tbENKUlT_T0_SK_SP_E_clIPiSE_SF_SF_EEDaS13_S14_SK_SP_EUlS13_E_NS1_11comp_targetILNS1_3genE0ELNS1_11target_archE4294967295ELNS1_3gpuE0ELNS1_3repE0EEENS1_47radix_sort_onesweep_sort_config_static_selectorELNS0_4arch9wavefront6targetE1EEEvSK_
                                        ; -- End function
	.set _ZN7rocprim17ROCPRIM_400000_NS6detail17trampoline_kernelINS0_14default_configENS1_35radix_sort_onesweep_config_selectorIiNS0_10empty_typeEEEZZNS1_29radix_sort_onesweep_iterationIS3_Lb1EN6thrust23THRUST_200600_302600_NS6detail15normal_iteratorINS9_10device_ptrIiEEEESE_PS5_SF_jNS0_19identity_decomposerENS1_16block_id_wrapperIjLb1EEEEE10hipError_tT1_PNSt15iterator_traitsISK_E10value_typeET2_T3_PNSL_ISQ_E10value_typeET4_T5_PSV_SW_PNS1_23onesweep_lookback_stateEbbT6_jjT7_P12ihipStream_tbENKUlT_T0_SK_SP_E_clIPiSE_SF_SF_EEDaS13_S14_SK_SP_EUlS13_E_NS1_11comp_targetILNS1_3genE0ELNS1_11target_archE4294967295ELNS1_3gpuE0ELNS1_3repE0EEENS1_47radix_sort_onesweep_sort_config_static_selectorELNS0_4arch9wavefront6targetE1EEEvSK_.num_vgpr, 0
	.set _ZN7rocprim17ROCPRIM_400000_NS6detail17trampoline_kernelINS0_14default_configENS1_35radix_sort_onesweep_config_selectorIiNS0_10empty_typeEEEZZNS1_29radix_sort_onesweep_iterationIS3_Lb1EN6thrust23THRUST_200600_302600_NS6detail15normal_iteratorINS9_10device_ptrIiEEEESE_PS5_SF_jNS0_19identity_decomposerENS1_16block_id_wrapperIjLb1EEEEE10hipError_tT1_PNSt15iterator_traitsISK_E10value_typeET2_T3_PNSL_ISQ_E10value_typeET4_T5_PSV_SW_PNS1_23onesweep_lookback_stateEbbT6_jjT7_P12ihipStream_tbENKUlT_T0_SK_SP_E_clIPiSE_SF_SF_EEDaS13_S14_SK_SP_EUlS13_E_NS1_11comp_targetILNS1_3genE0ELNS1_11target_archE4294967295ELNS1_3gpuE0ELNS1_3repE0EEENS1_47radix_sort_onesweep_sort_config_static_selectorELNS0_4arch9wavefront6targetE1EEEvSK_.num_agpr, 0
	.set _ZN7rocprim17ROCPRIM_400000_NS6detail17trampoline_kernelINS0_14default_configENS1_35radix_sort_onesweep_config_selectorIiNS0_10empty_typeEEEZZNS1_29radix_sort_onesweep_iterationIS3_Lb1EN6thrust23THRUST_200600_302600_NS6detail15normal_iteratorINS9_10device_ptrIiEEEESE_PS5_SF_jNS0_19identity_decomposerENS1_16block_id_wrapperIjLb1EEEEE10hipError_tT1_PNSt15iterator_traitsISK_E10value_typeET2_T3_PNSL_ISQ_E10value_typeET4_T5_PSV_SW_PNS1_23onesweep_lookback_stateEbbT6_jjT7_P12ihipStream_tbENKUlT_T0_SK_SP_E_clIPiSE_SF_SF_EEDaS13_S14_SK_SP_EUlS13_E_NS1_11comp_targetILNS1_3genE0ELNS1_11target_archE4294967295ELNS1_3gpuE0ELNS1_3repE0EEENS1_47radix_sort_onesweep_sort_config_static_selectorELNS0_4arch9wavefront6targetE1EEEvSK_.numbered_sgpr, 0
	.set _ZN7rocprim17ROCPRIM_400000_NS6detail17trampoline_kernelINS0_14default_configENS1_35radix_sort_onesweep_config_selectorIiNS0_10empty_typeEEEZZNS1_29radix_sort_onesweep_iterationIS3_Lb1EN6thrust23THRUST_200600_302600_NS6detail15normal_iteratorINS9_10device_ptrIiEEEESE_PS5_SF_jNS0_19identity_decomposerENS1_16block_id_wrapperIjLb1EEEEE10hipError_tT1_PNSt15iterator_traitsISK_E10value_typeET2_T3_PNSL_ISQ_E10value_typeET4_T5_PSV_SW_PNS1_23onesweep_lookback_stateEbbT6_jjT7_P12ihipStream_tbENKUlT_T0_SK_SP_E_clIPiSE_SF_SF_EEDaS13_S14_SK_SP_EUlS13_E_NS1_11comp_targetILNS1_3genE0ELNS1_11target_archE4294967295ELNS1_3gpuE0ELNS1_3repE0EEENS1_47radix_sort_onesweep_sort_config_static_selectorELNS0_4arch9wavefront6targetE1EEEvSK_.num_named_barrier, 0
	.set _ZN7rocprim17ROCPRIM_400000_NS6detail17trampoline_kernelINS0_14default_configENS1_35radix_sort_onesweep_config_selectorIiNS0_10empty_typeEEEZZNS1_29radix_sort_onesweep_iterationIS3_Lb1EN6thrust23THRUST_200600_302600_NS6detail15normal_iteratorINS9_10device_ptrIiEEEESE_PS5_SF_jNS0_19identity_decomposerENS1_16block_id_wrapperIjLb1EEEEE10hipError_tT1_PNSt15iterator_traitsISK_E10value_typeET2_T3_PNSL_ISQ_E10value_typeET4_T5_PSV_SW_PNS1_23onesweep_lookback_stateEbbT6_jjT7_P12ihipStream_tbENKUlT_T0_SK_SP_E_clIPiSE_SF_SF_EEDaS13_S14_SK_SP_EUlS13_E_NS1_11comp_targetILNS1_3genE0ELNS1_11target_archE4294967295ELNS1_3gpuE0ELNS1_3repE0EEENS1_47radix_sort_onesweep_sort_config_static_selectorELNS0_4arch9wavefront6targetE1EEEvSK_.private_seg_size, 0
	.set _ZN7rocprim17ROCPRIM_400000_NS6detail17trampoline_kernelINS0_14default_configENS1_35radix_sort_onesweep_config_selectorIiNS0_10empty_typeEEEZZNS1_29radix_sort_onesweep_iterationIS3_Lb1EN6thrust23THRUST_200600_302600_NS6detail15normal_iteratorINS9_10device_ptrIiEEEESE_PS5_SF_jNS0_19identity_decomposerENS1_16block_id_wrapperIjLb1EEEEE10hipError_tT1_PNSt15iterator_traitsISK_E10value_typeET2_T3_PNSL_ISQ_E10value_typeET4_T5_PSV_SW_PNS1_23onesweep_lookback_stateEbbT6_jjT7_P12ihipStream_tbENKUlT_T0_SK_SP_E_clIPiSE_SF_SF_EEDaS13_S14_SK_SP_EUlS13_E_NS1_11comp_targetILNS1_3genE0ELNS1_11target_archE4294967295ELNS1_3gpuE0ELNS1_3repE0EEENS1_47radix_sort_onesweep_sort_config_static_selectorELNS0_4arch9wavefront6targetE1EEEvSK_.uses_vcc, 0
	.set _ZN7rocprim17ROCPRIM_400000_NS6detail17trampoline_kernelINS0_14default_configENS1_35radix_sort_onesweep_config_selectorIiNS0_10empty_typeEEEZZNS1_29radix_sort_onesweep_iterationIS3_Lb1EN6thrust23THRUST_200600_302600_NS6detail15normal_iteratorINS9_10device_ptrIiEEEESE_PS5_SF_jNS0_19identity_decomposerENS1_16block_id_wrapperIjLb1EEEEE10hipError_tT1_PNSt15iterator_traitsISK_E10value_typeET2_T3_PNSL_ISQ_E10value_typeET4_T5_PSV_SW_PNS1_23onesweep_lookback_stateEbbT6_jjT7_P12ihipStream_tbENKUlT_T0_SK_SP_E_clIPiSE_SF_SF_EEDaS13_S14_SK_SP_EUlS13_E_NS1_11comp_targetILNS1_3genE0ELNS1_11target_archE4294967295ELNS1_3gpuE0ELNS1_3repE0EEENS1_47radix_sort_onesweep_sort_config_static_selectorELNS0_4arch9wavefront6targetE1EEEvSK_.uses_flat_scratch, 0
	.set _ZN7rocprim17ROCPRIM_400000_NS6detail17trampoline_kernelINS0_14default_configENS1_35radix_sort_onesweep_config_selectorIiNS0_10empty_typeEEEZZNS1_29radix_sort_onesweep_iterationIS3_Lb1EN6thrust23THRUST_200600_302600_NS6detail15normal_iteratorINS9_10device_ptrIiEEEESE_PS5_SF_jNS0_19identity_decomposerENS1_16block_id_wrapperIjLb1EEEEE10hipError_tT1_PNSt15iterator_traitsISK_E10value_typeET2_T3_PNSL_ISQ_E10value_typeET4_T5_PSV_SW_PNS1_23onesweep_lookback_stateEbbT6_jjT7_P12ihipStream_tbENKUlT_T0_SK_SP_E_clIPiSE_SF_SF_EEDaS13_S14_SK_SP_EUlS13_E_NS1_11comp_targetILNS1_3genE0ELNS1_11target_archE4294967295ELNS1_3gpuE0ELNS1_3repE0EEENS1_47radix_sort_onesweep_sort_config_static_selectorELNS0_4arch9wavefront6targetE1EEEvSK_.has_dyn_sized_stack, 0
	.set _ZN7rocprim17ROCPRIM_400000_NS6detail17trampoline_kernelINS0_14default_configENS1_35radix_sort_onesweep_config_selectorIiNS0_10empty_typeEEEZZNS1_29radix_sort_onesweep_iterationIS3_Lb1EN6thrust23THRUST_200600_302600_NS6detail15normal_iteratorINS9_10device_ptrIiEEEESE_PS5_SF_jNS0_19identity_decomposerENS1_16block_id_wrapperIjLb1EEEEE10hipError_tT1_PNSt15iterator_traitsISK_E10value_typeET2_T3_PNSL_ISQ_E10value_typeET4_T5_PSV_SW_PNS1_23onesweep_lookback_stateEbbT6_jjT7_P12ihipStream_tbENKUlT_T0_SK_SP_E_clIPiSE_SF_SF_EEDaS13_S14_SK_SP_EUlS13_E_NS1_11comp_targetILNS1_3genE0ELNS1_11target_archE4294967295ELNS1_3gpuE0ELNS1_3repE0EEENS1_47radix_sort_onesweep_sort_config_static_selectorELNS0_4arch9wavefront6targetE1EEEvSK_.has_recursion, 0
	.set _ZN7rocprim17ROCPRIM_400000_NS6detail17trampoline_kernelINS0_14default_configENS1_35radix_sort_onesweep_config_selectorIiNS0_10empty_typeEEEZZNS1_29radix_sort_onesweep_iterationIS3_Lb1EN6thrust23THRUST_200600_302600_NS6detail15normal_iteratorINS9_10device_ptrIiEEEESE_PS5_SF_jNS0_19identity_decomposerENS1_16block_id_wrapperIjLb1EEEEE10hipError_tT1_PNSt15iterator_traitsISK_E10value_typeET2_T3_PNSL_ISQ_E10value_typeET4_T5_PSV_SW_PNS1_23onesweep_lookback_stateEbbT6_jjT7_P12ihipStream_tbENKUlT_T0_SK_SP_E_clIPiSE_SF_SF_EEDaS13_S14_SK_SP_EUlS13_E_NS1_11comp_targetILNS1_3genE0ELNS1_11target_archE4294967295ELNS1_3gpuE0ELNS1_3repE0EEENS1_47radix_sort_onesweep_sort_config_static_selectorELNS0_4arch9wavefront6targetE1EEEvSK_.has_indirect_call, 0
	.section	.AMDGPU.csdata,"",@progbits
; Kernel info:
; codeLenInByte = 0
; TotalNumSgprs: 6
; NumVgprs: 0
; NumAgprs: 0
; TotalNumVgprs: 0
; ScratchSize: 0
; MemoryBound: 0
; FloatMode: 240
; IeeeMode: 1
; LDSByteSize: 0 bytes/workgroup (compile time only)
; SGPRBlocks: 0
; VGPRBlocks: 0
; NumSGPRsForWavesPerEU: 6
; NumVGPRsForWavesPerEU: 1
; AccumOffset: 4
; Occupancy: 8
; WaveLimiterHint : 0
; COMPUTE_PGM_RSRC2:SCRATCH_EN: 0
; COMPUTE_PGM_RSRC2:USER_SGPR: 2
; COMPUTE_PGM_RSRC2:TRAP_HANDLER: 0
; COMPUTE_PGM_RSRC2:TGID_X_EN: 1
; COMPUTE_PGM_RSRC2:TGID_Y_EN: 0
; COMPUTE_PGM_RSRC2:TGID_Z_EN: 0
; COMPUTE_PGM_RSRC2:TIDIG_COMP_CNT: 0
; COMPUTE_PGM_RSRC3_GFX90A:ACCUM_OFFSET: 0
; COMPUTE_PGM_RSRC3_GFX90A:TG_SPLIT: 0
	.section	.text._ZN7rocprim17ROCPRIM_400000_NS6detail17trampoline_kernelINS0_14default_configENS1_35radix_sort_onesweep_config_selectorIiNS0_10empty_typeEEEZZNS1_29radix_sort_onesweep_iterationIS3_Lb1EN6thrust23THRUST_200600_302600_NS6detail15normal_iteratorINS9_10device_ptrIiEEEESE_PS5_SF_jNS0_19identity_decomposerENS1_16block_id_wrapperIjLb1EEEEE10hipError_tT1_PNSt15iterator_traitsISK_E10value_typeET2_T3_PNSL_ISQ_E10value_typeET4_T5_PSV_SW_PNS1_23onesweep_lookback_stateEbbT6_jjT7_P12ihipStream_tbENKUlT_T0_SK_SP_E_clIPiSE_SF_SF_EEDaS13_S14_SK_SP_EUlS13_E_NS1_11comp_targetILNS1_3genE6ELNS1_11target_archE950ELNS1_3gpuE13ELNS1_3repE0EEENS1_47radix_sort_onesweep_sort_config_static_selectorELNS0_4arch9wavefront6targetE1EEEvSK_,"axG",@progbits,_ZN7rocprim17ROCPRIM_400000_NS6detail17trampoline_kernelINS0_14default_configENS1_35radix_sort_onesweep_config_selectorIiNS0_10empty_typeEEEZZNS1_29radix_sort_onesweep_iterationIS3_Lb1EN6thrust23THRUST_200600_302600_NS6detail15normal_iteratorINS9_10device_ptrIiEEEESE_PS5_SF_jNS0_19identity_decomposerENS1_16block_id_wrapperIjLb1EEEEE10hipError_tT1_PNSt15iterator_traitsISK_E10value_typeET2_T3_PNSL_ISQ_E10value_typeET4_T5_PSV_SW_PNS1_23onesweep_lookback_stateEbbT6_jjT7_P12ihipStream_tbENKUlT_T0_SK_SP_E_clIPiSE_SF_SF_EEDaS13_S14_SK_SP_EUlS13_E_NS1_11comp_targetILNS1_3genE6ELNS1_11target_archE950ELNS1_3gpuE13ELNS1_3repE0EEENS1_47radix_sort_onesweep_sort_config_static_selectorELNS0_4arch9wavefront6targetE1EEEvSK_,comdat
	.protected	_ZN7rocprim17ROCPRIM_400000_NS6detail17trampoline_kernelINS0_14default_configENS1_35radix_sort_onesweep_config_selectorIiNS0_10empty_typeEEEZZNS1_29radix_sort_onesweep_iterationIS3_Lb1EN6thrust23THRUST_200600_302600_NS6detail15normal_iteratorINS9_10device_ptrIiEEEESE_PS5_SF_jNS0_19identity_decomposerENS1_16block_id_wrapperIjLb1EEEEE10hipError_tT1_PNSt15iterator_traitsISK_E10value_typeET2_T3_PNSL_ISQ_E10value_typeET4_T5_PSV_SW_PNS1_23onesweep_lookback_stateEbbT6_jjT7_P12ihipStream_tbENKUlT_T0_SK_SP_E_clIPiSE_SF_SF_EEDaS13_S14_SK_SP_EUlS13_E_NS1_11comp_targetILNS1_3genE6ELNS1_11target_archE950ELNS1_3gpuE13ELNS1_3repE0EEENS1_47radix_sort_onesweep_sort_config_static_selectorELNS0_4arch9wavefront6targetE1EEEvSK_ ; -- Begin function _ZN7rocprim17ROCPRIM_400000_NS6detail17trampoline_kernelINS0_14default_configENS1_35radix_sort_onesweep_config_selectorIiNS0_10empty_typeEEEZZNS1_29radix_sort_onesweep_iterationIS3_Lb1EN6thrust23THRUST_200600_302600_NS6detail15normal_iteratorINS9_10device_ptrIiEEEESE_PS5_SF_jNS0_19identity_decomposerENS1_16block_id_wrapperIjLb1EEEEE10hipError_tT1_PNSt15iterator_traitsISK_E10value_typeET2_T3_PNSL_ISQ_E10value_typeET4_T5_PSV_SW_PNS1_23onesweep_lookback_stateEbbT6_jjT7_P12ihipStream_tbENKUlT_T0_SK_SP_E_clIPiSE_SF_SF_EEDaS13_S14_SK_SP_EUlS13_E_NS1_11comp_targetILNS1_3genE6ELNS1_11target_archE950ELNS1_3gpuE13ELNS1_3repE0EEENS1_47radix_sort_onesweep_sort_config_static_selectorELNS0_4arch9wavefront6targetE1EEEvSK_
	.globl	_ZN7rocprim17ROCPRIM_400000_NS6detail17trampoline_kernelINS0_14default_configENS1_35radix_sort_onesweep_config_selectorIiNS0_10empty_typeEEEZZNS1_29radix_sort_onesweep_iterationIS3_Lb1EN6thrust23THRUST_200600_302600_NS6detail15normal_iteratorINS9_10device_ptrIiEEEESE_PS5_SF_jNS0_19identity_decomposerENS1_16block_id_wrapperIjLb1EEEEE10hipError_tT1_PNSt15iterator_traitsISK_E10value_typeET2_T3_PNSL_ISQ_E10value_typeET4_T5_PSV_SW_PNS1_23onesweep_lookback_stateEbbT6_jjT7_P12ihipStream_tbENKUlT_T0_SK_SP_E_clIPiSE_SF_SF_EEDaS13_S14_SK_SP_EUlS13_E_NS1_11comp_targetILNS1_3genE6ELNS1_11target_archE950ELNS1_3gpuE13ELNS1_3repE0EEENS1_47radix_sort_onesweep_sort_config_static_selectorELNS0_4arch9wavefront6targetE1EEEvSK_
	.p2align	8
	.type	_ZN7rocprim17ROCPRIM_400000_NS6detail17trampoline_kernelINS0_14default_configENS1_35radix_sort_onesweep_config_selectorIiNS0_10empty_typeEEEZZNS1_29radix_sort_onesweep_iterationIS3_Lb1EN6thrust23THRUST_200600_302600_NS6detail15normal_iteratorINS9_10device_ptrIiEEEESE_PS5_SF_jNS0_19identity_decomposerENS1_16block_id_wrapperIjLb1EEEEE10hipError_tT1_PNSt15iterator_traitsISK_E10value_typeET2_T3_PNSL_ISQ_E10value_typeET4_T5_PSV_SW_PNS1_23onesweep_lookback_stateEbbT6_jjT7_P12ihipStream_tbENKUlT_T0_SK_SP_E_clIPiSE_SF_SF_EEDaS13_S14_SK_SP_EUlS13_E_NS1_11comp_targetILNS1_3genE6ELNS1_11target_archE950ELNS1_3gpuE13ELNS1_3repE0EEENS1_47radix_sort_onesweep_sort_config_static_selectorELNS0_4arch9wavefront6targetE1EEEvSK_,@function
_ZN7rocprim17ROCPRIM_400000_NS6detail17trampoline_kernelINS0_14default_configENS1_35radix_sort_onesweep_config_selectorIiNS0_10empty_typeEEEZZNS1_29radix_sort_onesweep_iterationIS3_Lb1EN6thrust23THRUST_200600_302600_NS6detail15normal_iteratorINS9_10device_ptrIiEEEESE_PS5_SF_jNS0_19identity_decomposerENS1_16block_id_wrapperIjLb1EEEEE10hipError_tT1_PNSt15iterator_traitsISK_E10value_typeET2_T3_PNSL_ISQ_E10value_typeET4_T5_PSV_SW_PNS1_23onesweep_lookback_stateEbbT6_jjT7_P12ihipStream_tbENKUlT_T0_SK_SP_E_clIPiSE_SF_SF_EEDaS13_S14_SK_SP_EUlS13_E_NS1_11comp_targetILNS1_3genE6ELNS1_11target_archE950ELNS1_3gpuE13ELNS1_3repE0EEENS1_47radix_sort_onesweep_sort_config_static_selectorELNS0_4arch9wavefront6targetE1EEEvSK_: ; @_ZN7rocprim17ROCPRIM_400000_NS6detail17trampoline_kernelINS0_14default_configENS1_35radix_sort_onesweep_config_selectorIiNS0_10empty_typeEEEZZNS1_29radix_sort_onesweep_iterationIS3_Lb1EN6thrust23THRUST_200600_302600_NS6detail15normal_iteratorINS9_10device_ptrIiEEEESE_PS5_SF_jNS0_19identity_decomposerENS1_16block_id_wrapperIjLb1EEEEE10hipError_tT1_PNSt15iterator_traitsISK_E10value_typeET2_T3_PNSL_ISQ_E10value_typeET4_T5_PSV_SW_PNS1_23onesweep_lookback_stateEbbT6_jjT7_P12ihipStream_tbENKUlT_T0_SK_SP_E_clIPiSE_SF_SF_EEDaS13_S14_SK_SP_EUlS13_E_NS1_11comp_targetILNS1_3genE6ELNS1_11target_archE950ELNS1_3gpuE13ELNS1_3repE0EEENS1_47radix_sort_onesweep_sort_config_static_selectorELNS0_4arch9wavefront6targetE1EEEvSK_
; %bb.0:
	s_load_dwordx4 s[20:23], s[0:1], 0x28
	s_load_dwordx2 s[18:19], s[0:1], 0x38
	s_load_dwordx4 s[24:27], s[0:1], 0x44
	v_and_b32_e32 v10, 0x3ff, v0
	v_cmp_eq_u32_e64 s[10:11], 0, v10
	s_and_saveexec_b64 s[4:5], s[10:11]
	s_cbranch_execz .LBB355_4
; %bb.1:
	s_mov_b64 s[8:9], exec
	v_mbcnt_lo_u32_b32 v1, s8, 0
	v_mbcnt_hi_u32_b32 v1, s9, v1
	v_cmp_eq_u32_e32 vcc, 0, v1
                                        ; implicit-def: $vgpr2
	s_and_saveexec_b64 s[6:7], vcc
	s_cbranch_execz .LBB355_3
; %bb.2:
	s_load_dwordx2 s[12:13], s[0:1], 0x50
	s_bcnt1_i32_b64 s3, s[8:9]
	v_mov_b32_e32 v2, 0
	v_mov_b32_e32 v3, s3
	s_waitcnt lgkmcnt(0)
	global_atomic_add v2, v2, v3, s[12:13] sc0
.LBB355_3:
	s_or_b64 exec, exec, s[6:7]
	s_waitcnt vmcnt(0)
	v_readfirstlane_b32 s3, v2
	v_mov_b32_e32 v2, 0
	s_nop 0
	v_add_u32_e32 v1, s3, v1
	ds_write_b32 v2, v1 offset:20544
.LBB355_4:
	s_or_b64 exec, exec, s[4:5]
	v_mov_b32_e32 v3, 0
	s_load_dwordx4 s[28:31], s[0:1], 0x0
	s_load_dword s3, s[0:1], 0x20
	s_waitcnt lgkmcnt(0)
	s_barrier
	ds_read_b32 v1, v3 offset:20544
	s_mov_b64 s[4:5], -1
	s_waitcnt lgkmcnt(0)
	s_barrier
	v_cmp_le_u32_e32 vcc, s26, v1
	v_readfirstlane_b32 s27, v1
	v_mbcnt_lo_u32_b32 v1, -1, 0
	s_cbranch_vccz .LBB355_86
; %bb.5:
	s_lshl_b32 s4, s26, 13
	s_sub_i32 s3, s3, s4
	s_lshl_b32 s4, s27, 13
	s_mov_b32 s5, 0
	s_lshl_b64 s[4:5], s[4:5], 2
	v_mbcnt_hi_u32_b32 v16, -1, v1
	s_add_u32 s4, s28, s4
	v_and_b32_e32 v6, 63, v16
	v_lshlrev_b32_e32 v2, 3, v10
	s_addc_u32 s5, s29, s5
	v_and_b32_e32 v7, 0x1e00, v2
	v_lshlrev_b32_e32 v2, 2, v6
	v_lshl_add_u64 v[4:5], s[4:5], 0, v[2:3]
	v_lshlrev_b32_e32 v2, 2, v7
	v_lshl_add_u64 v[12:13], v[4:5], 0, v[2:3]
	v_or_b32_e32 v11, v6, v7
	v_bfrev_b32_e32 v2, 1
	v_cmp_gt_u32_e32 vcc, s3, v11
	v_mov_b32_e32 v3, v2
	v_mov_b32_e32 v4, v2
	;; [unrolled: 1-line block ×7, first 2 shown]
	s_and_saveexec_b64 s[4:5], vcc
	s_cbranch_execz .LBB355_7
; %bb.6:
	global_load_dword v18, v[12:13], off
	v_mov_b32_e32 v19, v2
	v_mov_b32_e32 v20, v2
	;; [unrolled: 1-line block ×7, first 2 shown]
	s_waitcnt vmcnt(0)
	v_mov_b64_e32 v[2:3], v[18:19]
	v_mov_b64_e32 v[4:5], v[20:21]
	;; [unrolled: 1-line block ×4, first 2 shown]
.LBB355_7:
	s_or_b64 exec, exec, s[4:5]
	v_or_b32_e32 v14, 64, v11
	v_cmp_gt_u32_e32 vcc, s3, v14
	s_and_saveexec_b64 s[4:5], vcc
	s_cbranch_execz .LBB355_9
; %bb.8:
	global_load_dword v3, v[12:13], off offset:256
.LBB355_9:
	s_or_b64 exec, exec, s[4:5]
	v_or_b32_e32 v14, 0x80, v11
	v_cmp_gt_u32_e32 vcc, s3, v14
	s_and_saveexec_b64 s[4:5], vcc
	s_cbranch_execz .LBB355_11
; %bb.10:
	global_load_dword v4, v[12:13], off offset:512
.LBB355_11:
	;; [unrolled: 8-line block ×7, first 2 shown]
	s_or_b64 exec, exec, s[4:5]
	s_load_dword s4, s[0:1], 0x64
	s_load_dword s26, s[0:1], 0x58
	s_add_u32 s5, s0, 0x58
	s_addc_u32 s6, s1, 0
	v_mov_b32_e32 v13, 0
	s_waitcnt lgkmcnt(0)
	s_lshr_b32 s7, s4, 16
	s_cmp_lt_u32 s2, s26
	s_cselect_b32 s4, 12, 18
	s_add_u32 s4, s5, s4
	s_addc_u32 s5, s6, 0
	global_load_ushort v30, v13, s[4:5]
	v_xor_b32_e32 v11, 0x7fffffff, v2
	v_lshrrev_b32_e32 v15, s24, v11
	s_lshl_b32 s4, -1, s25
	v_bfe_u32 v2, v0, 10, 10
	v_bfe_u32 v12, v0, 20, 10
	v_bitop3_b32 v31, v15, s4, v15 bitop3:0x30
	v_mad_u32_u24 v2, v12, s7, v2
	v_and_b32_e32 v12, 1, v31
	v_lshlrev_b32_e32 v15, 30, v31
	v_mov_b32_e32 v14, v13
	v_mov_b32_e32 v20, v13
	v_lshlrev_b32_e32 v19, 29, v31
	v_lshlrev_b32_e32 v21, 28, v31
	v_lshl_add_u64 v[28:29], v[12:13], 0, -1
	v_cmp_ne_u32_e32 vcc, 0, v12
	v_not_b32_e32 v12, v15
	v_mov_b32_e32 v18, v13
	v_mov_b32_e32 v22, v13
	s_not_b32 s33, s4
	v_lshlrev_b32_e32 v23, 27, v31
	v_cmp_gt_i64_e64 s[4:5], 0, v[14:15]
	v_not_b32_e32 v14, v19
	v_cmp_gt_i64_e64 s[8:9], 0, v[20:21]
	v_not_b32_e32 v15, v21
	v_xor_b32_e32 v21, vcc_hi, v29
	v_ashrrev_i32_e32 v12, 31, v12
	v_mov_b32_e32 v24, v13
	v_lshlrev_b32_e32 v25, 26, v31
	v_cmp_gt_i64_e64 s[6:7], 0, v[18:19]
	v_cmp_gt_i64_e64 s[12:13], 0, v[22:23]
	v_not_b32_e32 v18, v23
	v_xor_b32_e32 v22, vcc_lo, v28
	v_ashrrev_i32_e32 v14, 31, v14
	v_and_b32_e32 v21, exec_hi, v21
	v_xor_b32_e32 v23, s5, v12
	v_cmp_gt_i64_e64 s[14:15], 0, v[24:25]
	v_ashrrev_i32_e32 v15, 31, v15
	v_and_b32_e32 v22, exec_lo, v22
	v_xor_b32_e32 v12, s4, v12
	v_xor_b32_e32 v24, s7, v14
	v_and_b32_e32 v21, v21, v23
	v_mov_b32_e32 v26, v13
	v_lshlrev_b32_e32 v27, 25, v31
	v_not_b32_e32 v19, v25
	v_ashrrev_i32_e32 v18, 31, v18
	v_xor_b32_e32 v14, s6, v14
	v_xor_b32_e32 v25, s9, v15
	v_and_b32_e32 v12, v22, v12
	v_and_b32_e32 v21, v21, v24
	v_cmp_gt_i64_e64 s[16:17], 0, v[26:27]
	v_not_b32_e32 v20, v27
	v_ashrrev_i32_e32 v19, 31, v19
	v_xor_b32_e32 v26, s13, v18
	v_and_b32_e32 v12, v12, v14
	v_and_b32_e32 v14, v21, v25
	v_ashrrev_i32_e32 v20, 31, v20
	v_xor_b32_e32 v15, s8, v15
	v_xor_b32_e32 v27, s15, v19
	v_and_b32_e32 v14, v14, v26
	v_xor_b32_e32 v18, s12, v18
	v_xor_b32_e32 v28, s17, v20
	v_and_b32_e32 v12, v12, v15
	v_and_b32_e32 v14, v14, v27
	;; [unrolled: 1-line block ×4, first 2 shown]
	v_xor_b32_e32 v19, s14, v19
	v_xor_b32_e32 v20, s16, v20
	v_and_b32_e32 v12, v12, v19
	v_and_b32_e32 v12, v12, v20
	s_movk_i32 s34, 0x44
	v_mul_lo_u32 v32, v31, s34
	v_mul_u32_u24_e32 v17, 20, v10
	ds_write2_b32 v17, v13, v13 offset0:16 offset1:17
	ds_write2_b32 v17, v13, v13 offset0:18 offset1:19
	ds_write_b32 v17, v13 offset:80
	s_waitcnt lgkmcnt(0)
	s_barrier
	s_waitcnt vmcnt(0)
	; wave barrier
	v_mad_u64_u32 v[14:15], s[4:5], v2, v30, v[10:11]
	v_lshrrev_b32_e32 v2, 4, v14
	v_lshlrev_b32_e32 v15, 24, v31
	v_and_b32_e32 v30, 0xffffffc, v2
	v_mov_b32_e32 v14, v13
	v_not_b32_e32 v2, v15
	v_cmp_gt_i64_e32 vcc, 0, v[14:15]
	v_ashrrev_i32_e32 v2, 31, v2
	v_add_u32_e32 v22, v30, v32
	v_xor_b32_e32 v14, vcc_hi, v2
	v_xor_b32_e32 v2, vcc_lo, v2
	v_and_b32_e32 v15, v18, v14
	v_and_b32_e32 v14, v12, v2
	v_mbcnt_lo_u32_b32 v2, v14, 0
	v_mbcnt_hi_u32_b32 v18, v15, v2
	v_cmp_eq_u32_e32 vcc, 0, v18
	v_cmp_ne_u64_e64 s[4:5], 0, v[14:15]
	s_and_b64 s[6:7], s[4:5], vcc
	s_and_saveexec_b64 s[4:5], s[6:7]
; %bb.22:
	v_bcnt_u32_b32 v2, v14, 0
	v_bcnt_u32_b32 v2, v15, v2
	ds_write_b32 v22, v2 offset:64
; %bb.23:
	s_or_b64 exec, exec, s[4:5]
	v_xor_b32_e32 v14, 0x7fffffff, v3
	v_lshrrev_b32_e32 v2, s24, v14
	v_and_b32_e32 v15, s33, v2
	v_mul_lo_u32 v2, v15, s34
	v_and_b32_e32 v12, 1, v15
	v_add_u32_e32 v23, v30, v2
	v_lshl_add_u64 v[2:3], v[12:13], 0, -1
	v_cmp_ne_u32_e32 vcc, 0, v12
	; wave barrier
	s_nop 1
	v_xor_b32_e32 v3, vcc_hi, v3
	v_xor_b32_e32 v2, vcc_lo, v2
	v_and_b32_e32 v12, exec_hi, v3
	v_and_b32_e32 v20, exec_lo, v2
	v_lshlrev_b32_e32 v3, 30, v15
	v_mov_b32_e32 v2, v13
	v_cmp_gt_i64_e32 vcc, 0, v[2:3]
	v_not_b32_e32 v2, v3
	v_ashrrev_i32_e32 v2, 31, v2
	v_xor_b32_e32 v3, vcc_hi, v2
	v_xor_b32_e32 v2, vcc_lo, v2
	v_and_b32_e32 v12, v12, v3
	v_and_b32_e32 v20, v20, v2
	v_lshlrev_b32_e32 v3, 29, v15
	v_mov_b32_e32 v2, v13
	v_cmp_gt_i64_e32 vcc, 0, v[2:3]
	v_not_b32_e32 v2, v3
	v_ashrrev_i32_e32 v2, 31, v2
	v_xor_b32_e32 v3, vcc_hi, v2
	v_xor_b32_e32 v2, vcc_lo, v2
	v_and_b32_e32 v12, v12, v3
	v_and_b32_e32 v20, v20, v2
	;; [unrolled: 9-line block ×6, first 2 shown]
	v_lshlrev_b32_e32 v3, 24, v15
	v_mov_b32_e32 v2, v13
	v_cmp_gt_i64_e32 vcc, 0, v[2:3]
	v_not_b32_e32 v2, v3
	v_ashrrev_i32_e32 v2, 31, v2
	v_xor_b32_e32 v3, vcc_hi, v2
	v_xor_b32_e32 v2, vcc_lo, v2
	ds_read_b32 v19, v23 offset:64
	v_and_b32_e32 v2, v20, v2
	v_and_b32_e32 v3, v12, v3
	v_mbcnt_lo_u32_b32 v12, v2, 0
	v_mbcnt_hi_u32_b32 v20, v3, v12
	v_cmp_eq_u32_e32 vcc, 0, v20
	v_cmp_ne_u64_e64 s[4:5], 0, v[2:3]
	s_and_b64 s[6:7], s[4:5], vcc
	; wave barrier
	s_and_saveexec_b64 s[4:5], s[6:7]
	s_cbranch_execz .LBB355_25
; %bb.24:
	v_bcnt_u32_b32 v2, v2, 0
	v_bcnt_u32_b32 v2, v3, v2
	s_waitcnt lgkmcnt(0)
	v_add_u32_e32 v2, v19, v2
	ds_write_b32 v23, v2 offset:64
.LBB355_25:
	s_or_b64 exec, exec, s[4:5]
	v_xor_b32_e32 v15, 0x7fffffff, v4
	v_lshrrev_b32_e32 v2, s24, v15
	v_and_b32_e32 v4, s33, v2
	s_movk_i32 s6, 0x44
	v_mul_lo_u32 v2, v4, s6
	v_add_u32_e32 v27, v30, v2
	v_and_b32_e32 v2, 1, v4
	v_mov_b32_e32 v3, 0
	v_lshl_add_u64 v[12:13], v[2:3], 0, -1
	v_cmp_ne_u32_e32 vcc, 0, v2
	; wave barrier
	s_nop 1
	v_xor_b32_e32 v12, vcc_lo, v12
	v_xor_b32_e32 v2, vcc_hi, v13
	v_and_b32_e32 v24, exec_lo, v12
	v_lshlrev_b32_e32 v13, 30, v4
	v_mov_b32_e32 v12, v3
	v_cmp_gt_i64_e32 vcc, 0, v[12:13]
	v_not_b32_e32 v12, v13
	v_ashrrev_i32_e32 v12, 31, v12
	v_and_b32_e32 v2, exec_hi, v2
	v_xor_b32_e32 v13, vcc_hi, v12
	v_xor_b32_e32 v12, vcc_lo, v12
	v_and_b32_e32 v2, v2, v13
	v_and_b32_e32 v24, v24, v12
	v_lshlrev_b32_e32 v13, 29, v4
	v_mov_b32_e32 v12, v3
	v_cmp_gt_i64_e32 vcc, 0, v[12:13]
	v_not_b32_e32 v12, v13
	v_ashrrev_i32_e32 v12, 31, v12
	v_xor_b32_e32 v13, vcc_hi, v12
	v_xor_b32_e32 v12, vcc_lo, v12
	v_and_b32_e32 v2, v2, v13
	v_and_b32_e32 v24, v24, v12
	v_lshlrev_b32_e32 v13, 28, v4
	v_mov_b32_e32 v12, v3
	v_cmp_gt_i64_e32 vcc, 0, v[12:13]
	v_not_b32_e32 v12, v13
	v_ashrrev_i32_e32 v12, 31, v12
	;; [unrolled: 9-line block ×5, first 2 shown]
	v_xor_b32_e32 v13, vcc_hi, v12
	v_xor_b32_e32 v12, vcc_lo, v12
	v_and_b32_e32 v2, v2, v13
	v_lshlrev_b32_e32 v13, 24, v4
	v_and_b32_e32 v24, v24, v12
	v_mov_b32_e32 v12, v3
	v_not_b32_e32 v4, v13
	v_cmp_gt_i64_e32 vcc, 0, v[12:13]
	v_ashrrev_i32_e32 v4, 31, v4
	ds_read_b32 v21, v27 offset:64
	v_xor_b32_e32 v12, vcc_hi, v4
	v_xor_b32_e32 v4, vcc_lo, v4
	v_and_b32_e32 v13, v2, v12
	v_and_b32_e32 v12, v24, v4
	v_mbcnt_lo_u32_b32 v2, v12, 0
	v_mbcnt_hi_u32_b32 v25, v13, v2
	v_cmp_eq_u32_e32 vcc, 0, v25
	v_cmp_ne_u64_e64 s[4:5], 0, v[12:13]
	s_and_b64 s[8:9], s[4:5], vcc
	; wave barrier
	s_and_saveexec_b64 s[4:5], s[8:9]
	s_cbranch_execz .LBB355_27
; %bb.26:
	v_bcnt_u32_b32 v2, v12, 0
	v_bcnt_u32_b32 v2, v13, v2
	s_waitcnt lgkmcnt(0)
	v_add_u32_e32 v2, v21, v2
	ds_write_b32 v27, v2 offset:64
.LBB355_27:
	s_or_b64 exec, exec, s[4:5]
	v_xor_b32_e32 v12, 0x7fffffff, v5
	v_lshrrev_b32_e32 v2, s24, v12
	v_and_b32_e32 v13, s33, v2
	v_mul_lo_u32 v2, v13, s6
	v_add_u32_e32 v31, v30, v2
	v_and_b32_e32 v2, 1, v13
	v_lshl_add_u64 v[4:5], v[2:3], 0, -1
	v_cmp_ne_u32_e32 vcc, 0, v2
	; wave barrier
	s_nop 1
	v_xor_b32_e32 v4, vcc_lo, v4
	v_xor_b32_e32 v2, vcc_hi, v5
	v_and_b32_e32 v24, exec_lo, v4
	v_lshlrev_b32_e32 v5, 30, v13
	v_mov_b32_e32 v4, v3
	v_cmp_gt_i64_e32 vcc, 0, v[4:5]
	v_not_b32_e32 v4, v5
	v_ashrrev_i32_e32 v4, 31, v4
	v_and_b32_e32 v2, exec_hi, v2
	v_xor_b32_e32 v5, vcc_hi, v4
	v_xor_b32_e32 v4, vcc_lo, v4
	v_and_b32_e32 v2, v2, v5
	v_and_b32_e32 v24, v24, v4
	v_lshlrev_b32_e32 v5, 29, v13
	v_mov_b32_e32 v4, v3
	v_cmp_gt_i64_e32 vcc, 0, v[4:5]
	v_not_b32_e32 v4, v5
	v_ashrrev_i32_e32 v4, 31, v4
	v_xor_b32_e32 v5, vcc_hi, v4
	v_xor_b32_e32 v4, vcc_lo, v4
	v_and_b32_e32 v2, v2, v5
	v_and_b32_e32 v24, v24, v4
	v_lshlrev_b32_e32 v5, 28, v13
	v_mov_b32_e32 v4, v3
	v_cmp_gt_i64_e32 vcc, 0, v[4:5]
	v_not_b32_e32 v4, v5
	v_ashrrev_i32_e32 v4, 31, v4
	v_xor_b32_e32 v5, vcc_hi, v4
	v_xor_b32_e32 v4, vcc_lo, v4
	v_and_b32_e32 v2, v2, v5
	v_and_b32_e32 v24, v24, v4
	v_lshlrev_b32_e32 v5, 27, v13
	v_mov_b32_e32 v4, v3
	v_cmp_gt_i64_e32 vcc, 0, v[4:5]
	v_not_b32_e32 v4, v5
	v_ashrrev_i32_e32 v4, 31, v4
	v_xor_b32_e32 v5, vcc_hi, v4
	v_xor_b32_e32 v4, vcc_lo, v4
	v_and_b32_e32 v2, v2, v5
	v_and_b32_e32 v24, v24, v4
	v_lshlrev_b32_e32 v5, 26, v13
	v_mov_b32_e32 v4, v3
	v_cmp_gt_i64_e32 vcc, 0, v[4:5]
	v_not_b32_e32 v4, v5
	v_ashrrev_i32_e32 v4, 31, v4
	v_xor_b32_e32 v5, vcc_hi, v4
	v_xor_b32_e32 v4, vcc_lo, v4
	v_and_b32_e32 v2, v2, v5
	v_and_b32_e32 v24, v24, v4
	v_lshlrev_b32_e32 v5, 25, v13
	v_mov_b32_e32 v4, v3
	v_cmp_gt_i64_e32 vcc, 0, v[4:5]
	v_not_b32_e32 v4, v5
	v_ashrrev_i32_e32 v4, 31, v4
	v_xor_b32_e32 v5, vcc_hi, v4
	v_xor_b32_e32 v4, vcc_lo, v4
	v_and_b32_e32 v2, v2, v5
	v_lshlrev_b32_e32 v5, 24, v13
	v_and_b32_e32 v24, v24, v4
	v_mov_b32_e32 v4, v3
	v_not_b32_e32 v3, v5
	v_cmp_gt_i64_e32 vcc, 0, v[4:5]
	v_ashrrev_i32_e32 v3, 31, v3
	ds_read_b32 v26, v31 offset:64
	v_xor_b32_e32 v4, vcc_hi, v3
	v_xor_b32_e32 v5, vcc_lo, v3
	v_and_b32_e32 v3, v2, v4
	v_and_b32_e32 v2, v24, v5
	v_mbcnt_lo_u32_b32 v4, v2, 0
	v_mbcnt_hi_u32_b32 v28, v3, v4
	v_cmp_eq_u32_e32 vcc, 0, v28
	v_cmp_ne_u64_e64 s[4:5], 0, v[2:3]
	s_and_b64 s[6:7], s[4:5], vcc
	; wave barrier
	s_and_saveexec_b64 s[4:5], s[6:7]
	s_cbranch_execz .LBB355_29
; %bb.28:
	v_bcnt_u32_b32 v2, v2, 0
	v_bcnt_u32_b32 v2, v3, v2
	s_waitcnt lgkmcnt(0)
	v_add_u32_e32 v2, v26, v2
	ds_write_b32 v31, v2 offset:64
.LBB355_29:
	s_or_b64 exec, exec, s[4:5]
	v_xor_b32_e32 v13, 0x7fffffff, v6
	v_lshrrev_b32_e32 v2, s24, v13
	v_and_b32_e32 v24, s33, v2
	s_movk_i32 s6, 0x44
	v_mul_lo_u32 v2, v24, s6
	v_add_u32_e32 v6, v30, v2
	v_and_b32_e32 v2, 1, v24
	v_mov_b32_e32 v3, 0
	v_lshl_add_u64 v[4:5], v[2:3], 0, -1
	v_cmp_ne_u32_e32 vcc, 0, v2
	; wave barrier
	s_nop 1
	v_xor_b32_e32 v4, vcc_lo, v4
	v_xor_b32_e32 v2, vcc_hi, v5
	v_and_b32_e32 v32, exec_lo, v4
	v_lshlrev_b32_e32 v5, 30, v24
	v_mov_b32_e32 v4, v3
	v_cmp_gt_i64_e32 vcc, 0, v[4:5]
	v_not_b32_e32 v4, v5
	v_ashrrev_i32_e32 v4, 31, v4
	v_and_b32_e32 v2, exec_hi, v2
	v_xor_b32_e32 v5, vcc_hi, v4
	v_xor_b32_e32 v4, vcc_lo, v4
	v_and_b32_e32 v2, v2, v5
	v_and_b32_e32 v32, v32, v4
	v_lshlrev_b32_e32 v5, 29, v24
	v_mov_b32_e32 v4, v3
	v_cmp_gt_i64_e32 vcc, 0, v[4:5]
	v_not_b32_e32 v4, v5
	v_ashrrev_i32_e32 v4, 31, v4
	v_xor_b32_e32 v5, vcc_hi, v4
	v_xor_b32_e32 v4, vcc_lo, v4
	v_and_b32_e32 v2, v2, v5
	v_and_b32_e32 v32, v32, v4
	v_lshlrev_b32_e32 v5, 28, v24
	v_mov_b32_e32 v4, v3
	v_cmp_gt_i64_e32 vcc, 0, v[4:5]
	v_not_b32_e32 v4, v5
	v_ashrrev_i32_e32 v4, 31, v4
	;; [unrolled: 9-line block ×6, first 2 shown]
	v_xor_b32_e32 v5, vcc_hi, v4
	v_xor_b32_e32 v4, vcc_lo, v4
	ds_read_b32 v29, v6 offset:64
	v_and_b32_e32 v4, v32, v4
	v_and_b32_e32 v5, v2, v5
	v_mbcnt_lo_u32_b32 v2, v4, 0
	v_mbcnt_hi_u32_b32 v32, v5, v2
	v_cmp_eq_u32_e32 vcc, 0, v32
	v_cmp_ne_u64_e64 s[4:5], 0, v[4:5]
	s_and_b64 s[8:9], s[4:5], vcc
	; wave barrier
	s_and_saveexec_b64 s[4:5], s[8:9]
	s_cbranch_execz .LBB355_31
; %bb.30:
	v_bcnt_u32_b32 v2, v4, 0
	v_bcnt_u32_b32 v2, v5, v2
	s_waitcnt lgkmcnt(0)
	v_add_u32_e32 v2, v29, v2
	ds_write_b32 v6, v2 offset:64
.LBB355_31:
	s_or_b64 exec, exec, s[4:5]
	v_xor_b32_e32 v24, 0x7fffffff, v7
	v_lshrrev_b32_e32 v2, s24, v24
	v_and_b32_e32 v34, s33, v2
	v_mul_lo_u32 v2, v34, s6
	v_add_u32_e32 v7, v30, v2
	v_and_b32_e32 v2, 1, v34
	v_lshl_add_u64 v[4:5], v[2:3], 0, -1
	v_cmp_ne_u32_e32 vcc, 0, v2
	; wave barrier
	s_nop 1
	v_xor_b32_e32 v4, vcc_lo, v4
	v_xor_b32_e32 v2, vcc_hi, v5
	v_and_b32_e32 v35, exec_lo, v4
	v_lshlrev_b32_e32 v5, 30, v34
	v_mov_b32_e32 v4, v3
	v_cmp_gt_i64_e32 vcc, 0, v[4:5]
	v_not_b32_e32 v4, v5
	v_ashrrev_i32_e32 v4, 31, v4
	v_and_b32_e32 v2, exec_hi, v2
	v_xor_b32_e32 v5, vcc_hi, v4
	v_xor_b32_e32 v4, vcc_lo, v4
	v_and_b32_e32 v2, v2, v5
	v_and_b32_e32 v35, v35, v4
	v_lshlrev_b32_e32 v5, 29, v34
	v_mov_b32_e32 v4, v3
	v_cmp_gt_i64_e32 vcc, 0, v[4:5]
	v_not_b32_e32 v4, v5
	v_ashrrev_i32_e32 v4, 31, v4
	v_xor_b32_e32 v5, vcc_hi, v4
	v_xor_b32_e32 v4, vcc_lo, v4
	v_and_b32_e32 v2, v2, v5
	v_and_b32_e32 v35, v35, v4
	v_lshlrev_b32_e32 v5, 28, v34
	v_mov_b32_e32 v4, v3
	v_cmp_gt_i64_e32 vcc, 0, v[4:5]
	v_not_b32_e32 v4, v5
	v_ashrrev_i32_e32 v4, 31, v4
	;; [unrolled: 9-line block ×5, first 2 shown]
	v_xor_b32_e32 v5, vcc_hi, v4
	v_xor_b32_e32 v4, vcc_lo, v4
	v_and_b32_e32 v2, v2, v5
	v_lshlrev_b32_e32 v5, 24, v34
	v_and_b32_e32 v35, v35, v4
	v_mov_b32_e32 v4, v3
	v_not_b32_e32 v3, v5
	v_cmp_gt_i64_e32 vcc, 0, v[4:5]
	v_ashrrev_i32_e32 v3, 31, v3
	ds_read_b32 v33, v7 offset:64
	v_xor_b32_e32 v4, vcc_hi, v3
	v_xor_b32_e32 v5, vcc_lo, v3
	v_and_b32_e32 v3, v2, v4
	v_and_b32_e32 v2, v35, v5
	v_mbcnt_lo_u32_b32 v4, v2, 0
	v_mbcnt_hi_u32_b32 v34, v3, v4
	v_cmp_eq_u32_e32 vcc, 0, v34
	v_cmp_ne_u64_e64 s[4:5], 0, v[2:3]
	s_and_b64 s[6:7], s[4:5], vcc
	; wave barrier
	s_and_saveexec_b64 s[4:5], s[6:7]
	s_cbranch_execz .LBB355_33
; %bb.32:
	v_bcnt_u32_b32 v2, v2, 0
	v_bcnt_u32_b32 v2, v3, v2
	s_waitcnt lgkmcnt(0)
	v_add_u32_e32 v2, v33, v2
	ds_write_b32 v7, v2 offset:64
.LBB355_33:
	s_or_b64 exec, exec, s[4:5]
	v_xor_b32_e32 v8, 0x7fffffff, v8
	v_lshrrev_b32_e32 v2, s24, v8
	v_and_b32_e32 v36, s33, v2
	s_movk_i32 s6, 0x44
	v_mul_lo_u32 v2, v36, s6
	v_add_u32_e32 v37, v30, v2
	v_and_b32_e32 v2, 1, v36
	v_mov_b32_e32 v3, 0
	v_lshl_add_u64 v[4:5], v[2:3], 0, -1
	v_cmp_ne_u32_e32 vcc, 0, v2
	; wave barrier
	s_nop 1
	v_xor_b32_e32 v4, vcc_lo, v4
	v_xor_b32_e32 v2, vcc_hi, v5
	v_and_b32_e32 v38, exec_lo, v4
	v_lshlrev_b32_e32 v5, 30, v36
	v_mov_b32_e32 v4, v3
	v_cmp_gt_i64_e32 vcc, 0, v[4:5]
	v_not_b32_e32 v4, v5
	v_ashrrev_i32_e32 v4, 31, v4
	v_and_b32_e32 v2, exec_hi, v2
	v_xor_b32_e32 v5, vcc_hi, v4
	v_xor_b32_e32 v4, vcc_lo, v4
	v_and_b32_e32 v2, v2, v5
	v_and_b32_e32 v38, v38, v4
	v_lshlrev_b32_e32 v5, 29, v36
	v_mov_b32_e32 v4, v3
	v_cmp_gt_i64_e32 vcc, 0, v[4:5]
	v_not_b32_e32 v4, v5
	v_ashrrev_i32_e32 v4, 31, v4
	v_xor_b32_e32 v5, vcc_hi, v4
	v_xor_b32_e32 v4, vcc_lo, v4
	v_and_b32_e32 v2, v2, v5
	v_and_b32_e32 v38, v38, v4
	v_lshlrev_b32_e32 v5, 28, v36
	v_mov_b32_e32 v4, v3
	v_cmp_gt_i64_e32 vcc, 0, v[4:5]
	v_not_b32_e32 v4, v5
	v_ashrrev_i32_e32 v4, 31, v4
	;; [unrolled: 9-line block ×6, first 2 shown]
	v_xor_b32_e32 v5, vcc_hi, v4
	v_xor_b32_e32 v4, vcc_lo, v4
	ds_read_b32 v35, v37 offset:64
	v_and_b32_e32 v4, v38, v4
	v_and_b32_e32 v5, v2, v5
	v_mbcnt_lo_u32_b32 v2, v4, 0
	v_mbcnt_hi_u32_b32 v36, v5, v2
	v_cmp_eq_u32_e32 vcc, 0, v36
	v_cmp_ne_u64_e64 s[4:5], 0, v[4:5]
	s_and_b64 s[8:9], s[4:5], vcc
	; wave barrier
	s_and_saveexec_b64 s[4:5], s[8:9]
	s_cbranch_execz .LBB355_35
; %bb.34:
	v_bcnt_u32_b32 v2, v4, 0
	v_bcnt_u32_b32 v2, v5, v2
	s_waitcnt lgkmcnt(0)
	v_add_u32_e32 v2, v35, v2
	ds_write_b32 v37, v2 offset:64
.LBB355_35:
	s_or_b64 exec, exec, s[4:5]
	v_xor_b32_e32 v9, 0x7fffffff, v9
	v_lshrrev_b32_e32 v2, s24, v9
	v_and_b32_e32 v38, s33, v2
	v_mul_lo_u32 v2, v38, s6
	v_add_u32_e32 v39, v30, v2
	v_and_b32_e32 v2, 1, v38
	v_lshl_add_u64 v[4:5], v[2:3], 0, -1
	v_cmp_ne_u32_e32 vcc, 0, v2
	; wave barrier
	s_nop 1
	v_xor_b32_e32 v4, vcc_lo, v4
	v_xor_b32_e32 v2, vcc_hi, v5
	v_and_b32_e32 v40, exec_lo, v4
	v_lshlrev_b32_e32 v5, 30, v38
	v_mov_b32_e32 v4, v3
	v_cmp_gt_i64_e32 vcc, 0, v[4:5]
	v_not_b32_e32 v4, v5
	v_ashrrev_i32_e32 v4, 31, v4
	v_and_b32_e32 v2, exec_hi, v2
	v_xor_b32_e32 v5, vcc_hi, v4
	v_xor_b32_e32 v4, vcc_lo, v4
	v_and_b32_e32 v2, v2, v5
	v_and_b32_e32 v40, v40, v4
	v_lshlrev_b32_e32 v5, 29, v38
	v_mov_b32_e32 v4, v3
	v_cmp_gt_i64_e32 vcc, 0, v[4:5]
	v_not_b32_e32 v4, v5
	v_ashrrev_i32_e32 v4, 31, v4
	v_xor_b32_e32 v5, vcc_hi, v4
	v_xor_b32_e32 v4, vcc_lo, v4
	v_and_b32_e32 v2, v2, v5
	v_and_b32_e32 v40, v40, v4
	v_lshlrev_b32_e32 v5, 28, v38
	v_mov_b32_e32 v4, v3
	v_cmp_gt_i64_e32 vcc, 0, v[4:5]
	v_not_b32_e32 v4, v5
	v_ashrrev_i32_e32 v4, 31, v4
	v_xor_b32_e32 v5, vcc_hi, v4
	v_xor_b32_e32 v4, vcc_lo, v4
	v_and_b32_e32 v2, v2, v5
	v_and_b32_e32 v40, v40, v4
	v_lshlrev_b32_e32 v5, 27, v38
	v_mov_b32_e32 v4, v3
	v_cmp_gt_i64_e32 vcc, 0, v[4:5]
	v_not_b32_e32 v4, v5
	v_ashrrev_i32_e32 v4, 31, v4
	v_xor_b32_e32 v5, vcc_hi, v4
	v_xor_b32_e32 v4, vcc_lo, v4
	v_and_b32_e32 v2, v2, v5
	v_and_b32_e32 v40, v40, v4
	v_lshlrev_b32_e32 v5, 26, v38
	v_mov_b32_e32 v4, v3
	v_cmp_gt_i64_e32 vcc, 0, v[4:5]
	v_not_b32_e32 v4, v5
	v_ashrrev_i32_e32 v4, 31, v4
	v_xor_b32_e32 v5, vcc_hi, v4
	v_xor_b32_e32 v4, vcc_lo, v4
	v_and_b32_e32 v2, v2, v5
	v_and_b32_e32 v40, v40, v4
	v_lshlrev_b32_e32 v5, 25, v38
	v_mov_b32_e32 v4, v3
	v_cmp_gt_i64_e32 vcc, 0, v[4:5]
	v_not_b32_e32 v4, v5
	v_ashrrev_i32_e32 v4, 31, v4
	v_xor_b32_e32 v5, vcc_hi, v4
	v_xor_b32_e32 v4, vcc_lo, v4
	v_and_b32_e32 v2, v2, v5
	v_lshlrev_b32_e32 v5, 24, v38
	v_and_b32_e32 v40, v40, v4
	v_mov_b32_e32 v4, v3
	v_not_b32_e32 v3, v5
	v_cmp_gt_i64_e32 vcc, 0, v[4:5]
	v_ashrrev_i32_e32 v3, 31, v3
	ds_read_b32 v30, v39 offset:64
	v_xor_b32_e32 v4, vcc_hi, v3
	v_xor_b32_e32 v5, vcc_lo, v3
	v_and_b32_e32 v3, v2, v4
	v_and_b32_e32 v2, v40, v5
	v_mbcnt_lo_u32_b32 v4, v2, 0
	v_mbcnt_hi_u32_b32 v38, v3, v4
	v_cmp_eq_u32_e32 vcc, 0, v38
	v_cmp_ne_u64_e64 s[4:5], 0, v[2:3]
	s_and_b64 s[6:7], s[4:5], vcc
	; wave barrier
	s_and_saveexec_b64 s[4:5], s[6:7]
	s_cbranch_execz .LBB355_37
; %bb.36:
	v_bcnt_u32_b32 v2, v2, 0
	v_bcnt_u32_b32 v2, v3, v2
	s_waitcnt lgkmcnt(0)
	v_add_u32_e32 v2, v30, v2
	ds_write_b32 v39, v2 offset:64
.LBB355_37:
	s_or_b64 exec, exec, s[4:5]
	; wave barrier
	s_waitcnt lgkmcnt(0)
	s_barrier
	ds_read2_b32 v[4:5], v17 offset0:16 offset1:17
	ds_read2_b32 v[2:3], v17 offset0:18 offset1:19
	ds_read_b32 v40, v17 offset:80
	v_cmp_lt_u32_e64 s[12:13], 31, v16
	s_waitcnt lgkmcnt(1)
	v_add3_u32 v41, v5, v4, v2
	s_waitcnt lgkmcnt(0)
	v_add3_u32 v40, v41, v3, v40
	v_and_b32_e32 v41, 15, v16
	v_cmp_eq_u32_e32 vcc, 0, v41
	v_mov_b32_dpp v42, v40 row_shr:1 row_mask:0xf bank_mask:0xf
	v_cmp_lt_u32_e64 s[4:5], 1, v41
	v_cndmask_b32_e64 v42, v42, 0, vcc
	v_add_u32_e32 v40, v42, v40
	v_cmp_lt_u32_e64 s[6:7], 3, v41
	v_cmp_lt_u32_e64 s[8:9], 7, v41
	v_mov_b32_dpp v42, v40 row_shr:2 row_mask:0xf bank_mask:0xf
	v_cndmask_b32_e64 v42, 0, v42, s[4:5]
	v_add_u32_e32 v40, v40, v42
	s_nop 1
	v_mov_b32_dpp v42, v40 row_shr:4 row_mask:0xf bank_mask:0xf
	v_cndmask_b32_e64 v42, 0, v42, s[6:7]
	v_add_u32_e32 v40, v40, v42
	s_nop 1
	v_mov_b32_dpp v42, v40 row_shr:8 row_mask:0xf bank_mask:0xf
	v_cndmask_b32_e64 v41, 0, v42, s[8:9]
	v_add_u32_e32 v40, v40, v41
	v_bfe_i32 v42, v16, 4, 1
	s_nop 0
	v_mov_b32_dpp v41, v40 row_bcast:15 row_mask:0xf bank_mask:0xf
	v_and_b32_e32 v41, v42, v41
	v_add_u32_e32 v40, v40, v41
	v_and_b32_e32 v42, 63, v10
	s_nop 0
	v_mov_b32_dpp v41, v40 row_bcast:31 row_mask:0xf bank_mask:0xf
	v_cndmask_b32_e64 v41, 0, v41, s[12:13]
	v_add_u32_e32 v40, v40, v41
	v_lshrrev_b32_e32 v41, 6, v10
	v_cmp_eq_u32_e64 s[12:13], 63, v42
	s_and_saveexec_b64 s[14:15], s[12:13]
; %bb.38:
	v_lshlrev_b32_e32 v42, 2, v41
	ds_write_b32 v42, v40
; %bb.39:
	s_or_b64 exec, exec, s[14:15]
	v_cmp_gt_u32_e64 s[12:13], 16, v10
	s_waitcnt lgkmcnt(0)
	s_barrier
	s_and_saveexec_b64 s[14:15], s[12:13]
	s_cbranch_execz .LBB355_41
; %bb.40:
	v_lshlrev_b32_e32 v42, 2, v10
	ds_read_b32 v43, v42
	s_waitcnt lgkmcnt(0)
	s_nop 0
	v_mov_b32_dpp v44, v43 row_shr:1 row_mask:0xf bank_mask:0xf
	v_cndmask_b32_e64 v44, v44, 0, vcc
	v_add_u32_e32 v43, v44, v43
	s_nop 1
	v_mov_b32_dpp v44, v43 row_shr:2 row_mask:0xf bank_mask:0xf
	v_cndmask_b32_e64 v44, 0, v44, s[4:5]
	v_add_u32_e32 v43, v43, v44
	s_nop 1
	v_mov_b32_dpp v44, v43 row_shr:4 row_mask:0xf bank_mask:0xf
	v_cndmask_b32_e64 v44, 0, v44, s[6:7]
	;; [unrolled: 4-line block ×3, first 2 shown]
	v_add_u32_e32 v43, v43, v44
	ds_write_b32 v42, v43
.LBB355_41:
	s_or_b64 exec, exec, s[14:15]
	v_cmp_lt_u32_e32 vcc, 63, v10
	v_mov_b32_e32 v42, 0
	s_waitcnt lgkmcnt(0)
	s_barrier
	s_and_saveexec_b64 s[4:5], vcc
; %bb.42:
	v_lshl_add_u32 v41, v41, 2, -4
	ds_read_b32 v42, v41
; %bb.43:
	s_or_b64 exec, exec, s[4:5]
	v_subrev_co_u32_e32 v41, vcc, 1, v16
	v_and_b32_e32 v43, 64, v16
	v_cmp_lt_i32_e64 s[4:5], v41, v43
	s_waitcnt lgkmcnt(0)
	v_add_u32_e32 v40, v42, v40
	s_movk_i32 s6, 0x100
	v_cndmask_b32_e64 v16, v41, v16, s[4:5]
	v_lshlrev_b32_e32 v16, 2, v16
	ds_bpermute_b32 v16, v16, v40
	s_movk_i32 s4, 0xff
	v_cmp_lt_u32_e64 s[4:5], s4, v10
	s_waitcnt lgkmcnt(0)
	v_cndmask_b32_e32 v16, v16, v42, vcc
	v_cndmask_b32_e64 v16, v16, 0, s[10:11]
	v_add_u32_e32 v4, v16, v4
	v_add_u32_e32 v5, v4, v5
	;; [unrolled: 1-line block ×4, first 2 shown]
	ds_write2_b32 v17, v16, v4 offset0:16 offset1:17
	ds_write2_b32 v17, v5, v2 offset0:18 offset1:19
	ds_write_b32 v17, v3 offset:80
	s_waitcnt lgkmcnt(0)
	s_barrier
	ds_read_b32 v40, v22 offset:64
	ds_read_b32 v23, v23 offset:64
	;; [unrolled: 1-line block ×8, first 2 shown]
	v_cmp_gt_u32_e32 vcc, s6, v10
                                        ; implicit-def: $vgpr16
                                        ; implicit-def: $vgpr17
	s_and_saveexec_b64 s[8:9], vcc
	s_cbranch_execz .LBB355_47
; %bb.44:
	v_mul_u32_u24_e32 v2, 0x44, v10
	ds_read_b32 v16, v2 offset:64
	v_add_u32_e32 v3, 1, v10
	v_cmp_ne_u32_e64 s[6:7], s6, v3
	v_mov_b32_e32 v2, 0x2000
	s_and_saveexec_b64 s[12:13], s[6:7]
; %bb.45:
	v_mul_u32_u24_e32 v2, 0x44, v3
	ds_read_b32 v2, v2 offset:64
; %bb.46:
	s_or_b64 exec, exec, s[12:13]
	s_waitcnt lgkmcnt(0)
	v_sub_u32_e32 v17, v2, v16
.LBB355_47:
	s_or_b64 exec, exec, s[8:9]
	v_mov_b32_e32 v3, 0
	v_lshlrev_b32_e32 v22, 2, v10
	s_waitcnt lgkmcnt(0)
	s_barrier
	s_and_saveexec_b64 s[6:7], vcc
	s_cbranch_execz .LBB355_57
; %bb.48:
	v_lshl_add_u32 v2, s27, 8, v10
	v_lshl_add_u64 v[4:5], v[2:3], 2, s[18:19]
	v_or_b32_e32 v2, 2.0, v17
	s_mov_b64 s[8:9], 0
	s_brev_b32 s16, -4
	s_mov_b32 s17, s27
	v_mov_b32_e32 v43, 0
	global_store_dword v[4:5], v2, off sc1
                                        ; implicit-def: $sgpr12_sgpr13
	s_branch .LBB355_51
.LBB355_49:                             ;   in Loop: Header=BB355_51 Depth=1
	s_or_b64 exec, exec, s[14:15]
.LBB355_50:                             ;   in Loop: Header=BB355_51 Depth=1
	s_or_b64 exec, exec, s[12:13]
	v_and_b32_e32 v6, 0x3fffffff, v2
	v_add_u32_e32 v43, v6, v43
	v_cmp_gt_i32_e64 s[12:13], -2.0, v2
	s_and_b64 s[14:15], exec, s[12:13]
	s_or_b64 s[8:9], s[14:15], s[8:9]
	s_andn2_b64 exec, exec, s[8:9]
	s_cbranch_execz .LBB355_56
.LBB355_51:                             ; =>This Loop Header: Depth=1
                                        ;     Child Loop BB355_54 Depth 2
	s_or_b64 s[12:13], s[12:13], exec
	s_cmp_eq_u32 s17, 0
	s_cbranch_scc1 .LBB355_55
; %bb.52:                               ;   in Loop: Header=BB355_51 Depth=1
	s_add_i32 s17, s17, -1
	v_lshl_or_b32 v2, s17, 8, v10
	v_lshl_add_u64 v[6:7], v[2:3], 2, s[18:19]
	global_load_dword v2, v[6:7], off sc1
	s_waitcnt vmcnt(0)
	v_cmp_gt_u32_e32 vcc, 2.0, v2
	s_and_saveexec_b64 s[12:13], vcc
	s_cbranch_execz .LBB355_50
; %bb.53:                               ;   in Loop: Header=BB355_51 Depth=1
	s_mov_b64 s[14:15], 0
.LBB355_54:                             ;   Parent Loop BB355_51 Depth=1
                                        ; =>  This Inner Loop Header: Depth=2
	global_load_dword v2, v[6:7], off sc1
	s_waitcnt vmcnt(0)
	v_cmp_lt_u32_e32 vcc, s16, v2
	s_or_b64 s[14:15], vcc, s[14:15]
	s_andn2_b64 exec, exec, s[14:15]
	s_cbranch_execnz .LBB355_54
	s_branch .LBB355_49
.LBB355_55:                             ;   in Loop: Header=BB355_51 Depth=1
                                        ; implicit-def: $sgpr17
	s_and_b64 s[14:15], exec, s[12:13]
	s_or_b64 s[8:9], s[14:15], s[8:9]
	s_andn2_b64 exec, exec, s[8:9]
	s_cbranch_execnz .LBB355_51
.LBB355_56:
	s_or_b64 exec, exec, s[8:9]
	v_add_u32_e32 v2, v43, v17
	v_or_b32_e32 v2, 0x80000000, v2
	global_store_dword v[4:5], v2, off sc1
	global_load_dword v2, v22, s[20:21]
	v_sub_u32_e32 v3, v43, v16
	s_waitcnt vmcnt(0)
	v_add_u32_e32 v2, v3, v2
	ds_write_b32 v22, v2
.LBB355_57:
	s_or_b64 exec, exec, s[6:7]
	v_add_u32_e32 v4, v40, v18
	v_add3_u32 v5, v20, v19, v23
	v_add3_u32 v6, v25, v21, v27
	;; [unrolled: 1-line block ×7, first 2 shown]
	v_lshlrev_b32_e32 v23, 2, v21
	v_lshlrev_b32_e32 v25, 2, v20
	;; [unrolled: 1-line block ×8, first 2 shown]
	s_mov_b64 s[6:7], -1
	s_mov_b32 s12, 0
	v_mov_b32_e32 v3, 0
	s_movk_i32 s13, 0x400
	s_movk_i32 s14, 0x800
	;; [unrolled: 1-line block ×3, first 2 shown]
	v_mov_b32_e32 v32, v10
	s_branch .LBB355_59
.LBB355_58:                             ;   in Loop: Header=BB355_59 Depth=1
	s_or_b64 exec, exec, s[8:9]
	s_xor_b64 s[8:9], s[6:7], -1
	s_addk_i32 s12, 0xc000
	v_add_u32_e32 v32, 0x1000, v32
	s_mov_b64 s[6:7], 0
	s_and_b64 vcc, exec, s[8:9]
	s_barrier
	s_cbranch_vccnz .LBB355_83
.LBB355_59:                             ; =>This Inner Loop Header: Depth=1
	v_subrev_co_u32_e32 v4, vcc, 0x1000, v4
	s_and_saveexec_b64 s[8:9], vcc
	s_cbranch_execz .LBB355_67
; %bb.60:                               ;   in Loop: Header=BB355_59 Depth=1
	v_add_u32_e32 v2, s12, v31
	ds_write_b32 v2, v11 offset:1024
	s_or_b64 exec, exec, s[8:9]
	v_subrev_co_u32_e32 v5, vcc, 0x1000, v5
	s_and_saveexec_b64 s[8:9], vcc
	s_cbranch_execnz .LBB355_68
.LBB355_61:                             ;   in Loop: Header=BB355_59 Depth=1
	s_or_b64 exec, exec, s[8:9]
	v_subrev_co_u32_e32 v6, vcc, 0x1000, v6
	s_and_saveexec_b64 s[8:9], vcc
	s_cbranch_execz .LBB355_69
.LBB355_62:                             ;   in Loop: Header=BB355_59 Depth=1
	v_add_u32_e32 v2, s12, v29
	ds_write_b32 v2, v15 offset:1024
	s_or_b64 exec, exec, s[8:9]
	v_subrev_co_u32_e32 v7, vcc, 0x1000, v7
	s_and_saveexec_b64 s[8:9], vcc
	s_cbranch_execnz .LBB355_70
.LBB355_63:                             ;   in Loop: Header=BB355_59 Depth=1
	s_or_b64 exec, exec, s[8:9]
	v_subrev_co_u32_e32 v18, vcc, 0x1000, v18
	s_and_saveexec_b64 s[8:9], vcc
	s_cbranch_execz .LBB355_71
.LBB355_64:                             ;   in Loop: Header=BB355_59 Depth=1
	v_add_u32_e32 v2, s12, v27
	ds_write_b32 v2, v13 offset:1024
	s_or_b64 exec, exec, s[8:9]
	v_subrev_co_u32_e32 v19, vcc, 0x1000, v19
	s_and_saveexec_b64 s[8:9], vcc
	s_cbranch_execnz .LBB355_72
.LBB355_65:                             ;   in Loop: Header=BB355_59 Depth=1
	s_or_b64 exec, exec, s[8:9]
	v_subrev_co_u32_e32 v20, vcc, 0x1000, v20
	s_and_saveexec_b64 s[8:9], vcc
	s_cbranch_execz .LBB355_73
.LBB355_66:                             ;   in Loop: Header=BB355_59 Depth=1
	v_add_u32_e32 v2, s12, v25
	ds_write_b32 v2, v8 offset:1024
	s_or_b64 exec, exec, s[8:9]
	v_subrev_co_u32_e32 v21, vcc, 0x1000, v21
	s_and_saveexec_b64 s[8:9], vcc
	s_cbranch_execnz .LBB355_74
	s_branch .LBB355_75
.LBB355_67:                             ;   in Loop: Header=BB355_59 Depth=1
	s_or_b64 exec, exec, s[8:9]
	v_subrev_co_u32_e32 v5, vcc, 0x1000, v5
	s_and_saveexec_b64 s[8:9], vcc
	s_cbranch_execz .LBB355_61
.LBB355_68:                             ;   in Loop: Header=BB355_59 Depth=1
	v_add_u32_e32 v2, s12, v30
	ds_write_b32 v2, v14 offset:1024
	s_or_b64 exec, exec, s[8:9]
	v_subrev_co_u32_e32 v6, vcc, 0x1000, v6
	s_and_saveexec_b64 s[8:9], vcc
	s_cbranch_execnz .LBB355_62
.LBB355_69:                             ;   in Loop: Header=BB355_59 Depth=1
	s_or_b64 exec, exec, s[8:9]
	v_subrev_co_u32_e32 v7, vcc, 0x1000, v7
	s_and_saveexec_b64 s[8:9], vcc
	s_cbranch_execz .LBB355_63
.LBB355_70:                             ;   in Loop: Header=BB355_59 Depth=1
	v_add_u32_e32 v2, s12, v28
	ds_write_b32 v2, v12 offset:1024
	s_or_b64 exec, exec, s[8:9]
	v_subrev_co_u32_e32 v18, vcc, 0x1000, v18
	s_and_saveexec_b64 s[8:9], vcc
	s_cbranch_execnz .LBB355_64
.LBB355_71:                             ;   in Loop: Header=BB355_59 Depth=1
	s_or_b64 exec, exec, s[8:9]
	v_subrev_co_u32_e32 v19, vcc, 0x1000, v19
	s_and_saveexec_b64 s[8:9], vcc
	s_cbranch_execz .LBB355_65
.LBB355_72:                             ;   in Loop: Header=BB355_59 Depth=1
	v_add_u32_e32 v2, s12, v26
	ds_write_b32 v2, v24 offset:1024
	s_or_b64 exec, exec, s[8:9]
	v_subrev_co_u32_e32 v20, vcc, 0x1000, v20
	s_and_saveexec_b64 s[8:9], vcc
	s_cbranch_execnz .LBB355_66
.LBB355_73:                             ;   in Loop: Header=BB355_59 Depth=1
	s_or_b64 exec, exec, s[8:9]
	v_subrev_co_u32_e32 v21, vcc, 0x1000, v21
	s_and_saveexec_b64 s[8:9], vcc
.LBB355_74:                             ;   in Loop: Header=BB355_59 Depth=1
	v_add_u32_e32 v2, s12, v23
	ds_write_b32 v2, v9 offset:1024
.LBB355_75:                             ;   in Loop: Header=BB355_59 Depth=1
	s_or_b64 exec, exec, s[8:9]
	v_cmp_gt_u32_e32 vcc, s3, v32
	s_waitcnt lgkmcnt(0)
	s_barrier
	s_and_saveexec_b64 s[8:9], vcc
	s_cbranch_execz .LBB355_77
; %bb.76:                               ;   in Loop: Header=BB355_59 Depth=1
	ds_read_b32 v2, v22 offset:1024
	s_waitcnt lgkmcnt(0)
	v_lshrrev_b32_e32 v33, s24, v2
	v_and_b32_e32 v33, s33, v33
	v_lshlrev_b32_e32 v33, 2, v33
	ds_read_b32 v33, v33
	v_xor_b32_e32 v36, 0x7fffffff, v2
	s_waitcnt lgkmcnt(0)
	v_add_u32_e32 v2, v32, v33
	v_lshl_add_u64 v[34:35], v[2:3], 2, s[30:31]
	global_store_dword v[34:35], v36, off
.LBB355_77:                             ;   in Loop: Header=BB355_59 Depth=1
	s_or_b64 exec, exec, s[8:9]
	v_add_u32_e32 v2, 0x400, v32
	v_cmp_gt_u32_e32 vcc, s3, v2
	s_and_saveexec_b64 s[8:9], vcc
	s_cbranch_execz .LBB355_79
; %bb.78:                               ;   in Loop: Header=BB355_59 Depth=1
	ds_read_b32 v2, v22 offset:5120
	s_waitcnt lgkmcnt(0)
	v_lshrrev_b32_e32 v33, s24, v2
	v_and_b32_e32 v33, s33, v33
	v_lshlrev_b32_e32 v33, 2, v33
	ds_read_b32 v33, v33
	v_xor_b32_e32 v36, 0x7fffffff, v2
	s_waitcnt lgkmcnt(0)
	v_add3_u32 v2, v32, v33, s13
	v_lshl_add_u64 v[34:35], v[2:3], 2, s[30:31]
	global_store_dword v[34:35], v36, off
.LBB355_79:                             ;   in Loop: Header=BB355_59 Depth=1
	s_or_b64 exec, exec, s[8:9]
	v_add_u32_e32 v2, 0x800, v32
	v_cmp_gt_u32_e32 vcc, s3, v2
	s_and_saveexec_b64 s[8:9], vcc
	s_cbranch_execz .LBB355_81
; %bb.80:                               ;   in Loop: Header=BB355_59 Depth=1
	ds_read_b32 v2, v22 offset:9216
	s_waitcnt lgkmcnt(0)
	v_lshrrev_b32_e32 v33, s24, v2
	v_and_b32_e32 v33, s33, v33
	v_lshlrev_b32_e32 v33, 2, v33
	ds_read_b32 v33, v33
	v_xor_b32_e32 v36, 0x7fffffff, v2
	s_waitcnt lgkmcnt(0)
	v_add3_u32 v2, v32, v33, s14
	v_lshl_add_u64 v[34:35], v[2:3], 2, s[30:31]
	global_store_dword v[34:35], v36, off
.LBB355_81:                             ;   in Loop: Header=BB355_59 Depth=1
	s_or_b64 exec, exec, s[8:9]
	v_add_u32_e32 v2, 0xc00, v32
	v_cmp_gt_u32_e32 vcc, s3, v2
	s_and_saveexec_b64 s[8:9], vcc
	s_cbranch_execz .LBB355_58
; %bb.82:                               ;   in Loop: Header=BB355_59 Depth=1
	ds_read_b32 v2, v22 offset:13312
	s_waitcnt lgkmcnt(0)
	v_lshrrev_b32_e32 v33, s24, v2
	v_and_b32_e32 v33, s33, v33
	v_lshlrev_b32_e32 v33, 2, v33
	ds_read_b32 v33, v33
	v_xor_b32_e32 v36, 0x7fffffff, v2
	s_waitcnt lgkmcnt(0)
	v_add3_u32 v2, v32, v33, s15
	v_lshl_add_u64 v[34:35], v[2:3], 2, s[30:31]
	global_store_dword v[34:35], v36, off
	s_branch .LBB355_58
.LBB355_83:
	s_add_i32 s26, s26, -1
	s_cmp_eq_u32 s27, s26
	s_cselect_b64 s[6:7], -1, 0
	s_xor_b64 s[4:5], s[4:5], -1
	s_and_b64 s[6:7], s[4:5], s[6:7]
	s_and_saveexec_b64 s[4:5], s[6:7]
	s_cbranch_execz .LBB355_85
; %bb.84:
	ds_read_b32 v2, v22
	s_waitcnt lgkmcnt(0)
	v_add3_u32 v2, v16, v17, v2
	global_store_dword v22, v2, s[22:23]
.LBB355_85:
	s_or_b64 exec, exec, s[4:5]
	s_mov_b64 s[4:5], 0
.LBB355_86:
	s_and_b64 vcc, exec, s[4:5]
	s_cbranch_vccz .LBB355_143
; %bb.87:
	s_lshl_b32 s4, s27, 13
	s_mov_b32 s5, 0
	s_lshl_b64 s[4:5], s[4:5], 2
	v_mbcnt_hi_u32_b32 v4, -1, v1
	s_add_u32 s4, s28, s4
	v_and_b32_e32 v1, 63, v4
	s_addc_u32 s5, s29, s5
	v_lshlrev_b32_e32 v2, 2, v1
	v_mov_b32_e32 v3, 0
	v_lshlrev_b32_e32 v1, 5, v10
	v_lshl_add_u64 v[6:7], s[4:5], 0, v[2:3]
	v_and_b32_e32 v2, 0x7800, v1
	v_lshl_add_u64 v[16:17], v[6:7], 0, v[2:3]
	global_load_dword v1, v[16:17], off
	s_load_dword s3, s[0:1], 0x64
	s_load_dword s12, s[0:1], 0x58
	s_add_u32 s0, s0, 0x58
	s_addc_u32 s1, s1, 0
	v_mul_u32_u24_e32 v5, 20, v10
	s_waitcnt lgkmcnt(0)
	s_lshr_b32 s3, s3, 16
	s_cmp_lt_u32 s2, s12
	s_cselect_b32 s2, 12, 18
	s_add_u32 s0, s0, s2
	s_addc_u32 s1, s1, 0
	global_load_ushort v9, v3, s[0:1]
	ds_write2_b32 v5, v3, v3 offset0:16 offset1:17
	ds_write2_b32 v5, v3, v3 offset0:18 offset1:19
	ds_write_b32 v5, v3 offset:80
	global_load_dword v7, v[16:17], off offset:256
	global_load_dword v8, v[16:17], off offset:512
	global_load_dword v12, v[16:17], off offset:768
	global_load_dword v15, v[16:17], off offset:1024
	global_load_dword v20, v[16:17], off offset:1280
	global_load_dword v26, v[16:17], off offset:1536
	global_load_dword v22, v[16:17], off offset:1792
	v_bfe_u32 v2, v0, 10, 10
	v_bfe_u32 v6, v0, 20, 10
	v_mad_u32_u24 v11, v6, s3, v2
	s_lshl_b32 s0, -1, s25
	v_mov_b32_e32 v0, v3
	s_not_b32 s13, s0
	v_mov_b32_e32 v18, v3
	v_mov_b32_e32 v24, v3
	;; [unrolled: 1-line block ×4, first 2 shown]
	s_movk_i32 s8, 0x44
	s_waitcnt lgkmcnt(0)
	s_barrier
	s_waitcnt vmcnt(8)
	; wave barrier
	v_xor_b32_e32 v6, 0x7fffffff, v1
	v_lshrrev_b32_e32 v1, s24, v6
	v_bitop3_b32 v13, v1, s0, v1 bitop3:0x30
	v_and_b32_e32 v2, 1, v13
	v_lshlrev_b32_e32 v1, 30, v13
	v_lshlrev_b32_e32 v19, 29, v13
	v_lshl_add_u64 v[32:33], v[2:3], 0, -1
	v_cmp_ne_u32_e32 vcc, 0, v2
	v_lshlrev_b32_e32 v25, 28, v13
	v_cmp_gt_i64_e64 s[2:3], 0, v[18:19]
	s_waitcnt vmcnt(7)
	v_mad_u64_u32 v[16:17], s[0:1], v11, v9, v[10:11]
	v_cmp_gt_i64_e64 s[0:1], 0, v[0:1]
	v_not_b32_e32 v0, v1
	v_not_b32_e32 v1, v19
	v_lshrrev_b32_e32 v11, 4, v16
	v_xor_b32_e32 v16, vcc_hi, v33
	v_xor_b32_e32 v17, vcc_lo, v32
	v_ashrrev_i32_e32 v0, 31, v0
	v_cmp_gt_i64_e64 s[4:5], 0, v[24:25]
	v_not_b32_e32 v2, v25
	v_ashrrev_i32_e32 v1, 31, v1
	v_and_b32_e32 v24, 0xffffffc, v11
	v_and_b32_e32 v11, exec_hi, v16
	v_and_b32_e32 v16, exec_lo, v17
	v_xor_b32_e32 v17, s1, v0
	v_xor_b32_e32 v0, s0, v0
	v_lshlrev_b32_e32 v29, 27, v13
	v_ashrrev_i32_e32 v2, 31, v2
	v_xor_b32_e32 v18, s3, v1
	v_xor_b32_e32 v1, s2, v1
	v_and_b32_e32 v0, v16, v0
	v_lshlrev_b32_e32 v31, 26, v13
	v_not_b32_e32 v9, v29
	v_xor_b32_e32 v19, s5, v2
	v_xor_b32_e32 v2, s4, v2
	v_and_b32_e32 v11, v11, v17
	v_and_b32_e32 v0, v0, v1
	v_cmp_gt_i64_e64 s[6:7], 0, v[28:29]
	v_ashrrev_i32_e32 v9, 31, v9
	v_and_b32_e32 v11, v11, v18
	v_and_b32_e32 v0, v0, v2
	v_not_b32_e32 v2, v31
	v_xor_b32_e32 v21, s7, v9
	v_xor_b32_e32 v9, s6, v9
	v_and_b32_e32 v1, v11, v19
	v_cmp_gt_i64_e32 vcc, 0, v[30:31]
	v_ashrrev_i32_e32 v2, 31, v2
	v_and_b32_e32 v1, v1, v21
	v_and_b32_e32 v0, v0, v9
	v_xor_b32_e32 v9, vcc_hi, v2
	v_xor_b32_e32 v2, vcc_lo, v2
	v_and_b32_e32 v9, v1, v9
	v_and_b32_e32 v2, v0, v2
	v_lshlrev_b32_e32 v1, 25, v13
	v_mov_b32_e32 v0, v3
	v_cmp_gt_i64_e32 vcc, 0, v[0:1]
	v_not_b32_e32 v0, v1
	v_ashrrev_i32_e32 v0, 31, v0
	v_xor_b32_e32 v1, vcc_hi, v0
	v_xor_b32_e32 v0, vcc_lo, v0
	v_and_b32_e32 v9, v9, v1
	v_and_b32_e32 v2, v2, v0
	v_lshlrev_b32_e32 v1, 24, v13
	v_mov_b32_e32 v0, v3
	v_cmp_gt_i64_e32 vcc, 0, v[0:1]
	v_not_b32_e32 v0, v1
	v_ashrrev_i32_e32 v0, 31, v0
	v_xor_b32_e32 v1, vcc_hi, v0
	v_xor_b32_e32 v0, vcc_lo, v0
	v_and_b32_e32 v0, v2, v0
	v_and_b32_e32 v1, v9, v1
	v_mbcnt_lo_u32_b32 v2, v0, 0
	v_mbcnt_hi_u32_b32 v9, v1, v2
	v_mul_lo_u32 v14, v13, s8
	v_cmp_eq_u32_e32 vcc, 0, v9
	v_cmp_ne_u64_e64 s[0:1], 0, v[0:1]
	s_and_b64 s[2:3], s[0:1], vcc
	v_add_u32_e32 v16, v24, v14
	s_and_saveexec_b64 s[0:1], s[2:3]
; %bb.88:
	v_bcnt_u32_b32 v0, v0, 0
	v_bcnt_u32_b32 v0, v1, v0
	ds_write_b32 v16, v0 offset:64
; %bb.89:
	s_or_b64 exec, exec, s[0:1]
	s_waitcnt vmcnt(6)
	v_xor_b32_e32 v7, 0x7fffffff, v7
	v_lshrrev_b32_e32 v0, s24, v7
	v_and_b32_e32 v13, s13, v0
	v_mul_lo_u32 v0, v13, s8
	v_and_b32_e32 v2, 1, v13
	v_add_u32_e32 v17, v24, v0
	v_lshl_add_u64 v[0:1], v[2:3], 0, -1
	v_cmp_ne_u32_e32 vcc, 0, v2
	; wave barrier
	s_nop 1
	v_xor_b32_e32 v1, vcc_hi, v1
	v_xor_b32_e32 v0, vcc_lo, v0
	v_and_b32_e32 v2, exec_hi, v1
	v_and_b32_e32 v14, exec_lo, v0
	v_lshlrev_b32_e32 v1, 30, v13
	v_mov_b32_e32 v0, v3
	v_cmp_gt_i64_e32 vcc, 0, v[0:1]
	v_not_b32_e32 v0, v1
	v_ashrrev_i32_e32 v0, 31, v0
	v_xor_b32_e32 v1, vcc_hi, v0
	v_xor_b32_e32 v0, vcc_lo, v0
	v_and_b32_e32 v2, v2, v1
	v_and_b32_e32 v14, v14, v0
	v_lshlrev_b32_e32 v1, 29, v13
	v_mov_b32_e32 v0, v3
	v_cmp_gt_i64_e32 vcc, 0, v[0:1]
	v_not_b32_e32 v0, v1
	v_ashrrev_i32_e32 v0, 31, v0
	v_xor_b32_e32 v1, vcc_hi, v0
	v_xor_b32_e32 v0, vcc_lo, v0
	v_and_b32_e32 v2, v2, v1
	v_and_b32_e32 v14, v14, v0
	;; [unrolled: 9-line block ×6, first 2 shown]
	v_lshlrev_b32_e32 v1, 24, v13
	v_mov_b32_e32 v0, v3
	v_cmp_gt_i64_e32 vcc, 0, v[0:1]
	v_not_b32_e32 v0, v1
	v_ashrrev_i32_e32 v0, 31, v0
	v_xor_b32_e32 v1, vcc_hi, v0
	v_xor_b32_e32 v0, vcc_lo, v0
	ds_read_b32 v11, v17 offset:64
	v_and_b32_e32 v0, v14, v0
	v_and_b32_e32 v1, v2, v1
	v_mbcnt_lo_u32_b32 v2, v0, 0
	v_mbcnt_hi_u32_b32 v13, v1, v2
	v_cmp_eq_u32_e32 vcc, 0, v13
	v_cmp_ne_u64_e64 s[0:1], 0, v[0:1]
	s_and_b64 s[2:3], s[0:1], vcc
	; wave barrier
	s_and_saveexec_b64 s[0:1], s[2:3]
	s_cbranch_execz .LBB355_91
; %bb.90:
	v_bcnt_u32_b32 v0, v0, 0
	v_bcnt_u32_b32 v0, v1, v0
	s_waitcnt lgkmcnt(0)
	v_add_u32_e32 v0, v11, v0
	ds_write_b32 v17, v0 offset:64
.LBB355_91:
	s_or_b64 exec, exec, s[0:1]
	s_waitcnt vmcnt(5)
	v_xor_b32_e32 v8, 0x7fffffff, v8
	v_lshrrev_b32_e32 v0, s24, v8
	v_and_b32_e32 v18, s13, v0
	s_movk_i32 s2, 0x44
	v_mul_lo_u32 v0, v18, s2
	v_add_u32_e32 v21, v24, v0
	v_and_b32_e32 v0, 1, v18
	v_mov_b32_e32 v1, 0
	v_lshl_add_u64 v[2:3], v[0:1], 0, -1
	v_cmp_ne_u32_e32 vcc, 0, v0
	; wave barrier
	s_nop 1
	v_xor_b32_e32 v2, vcc_lo, v2
	v_xor_b32_e32 v0, vcc_hi, v3
	v_and_b32_e32 v19, exec_lo, v2
	v_lshlrev_b32_e32 v3, 30, v18
	v_mov_b32_e32 v2, v1
	v_cmp_gt_i64_e32 vcc, 0, v[2:3]
	v_not_b32_e32 v2, v3
	v_ashrrev_i32_e32 v2, 31, v2
	v_and_b32_e32 v0, exec_hi, v0
	v_xor_b32_e32 v3, vcc_hi, v2
	v_xor_b32_e32 v2, vcc_lo, v2
	v_and_b32_e32 v0, v0, v3
	v_and_b32_e32 v19, v19, v2
	v_lshlrev_b32_e32 v3, 29, v18
	v_mov_b32_e32 v2, v1
	v_cmp_gt_i64_e32 vcc, 0, v[2:3]
	v_not_b32_e32 v2, v3
	v_ashrrev_i32_e32 v2, 31, v2
	v_xor_b32_e32 v3, vcc_hi, v2
	v_xor_b32_e32 v2, vcc_lo, v2
	v_and_b32_e32 v0, v0, v3
	v_and_b32_e32 v19, v19, v2
	v_lshlrev_b32_e32 v3, 28, v18
	v_mov_b32_e32 v2, v1
	v_cmp_gt_i64_e32 vcc, 0, v[2:3]
	v_not_b32_e32 v2, v3
	v_ashrrev_i32_e32 v2, 31, v2
	;; [unrolled: 9-line block ×6, first 2 shown]
	v_xor_b32_e32 v3, vcc_hi, v2
	v_xor_b32_e32 v2, vcc_lo, v2
	ds_read_b32 v14, v21 offset:64
	v_and_b32_e32 v2, v19, v2
	v_and_b32_e32 v3, v0, v3
	v_mbcnt_lo_u32_b32 v0, v2, 0
	v_mbcnt_hi_u32_b32 v18, v3, v0
	v_cmp_eq_u32_e32 vcc, 0, v18
	v_cmp_ne_u64_e64 s[0:1], 0, v[2:3]
	s_and_b64 s[4:5], s[0:1], vcc
	; wave barrier
	s_and_saveexec_b64 s[0:1], s[4:5]
	s_cbranch_execz .LBB355_93
; %bb.92:
	v_bcnt_u32_b32 v0, v2, 0
	v_bcnt_u32_b32 v0, v3, v0
	s_waitcnt lgkmcnt(0)
	v_add_u32_e32 v0, v14, v0
	ds_write_b32 v21, v0 offset:64
.LBB355_93:
	s_or_b64 exec, exec, s[0:1]
	s_waitcnt vmcnt(4)
	v_xor_b32_e32 v12, 0x7fffffff, v12
	v_lshrrev_b32_e32 v0, s24, v12
	v_and_b32_e32 v23, s13, v0
	v_mul_lo_u32 v0, v23, s2
	v_add_u32_e32 v27, v24, v0
	v_and_b32_e32 v0, 1, v23
	v_lshl_add_u64 v[2:3], v[0:1], 0, -1
	v_cmp_ne_u32_e32 vcc, 0, v0
	; wave barrier
	s_nop 1
	v_xor_b32_e32 v2, vcc_lo, v2
	v_xor_b32_e32 v0, vcc_hi, v3
	v_and_b32_e32 v25, exec_lo, v2
	v_lshlrev_b32_e32 v3, 30, v23
	v_mov_b32_e32 v2, v1
	v_cmp_gt_i64_e32 vcc, 0, v[2:3]
	v_not_b32_e32 v2, v3
	v_ashrrev_i32_e32 v2, 31, v2
	v_and_b32_e32 v0, exec_hi, v0
	v_xor_b32_e32 v3, vcc_hi, v2
	v_xor_b32_e32 v2, vcc_lo, v2
	v_and_b32_e32 v0, v0, v3
	v_and_b32_e32 v25, v25, v2
	v_lshlrev_b32_e32 v3, 29, v23
	v_mov_b32_e32 v2, v1
	v_cmp_gt_i64_e32 vcc, 0, v[2:3]
	v_not_b32_e32 v2, v3
	v_ashrrev_i32_e32 v2, 31, v2
	v_xor_b32_e32 v3, vcc_hi, v2
	v_xor_b32_e32 v2, vcc_lo, v2
	v_and_b32_e32 v0, v0, v3
	v_and_b32_e32 v25, v25, v2
	v_lshlrev_b32_e32 v3, 28, v23
	v_mov_b32_e32 v2, v1
	v_cmp_gt_i64_e32 vcc, 0, v[2:3]
	v_not_b32_e32 v2, v3
	v_ashrrev_i32_e32 v2, 31, v2
	;; [unrolled: 9-line block ×5, first 2 shown]
	v_xor_b32_e32 v3, vcc_hi, v2
	v_xor_b32_e32 v2, vcc_lo, v2
	v_and_b32_e32 v0, v0, v3
	v_lshlrev_b32_e32 v3, 24, v23
	v_and_b32_e32 v25, v25, v2
	v_mov_b32_e32 v2, v1
	v_not_b32_e32 v1, v3
	v_cmp_gt_i64_e32 vcc, 0, v[2:3]
	v_ashrrev_i32_e32 v1, 31, v1
	ds_read_b32 v19, v27 offset:64
	v_xor_b32_e32 v2, vcc_hi, v1
	v_xor_b32_e32 v3, vcc_lo, v1
	v_and_b32_e32 v1, v0, v2
	v_and_b32_e32 v0, v25, v3
	v_mbcnt_lo_u32_b32 v2, v0, 0
	v_mbcnt_hi_u32_b32 v23, v1, v2
	v_cmp_eq_u32_e32 vcc, 0, v23
	v_cmp_ne_u64_e64 s[0:1], 0, v[0:1]
	s_and_b64 s[2:3], s[0:1], vcc
	; wave barrier
	s_and_saveexec_b64 s[0:1], s[2:3]
	s_cbranch_execz .LBB355_95
; %bb.94:
	v_bcnt_u32_b32 v0, v0, 0
	v_bcnt_u32_b32 v0, v1, v0
	s_waitcnt lgkmcnt(0)
	v_add_u32_e32 v0, v19, v0
	ds_write_b32 v27, v0 offset:64
.LBB355_95:
	s_or_b64 exec, exec, s[0:1]
	s_waitcnt vmcnt(3)
	v_xor_b32_e32 v15, 0x7fffffff, v15
	v_lshrrev_b32_e32 v0, s24, v15
	v_and_b32_e32 v28, s13, v0
	s_movk_i32 s2, 0x44
	v_mul_lo_u32 v0, v28, s2
	v_add_u32_e32 v30, v24, v0
	v_and_b32_e32 v0, 1, v28
	v_mov_b32_e32 v1, 0
	v_lshl_add_u64 v[2:3], v[0:1], 0, -1
	v_cmp_ne_u32_e32 vcc, 0, v0
	; wave barrier
	s_nop 1
	v_xor_b32_e32 v2, vcc_lo, v2
	v_xor_b32_e32 v0, vcc_hi, v3
	v_and_b32_e32 v29, exec_lo, v2
	v_lshlrev_b32_e32 v3, 30, v28
	v_mov_b32_e32 v2, v1
	v_cmp_gt_i64_e32 vcc, 0, v[2:3]
	v_not_b32_e32 v2, v3
	v_ashrrev_i32_e32 v2, 31, v2
	v_and_b32_e32 v0, exec_hi, v0
	v_xor_b32_e32 v3, vcc_hi, v2
	v_xor_b32_e32 v2, vcc_lo, v2
	v_and_b32_e32 v0, v0, v3
	v_and_b32_e32 v29, v29, v2
	v_lshlrev_b32_e32 v3, 29, v28
	v_mov_b32_e32 v2, v1
	v_cmp_gt_i64_e32 vcc, 0, v[2:3]
	v_not_b32_e32 v2, v3
	v_ashrrev_i32_e32 v2, 31, v2
	v_xor_b32_e32 v3, vcc_hi, v2
	v_xor_b32_e32 v2, vcc_lo, v2
	v_and_b32_e32 v0, v0, v3
	v_and_b32_e32 v29, v29, v2
	v_lshlrev_b32_e32 v3, 28, v28
	v_mov_b32_e32 v2, v1
	v_cmp_gt_i64_e32 vcc, 0, v[2:3]
	v_not_b32_e32 v2, v3
	v_ashrrev_i32_e32 v2, 31, v2
	;; [unrolled: 9-line block ×6, first 2 shown]
	v_xor_b32_e32 v3, vcc_hi, v2
	v_xor_b32_e32 v2, vcc_lo, v2
	ds_read_b32 v25, v30 offset:64
	v_and_b32_e32 v2, v29, v2
	v_and_b32_e32 v3, v0, v3
	v_mbcnt_lo_u32_b32 v0, v2, 0
	v_mbcnt_hi_u32_b32 v28, v3, v0
	v_cmp_eq_u32_e32 vcc, 0, v28
	v_cmp_ne_u64_e64 s[0:1], 0, v[2:3]
	s_and_b64 s[4:5], s[0:1], vcc
	; wave barrier
	s_and_saveexec_b64 s[0:1], s[4:5]
	s_cbranch_execz .LBB355_97
; %bb.96:
	v_bcnt_u32_b32 v0, v2, 0
	v_bcnt_u32_b32 v0, v3, v0
	s_waitcnt lgkmcnt(0)
	v_add_u32_e32 v0, v25, v0
	ds_write_b32 v30, v0 offset:64
.LBB355_97:
	s_or_b64 exec, exec, s[0:1]
	s_waitcnt vmcnt(2)
	v_xor_b32_e32 v20, 0x7fffffff, v20
	v_lshrrev_b32_e32 v0, s24, v20
	v_and_b32_e32 v31, s13, v0
	v_mul_lo_u32 v0, v31, s2
	v_add_u32_e32 v33, v24, v0
	v_and_b32_e32 v0, 1, v31
	v_lshl_add_u64 v[2:3], v[0:1], 0, -1
	v_cmp_ne_u32_e32 vcc, 0, v0
	; wave barrier
	s_nop 1
	v_xor_b32_e32 v2, vcc_lo, v2
	v_xor_b32_e32 v0, vcc_hi, v3
	v_and_b32_e32 v32, exec_lo, v2
	v_lshlrev_b32_e32 v3, 30, v31
	v_mov_b32_e32 v2, v1
	v_cmp_gt_i64_e32 vcc, 0, v[2:3]
	v_not_b32_e32 v2, v3
	v_ashrrev_i32_e32 v2, 31, v2
	v_and_b32_e32 v0, exec_hi, v0
	v_xor_b32_e32 v3, vcc_hi, v2
	v_xor_b32_e32 v2, vcc_lo, v2
	v_and_b32_e32 v0, v0, v3
	v_and_b32_e32 v32, v32, v2
	v_lshlrev_b32_e32 v3, 29, v31
	v_mov_b32_e32 v2, v1
	v_cmp_gt_i64_e32 vcc, 0, v[2:3]
	v_not_b32_e32 v2, v3
	v_ashrrev_i32_e32 v2, 31, v2
	v_xor_b32_e32 v3, vcc_hi, v2
	v_xor_b32_e32 v2, vcc_lo, v2
	v_and_b32_e32 v0, v0, v3
	v_and_b32_e32 v32, v32, v2
	v_lshlrev_b32_e32 v3, 28, v31
	v_mov_b32_e32 v2, v1
	v_cmp_gt_i64_e32 vcc, 0, v[2:3]
	v_not_b32_e32 v2, v3
	v_ashrrev_i32_e32 v2, 31, v2
	;; [unrolled: 9-line block ×5, first 2 shown]
	v_xor_b32_e32 v3, vcc_hi, v2
	v_xor_b32_e32 v2, vcc_lo, v2
	v_and_b32_e32 v0, v0, v3
	v_lshlrev_b32_e32 v3, 24, v31
	v_and_b32_e32 v32, v32, v2
	v_mov_b32_e32 v2, v1
	v_not_b32_e32 v1, v3
	v_cmp_gt_i64_e32 vcc, 0, v[2:3]
	v_ashrrev_i32_e32 v1, 31, v1
	ds_read_b32 v29, v33 offset:64
	v_xor_b32_e32 v2, vcc_hi, v1
	v_xor_b32_e32 v3, vcc_lo, v1
	v_and_b32_e32 v1, v0, v2
	v_and_b32_e32 v0, v32, v3
	v_mbcnt_lo_u32_b32 v2, v0, 0
	v_mbcnt_hi_u32_b32 v31, v1, v2
	v_cmp_eq_u32_e32 vcc, 0, v31
	v_cmp_ne_u64_e64 s[0:1], 0, v[0:1]
	s_and_b64 s[2:3], s[0:1], vcc
	; wave barrier
	s_and_saveexec_b64 s[0:1], s[2:3]
	s_cbranch_execz .LBB355_99
; %bb.98:
	v_bcnt_u32_b32 v0, v0, 0
	v_bcnt_u32_b32 v0, v1, v0
	s_waitcnt lgkmcnt(0)
	v_add_u32_e32 v0, v29, v0
	ds_write_b32 v33, v0 offset:64
.LBB355_99:
	s_or_b64 exec, exec, s[0:1]
	s_waitcnt vmcnt(1)
	v_xor_b32_e32 v26, 0x7fffffff, v26
	v_lshrrev_b32_e32 v0, s24, v26
	v_and_b32_e32 v34, s13, v0
	s_movk_i32 s2, 0x44
	v_mul_lo_u32 v0, v34, s2
	v_add_u32_e32 v36, v24, v0
	v_and_b32_e32 v0, 1, v34
	v_mov_b32_e32 v1, 0
	v_lshl_add_u64 v[2:3], v[0:1], 0, -1
	v_cmp_ne_u32_e32 vcc, 0, v0
	; wave barrier
	s_nop 1
	v_xor_b32_e32 v2, vcc_lo, v2
	v_xor_b32_e32 v0, vcc_hi, v3
	v_and_b32_e32 v35, exec_lo, v2
	v_lshlrev_b32_e32 v3, 30, v34
	v_mov_b32_e32 v2, v1
	v_cmp_gt_i64_e32 vcc, 0, v[2:3]
	v_not_b32_e32 v2, v3
	v_ashrrev_i32_e32 v2, 31, v2
	v_and_b32_e32 v0, exec_hi, v0
	v_xor_b32_e32 v3, vcc_hi, v2
	v_xor_b32_e32 v2, vcc_lo, v2
	v_and_b32_e32 v0, v0, v3
	v_and_b32_e32 v35, v35, v2
	v_lshlrev_b32_e32 v3, 29, v34
	v_mov_b32_e32 v2, v1
	v_cmp_gt_i64_e32 vcc, 0, v[2:3]
	v_not_b32_e32 v2, v3
	v_ashrrev_i32_e32 v2, 31, v2
	v_xor_b32_e32 v3, vcc_hi, v2
	v_xor_b32_e32 v2, vcc_lo, v2
	v_and_b32_e32 v0, v0, v3
	v_and_b32_e32 v35, v35, v2
	v_lshlrev_b32_e32 v3, 28, v34
	v_mov_b32_e32 v2, v1
	v_cmp_gt_i64_e32 vcc, 0, v[2:3]
	v_not_b32_e32 v2, v3
	v_ashrrev_i32_e32 v2, 31, v2
	;; [unrolled: 9-line block ×6, first 2 shown]
	v_xor_b32_e32 v3, vcc_hi, v2
	v_xor_b32_e32 v2, vcc_lo, v2
	ds_read_b32 v32, v36 offset:64
	v_and_b32_e32 v2, v35, v2
	v_and_b32_e32 v3, v0, v3
	v_mbcnt_lo_u32_b32 v0, v2, 0
	v_mbcnt_hi_u32_b32 v34, v3, v0
	v_cmp_eq_u32_e32 vcc, 0, v34
	v_cmp_ne_u64_e64 s[0:1], 0, v[2:3]
	s_and_b64 s[4:5], s[0:1], vcc
	; wave barrier
	s_and_saveexec_b64 s[0:1], s[4:5]
	s_cbranch_execz .LBB355_101
; %bb.100:
	v_bcnt_u32_b32 v0, v2, 0
	v_bcnt_u32_b32 v0, v3, v0
	s_waitcnt lgkmcnt(0)
	v_add_u32_e32 v0, v32, v0
	ds_write_b32 v36, v0 offset:64
.LBB355_101:
	s_or_b64 exec, exec, s[0:1]
	s_waitcnt vmcnt(0)
	v_xor_b32_e32 v22, 0x7fffffff, v22
	v_lshrrev_b32_e32 v0, s24, v22
	v_and_b32_e32 v37, s13, v0
	v_mul_lo_u32 v0, v37, s2
	v_add_u32_e32 v38, v24, v0
	v_and_b32_e32 v0, 1, v37
	v_lshl_add_u64 v[2:3], v[0:1], 0, -1
	v_cmp_ne_u32_e32 vcc, 0, v0
	; wave barrier
	s_nop 1
	v_xor_b32_e32 v2, vcc_lo, v2
	v_xor_b32_e32 v0, vcc_hi, v3
	v_and_b32_e32 v24, exec_lo, v2
	v_lshlrev_b32_e32 v3, 30, v37
	v_mov_b32_e32 v2, v1
	v_cmp_gt_i64_e32 vcc, 0, v[2:3]
	v_not_b32_e32 v2, v3
	v_ashrrev_i32_e32 v2, 31, v2
	v_and_b32_e32 v0, exec_hi, v0
	v_xor_b32_e32 v3, vcc_hi, v2
	v_xor_b32_e32 v2, vcc_lo, v2
	v_and_b32_e32 v0, v0, v3
	v_and_b32_e32 v24, v24, v2
	v_lshlrev_b32_e32 v3, 29, v37
	v_mov_b32_e32 v2, v1
	v_cmp_gt_i64_e32 vcc, 0, v[2:3]
	v_not_b32_e32 v2, v3
	v_ashrrev_i32_e32 v2, 31, v2
	v_xor_b32_e32 v3, vcc_hi, v2
	v_xor_b32_e32 v2, vcc_lo, v2
	v_and_b32_e32 v0, v0, v3
	v_and_b32_e32 v24, v24, v2
	v_lshlrev_b32_e32 v3, 28, v37
	v_mov_b32_e32 v2, v1
	v_cmp_gt_i64_e32 vcc, 0, v[2:3]
	v_not_b32_e32 v2, v3
	v_ashrrev_i32_e32 v2, 31, v2
	;; [unrolled: 9-line block ×5, first 2 shown]
	v_xor_b32_e32 v3, vcc_hi, v2
	v_xor_b32_e32 v2, vcc_lo, v2
	v_and_b32_e32 v0, v0, v3
	v_lshlrev_b32_e32 v3, 24, v37
	v_and_b32_e32 v24, v24, v2
	v_mov_b32_e32 v2, v1
	v_not_b32_e32 v1, v3
	v_cmp_gt_i64_e32 vcc, 0, v[2:3]
	v_ashrrev_i32_e32 v1, 31, v1
	ds_read_b32 v35, v38 offset:64
	v_xor_b32_e32 v2, vcc_hi, v1
	v_xor_b32_e32 v3, vcc_lo, v1
	v_and_b32_e32 v1, v0, v2
	v_and_b32_e32 v0, v24, v3
	v_mbcnt_lo_u32_b32 v2, v0, 0
	v_mbcnt_hi_u32_b32 v37, v1, v2
	v_cmp_eq_u32_e32 vcc, 0, v37
	v_cmp_ne_u64_e64 s[0:1], 0, v[0:1]
	s_and_b64 s[2:3], s[0:1], vcc
	; wave barrier
	s_and_saveexec_b64 s[0:1], s[2:3]
	s_cbranch_execz .LBB355_103
; %bb.102:
	v_bcnt_u32_b32 v0, v0, 0
	v_bcnt_u32_b32 v0, v1, v0
	s_waitcnt lgkmcnt(0)
	v_add_u32_e32 v0, v35, v0
	ds_write_b32 v38, v0 offset:64
.LBB355_103:
	s_or_b64 exec, exec, s[0:1]
	; wave barrier
	s_waitcnt lgkmcnt(0)
	s_barrier
	ds_read2_b32 v[2:3], v5 offset0:16 offset1:17
	ds_read2_b32 v[0:1], v5 offset0:18 offset1:19
	ds_read_b32 v24, v5 offset:80
	v_cmp_lt_u32_e64 s[2:3], 31, v4
	s_waitcnt lgkmcnt(1)
	v_add3_u32 v39, v3, v2, v0
	s_waitcnt lgkmcnt(0)
	v_add3_u32 v24, v39, v1, v24
	v_and_b32_e32 v39, 15, v4
	v_cmp_eq_u32_e32 vcc, 0, v39
	v_mov_b32_dpp v40, v24 row_shr:1 row_mask:0xf bank_mask:0xf
	v_cmp_lt_u32_e64 s[0:1], 1, v39
	v_cndmask_b32_e64 v40, v40, 0, vcc
	v_add_u32_e32 v24, v40, v24
	v_cmp_lt_u32_e64 s[4:5], 3, v39
	v_cmp_lt_u32_e64 s[6:7], 7, v39
	v_mov_b32_dpp v40, v24 row_shr:2 row_mask:0xf bank_mask:0xf
	v_cndmask_b32_e64 v40, 0, v40, s[0:1]
	v_add_u32_e32 v24, v24, v40
	s_nop 1
	v_mov_b32_dpp v40, v24 row_shr:4 row_mask:0xf bank_mask:0xf
	v_cndmask_b32_e64 v40, 0, v40, s[4:5]
	v_add_u32_e32 v24, v24, v40
	s_nop 1
	v_mov_b32_dpp v40, v24 row_shr:8 row_mask:0xf bank_mask:0xf
	v_cndmask_b32_e64 v39, 0, v40, s[6:7]
	v_add_u32_e32 v24, v24, v39
	v_bfe_i32 v40, v4, 4, 1
	s_nop 0
	v_mov_b32_dpp v39, v24 row_bcast:15 row_mask:0xf bank_mask:0xf
	v_and_b32_e32 v39, v40, v39
	v_add_u32_e32 v24, v24, v39
	v_lshrrev_b32_e32 v40, 6, v10
	s_nop 0
	v_mov_b32_dpp v39, v24 row_bcast:31 row_mask:0xf bank_mask:0xf
	v_cndmask_b32_e64 v39, 0, v39, s[2:3]
	v_add_u32_e32 v39, v24, v39
	v_and_b32_e32 v24, 63, v10
	v_cmp_eq_u32_e64 s[2:3], 63, v24
	s_and_saveexec_b64 s[8:9], s[2:3]
; %bb.104:
	v_lshlrev_b32_e32 v24, 2, v40
	ds_write_b32 v24, v39
; %bb.105:
	s_or_b64 exec, exec, s[8:9]
	v_cmp_gt_u32_e64 s[2:3], 16, v10
	v_lshlrev_b32_e32 v24, 2, v10
	s_waitcnt lgkmcnt(0)
	s_barrier
	s_and_saveexec_b64 s[8:9], s[2:3]
	s_cbranch_execz .LBB355_107
; %bb.106:
	ds_read_b32 v41, v24
	s_waitcnt lgkmcnt(0)
	s_nop 0
	v_mov_b32_dpp v42, v41 row_shr:1 row_mask:0xf bank_mask:0xf
	v_cndmask_b32_e64 v42, v42, 0, vcc
	v_add_u32_e32 v41, v42, v41
	s_nop 1
	v_mov_b32_dpp v42, v41 row_shr:2 row_mask:0xf bank_mask:0xf
	v_cndmask_b32_e64 v42, 0, v42, s[0:1]
	v_add_u32_e32 v41, v41, v42
	s_nop 1
	v_mov_b32_dpp v42, v41 row_shr:4 row_mask:0xf bank_mask:0xf
	v_cndmask_b32_e64 v42, 0, v42, s[4:5]
	;; [unrolled: 4-line block ×3, first 2 shown]
	v_add_u32_e32 v41, v41, v42
	ds_write_b32 v24, v41
.LBB355_107:
	s_or_b64 exec, exec, s[8:9]
	v_cmp_lt_u32_e32 vcc, 63, v10
	v_mov_b32_e32 v41, 0
	s_waitcnt lgkmcnt(0)
	s_barrier
	s_and_saveexec_b64 s[0:1], vcc
; %bb.108:
	v_lshl_add_u32 v40, v40, 2, -4
	ds_read_b32 v41, v40
; %bb.109:
	s_or_b64 exec, exec, s[0:1]
	v_subrev_co_u32_e32 v40, vcc, 1, v4
	v_and_b32_e32 v42, 64, v4
	v_cmp_lt_i32_e64 s[0:1], v40, v42
	s_waitcnt lgkmcnt(0)
	v_add_u32_e32 v39, v41, v39
	s_movk_i32 s2, 0x100
	v_cndmask_b32_e64 v4, v40, v4, s[0:1]
	v_lshlrev_b32_e32 v4, 2, v4
	ds_bpermute_b32 v4, v4, v39
	s_movk_i32 s0, 0xff
	v_cmp_lt_u32_e64 s[0:1], s0, v10
	s_waitcnt lgkmcnt(0)
	v_cndmask_b32_e32 v4, v4, v41, vcc
	v_cndmask_b32_e64 v4, v4, 0, s[10:11]
	v_add_u32_e32 v2, v4, v2
	v_add_u32_e32 v3, v2, v3
	;; [unrolled: 1-line block ×4, first 2 shown]
	ds_write2_b32 v5, v4, v2 offset0:16 offset1:17
	ds_write2_b32 v5, v3, v0 offset0:18 offset1:19
	ds_write_b32 v5, v1 offset:80
	s_waitcnt lgkmcnt(0)
	s_barrier
	ds_read_b32 v42, v16 offset:64
	ds_read_b32 v39, v17 offset:64
	;; [unrolled: 1-line block ×8, first 2 shown]
	v_cmp_gt_u32_e32 vcc, s2, v10
                                        ; implicit-def: $vgpr16
                                        ; implicit-def: $vgpr17
	s_and_saveexec_b64 s[4:5], vcc
	s_cbranch_execz .LBB355_113
; %bb.110:
	v_mul_u32_u24_e32 v0, 0x44, v10
	ds_read_b32 v16, v0 offset:64
	v_add_u32_e32 v1, 1, v10
	v_cmp_ne_u32_e64 s[2:3], s2, v1
	v_mov_b32_e32 v0, 0x2000
	s_and_saveexec_b64 s[6:7], s[2:3]
; %bb.111:
	v_mul_u32_u24_e32 v0, 0x44, v1
	ds_read_b32 v0, v0 offset:64
; %bb.112:
	s_or_b64 exec, exec, s[6:7]
	s_waitcnt lgkmcnt(0)
	v_sub_u32_e32 v17, v0, v16
.LBB355_113:
	s_or_b64 exec, exec, s[4:5]
	v_mov_b32_e32 v1, 0
	s_waitcnt lgkmcnt(0)
	s_barrier
	s_and_saveexec_b64 s[2:3], vcc
	s_cbranch_execz .LBB355_123
; %bb.114:
	v_lshl_add_u32 v0, s27, 8, v10
	v_lshl_add_u64 v[2:3], v[0:1], 2, s[18:19]
	v_or_b32_e32 v0, 2.0, v17
	s_mov_b64 s[4:5], 0
	s_brev_b32 s10, -4
	s_mov_b32 s11, s27
	v_mov_b32_e32 v36, 0
	global_store_dword v[2:3], v0, off sc1
                                        ; implicit-def: $sgpr6_sgpr7
	s_branch .LBB355_117
.LBB355_115:                            ;   in Loop: Header=BB355_117 Depth=1
	s_or_b64 exec, exec, s[8:9]
.LBB355_116:                            ;   in Loop: Header=BB355_117 Depth=1
	s_or_b64 exec, exec, s[6:7]
	v_and_b32_e32 v4, 0x3fffffff, v0
	v_add_u32_e32 v36, v4, v36
	v_cmp_gt_i32_e64 s[6:7], -2.0, v0
	s_and_b64 s[8:9], exec, s[6:7]
	s_or_b64 s[4:5], s[8:9], s[4:5]
	s_andn2_b64 exec, exec, s[4:5]
	s_cbranch_execz .LBB355_122
.LBB355_117:                            ; =>This Loop Header: Depth=1
                                        ;     Child Loop BB355_120 Depth 2
	s_or_b64 s[6:7], s[6:7], exec
	s_cmp_eq_u32 s11, 0
	s_cbranch_scc1 .LBB355_121
; %bb.118:                              ;   in Loop: Header=BB355_117 Depth=1
	s_add_i32 s11, s11, -1
	v_lshl_or_b32 v0, s11, 8, v10
	v_lshl_add_u64 v[4:5], v[0:1], 2, s[18:19]
	global_load_dword v0, v[4:5], off sc1
	s_waitcnt vmcnt(0)
	v_cmp_gt_u32_e32 vcc, 2.0, v0
	s_and_saveexec_b64 s[6:7], vcc
	s_cbranch_execz .LBB355_116
; %bb.119:                              ;   in Loop: Header=BB355_117 Depth=1
	s_mov_b64 s[8:9], 0
.LBB355_120:                            ;   Parent Loop BB355_117 Depth=1
                                        ; =>  This Inner Loop Header: Depth=2
	global_load_dword v0, v[4:5], off sc1
	s_waitcnt vmcnt(0)
	v_cmp_lt_u32_e32 vcc, s10, v0
	s_or_b64 s[8:9], vcc, s[8:9]
	s_andn2_b64 exec, exec, s[8:9]
	s_cbranch_execnz .LBB355_120
	s_branch .LBB355_115
.LBB355_121:                            ;   in Loop: Header=BB355_117 Depth=1
                                        ; implicit-def: $sgpr11
	s_and_b64 s[8:9], exec, s[6:7]
	s_or_b64 s[4:5], s[8:9], s[4:5]
	s_andn2_b64 exec, exec, s[4:5]
	s_cbranch_execnz .LBB355_117
.LBB355_122:
	s_or_b64 exec, exec, s[4:5]
	v_add_u32_e32 v0, v36, v17
	v_or_b32_e32 v0, 0x80000000, v0
	global_store_dword v[2:3], v0, off sc1
	global_load_dword v0, v24, s[20:21]
	v_sub_u32_e32 v1, v36, v16
	s_waitcnt vmcnt(0)
	v_add_u32_e32 v0, v1, v0
	ds_write_b32 v24, v0
.LBB355_123:
	s_or_b64 exec, exec, s[2:3]
	v_add_u32_e32 v0, v37, v35
	v_add_u32_e32 v1, v34, v32
	;; [unrolled: 1-line block ×8, first 2 shown]
	v_add_lshl_u32 v3, v0, v33, 2
	v_add3_u32 v4, v37, v33, v35
	v_add_lshl_u32 v5, v1, v21, 2
	v_add3_u32 v9, v34, v21, v32
	;; [unrolled: 2-line block ×7, first 2 shown]
	v_lshlrev_b32_e32 v13, 2, v2
	s_mov_b64 s[2:3], -1
	s_mov_b32 s6, 0
	s_movk_i32 s7, 0x1000
	v_mov_b32_e32 v1, 0
	s_movk_i32 s8, 0x400
	s_movk_i32 s9, 0x800
	;; [unrolled: 1-line block ×3, first 2 shown]
	s_mov_b32 s11, 0
	s_branch .LBB355_125
.LBB355_124:                            ;   in Loop: Header=BB355_125 Depth=1
	s_or_b64 exec, exec, s[4:5]
	s_waitcnt lgkmcnt(0)
	s_barrier
	ds_read2st64_b32 v[30:31], v24 offset0:4 offset1:20
	s_xor_b64 s[4:5], s[2:3], -1
	s_addk_i32 s11, 0xc000
	s_addk_i32 s6, 0xf000
	s_mov_b64 s[2:3], 0
	s_waitcnt lgkmcnt(0)
	v_lshrrev_b32_e32 v0, s24, v30
	v_and_b32_e32 v0, s13, v0
	v_lshlrev_b32_e32 v0, 2, v0
	ds_read2st64_b32 v[32:33], v24 offset0:36 offset1:52
	ds_read_b32 v0, v0
	v_lshrrev_b32_e32 v34, s24, v31
	v_and_b32_e32 v34, s13, v34
	v_lshlrev_b32_e32 v34, 2, v34
	s_waitcnt lgkmcnt(1)
	v_lshrrev_b32_e32 v36, s24, v33
	v_lshrrev_b32_e32 v35, s24, v32
	v_and_b32_e32 v36, s13, v36
	v_and_b32_e32 v35, s13, v35
	v_lshlrev_b32_e32 v36, 2, v36
	v_lshlrev_b32_e32 v35, 2, v35
	ds_read_b32 v37, v34
	ds_read_b32 v38, v35
	;; [unrolled: 1-line block ×3, first 2 shown]
	s_waitcnt lgkmcnt(3)
	v_add_u32_e32 v0, v10, v0
	v_xor_b32_e32 v30, 0x7fffffff, v30
	v_lshl_add_u64 v[34:35], v[0:1], 2, s[30:31]
	s_waitcnt lgkmcnt(2)
	v_add3_u32 v0, v10, v37, s8
	global_store_dword v[34:35], v30, off
	v_xor_b32_e32 v34, 0x7fffffff, v31
	v_lshl_add_u64 v[30:31], v[0:1], 2, s[30:31]
	s_waitcnt lgkmcnt(1)
	v_add3_u32 v0, v10, v38, s9
	global_store_dword v[30:31], v34, off
	v_xor_b32_e32 v32, 0x7fffffff, v32
	v_lshl_add_u64 v[30:31], v[0:1], 2, s[30:31]
	s_waitcnt lgkmcnt(0)
	v_add3_u32 v0, v10, v36, s10
	global_store_dword v[30:31], v32, off
	v_xor_b32_e32 v32, 0x7fffffff, v33
	v_lshl_add_u64 v[30:31], v[0:1], 2, s[30:31]
	v_add_u32_e32 v10, 0x1000, v10
	s_and_b64 vcc, exec, s[4:5]
	global_store_dword v[30:31], v32, off
	s_barrier
	s_cbranch_vccnz .LBB355_141
.LBB355_125:                            ; =>This Inner Loop Header: Depth=1
	v_add_u32_e32 v0, s6, v2
	v_cmp_gt_u32_e32 vcc, s7, v0
	s_and_saveexec_b64 s[4:5], vcc
; %bb.126:                              ;   in Loop: Header=BB355_125 Depth=1
	v_add_u32_e32 v0, s11, v13
	ds_write_b32 v0, v6 offset:1024
; %bb.127:                              ;   in Loop: Header=BB355_125 Depth=1
	s_or_b64 exec, exec, s[4:5]
	v_add_u32_e32 v0, s6, v11
	v_cmp_gt_u32_e32 vcc, s7, v0
	s_and_saveexec_b64 s[4:5], vcc
; %bb.128:                              ;   in Loop: Header=BB355_125 Depth=1
	v_add_u32_e32 v0, s11, v18
	ds_write_b32 v0, v7 offset:1024
; %bb.129:                              ;   in Loop: Header=BB355_125 Depth=1
	s_or_b64 exec, exec, s[4:5]
	;; [unrolled: 8-line block ×7, first 2 shown]
	v_add_u32_e32 v0, s6, v4
	v_cmp_gt_u32_e32 vcc, s7, v0
	s_and_saveexec_b64 s[4:5], vcc
	s_cbranch_execz .LBB355_124
; %bb.140:                              ;   in Loop: Header=BB355_125 Depth=1
	v_add_u32_e32 v0, s11, v3
	ds_write_b32 v0, v22 offset:1024
	s_branch .LBB355_124
.LBB355_141:
	s_add_i32 s12, s12, -1
	s_cmp_eq_u32 s27, s12
	s_cselect_b64 s[2:3], -1, 0
	s_xor_b64 s[0:1], s[0:1], -1
	s_and_b64 s[0:1], s[0:1], s[2:3]
	s_and_saveexec_b64 s[2:3], s[0:1]
	s_cbranch_execz .LBB355_143
; %bb.142:
	ds_read_b32 v0, v24
	s_waitcnt lgkmcnt(0)
	v_add3_u32 v0, v16, v17, v0
	global_store_dword v24, v0, s[22:23]
.LBB355_143:
	s_endpgm
	.section	.rodata,"a",@progbits
	.p2align	6, 0x0
	.amdhsa_kernel _ZN7rocprim17ROCPRIM_400000_NS6detail17trampoline_kernelINS0_14default_configENS1_35radix_sort_onesweep_config_selectorIiNS0_10empty_typeEEEZZNS1_29radix_sort_onesweep_iterationIS3_Lb1EN6thrust23THRUST_200600_302600_NS6detail15normal_iteratorINS9_10device_ptrIiEEEESE_PS5_SF_jNS0_19identity_decomposerENS1_16block_id_wrapperIjLb1EEEEE10hipError_tT1_PNSt15iterator_traitsISK_E10value_typeET2_T3_PNSL_ISQ_E10value_typeET4_T5_PSV_SW_PNS1_23onesweep_lookback_stateEbbT6_jjT7_P12ihipStream_tbENKUlT_T0_SK_SP_E_clIPiSE_SF_SF_EEDaS13_S14_SK_SP_EUlS13_E_NS1_11comp_targetILNS1_3genE6ELNS1_11target_archE950ELNS1_3gpuE13ELNS1_3repE0EEENS1_47radix_sort_onesweep_sort_config_static_selectorELNS0_4arch9wavefront6targetE1EEEvSK_
		.amdhsa_group_segment_fixed_size 20552
		.amdhsa_private_segment_fixed_size 0
		.amdhsa_kernarg_size 344
		.amdhsa_user_sgpr_count 2
		.amdhsa_user_sgpr_dispatch_ptr 0
		.amdhsa_user_sgpr_queue_ptr 0
		.amdhsa_user_sgpr_kernarg_segment_ptr 1
		.amdhsa_user_sgpr_dispatch_id 0
		.amdhsa_user_sgpr_kernarg_preload_length 0
		.amdhsa_user_sgpr_kernarg_preload_offset 0
		.amdhsa_user_sgpr_private_segment_size 0
		.amdhsa_uses_dynamic_stack 0
		.amdhsa_enable_private_segment 0
		.amdhsa_system_sgpr_workgroup_id_x 1
		.amdhsa_system_sgpr_workgroup_id_y 0
		.amdhsa_system_sgpr_workgroup_id_z 0
		.amdhsa_system_sgpr_workgroup_info 0
		.amdhsa_system_vgpr_workitem_id 2
		.amdhsa_next_free_vgpr 46
		.amdhsa_next_free_sgpr 35
		.amdhsa_accum_offset 48
		.amdhsa_reserve_vcc 1
		.amdhsa_float_round_mode_32 0
		.amdhsa_float_round_mode_16_64 0
		.amdhsa_float_denorm_mode_32 3
		.amdhsa_float_denorm_mode_16_64 3
		.amdhsa_dx10_clamp 1
		.amdhsa_ieee_mode 1
		.amdhsa_fp16_overflow 0
		.amdhsa_tg_split 0
		.amdhsa_exception_fp_ieee_invalid_op 0
		.amdhsa_exception_fp_denorm_src 0
		.amdhsa_exception_fp_ieee_div_zero 0
		.amdhsa_exception_fp_ieee_overflow 0
		.amdhsa_exception_fp_ieee_underflow 0
		.amdhsa_exception_fp_ieee_inexact 0
		.amdhsa_exception_int_div_zero 0
	.end_amdhsa_kernel
	.section	.text._ZN7rocprim17ROCPRIM_400000_NS6detail17trampoline_kernelINS0_14default_configENS1_35radix_sort_onesweep_config_selectorIiNS0_10empty_typeEEEZZNS1_29radix_sort_onesweep_iterationIS3_Lb1EN6thrust23THRUST_200600_302600_NS6detail15normal_iteratorINS9_10device_ptrIiEEEESE_PS5_SF_jNS0_19identity_decomposerENS1_16block_id_wrapperIjLb1EEEEE10hipError_tT1_PNSt15iterator_traitsISK_E10value_typeET2_T3_PNSL_ISQ_E10value_typeET4_T5_PSV_SW_PNS1_23onesweep_lookback_stateEbbT6_jjT7_P12ihipStream_tbENKUlT_T0_SK_SP_E_clIPiSE_SF_SF_EEDaS13_S14_SK_SP_EUlS13_E_NS1_11comp_targetILNS1_3genE6ELNS1_11target_archE950ELNS1_3gpuE13ELNS1_3repE0EEENS1_47radix_sort_onesweep_sort_config_static_selectorELNS0_4arch9wavefront6targetE1EEEvSK_,"axG",@progbits,_ZN7rocprim17ROCPRIM_400000_NS6detail17trampoline_kernelINS0_14default_configENS1_35radix_sort_onesweep_config_selectorIiNS0_10empty_typeEEEZZNS1_29radix_sort_onesweep_iterationIS3_Lb1EN6thrust23THRUST_200600_302600_NS6detail15normal_iteratorINS9_10device_ptrIiEEEESE_PS5_SF_jNS0_19identity_decomposerENS1_16block_id_wrapperIjLb1EEEEE10hipError_tT1_PNSt15iterator_traitsISK_E10value_typeET2_T3_PNSL_ISQ_E10value_typeET4_T5_PSV_SW_PNS1_23onesweep_lookback_stateEbbT6_jjT7_P12ihipStream_tbENKUlT_T0_SK_SP_E_clIPiSE_SF_SF_EEDaS13_S14_SK_SP_EUlS13_E_NS1_11comp_targetILNS1_3genE6ELNS1_11target_archE950ELNS1_3gpuE13ELNS1_3repE0EEENS1_47radix_sort_onesweep_sort_config_static_selectorELNS0_4arch9wavefront6targetE1EEEvSK_,comdat
.Lfunc_end355:
	.size	_ZN7rocprim17ROCPRIM_400000_NS6detail17trampoline_kernelINS0_14default_configENS1_35radix_sort_onesweep_config_selectorIiNS0_10empty_typeEEEZZNS1_29radix_sort_onesweep_iterationIS3_Lb1EN6thrust23THRUST_200600_302600_NS6detail15normal_iteratorINS9_10device_ptrIiEEEESE_PS5_SF_jNS0_19identity_decomposerENS1_16block_id_wrapperIjLb1EEEEE10hipError_tT1_PNSt15iterator_traitsISK_E10value_typeET2_T3_PNSL_ISQ_E10value_typeET4_T5_PSV_SW_PNS1_23onesweep_lookback_stateEbbT6_jjT7_P12ihipStream_tbENKUlT_T0_SK_SP_E_clIPiSE_SF_SF_EEDaS13_S14_SK_SP_EUlS13_E_NS1_11comp_targetILNS1_3genE6ELNS1_11target_archE950ELNS1_3gpuE13ELNS1_3repE0EEENS1_47radix_sort_onesweep_sort_config_static_selectorELNS0_4arch9wavefront6targetE1EEEvSK_, .Lfunc_end355-_ZN7rocprim17ROCPRIM_400000_NS6detail17trampoline_kernelINS0_14default_configENS1_35radix_sort_onesweep_config_selectorIiNS0_10empty_typeEEEZZNS1_29radix_sort_onesweep_iterationIS3_Lb1EN6thrust23THRUST_200600_302600_NS6detail15normal_iteratorINS9_10device_ptrIiEEEESE_PS5_SF_jNS0_19identity_decomposerENS1_16block_id_wrapperIjLb1EEEEE10hipError_tT1_PNSt15iterator_traitsISK_E10value_typeET2_T3_PNSL_ISQ_E10value_typeET4_T5_PSV_SW_PNS1_23onesweep_lookback_stateEbbT6_jjT7_P12ihipStream_tbENKUlT_T0_SK_SP_E_clIPiSE_SF_SF_EEDaS13_S14_SK_SP_EUlS13_E_NS1_11comp_targetILNS1_3genE6ELNS1_11target_archE950ELNS1_3gpuE13ELNS1_3repE0EEENS1_47radix_sort_onesweep_sort_config_static_selectorELNS0_4arch9wavefront6targetE1EEEvSK_
                                        ; -- End function
	.set _ZN7rocprim17ROCPRIM_400000_NS6detail17trampoline_kernelINS0_14default_configENS1_35radix_sort_onesweep_config_selectorIiNS0_10empty_typeEEEZZNS1_29radix_sort_onesweep_iterationIS3_Lb1EN6thrust23THRUST_200600_302600_NS6detail15normal_iteratorINS9_10device_ptrIiEEEESE_PS5_SF_jNS0_19identity_decomposerENS1_16block_id_wrapperIjLb1EEEEE10hipError_tT1_PNSt15iterator_traitsISK_E10value_typeET2_T3_PNSL_ISQ_E10value_typeET4_T5_PSV_SW_PNS1_23onesweep_lookback_stateEbbT6_jjT7_P12ihipStream_tbENKUlT_T0_SK_SP_E_clIPiSE_SF_SF_EEDaS13_S14_SK_SP_EUlS13_E_NS1_11comp_targetILNS1_3genE6ELNS1_11target_archE950ELNS1_3gpuE13ELNS1_3repE0EEENS1_47radix_sort_onesweep_sort_config_static_selectorELNS0_4arch9wavefront6targetE1EEEvSK_.num_vgpr, 46
	.set _ZN7rocprim17ROCPRIM_400000_NS6detail17trampoline_kernelINS0_14default_configENS1_35radix_sort_onesweep_config_selectorIiNS0_10empty_typeEEEZZNS1_29radix_sort_onesweep_iterationIS3_Lb1EN6thrust23THRUST_200600_302600_NS6detail15normal_iteratorINS9_10device_ptrIiEEEESE_PS5_SF_jNS0_19identity_decomposerENS1_16block_id_wrapperIjLb1EEEEE10hipError_tT1_PNSt15iterator_traitsISK_E10value_typeET2_T3_PNSL_ISQ_E10value_typeET4_T5_PSV_SW_PNS1_23onesweep_lookback_stateEbbT6_jjT7_P12ihipStream_tbENKUlT_T0_SK_SP_E_clIPiSE_SF_SF_EEDaS13_S14_SK_SP_EUlS13_E_NS1_11comp_targetILNS1_3genE6ELNS1_11target_archE950ELNS1_3gpuE13ELNS1_3repE0EEENS1_47radix_sort_onesweep_sort_config_static_selectorELNS0_4arch9wavefront6targetE1EEEvSK_.num_agpr, 0
	.set _ZN7rocprim17ROCPRIM_400000_NS6detail17trampoline_kernelINS0_14default_configENS1_35radix_sort_onesweep_config_selectorIiNS0_10empty_typeEEEZZNS1_29radix_sort_onesweep_iterationIS3_Lb1EN6thrust23THRUST_200600_302600_NS6detail15normal_iteratorINS9_10device_ptrIiEEEESE_PS5_SF_jNS0_19identity_decomposerENS1_16block_id_wrapperIjLb1EEEEE10hipError_tT1_PNSt15iterator_traitsISK_E10value_typeET2_T3_PNSL_ISQ_E10value_typeET4_T5_PSV_SW_PNS1_23onesweep_lookback_stateEbbT6_jjT7_P12ihipStream_tbENKUlT_T0_SK_SP_E_clIPiSE_SF_SF_EEDaS13_S14_SK_SP_EUlS13_E_NS1_11comp_targetILNS1_3genE6ELNS1_11target_archE950ELNS1_3gpuE13ELNS1_3repE0EEENS1_47radix_sort_onesweep_sort_config_static_selectorELNS0_4arch9wavefront6targetE1EEEvSK_.numbered_sgpr, 35
	.set _ZN7rocprim17ROCPRIM_400000_NS6detail17trampoline_kernelINS0_14default_configENS1_35radix_sort_onesweep_config_selectorIiNS0_10empty_typeEEEZZNS1_29radix_sort_onesweep_iterationIS3_Lb1EN6thrust23THRUST_200600_302600_NS6detail15normal_iteratorINS9_10device_ptrIiEEEESE_PS5_SF_jNS0_19identity_decomposerENS1_16block_id_wrapperIjLb1EEEEE10hipError_tT1_PNSt15iterator_traitsISK_E10value_typeET2_T3_PNSL_ISQ_E10value_typeET4_T5_PSV_SW_PNS1_23onesweep_lookback_stateEbbT6_jjT7_P12ihipStream_tbENKUlT_T0_SK_SP_E_clIPiSE_SF_SF_EEDaS13_S14_SK_SP_EUlS13_E_NS1_11comp_targetILNS1_3genE6ELNS1_11target_archE950ELNS1_3gpuE13ELNS1_3repE0EEENS1_47radix_sort_onesweep_sort_config_static_selectorELNS0_4arch9wavefront6targetE1EEEvSK_.num_named_barrier, 0
	.set _ZN7rocprim17ROCPRIM_400000_NS6detail17trampoline_kernelINS0_14default_configENS1_35radix_sort_onesweep_config_selectorIiNS0_10empty_typeEEEZZNS1_29radix_sort_onesweep_iterationIS3_Lb1EN6thrust23THRUST_200600_302600_NS6detail15normal_iteratorINS9_10device_ptrIiEEEESE_PS5_SF_jNS0_19identity_decomposerENS1_16block_id_wrapperIjLb1EEEEE10hipError_tT1_PNSt15iterator_traitsISK_E10value_typeET2_T3_PNSL_ISQ_E10value_typeET4_T5_PSV_SW_PNS1_23onesweep_lookback_stateEbbT6_jjT7_P12ihipStream_tbENKUlT_T0_SK_SP_E_clIPiSE_SF_SF_EEDaS13_S14_SK_SP_EUlS13_E_NS1_11comp_targetILNS1_3genE6ELNS1_11target_archE950ELNS1_3gpuE13ELNS1_3repE0EEENS1_47radix_sort_onesweep_sort_config_static_selectorELNS0_4arch9wavefront6targetE1EEEvSK_.private_seg_size, 0
	.set _ZN7rocprim17ROCPRIM_400000_NS6detail17trampoline_kernelINS0_14default_configENS1_35radix_sort_onesweep_config_selectorIiNS0_10empty_typeEEEZZNS1_29radix_sort_onesweep_iterationIS3_Lb1EN6thrust23THRUST_200600_302600_NS6detail15normal_iteratorINS9_10device_ptrIiEEEESE_PS5_SF_jNS0_19identity_decomposerENS1_16block_id_wrapperIjLb1EEEEE10hipError_tT1_PNSt15iterator_traitsISK_E10value_typeET2_T3_PNSL_ISQ_E10value_typeET4_T5_PSV_SW_PNS1_23onesweep_lookback_stateEbbT6_jjT7_P12ihipStream_tbENKUlT_T0_SK_SP_E_clIPiSE_SF_SF_EEDaS13_S14_SK_SP_EUlS13_E_NS1_11comp_targetILNS1_3genE6ELNS1_11target_archE950ELNS1_3gpuE13ELNS1_3repE0EEENS1_47radix_sort_onesweep_sort_config_static_selectorELNS0_4arch9wavefront6targetE1EEEvSK_.uses_vcc, 1
	.set _ZN7rocprim17ROCPRIM_400000_NS6detail17trampoline_kernelINS0_14default_configENS1_35radix_sort_onesweep_config_selectorIiNS0_10empty_typeEEEZZNS1_29radix_sort_onesweep_iterationIS3_Lb1EN6thrust23THRUST_200600_302600_NS6detail15normal_iteratorINS9_10device_ptrIiEEEESE_PS5_SF_jNS0_19identity_decomposerENS1_16block_id_wrapperIjLb1EEEEE10hipError_tT1_PNSt15iterator_traitsISK_E10value_typeET2_T3_PNSL_ISQ_E10value_typeET4_T5_PSV_SW_PNS1_23onesweep_lookback_stateEbbT6_jjT7_P12ihipStream_tbENKUlT_T0_SK_SP_E_clIPiSE_SF_SF_EEDaS13_S14_SK_SP_EUlS13_E_NS1_11comp_targetILNS1_3genE6ELNS1_11target_archE950ELNS1_3gpuE13ELNS1_3repE0EEENS1_47radix_sort_onesweep_sort_config_static_selectorELNS0_4arch9wavefront6targetE1EEEvSK_.uses_flat_scratch, 0
	.set _ZN7rocprim17ROCPRIM_400000_NS6detail17trampoline_kernelINS0_14default_configENS1_35radix_sort_onesweep_config_selectorIiNS0_10empty_typeEEEZZNS1_29radix_sort_onesweep_iterationIS3_Lb1EN6thrust23THRUST_200600_302600_NS6detail15normal_iteratorINS9_10device_ptrIiEEEESE_PS5_SF_jNS0_19identity_decomposerENS1_16block_id_wrapperIjLb1EEEEE10hipError_tT1_PNSt15iterator_traitsISK_E10value_typeET2_T3_PNSL_ISQ_E10value_typeET4_T5_PSV_SW_PNS1_23onesweep_lookback_stateEbbT6_jjT7_P12ihipStream_tbENKUlT_T0_SK_SP_E_clIPiSE_SF_SF_EEDaS13_S14_SK_SP_EUlS13_E_NS1_11comp_targetILNS1_3genE6ELNS1_11target_archE950ELNS1_3gpuE13ELNS1_3repE0EEENS1_47radix_sort_onesweep_sort_config_static_selectorELNS0_4arch9wavefront6targetE1EEEvSK_.has_dyn_sized_stack, 0
	.set _ZN7rocprim17ROCPRIM_400000_NS6detail17trampoline_kernelINS0_14default_configENS1_35radix_sort_onesweep_config_selectorIiNS0_10empty_typeEEEZZNS1_29radix_sort_onesweep_iterationIS3_Lb1EN6thrust23THRUST_200600_302600_NS6detail15normal_iteratorINS9_10device_ptrIiEEEESE_PS5_SF_jNS0_19identity_decomposerENS1_16block_id_wrapperIjLb1EEEEE10hipError_tT1_PNSt15iterator_traitsISK_E10value_typeET2_T3_PNSL_ISQ_E10value_typeET4_T5_PSV_SW_PNS1_23onesweep_lookback_stateEbbT6_jjT7_P12ihipStream_tbENKUlT_T0_SK_SP_E_clIPiSE_SF_SF_EEDaS13_S14_SK_SP_EUlS13_E_NS1_11comp_targetILNS1_3genE6ELNS1_11target_archE950ELNS1_3gpuE13ELNS1_3repE0EEENS1_47radix_sort_onesweep_sort_config_static_selectorELNS0_4arch9wavefront6targetE1EEEvSK_.has_recursion, 0
	.set _ZN7rocprim17ROCPRIM_400000_NS6detail17trampoline_kernelINS0_14default_configENS1_35radix_sort_onesweep_config_selectorIiNS0_10empty_typeEEEZZNS1_29radix_sort_onesweep_iterationIS3_Lb1EN6thrust23THRUST_200600_302600_NS6detail15normal_iteratorINS9_10device_ptrIiEEEESE_PS5_SF_jNS0_19identity_decomposerENS1_16block_id_wrapperIjLb1EEEEE10hipError_tT1_PNSt15iterator_traitsISK_E10value_typeET2_T3_PNSL_ISQ_E10value_typeET4_T5_PSV_SW_PNS1_23onesweep_lookback_stateEbbT6_jjT7_P12ihipStream_tbENKUlT_T0_SK_SP_E_clIPiSE_SF_SF_EEDaS13_S14_SK_SP_EUlS13_E_NS1_11comp_targetILNS1_3genE6ELNS1_11target_archE950ELNS1_3gpuE13ELNS1_3repE0EEENS1_47radix_sort_onesweep_sort_config_static_selectorELNS0_4arch9wavefront6targetE1EEEvSK_.has_indirect_call, 0
	.section	.AMDGPU.csdata,"",@progbits
; Kernel info:
; codeLenInByte = 11324
; TotalNumSgprs: 41
; NumVgprs: 46
; NumAgprs: 0
; TotalNumVgprs: 46
; ScratchSize: 0
; MemoryBound: 0
; FloatMode: 240
; IeeeMode: 1
; LDSByteSize: 20552 bytes/workgroup (compile time only)
; SGPRBlocks: 5
; VGPRBlocks: 5
; NumSGPRsForWavesPerEU: 41
; NumVGPRsForWavesPerEU: 46
; AccumOffset: 48
; Occupancy: 8
; WaveLimiterHint : 1
; COMPUTE_PGM_RSRC2:SCRATCH_EN: 0
; COMPUTE_PGM_RSRC2:USER_SGPR: 2
; COMPUTE_PGM_RSRC2:TRAP_HANDLER: 0
; COMPUTE_PGM_RSRC2:TGID_X_EN: 1
; COMPUTE_PGM_RSRC2:TGID_Y_EN: 0
; COMPUTE_PGM_RSRC2:TGID_Z_EN: 0
; COMPUTE_PGM_RSRC2:TIDIG_COMP_CNT: 2
; COMPUTE_PGM_RSRC3_GFX90A:ACCUM_OFFSET: 11
; COMPUTE_PGM_RSRC3_GFX90A:TG_SPLIT: 0
	.section	.text._ZN7rocprim17ROCPRIM_400000_NS6detail17trampoline_kernelINS0_14default_configENS1_35radix_sort_onesweep_config_selectorIiNS0_10empty_typeEEEZZNS1_29radix_sort_onesweep_iterationIS3_Lb1EN6thrust23THRUST_200600_302600_NS6detail15normal_iteratorINS9_10device_ptrIiEEEESE_PS5_SF_jNS0_19identity_decomposerENS1_16block_id_wrapperIjLb1EEEEE10hipError_tT1_PNSt15iterator_traitsISK_E10value_typeET2_T3_PNSL_ISQ_E10value_typeET4_T5_PSV_SW_PNS1_23onesweep_lookback_stateEbbT6_jjT7_P12ihipStream_tbENKUlT_T0_SK_SP_E_clIPiSE_SF_SF_EEDaS13_S14_SK_SP_EUlS13_E_NS1_11comp_targetILNS1_3genE5ELNS1_11target_archE942ELNS1_3gpuE9ELNS1_3repE0EEENS1_47radix_sort_onesweep_sort_config_static_selectorELNS0_4arch9wavefront6targetE1EEEvSK_,"axG",@progbits,_ZN7rocprim17ROCPRIM_400000_NS6detail17trampoline_kernelINS0_14default_configENS1_35radix_sort_onesweep_config_selectorIiNS0_10empty_typeEEEZZNS1_29radix_sort_onesweep_iterationIS3_Lb1EN6thrust23THRUST_200600_302600_NS6detail15normal_iteratorINS9_10device_ptrIiEEEESE_PS5_SF_jNS0_19identity_decomposerENS1_16block_id_wrapperIjLb1EEEEE10hipError_tT1_PNSt15iterator_traitsISK_E10value_typeET2_T3_PNSL_ISQ_E10value_typeET4_T5_PSV_SW_PNS1_23onesweep_lookback_stateEbbT6_jjT7_P12ihipStream_tbENKUlT_T0_SK_SP_E_clIPiSE_SF_SF_EEDaS13_S14_SK_SP_EUlS13_E_NS1_11comp_targetILNS1_3genE5ELNS1_11target_archE942ELNS1_3gpuE9ELNS1_3repE0EEENS1_47radix_sort_onesweep_sort_config_static_selectorELNS0_4arch9wavefront6targetE1EEEvSK_,comdat
	.protected	_ZN7rocprim17ROCPRIM_400000_NS6detail17trampoline_kernelINS0_14default_configENS1_35radix_sort_onesweep_config_selectorIiNS0_10empty_typeEEEZZNS1_29radix_sort_onesweep_iterationIS3_Lb1EN6thrust23THRUST_200600_302600_NS6detail15normal_iteratorINS9_10device_ptrIiEEEESE_PS5_SF_jNS0_19identity_decomposerENS1_16block_id_wrapperIjLb1EEEEE10hipError_tT1_PNSt15iterator_traitsISK_E10value_typeET2_T3_PNSL_ISQ_E10value_typeET4_T5_PSV_SW_PNS1_23onesweep_lookback_stateEbbT6_jjT7_P12ihipStream_tbENKUlT_T0_SK_SP_E_clIPiSE_SF_SF_EEDaS13_S14_SK_SP_EUlS13_E_NS1_11comp_targetILNS1_3genE5ELNS1_11target_archE942ELNS1_3gpuE9ELNS1_3repE0EEENS1_47radix_sort_onesweep_sort_config_static_selectorELNS0_4arch9wavefront6targetE1EEEvSK_ ; -- Begin function _ZN7rocprim17ROCPRIM_400000_NS6detail17trampoline_kernelINS0_14default_configENS1_35radix_sort_onesweep_config_selectorIiNS0_10empty_typeEEEZZNS1_29radix_sort_onesweep_iterationIS3_Lb1EN6thrust23THRUST_200600_302600_NS6detail15normal_iteratorINS9_10device_ptrIiEEEESE_PS5_SF_jNS0_19identity_decomposerENS1_16block_id_wrapperIjLb1EEEEE10hipError_tT1_PNSt15iterator_traitsISK_E10value_typeET2_T3_PNSL_ISQ_E10value_typeET4_T5_PSV_SW_PNS1_23onesweep_lookback_stateEbbT6_jjT7_P12ihipStream_tbENKUlT_T0_SK_SP_E_clIPiSE_SF_SF_EEDaS13_S14_SK_SP_EUlS13_E_NS1_11comp_targetILNS1_3genE5ELNS1_11target_archE942ELNS1_3gpuE9ELNS1_3repE0EEENS1_47radix_sort_onesweep_sort_config_static_selectorELNS0_4arch9wavefront6targetE1EEEvSK_
	.globl	_ZN7rocprim17ROCPRIM_400000_NS6detail17trampoline_kernelINS0_14default_configENS1_35radix_sort_onesweep_config_selectorIiNS0_10empty_typeEEEZZNS1_29radix_sort_onesweep_iterationIS3_Lb1EN6thrust23THRUST_200600_302600_NS6detail15normal_iteratorINS9_10device_ptrIiEEEESE_PS5_SF_jNS0_19identity_decomposerENS1_16block_id_wrapperIjLb1EEEEE10hipError_tT1_PNSt15iterator_traitsISK_E10value_typeET2_T3_PNSL_ISQ_E10value_typeET4_T5_PSV_SW_PNS1_23onesweep_lookback_stateEbbT6_jjT7_P12ihipStream_tbENKUlT_T0_SK_SP_E_clIPiSE_SF_SF_EEDaS13_S14_SK_SP_EUlS13_E_NS1_11comp_targetILNS1_3genE5ELNS1_11target_archE942ELNS1_3gpuE9ELNS1_3repE0EEENS1_47radix_sort_onesweep_sort_config_static_selectorELNS0_4arch9wavefront6targetE1EEEvSK_
	.p2align	8
	.type	_ZN7rocprim17ROCPRIM_400000_NS6detail17trampoline_kernelINS0_14default_configENS1_35radix_sort_onesweep_config_selectorIiNS0_10empty_typeEEEZZNS1_29radix_sort_onesweep_iterationIS3_Lb1EN6thrust23THRUST_200600_302600_NS6detail15normal_iteratorINS9_10device_ptrIiEEEESE_PS5_SF_jNS0_19identity_decomposerENS1_16block_id_wrapperIjLb1EEEEE10hipError_tT1_PNSt15iterator_traitsISK_E10value_typeET2_T3_PNSL_ISQ_E10value_typeET4_T5_PSV_SW_PNS1_23onesweep_lookback_stateEbbT6_jjT7_P12ihipStream_tbENKUlT_T0_SK_SP_E_clIPiSE_SF_SF_EEDaS13_S14_SK_SP_EUlS13_E_NS1_11comp_targetILNS1_3genE5ELNS1_11target_archE942ELNS1_3gpuE9ELNS1_3repE0EEENS1_47radix_sort_onesweep_sort_config_static_selectorELNS0_4arch9wavefront6targetE1EEEvSK_,@function
_ZN7rocprim17ROCPRIM_400000_NS6detail17trampoline_kernelINS0_14default_configENS1_35radix_sort_onesweep_config_selectorIiNS0_10empty_typeEEEZZNS1_29radix_sort_onesweep_iterationIS3_Lb1EN6thrust23THRUST_200600_302600_NS6detail15normal_iteratorINS9_10device_ptrIiEEEESE_PS5_SF_jNS0_19identity_decomposerENS1_16block_id_wrapperIjLb1EEEEE10hipError_tT1_PNSt15iterator_traitsISK_E10value_typeET2_T3_PNSL_ISQ_E10value_typeET4_T5_PSV_SW_PNS1_23onesweep_lookback_stateEbbT6_jjT7_P12ihipStream_tbENKUlT_T0_SK_SP_E_clIPiSE_SF_SF_EEDaS13_S14_SK_SP_EUlS13_E_NS1_11comp_targetILNS1_3genE5ELNS1_11target_archE942ELNS1_3gpuE9ELNS1_3repE0EEENS1_47radix_sort_onesweep_sort_config_static_selectorELNS0_4arch9wavefront6targetE1EEEvSK_: ; @_ZN7rocprim17ROCPRIM_400000_NS6detail17trampoline_kernelINS0_14default_configENS1_35radix_sort_onesweep_config_selectorIiNS0_10empty_typeEEEZZNS1_29radix_sort_onesweep_iterationIS3_Lb1EN6thrust23THRUST_200600_302600_NS6detail15normal_iteratorINS9_10device_ptrIiEEEESE_PS5_SF_jNS0_19identity_decomposerENS1_16block_id_wrapperIjLb1EEEEE10hipError_tT1_PNSt15iterator_traitsISK_E10value_typeET2_T3_PNSL_ISQ_E10value_typeET4_T5_PSV_SW_PNS1_23onesweep_lookback_stateEbbT6_jjT7_P12ihipStream_tbENKUlT_T0_SK_SP_E_clIPiSE_SF_SF_EEDaS13_S14_SK_SP_EUlS13_E_NS1_11comp_targetILNS1_3genE5ELNS1_11target_archE942ELNS1_3gpuE9ELNS1_3repE0EEENS1_47radix_sort_onesweep_sort_config_static_selectorELNS0_4arch9wavefront6targetE1EEEvSK_
; %bb.0:
	.section	.rodata,"a",@progbits
	.p2align	6, 0x0
	.amdhsa_kernel _ZN7rocprim17ROCPRIM_400000_NS6detail17trampoline_kernelINS0_14default_configENS1_35radix_sort_onesweep_config_selectorIiNS0_10empty_typeEEEZZNS1_29radix_sort_onesweep_iterationIS3_Lb1EN6thrust23THRUST_200600_302600_NS6detail15normal_iteratorINS9_10device_ptrIiEEEESE_PS5_SF_jNS0_19identity_decomposerENS1_16block_id_wrapperIjLb1EEEEE10hipError_tT1_PNSt15iterator_traitsISK_E10value_typeET2_T3_PNSL_ISQ_E10value_typeET4_T5_PSV_SW_PNS1_23onesweep_lookback_stateEbbT6_jjT7_P12ihipStream_tbENKUlT_T0_SK_SP_E_clIPiSE_SF_SF_EEDaS13_S14_SK_SP_EUlS13_E_NS1_11comp_targetILNS1_3genE5ELNS1_11target_archE942ELNS1_3gpuE9ELNS1_3repE0EEENS1_47radix_sort_onesweep_sort_config_static_selectorELNS0_4arch9wavefront6targetE1EEEvSK_
		.amdhsa_group_segment_fixed_size 0
		.amdhsa_private_segment_fixed_size 0
		.amdhsa_kernarg_size 88
		.amdhsa_user_sgpr_count 2
		.amdhsa_user_sgpr_dispatch_ptr 0
		.amdhsa_user_sgpr_queue_ptr 0
		.amdhsa_user_sgpr_kernarg_segment_ptr 1
		.amdhsa_user_sgpr_dispatch_id 0
		.amdhsa_user_sgpr_kernarg_preload_length 0
		.amdhsa_user_sgpr_kernarg_preload_offset 0
		.amdhsa_user_sgpr_private_segment_size 0
		.amdhsa_uses_dynamic_stack 0
		.amdhsa_enable_private_segment 0
		.amdhsa_system_sgpr_workgroup_id_x 1
		.amdhsa_system_sgpr_workgroup_id_y 0
		.amdhsa_system_sgpr_workgroup_id_z 0
		.amdhsa_system_sgpr_workgroup_info 0
		.amdhsa_system_vgpr_workitem_id 0
		.amdhsa_next_free_vgpr 1
		.amdhsa_next_free_sgpr 0
		.amdhsa_accum_offset 4
		.amdhsa_reserve_vcc 0
		.amdhsa_float_round_mode_32 0
		.amdhsa_float_round_mode_16_64 0
		.amdhsa_float_denorm_mode_32 3
		.amdhsa_float_denorm_mode_16_64 3
		.amdhsa_dx10_clamp 1
		.amdhsa_ieee_mode 1
		.amdhsa_fp16_overflow 0
		.amdhsa_tg_split 0
		.amdhsa_exception_fp_ieee_invalid_op 0
		.amdhsa_exception_fp_denorm_src 0
		.amdhsa_exception_fp_ieee_div_zero 0
		.amdhsa_exception_fp_ieee_overflow 0
		.amdhsa_exception_fp_ieee_underflow 0
		.amdhsa_exception_fp_ieee_inexact 0
		.amdhsa_exception_int_div_zero 0
	.end_amdhsa_kernel
	.section	.text._ZN7rocprim17ROCPRIM_400000_NS6detail17trampoline_kernelINS0_14default_configENS1_35radix_sort_onesweep_config_selectorIiNS0_10empty_typeEEEZZNS1_29radix_sort_onesweep_iterationIS3_Lb1EN6thrust23THRUST_200600_302600_NS6detail15normal_iteratorINS9_10device_ptrIiEEEESE_PS5_SF_jNS0_19identity_decomposerENS1_16block_id_wrapperIjLb1EEEEE10hipError_tT1_PNSt15iterator_traitsISK_E10value_typeET2_T3_PNSL_ISQ_E10value_typeET4_T5_PSV_SW_PNS1_23onesweep_lookback_stateEbbT6_jjT7_P12ihipStream_tbENKUlT_T0_SK_SP_E_clIPiSE_SF_SF_EEDaS13_S14_SK_SP_EUlS13_E_NS1_11comp_targetILNS1_3genE5ELNS1_11target_archE942ELNS1_3gpuE9ELNS1_3repE0EEENS1_47radix_sort_onesweep_sort_config_static_selectorELNS0_4arch9wavefront6targetE1EEEvSK_,"axG",@progbits,_ZN7rocprim17ROCPRIM_400000_NS6detail17trampoline_kernelINS0_14default_configENS1_35radix_sort_onesweep_config_selectorIiNS0_10empty_typeEEEZZNS1_29radix_sort_onesweep_iterationIS3_Lb1EN6thrust23THRUST_200600_302600_NS6detail15normal_iteratorINS9_10device_ptrIiEEEESE_PS5_SF_jNS0_19identity_decomposerENS1_16block_id_wrapperIjLb1EEEEE10hipError_tT1_PNSt15iterator_traitsISK_E10value_typeET2_T3_PNSL_ISQ_E10value_typeET4_T5_PSV_SW_PNS1_23onesweep_lookback_stateEbbT6_jjT7_P12ihipStream_tbENKUlT_T0_SK_SP_E_clIPiSE_SF_SF_EEDaS13_S14_SK_SP_EUlS13_E_NS1_11comp_targetILNS1_3genE5ELNS1_11target_archE942ELNS1_3gpuE9ELNS1_3repE0EEENS1_47radix_sort_onesweep_sort_config_static_selectorELNS0_4arch9wavefront6targetE1EEEvSK_,comdat
.Lfunc_end356:
	.size	_ZN7rocprim17ROCPRIM_400000_NS6detail17trampoline_kernelINS0_14default_configENS1_35radix_sort_onesweep_config_selectorIiNS0_10empty_typeEEEZZNS1_29radix_sort_onesweep_iterationIS3_Lb1EN6thrust23THRUST_200600_302600_NS6detail15normal_iteratorINS9_10device_ptrIiEEEESE_PS5_SF_jNS0_19identity_decomposerENS1_16block_id_wrapperIjLb1EEEEE10hipError_tT1_PNSt15iterator_traitsISK_E10value_typeET2_T3_PNSL_ISQ_E10value_typeET4_T5_PSV_SW_PNS1_23onesweep_lookback_stateEbbT6_jjT7_P12ihipStream_tbENKUlT_T0_SK_SP_E_clIPiSE_SF_SF_EEDaS13_S14_SK_SP_EUlS13_E_NS1_11comp_targetILNS1_3genE5ELNS1_11target_archE942ELNS1_3gpuE9ELNS1_3repE0EEENS1_47radix_sort_onesweep_sort_config_static_selectorELNS0_4arch9wavefront6targetE1EEEvSK_, .Lfunc_end356-_ZN7rocprim17ROCPRIM_400000_NS6detail17trampoline_kernelINS0_14default_configENS1_35radix_sort_onesweep_config_selectorIiNS0_10empty_typeEEEZZNS1_29radix_sort_onesweep_iterationIS3_Lb1EN6thrust23THRUST_200600_302600_NS6detail15normal_iteratorINS9_10device_ptrIiEEEESE_PS5_SF_jNS0_19identity_decomposerENS1_16block_id_wrapperIjLb1EEEEE10hipError_tT1_PNSt15iterator_traitsISK_E10value_typeET2_T3_PNSL_ISQ_E10value_typeET4_T5_PSV_SW_PNS1_23onesweep_lookback_stateEbbT6_jjT7_P12ihipStream_tbENKUlT_T0_SK_SP_E_clIPiSE_SF_SF_EEDaS13_S14_SK_SP_EUlS13_E_NS1_11comp_targetILNS1_3genE5ELNS1_11target_archE942ELNS1_3gpuE9ELNS1_3repE0EEENS1_47radix_sort_onesweep_sort_config_static_selectorELNS0_4arch9wavefront6targetE1EEEvSK_
                                        ; -- End function
	.set _ZN7rocprim17ROCPRIM_400000_NS6detail17trampoline_kernelINS0_14default_configENS1_35radix_sort_onesweep_config_selectorIiNS0_10empty_typeEEEZZNS1_29radix_sort_onesweep_iterationIS3_Lb1EN6thrust23THRUST_200600_302600_NS6detail15normal_iteratorINS9_10device_ptrIiEEEESE_PS5_SF_jNS0_19identity_decomposerENS1_16block_id_wrapperIjLb1EEEEE10hipError_tT1_PNSt15iterator_traitsISK_E10value_typeET2_T3_PNSL_ISQ_E10value_typeET4_T5_PSV_SW_PNS1_23onesweep_lookback_stateEbbT6_jjT7_P12ihipStream_tbENKUlT_T0_SK_SP_E_clIPiSE_SF_SF_EEDaS13_S14_SK_SP_EUlS13_E_NS1_11comp_targetILNS1_3genE5ELNS1_11target_archE942ELNS1_3gpuE9ELNS1_3repE0EEENS1_47radix_sort_onesweep_sort_config_static_selectorELNS0_4arch9wavefront6targetE1EEEvSK_.num_vgpr, 0
	.set _ZN7rocprim17ROCPRIM_400000_NS6detail17trampoline_kernelINS0_14default_configENS1_35radix_sort_onesweep_config_selectorIiNS0_10empty_typeEEEZZNS1_29radix_sort_onesweep_iterationIS3_Lb1EN6thrust23THRUST_200600_302600_NS6detail15normal_iteratorINS9_10device_ptrIiEEEESE_PS5_SF_jNS0_19identity_decomposerENS1_16block_id_wrapperIjLb1EEEEE10hipError_tT1_PNSt15iterator_traitsISK_E10value_typeET2_T3_PNSL_ISQ_E10value_typeET4_T5_PSV_SW_PNS1_23onesweep_lookback_stateEbbT6_jjT7_P12ihipStream_tbENKUlT_T0_SK_SP_E_clIPiSE_SF_SF_EEDaS13_S14_SK_SP_EUlS13_E_NS1_11comp_targetILNS1_3genE5ELNS1_11target_archE942ELNS1_3gpuE9ELNS1_3repE0EEENS1_47radix_sort_onesweep_sort_config_static_selectorELNS0_4arch9wavefront6targetE1EEEvSK_.num_agpr, 0
	.set _ZN7rocprim17ROCPRIM_400000_NS6detail17trampoline_kernelINS0_14default_configENS1_35radix_sort_onesweep_config_selectorIiNS0_10empty_typeEEEZZNS1_29radix_sort_onesweep_iterationIS3_Lb1EN6thrust23THRUST_200600_302600_NS6detail15normal_iteratorINS9_10device_ptrIiEEEESE_PS5_SF_jNS0_19identity_decomposerENS1_16block_id_wrapperIjLb1EEEEE10hipError_tT1_PNSt15iterator_traitsISK_E10value_typeET2_T3_PNSL_ISQ_E10value_typeET4_T5_PSV_SW_PNS1_23onesweep_lookback_stateEbbT6_jjT7_P12ihipStream_tbENKUlT_T0_SK_SP_E_clIPiSE_SF_SF_EEDaS13_S14_SK_SP_EUlS13_E_NS1_11comp_targetILNS1_3genE5ELNS1_11target_archE942ELNS1_3gpuE9ELNS1_3repE0EEENS1_47radix_sort_onesweep_sort_config_static_selectorELNS0_4arch9wavefront6targetE1EEEvSK_.numbered_sgpr, 0
	.set _ZN7rocprim17ROCPRIM_400000_NS6detail17trampoline_kernelINS0_14default_configENS1_35radix_sort_onesweep_config_selectorIiNS0_10empty_typeEEEZZNS1_29radix_sort_onesweep_iterationIS3_Lb1EN6thrust23THRUST_200600_302600_NS6detail15normal_iteratorINS9_10device_ptrIiEEEESE_PS5_SF_jNS0_19identity_decomposerENS1_16block_id_wrapperIjLb1EEEEE10hipError_tT1_PNSt15iterator_traitsISK_E10value_typeET2_T3_PNSL_ISQ_E10value_typeET4_T5_PSV_SW_PNS1_23onesweep_lookback_stateEbbT6_jjT7_P12ihipStream_tbENKUlT_T0_SK_SP_E_clIPiSE_SF_SF_EEDaS13_S14_SK_SP_EUlS13_E_NS1_11comp_targetILNS1_3genE5ELNS1_11target_archE942ELNS1_3gpuE9ELNS1_3repE0EEENS1_47radix_sort_onesweep_sort_config_static_selectorELNS0_4arch9wavefront6targetE1EEEvSK_.num_named_barrier, 0
	.set _ZN7rocprim17ROCPRIM_400000_NS6detail17trampoline_kernelINS0_14default_configENS1_35radix_sort_onesweep_config_selectorIiNS0_10empty_typeEEEZZNS1_29radix_sort_onesweep_iterationIS3_Lb1EN6thrust23THRUST_200600_302600_NS6detail15normal_iteratorINS9_10device_ptrIiEEEESE_PS5_SF_jNS0_19identity_decomposerENS1_16block_id_wrapperIjLb1EEEEE10hipError_tT1_PNSt15iterator_traitsISK_E10value_typeET2_T3_PNSL_ISQ_E10value_typeET4_T5_PSV_SW_PNS1_23onesweep_lookback_stateEbbT6_jjT7_P12ihipStream_tbENKUlT_T0_SK_SP_E_clIPiSE_SF_SF_EEDaS13_S14_SK_SP_EUlS13_E_NS1_11comp_targetILNS1_3genE5ELNS1_11target_archE942ELNS1_3gpuE9ELNS1_3repE0EEENS1_47radix_sort_onesweep_sort_config_static_selectorELNS0_4arch9wavefront6targetE1EEEvSK_.private_seg_size, 0
	.set _ZN7rocprim17ROCPRIM_400000_NS6detail17trampoline_kernelINS0_14default_configENS1_35radix_sort_onesweep_config_selectorIiNS0_10empty_typeEEEZZNS1_29radix_sort_onesweep_iterationIS3_Lb1EN6thrust23THRUST_200600_302600_NS6detail15normal_iteratorINS9_10device_ptrIiEEEESE_PS5_SF_jNS0_19identity_decomposerENS1_16block_id_wrapperIjLb1EEEEE10hipError_tT1_PNSt15iterator_traitsISK_E10value_typeET2_T3_PNSL_ISQ_E10value_typeET4_T5_PSV_SW_PNS1_23onesweep_lookback_stateEbbT6_jjT7_P12ihipStream_tbENKUlT_T0_SK_SP_E_clIPiSE_SF_SF_EEDaS13_S14_SK_SP_EUlS13_E_NS1_11comp_targetILNS1_3genE5ELNS1_11target_archE942ELNS1_3gpuE9ELNS1_3repE0EEENS1_47radix_sort_onesweep_sort_config_static_selectorELNS0_4arch9wavefront6targetE1EEEvSK_.uses_vcc, 0
	.set _ZN7rocprim17ROCPRIM_400000_NS6detail17trampoline_kernelINS0_14default_configENS1_35radix_sort_onesweep_config_selectorIiNS0_10empty_typeEEEZZNS1_29radix_sort_onesweep_iterationIS3_Lb1EN6thrust23THRUST_200600_302600_NS6detail15normal_iteratorINS9_10device_ptrIiEEEESE_PS5_SF_jNS0_19identity_decomposerENS1_16block_id_wrapperIjLb1EEEEE10hipError_tT1_PNSt15iterator_traitsISK_E10value_typeET2_T3_PNSL_ISQ_E10value_typeET4_T5_PSV_SW_PNS1_23onesweep_lookback_stateEbbT6_jjT7_P12ihipStream_tbENKUlT_T0_SK_SP_E_clIPiSE_SF_SF_EEDaS13_S14_SK_SP_EUlS13_E_NS1_11comp_targetILNS1_3genE5ELNS1_11target_archE942ELNS1_3gpuE9ELNS1_3repE0EEENS1_47radix_sort_onesweep_sort_config_static_selectorELNS0_4arch9wavefront6targetE1EEEvSK_.uses_flat_scratch, 0
	.set _ZN7rocprim17ROCPRIM_400000_NS6detail17trampoline_kernelINS0_14default_configENS1_35radix_sort_onesweep_config_selectorIiNS0_10empty_typeEEEZZNS1_29radix_sort_onesweep_iterationIS3_Lb1EN6thrust23THRUST_200600_302600_NS6detail15normal_iteratorINS9_10device_ptrIiEEEESE_PS5_SF_jNS0_19identity_decomposerENS1_16block_id_wrapperIjLb1EEEEE10hipError_tT1_PNSt15iterator_traitsISK_E10value_typeET2_T3_PNSL_ISQ_E10value_typeET4_T5_PSV_SW_PNS1_23onesweep_lookback_stateEbbT6_jjT7_P12ihipStream_tbENKUlT_T0_SK_SP_E_clIPiSE_SF_SF_EEDaS13_S14_SK_SP_EUlS13_E_NS1_11comp_targetILNS1_3genE5ELNS1_11target_archE942ELNS1_3gpuE9ELNS1_3repE0EEENS1_47radix_sort_onesweep_sort_config_static_selectorELNS0_4arch9wavefront6targetE1EEEvSK_.has_dyn_sized_stack, 0
	.set _ZN7rocprim17ROCPRIM_400000_NS6detail17trampoline_kernelINS0_14default_configENS1_35radix_sort_onesweep_config_selectorIiNS0_10empty_typeEEEZZNS1_29radix_sort_onesweep_iterationIS3_Lb1EN6thrust23THRUST_200600_302600_NS6detail15normal_iteratorINS9_10device_ptrIiEEEESE_PS5_SF_jNS0_19identity_decomposerENS1_16block_id_wrapperIjLb1EEEEE10hipError_tT1_PNSt15iterator_traitsISK_E10value_typeET2_T3_PNSL_ISQ_E10value_typeET4_T5_PSV_SW_PNS1_23onesweep_lookback_stateEbbT6_jjT7_P12ihipStream_tbENKUlT_T0_SK_SP_E_clIPiSE_SF_SF_EEDaS13_S14_SK_SP_EUlS13_E_NS1_11comp_targetILNS1_3genE5ELNS1_11target_archE942ELNS1_3gpuE9ELNS1_3repE0EEENS1_47radix_sort_onesweep_sort_config_static_selectorELNS0_4arch9wavefront6targetE1EEEvSK_.has_recursion, 0
	.set _ZN7rocprim17ROCPRIM_400000_NS6detail17trampoline_kernelINS0_14default_configENS1_35radix_sort_onesweep_config_selectorIiNS0_10empty_typeEEEZZNS1_29radix_sort_onesweep_iterationIS3_Lb1EN6thrust23THRUST_200600_302600_NS6detail15normal_iteratorINS9_10device_ptrIiEEEESE_PS5_SF_jNS0_19identity_decomposerENS1_16block_id_wrapperIjLb1EEEEE10hipError_tT1_PNSt15iterator_traitsISK_E10value_typeET2_T3_PNSL_ISQ_E10value_typeET4_T5_PSV_SW_PNS1_23onesweep_lookback_stateEbbT6_jjT7_P12ihipStream_tbENKUlT_T0_SK_SP_E_clIPiSE_SF_SF_EEDaS13_S14_SK_SP_EUlS13_E_NS1_11comp_targetILNS1_3genE5ELNS1_11target_archE942ELNS1_3gpuE9ELNS1_3repE0EEENS1_47radix_sort_onesweep_sort_config_static_selectorELNS0_4arch9wavefront6targetE1EEEvSK_.has_indirect_call, 0
	.section	.AMDGPU.csdata,"",@progbits
; Kernel info:
; codeLenInByte = 0
; TotalNumSgprs: 6
; NumVgprs: 0
; NumAgprs: 0
; TotalNumVgprs: 0
; ScratchSize: 0
; MemoryBound: 0
; FloatMode: 240
; IeeeMode: 1
; LDSByteSize: 0 bytes/workgroup (compile time only)
; SGPRBlocks: 0
; VGPRBlocks: 0
; NumSGPRsForWavesPerEU: 6
; NumVGPRsForWavesPerEU: 1
; AccumOffset: 4
; Occupancy: 8
; WaveLimiterHint : 0
; COMPUTE_PGM_RSRC2:SCRATCH_EN: 0
; COMPUTE_PGM_RSRC2:USER_SGPR: 2
; COMPUTE_PGM_RSRC2:TRAP_HANDLER: 0
; COMPUTE_PGM_RSRC2:TGID_X_EN: 1
; COMPUTE_PGM_RSRC2:TGID_Y_EN: 0
; COMPUTE_PGM_RSRC2:TGID_Z_EN: 0
; COMPUTE_PGM_RSRC2:TIDIG_COMP_CNT: 0
; COMPUTE_PGM_RSRC3_GFX90A:ACCUM_OFFSET: 0
; COMPUTE_PGM_RSRC3_GFX90A:TG_SPLIT: 0
	.section	.text._ZN7rocprim17ROCPRIM_400000_NS6detail17trampoline_kernelINS0_14default_configENS1_35radix_sort_onesweep_config_selectorIiNS0_10empty_typeEEEZZNS1_29radix_sort_onesweep_iterationIS3_Lb1EN6thrust23THRUST_200600_302600_NS6detail15normal_iteratorINS9_10device_ptrIiEEEESE_PS5_SF_jNS0_19identity_decomposerENS1_16block_id_wrapperIjLb1EEEEE10hipError_tT1_PNSt15iterator_traitsISK_E10value_typeET2_T3_PNSL_ISQ_E10value_typeET4_T5_PSV_SW_PNS1_23onesweep_lookback_stateEbbT6_jjT7_P12ihipStream_tbENKUlT_T0_SK_SP_E_clIPiSE_SF_SF_EEDaS13_S14_SK_SP_EUlS13_E_NS1_11comp_targetILNS1_3genE2ELNS1_11target_archE906ELNS1_3gpuE6ELNS1_3repE0EEENS1_47radix_sort_onesweep_sort_config_static_selectorELNS0_4arch9wavefront6targetE1EEEvSK_,"axG",@progbits,_ZN7rocprim17ROCPRIM_400000_NS6detail17trampoline_kernelINS0_14default_configENS1_35radix_sort_onesweep_config_selectorIiNS0_10empty_typeEEEZZNS1_29radix_sort_onesweep_iterationIS3_Lb1EN6thrust23THRUST_200600_302600_NS6detail15normal_iteratorINS9_10device_ptrIiEEEESE_PS5_SF_jNS0_19identity_decomposerENS1_16block_id_wrapperIjLb1EEEEE10hipError_tT1_PNSt15iterator_traitsISK_E10value_typeET2_T3_PNSL_ISQ_E10value_typeET4_T5_PSV_SW_PNS1_23onesweep_lookback_stateEbbT6_jjT7_P12ihipStream_tbENKUlT_T0_SK_SP_E_clIPiSE_SF_SF_EEDaS13_S14_SK_SP_EUlS13_E_NS1_11comp_targetILNS1_3genE2ELNS1_11target_archE906ELNS1_3gpuE6ELNS1_3repE0EEENS1_47radix_sort_onesweep_sort_config_static_selectorELNS0_4arch9wavefront6targetE1EEEvSK_,comdat
	.protected	_ZN7rocprim17ROCPRIM_400000_NS6detail17trampoline_kernelINS0_14default_configENS1_35radix_sort_onesweep_config_selectorIiNS0_10empty_typeEEEZZNS1_29radix_sort_onesweep_iterationIS3_Lb1EN6thrust23THRUST_200600_302600_NS6detail15normal_iteratorINS9_10device_ptrIiEEEESE_PS5_SF_jNS0_19identity_decomposerENS1_16block_id_wrapperIjLb1EEEEE10hipError_tT1_PNSt15iterator_traitsISK_E10value_typeET2_T3_PNSL_ISQ_E10value_typeET4_T5_PSV_SW_PNS1_23onesweep_lookback_stateEbbT6_jjT7_P12ihipStream_tbENKUlT_T0_SK_SP_E_clIPiSE_SF_SF_EEDaS13_S14_SK_SP_EUlS13_E_NS1_11comp_targetILNS1_3genE2ELNS1_11target_archE906ELNS1_3gpuE6ELNS1_3repE0EEENS1_47radix_sort_onesweep_sort_config_static_selectorELNS0_4arch9wavefront6targetE1EEEvSK_ ; -- Begin function _ZN7rocprim17ROCPRIM_400000_NS6detail17trampoline_kernelINS0_14default_configENS1_35radix_sort_onesweep_config_selectorIiNS0_10empty_typeEEEZZNS1_29radix_sort_onesweep_iterationIS3_Lb1EN6thrust23THRUST_200600_302600_NS6detail15normal_iteratorINS9_10device_ptrIiEEEESE_PS5_SF_jNS0_19identity_decomposerENS1_16block_id_wrapperIjLb1EEEEE10hipError_tT1_PNSt15iterator_traitsISK_E10value_typeET2_T3_PNSL_ISQ_E10value_typeET4_T5_PSV_SW_PNS1_23onesweep_lookback_stateEbbT6_jjT7_P12ihipStream_tbENKUlT_T0_SK_SP_E_clIPiSE_SF_SF_EEDaS13_S14_SK_SP_EUlS13_E_NS1_11comp_targetILNS1_3genE2ELNS1_11target_archE906ELNS1_3gpuE6ELNS1_3repE0EEENS1_47radix_sort_onesweep_sort_config_static_selectorELNS0_4arch9wavefront6targetE1EEEvSK_
	.globl	_ZN7rocprim17ROCPRIM_400000_NS6detail17trampoline_kernelINS0_14default_configENS1_35radix_sort_onesweep_config_selectorIiNS0_10empty_typeEEEZZNS1_29radix_sort_onesweep_iterationIS3_Lb1EN6thrust23THRUST_200600_302600_NS6detail15normal_iteratorINS9_10device_ptrIiEEEESE_PS5_SF_jNS0_19identity_decomposerENS1_16block_id_wrapperIjLb1EEEEE10hipError_tT1_PNSt15iterator_traitsISK_E10value_typeET2_T3_PNSL_ISQ_E10value_typeET4_T5_PSV_SW_PNS1_23onesweep_lookback_stateEbbT6_jjT7_P12ihipStream_tbENKUlT_T0_SK_SP_E_clIPiSE_SF_SF_EEDaS13_S14_SK_SP_EUlS13_E_NS1_11comp_targetILNS1_3genE2ELNS1_11target_archE906ELNS1_3gpuE6ELNS1_3repE0EEENS1_47radix_sort_onesweep_sort_config_static_selectorELNS0_4arch9wavefront6targetE1EEEvSK_
	.p2align	8
	.type	_ZN7rocprim17ROCPRIM_400000_NS6detail17trampoline_kernelINS0_14default_configENS1_35radix_sort_onesweep_config_selectorIiNS0_10empty_typeEEEZZNS1_29radix_sort_onesweep_iterationIS3_Lb1EN6thrust23THRUST_200600_302600_NS6detail15normal_iteratorINS9_10device_ptrIiEEEESE_PS5_SF_jNS0_19identity_decomposerENS1_16block_id_wrapperIjLb1EEEEE10hipError_tT1_PNSt15iterator_traitsISK_E10value_typeET2_T3_PNSL_ISQ_E10value_typeET4_T5_PSV_SW_PNS1_23onesweep_lookback_stateEbbT6_jjT7_P12ihipStream_tbENKUlT_T0_SK_SP_E_clIPiSE_SF_SF_EEDaS13_S14_SK_SP_EUlS13_E_NS1_11comp_targetILNS1_3genE2ELNS1_11target_archE906ELNS1_3gpuE6ELNS1_3repE0EEENS1_47radix_sort_onesweep_sort_config_static_selectorELNS0_4arch9wavefront6targetE1EEEvSK_,@function
_ZN7rocprim17ROCPRIM_400000_NS6detail17trampoline_kernelINS0_14default_configENS1_35radix_sort_onesweep_config_selectorIiNS0_10empty_typeEEEZZNS1_29radix_sort_onesweep_iterationIS3_Lb1EN6thrust23THRUST_200600_302600_NS6detail15normal_iteratorINS9_10device_ptrIiEEEESE_PS5_SF_jNS0_19identity_decomposerENS1_16block_id_wrapperIjLb1EEEEE10hipError_tT1_PNSt15iterator_traitsISK_E10value_typeET2_T3_PNSL_ISQ_E10value_typeET4_T5_PSV_SW_PNS1_23onesweep_lookback_stateEbbT6_jjT7_P12ihipStream_tbENKUlT_T0_SK_SP_E_clIPiSE_SF_SF_EEDaS13_S14_SK_SP_EUlS13_E_NS1_11comp_targetILNS1_3genE2ELNS1_11target_archE906ELNS1_3gpuE6ELNS1_3repE0EEENS1_47radix_sort_onesweep_sort_config_static_selectorELNS0_4arch9wavefront6targetE1EEEvSK_: ; @_ZN7rocprim17ROCPRIM_400000_NS6detail17trampoline_kernelINS0_14default_configENS1_35radix_sort_onesweep_config_selectorIiNS0_10empty_typeEEEZZNS1_29radix_sort_onesweep_iterationIS3_Lb1EN6thrust23THRUST_200600_302600_NS6detail15normal_iteratorINS9_10device_ptrIiEEEESE_PS5_SF_jNS0_19identity_decomposerENS1_16block_id_wrapperIjLb1EEEEE10hipError_tT1_PNSt15iterator_traitsISK_E10value_typeET2_T3_PNSL_ISQ_E10value_typeET4_T5_PSV_SW_PNS1_23onesweep_lookback_stateEbbT6_jjT7_P12ihipStream_tbENKUlT_T0_SK_SP_E_clIPiSE_SF_SF_EEDaS13_S14_SK_SP_EUlS13_E_NS1_11comp_targetILNS1_3genE2ELNS1_11target_archE906ELNS1_3gpuE6ELNS1_3repE0EEENS1_47radix_sort_onesweep_sort_config_static_selectorELNS0_4arch9wavefront6targetE1EEEvSK_
; %bb.0:
	.section	.rodata,"a",@progbits
	.p2align	6, 0x0
	.amdhsa_kernel _ZN7rocprim17ROCPRIM_400000_NS6detail17trampoline_kernelINS0_14default_configENS1_35radix_sort_onesweep_config_selectorIiNS0_10empty_typeEEEZZNS1_29radix_sort_onesweep_iterationIS3_Lb1EN6thrust23THRUST_200600_302600_NS6detail15normal_iteratorINS9_10device_ptrIiEEEESE_PS5_SF_jNS0_19identity_decomposerENS1_16block_id_wrapperIjLb1EEEEE10hipError_tT1_PNSt15iterator_traitsISK_E10value_typeET2_T3_PNSL_ISQ_E10value_typeET4_T5_PSV_SW_PNS1_23onesweep_lookback_stateEbbT6_jjT7_P12ihipStream_tbENKUlT_T0_SK_SP_E_clIPiSE_SF_SF_EEDaS13_S14_SK_SP_EUlS13_E_NS1_11comp_targetILNS1_3genE2ELNS1_11target_archE906ELNS1_3gpuE6ELNS1_3repE0EEENS1_47radix_sort_onesweep_sort_config_static_selectorELNS0_4arch9wavefront6targetE1EEEvSK_
		.amdhsa_group_segment_fixed_size 0
		.amdhsa_private_segment_fixed_size 0
		.amdhsa_kernarg_size 88
		.amdhsa_user_sgpr_count 2
		.amdhsa_user_sgpr_dispatch_ptr 0
		.amdhsa_user_sgpr_queue_ptr 0
		.amdhsa_user_sgpr_kernarg_segment_ptr 1
		.amdhsa_user_sgpr_dispatch_id 0
		.amdhsa_user_sgpr_kernarg_preload_length 0
		.amdhsa_user_sgpr_kernarg_preload_offset 0
		.amdhsa_user_sgpr_private_segment_size 0
		.amdhsa_uses_dynamic_stack 0
		.amdhsa_enable_private_segment 0
		.amdhsa_system_sgpr_workgroup_id_x 1
		.amdhsa_system_sgpr_workgroup_id_y 0
		.amdhsa_system_sgpr_workgroup_id_z 0
		.amdhsa_system_sgpr_workgroup_info 0
		.amdhsa_system_vgpr_workitem_id 0
		.amdhsa_next_free_vgpr 1
		.amdhsa_next_free_sgpr 0
		.amdhsa_accum_offset 4
		.amdhsa_reserve_vcc 0
		.amdhsa_float_round_mode_32 0
		.amdhsa_float_round_mode_16_64 0
		.amdhsa_float_denorm_mode_32 3
		.amdhsa_float_denorm_mode_16_64 3
		.amdhsa_dx10_clamp 1
		.amdhsa_ieee_mode 1
		.amdhsa_fp16_overflow 0
		.amdhsa_tg_split 0
		.amdhsa_exception_fp_ieee_invalid_op 0
		.amdhsa_exception_fp_denorm_src 0
		.amdhsa_exception_fp_ieee_div_zero 0
		.amdhsa_exception_fp_ieee_overflow 0
		.amdhsa_exception_fp_ieee_underflow 0
		.amdhsa_exception_fp_ieee_inexact 0
		.amdhsa_exception_int_div_zero 0
	.end_amdhsa_kernel
	.section	.text._ZN7rocprim17ROCPRIM_400000_NS6detail17trampoline_kernelINS0_14default_configENS1_35radix_sort_onesweep_config_selectorIiNS0_10empty_typeEEEZZNS1_29radix_sort_onesweep_iterationIS3_Lb1EN6thrust23THRUST_200600_302600_NS6detail15normal_iteratorINS9_10device_ptrIiEEEESE_PS5_SF_jNS0_19identity_decomposerENS1_16block_id_wrapperIjLb1EEEEE10hipError_tT1_PNSt15iterator_traitsISK_E10value_typeET2_T3_PNSL_ISQ_E10value_typeET4_T5_PSV_SW_PNS1_23onesweep_lookback_stateEbbT6_jjT7_P12ihipStream_tbENKUlT_T0_SK_SP_E_clIPiSE_SF_SF_EEDaS13_S14_SK_SP_EUlS13_E_NS1_11comp_targetILNS1_3genE2ELNS1_11target_archE906ELNS1_3gpuE6ELNS1_3repE0EEENS1_47radix_sort_onesweep_sort_config_static_selectorELNS0_4arch9wavefront6targetE1EEEvSK_,"axG",@progbits,_ZN7rocprim17ROCPRIM_400000_NS6detail17trampoline_kernelINS0_14default_configENS1_35radix_sort_onesweep_config_selectorIiNS0_10empty_typeEEEZZNS1_29radix_sort_onesweep_iterationIS3_Lb1EN6thrust23THRUST_200600_302600_NS6detail15normal_iteratorINS9_10device_ptrIiEEEESE_PS5_SF_jNS0_19identity_decomposerENS1_16block_id_wrapperIjLb1EEEEE10hipError_tT1_PNSt15iterator_traitsISK_E10value_typeET2_T3_PNSL_ISQ_E10value_typeET4_T5_PSV_SW_PNS1_23onesweep_lookback_stateEbbT6_jjT7_P12ihipStream_tbENKUlT_T0_SK_SP_E_clIPiSE_SF_SF_EEDaS13_S14_SK_SP_EUlS13_E_NS1_11comp_targetILNS1_3genE2ELNS1_11target_archE906ELNS1_3gpuE6ELNS1_3repE0EEENS1_47radix_sort_onesweep_sort_config_static_selectorELNS0_4arch9wavefront6targetE1EEEvSK_,comdat
.Lfunc_end357:
	.size	_ZN7rocprim17ROCPRIM_400000_NS6detail17trampoline_kernelINS0_14default_configENS1_35radix_sort_onesweep_config_selectorIiNS0_10empty_typeEEEZZNS1_29radix_sort_onesweep_iterationIS3_Lb1EN6thrust23THRUST_200600_302600_NS6detail15normal_iteratorINS9_10device_ptrIiEEEESE_PS5_SF_jNS0_19identity_decomposerENS1_16block_id_wrapperIjLb1EEEEE10hipError_tT1_PNSt15iterator_traitsISK_E10value_typeET2_T3_PNSL_ISQ_E10value_typeET4_T5_PSV_SW_PNS1_23onesweep_lookback_stateEbbT6_jjT7_P12ihipStream_tbENKUlT_T0_SK_SP_E_clIPiSE_SF_SF_EEDaS13_S14_SK_SP_EUlS13_E_NS1_11comp_targetILNS1_3genE2ELNS1_11target_archE906ELNS1_3gpuE6ELNS1_3repE0EEENS1_47radix_sort_onesweep_sort_config_static_selectorELNS0_4arch9wavefront6targetE1EEEvSK_, .Lfunc_end357-_ZN7rocprim17ROCPRIM_400000_NS6detail17trampoline_kernelINS0_14default_configENS1_35radix_sort_onesweep_config_selectorIiNS0_10empty_typeEEEZZNS1_29radix_sort_onesweep_iterationIS3_Lb1EN6thrust23THRUST_200600_302600_NS6detail15normal_iteratorINS9_10device_ptrIiEEEESE_PS5_SF_jNS0_19identity_decomposerENS1_16block_id_wrapperIjLb1EEEEE10hipError_tT1_PNSt15iterator_traitsISK_E10value_typeET2_T3_PNSL_ISQ_E10value_typeET4_T5_PSV_SW_PNS1_23onesweep_lookback_stateEbbT6_jjT7_P12ihipStream_tbENKUlT_T0_SK_SP_E_clIPiSE_SF_SF_EEDaS13_S14_SK_SP_EUlS13_E_NS1_11comp_targetILNS1_3genE2ELNS1_11target_archE906ELNS1_3gpuE6ELNS1_3repE0EEENS1_47radix_sort_onesweep_sort_config_static_selectorELNS0_4arch9wavefront6targetE1EEEvSK_
                                        ; -- End function
	.set _ZN7rocprim17ROCPRIM_400000_NS6detail17trampoline_kernelINS0_14default_configENS1_35radix_sort_onesweep_config_selectorIiNS0_10empty_typeEEEZZNS1_29radix_sort_onesweep_iterationIS3_Lb1EN6thrust23THRUST_200600_302600_NS6detail15normal_iteratorINS9_10device_ptrIiEEEESE_PS5_SF_jNS0_19identity_decomposerENS1_16block_id_wrapperIjLb1EEEEE10hipError_tT1_PNSt15iterator_traitsISK_E10value_typeET2_T3_PNSL_ISQ_E10value_typeET4_T5_PSV_SW_PNS1_23onesweep_lookback_stateEbbT6_jjT7_P12ihipStream_tbENKUlT_T0_SK_SP_E_clIPiSE_SF_SF_EEDaS13_S14_SK_SP_EUlS13_E_NS1_11comp_targetILNS1_3genE2ELNS1_11target_archE906ELNS1_3gpuE6ELNS1_3repE0EEENS1_47radix_sort_onesweep_sort_config_static_selectorELNS0_4arch9wavefront6targetE1EEEvSK_.num_vgpr, 0
	.set _ZN7rocprim17ROCPRIM_400000_NS6detail17trampoline_kernelINS0_14default_configENS1_35radix_sort_onesweep_config_selectorIiNS0_10empty_typeEEEZZNS1_29radix_sort_onesweep_iterationIS3_Lb1EN6thrust23THRUST_200600_302600_NS6detail15normal_iteratorINS9_10device_ptrIiEEEESE_PS5_SF_jNS0_19identity_decomposerENS1_16block_id_wrapperIjLb1EEEEE10hipError_tT1_PNSt15iterator_traitsISK_E10value_typeET2_T3_PNSL_ISQ_E10value_typeET4_T5_PSV_SW_PNS1_23onesweep_lookback_stateEbbT6_jjT7_P12ihipStream_tbENKUlT_T0_SK_SP_E_clIPiSE_SF_SF_EEDaS13_S14_SK_SP_EUlS13_E_NS1_11comp_targetILNS1_3genE2ELNS1_11target_archE906ELNS1_3gpuE6ELNS1_3repE0EEENS1_47radix_sort_onesweep_sort_config_static_selectorELNS0_4arch9wavefront6targetE1EEEvSK_.num_agpr, 0
	.set _ZN7rocprim17ROCPRIM_400000_NS6detail17trampoline_kernelINS0_14default_configENS1_35radix_sort_onesweep_config_selectorIiNS0_10empty_typeEEEZZNS1_29radix_sort_onesweep_iterationIS3_Lb1EN6thrust23THRUST_200600_302600_NS6detail15normal_iteratorINS9_10device_ptrIiEEEESE_PS5_SF_jNS0_19identity_decomposerENS1_16block_id_wrapperIjLb1EEEEE10hipError_tT1_PNSt15iterator_traitsISK_E10value_typeET2_T3_PNSL_ISQ_E10value_typeET4_T5_PSV_SW_PNS1_23onesweep_lookback_stateEbbT6_jjT7_P12ihipStream_tbENKUlT_T0_SK_SP_E_clIPiSE_SF_SF_EEDaS13_S14_SK_SP_EUlS13_E_NS1_11comp_targetILNS1_3genE2ELNS1_11target_archE906ELNS1_3gpuE6ELNS1_3repE0EEENS1_47radix_sort_onesweep_sort_config_static_selectorELNS0_4arch9wavefront6targetE1EEEvSK_.numbered_sgpr, 0
	.set _ZN7rocprim17ROCPRIM_400000_NS6detail17trampoline_kernelINS0_14default_configENS1_35radix_sort_onesweep_config_selectorIiNS0_10empty_typeEEEZZNS1_29radix_sort_onesweep_iterationIS3_Lb1EN6thrust23THRUST_200600_302600_NS6detail15normal_iteratorINS9_10device_ptrIiEEEESE_PS5_SF_jNS0_19identity_decomposerENS1_16block_id_wrapperIjLb1EEEEE10hipError_tT1_PNSt15iterator_traitsISK_E10value_typeET2_T3_PNSL_ISQ_E10value_typeET4_T5_PSV_SW_PNS1_23onesweep_lookback_stateEbbT6_jjT7_P12ihipStream_tbENKUlT_T0_SK_SP_E_clIPiSE_SF_SF_EEDaS13_S14_SK_SP_EUlS13_E_NS1_11comp_targetILNS1_3genE2ELNS1_11target_archE906ELNS1_3gpuE6ELNS1_3repE0EEENS1_47radix_sort_onesweep_sort_config_static_selectorELNS0_4arch9wavefront6targetE1EEEvSK_.num_named_barrier, 0
	.set _ZN7rocprim17ROCPRIM_400000_NS6detail17trampoline_kernelINS0_14default_configENS1_35radix_sort_onesweep_config_selectorIiNS0_10empty_typeEEEZZNS1_29radix_sort_onesweep_iterationIS3_Lb1EN6thrust23THRUST_200600_302600_NS6detail15normal_iteratorINS9_10device_ptrIiEEEESE_PS5_SF_jNS0_19identity_decomposerENS1_16block_id_wrapperIjLb1EEEEE10hipError_tT1_PNSt15iterator_traitsISK_E10value_typeET2_T3_PNSL_ISQ_E10value_typeET4_T5_PSV_SW_PNS1_23onesweep_lookback_stateEbbT6_jjT7_P12ihipStream_tbENKUlT_T0_SK_SP_E_clIPiSE_SF_SF_EEDaS13_S14_SK_SP_EUlS13_E_NS1_11comp_targetILNS1_3genE2ELNS1_11target_archE906ELNS1_3gpuE6ELNS1_3repE0EEENS1_47radix_sort_onesweep_sort_config_static_selectorELNS0_4arch9wavefront6targetE1EEEvSK_.private_seg_size, 0
	.set _ZN7rocprim17ROCPRIM_400000_NS6detail17trampoline_kernelINS0_14default_configENS1_35radix_sort_onesweep_config_selectorIiNS0_10empty_typeEEEZZNS1_29radix_sort_onesweep_iterationIS3_Lb1EN6thrust23THRUST_200600_302600_NS6detail15normal_iteratorINS9_10device_ptrIiEEEESE_PS5_SF_jNS0_19identity_decomposerENS1_16block_id_wrapperIjLb1EEEEE10hipError_tT1_PNSt15iterator_traitsISK_E10value_typeET2_T3_PNSL_ISQ_E10value_typeET4_T5_PSV_SW_PNS1_23onesweep_lookback_stateEbbT6_jjT7_P12ihipStream_tbENKUlT_T0_SK_SP_E_clIPiSE_SF_SF_EEDaS13_S14_SK_SP_EUlS13_E_NS1_11comp_targetILNS1_3genE2ELNS1_11target_archE906ELNS1_3gpuE6ELNS1_3repE0EEENS1_47radix_sort_onesweep_sort_config_static_selectorELNS0_4arch9wavefront6targetE1EEEvSK_.uses_vcc, 0
	.set _ZN7rocprim17ROCPRIM_400000_NS6detail17trampoline_kernelINS0_14default_configENS1_35radix_sort_onesweep_config_selectorIiNS0_10empty_typeEEEZZNS1_29radix_sort_onesweep_iterationIS3_Lb1EN6thrust23THRUST_200600_302600_NS6detail15normal_iteratorINS9_10device_ptrIiEEEESE_PS5_SF_jNS0_19identity_decomposerENS1_16block_id_wrapperIjLb1EEEEE10hipError_tT1_PNSt15iterator_traitsISK_E10value_typeET2_T3_PNSL_ISQ_E10value_typeET4_T5_PSV_SW_PNS1_23onesweep_lookback_stateEbbT6_jjT7_P12ihipStream_tbENKUlT_T0_SK_SP_E_clIPiSE_SF_SF_EEDaS13_S14_SK_SP_EUlS13_E_NS1_11comp_targetILNS1_3genE2ELNS1_11target_archE906ELNS1_3gpuE6ELNS1_3repE0EEENS1_47radix_sort_onesweep_sort_config_static_selectorELNS0_4arch9wavefront6targetE1EEEvSK_.uses_flat_scratch, 0
	.set _ZN7rocprim17ROCPRIM_400000_NS6detail17trampoline_kernelINS0_14default_configENS1_35radix_sort_onesweep_config_selectorIiNS0_10empty_typeEEEZZNS1_29radix_sort_onesweep_iterationIS3_Lb1EN6thrust23THRUST_200600_302600_NS6detail15normal_iteratorINS9_10device_ptrIiEEEESE_PS5_SF_jNS0_19identity_decomposerENS1_16block_id_wrapperIjLb1EEEEE10hipError_tT1_PNSt15iterator_traitsISK_E10value_typeET2_T3_PNSL_ISQ_E10value_typeET4_T5_PSV_SW_PNS1_23onesweep_lookback_stateEbbT6_jjT7_P12ihipStream_tbENKUlT_T0_SK_SP_E_clIPiSE_SF_SF_EEDaS13_S14_SK_SP_EUlS13_E_NS1_11comp_targetILNS1_3genE2ELNS1_11target_archE906ELNS1_3gpuE6ELNS1_3repE0EEENS1_47radix_sort_onesweep_sort_config_static_selectorELNS0_4arch9wavefront6targetE1EEEvSK_.has_dyn_sized_stack, 0
	.set _ZN7rocprim17ROCPRIM_400000_NS6detail17trampoline_kernelINS0_14default_configENS1_35radix_sort_onesweep_config_selectorIiNS0_10empty_typeEEEZZNS1_29radix_sort_onesweep_iterationIS3_Lb1EN6thrust23THRUST_200600_302600_NS6detail15normal_iteratorINS9_10device_ptrIiEEEESE_PS5_SF_jNS0_19identity_decomposerENS1_16block_id_wrapperIjLb1EEEEE10hipError_tT1_PNSt15iterator_traitsISK_E10value_typeET2_T3_PNSL_ISQ_E10value_typeET4_T5_PSV_SW_PNS1_23onesweep_lookback_stateEbbT6_jjT7_P12ihipStream_tbENKUlT_T0_SK_SP_E_clIPiSE_SF_SF_EEDaS13_S14_SK_SP_EUlS13_E_NS1_11comp_targetILNS1_3genE2ELNS1_11target_archE906ELNS1_3gpuE6ELNS1_3repE0EEENS1_47radix_sort_onesweep_sort_config_static_selectorELNS0_4arch9wavefront6targetE1EEEvSK_.has_recursion, 0
	.set _ZN7rocprim17ROCPRIM_400000_NS6detail17trampoline_kernelINS0_14default_configENS1_35radix_sort_onesweep_config_selectorIiNS0_10empty_typeEEEZZNS1_29radix_sort_onesweep_iterationIS3_Lb1EN6thrust23THRUST_200600_302600_NS6detail15normal_iteratorINS9_10device_ptrIiEEEESE_PS5_SF_jNS0_19identity_decomposerENS1_16block_id_wrapperIjLb1EEEEE10hipError_tT1_PNSt15iterator_traitsISK_E10value_typeET2_T3_PNSL_ISQ_E10value_typeET4_T5_PSV_SW_PNS1_23onesweep_lookback_stateEbbT6_jjT7_P12ihipStream_tbENKUlT_T0_SK_SP_E_clIPiSE_SF_SF_EEDaS13_S14_SK_SP_EUlS13_E_NS1_11comp_targetILNS1_3genE2ELNS1_11target_archE906ELNS1_3gpuE6ELNS1_3repE0EEENS1_47radix_sort_onesweep_sort_config_static_selectorELNS0_4arch9wavefront6targetE1EEEvSK_.has_indirect_call, 0
	.section	.AMDGPU.csdata,"",@progbits
; Kernel info:
; codeLenInByte = 0
; TotalNumSgprs: 6
; NumVgprs: 0
; NumAgprs: 0
; TotalNumVgprs: 0
; ScratchSize: 0
; MemoryBound: 0
; FloatMode: 240
; IeeeMode: 1
; LDSByteSize: 0 bytes/workgroup (compile time only)
; SGPRBlocks: 0
; VGPRBlocks: 0
; NumSGPRsForWavesPerEU: 6
; NumVGPRsForWavesPerEU: 1
; AccumOffset: 4
; Occupancy: 8
; WaveLimiterHint : 0
; COMPUTE_PGM_RSRC2:SCRATCH_EN: 0
; COMPUTE_PGM_RSRC2:USER_SGPR: 2
; COMPUTE_PGM_RSRC2:TRAP_HANDLER: 0
; COMPUTE_PGM_RSRC2:TGID_X_EN: 1
; COMPUTE_PGM_RSRC2:TGID_Y_EN: 0
; COMPUTE_PGM_RSRC2:TGID_Z_EN: 0
; COMPUTE_PGM_RSRC2:TIDIG_COMP_CNT: 0
; COMPUTE_PGM_RSRC3_GFX90A:ACCUM_OFFSET: 0
; COMPUTE_PGM_RSRC3_GFX90A:TG_SPLIT: 0
	.section	.text._ZN7rocprim17ROCPRIM_400000_NS6detail17trampoline_kernelINS0_14default_configENS1_35radix_sort_onesweep_config_selectorIiNS0_10empty_typeEEEZZNS1_29radix_sort_onesweep_iterationIS3_Lb1EN6thrust23THRUST_200600_302600_NS6detail15normal_iteratorINS9_10device_ptrIiEEEESE_PS5_SF_jNS0_19identity_decomposerENS1_16block_id_wrapperIjLb1EEEEE10hipError_tT1_PNSt15iterator_traitsISK_E10value_typeET2_T3_PNSL_ISQ_E10value_typeET4_T5_PSV_SW_PNS1_23onesweep_lookback_stateEbbT6_jjT7_P12ihipStream_tbENKUlT_T0_SK_SP_E_clIPiSE_SF_SF_EEDaS13_S14_SK_SP_EUlS13_E_NS1_11comp_targetILNS1_3genE4ELNS1_11target_archE910ELNS1_3gpuE8ELNS1_3repE0EEENS1_47radix_sort_onesweep_sort_config_static_selectorELNS0_4arch9wavefront6targetE1EEEvSK_,"axG",@progbits,_ZN7rocprim17ROCPRIM_400000_NS6detail17trampoline_kernelINS0_14default_configENS1_35radix_sort_onesweep_config_selectorIiNS0_10empty_typeEEEZZNS1_29radix_sort_onesweep_iterationIS3_Lb1EN6thrust23THRUST_200600_302600_NS6detail15normal_iteratorINS9_10device_ptrIiEEEESE_PS5_SF_jNS0_19identity_decomposerENS1_16block_id_wrapperIjLb1EEEEE10hipError_tT1_PNSt15iterator_traitsISK_E10value_typeET2_T3_PNSL_ISQ_E10value_typeET4_T5_PSV_SW_PNS1_23onesweep_lookback_stateEbbT6_jjT7_P12ihipStream_tbENKUlT_T0_SK_SP_E_clIPiSE_SF_SF_EEDaS13_S14_SK_SP_EUlS13_E_NS1_11comp_targetILNS1_3genE4ELNS1_11target_archE910ELNS1_3gpuE8ELNS1_3repE0EEENS1_47radix_sort_onesweep_sort_config_static_selectorELNS0_4arch9wavefront6targetE1EEEvSK_,comdat
	.protected	_ZN7rocprim17ROCPRIM_400000_NS6detail17trampoline_kernelINS0_14default_configENS1_35radix_sort_onesweep_config_selectorIiNS0_10empty_typeEEEZZNS1_29radix_sort_onesweep_iterationIS3_Lb1EN6thrust23THRUST_200600_302600_NS6detail15normal_iteratorINS9_10device_ptrIiEEEESE_PS5_SF_jNS0_19identity_decomposerENS1_16block_id_wrapperIjLb1EEEEE10hipError_tT1_PNSt15iterator_traitsISK_E10value_typeET2_T3_PNSL_ISQ_E10value_typeET4_T5_PSV_SW_PNS1_23onesweep_lookback_stateEbbT6_jjT7_P12ihipStream_tbENKUlT_T0_SK_SP_E_clIPiSE_SF_SF_EEDaS13_S14_SK_SP_EUlS13_E_NS1_11comp_targetILNS1_3genE4ELNS1_11target_archE910ELNS1_3gpuE8ELNS1_3repE0EEENS1_47radix_sort_onesweep_sort_config_static_selectorELNS0_4arch9wavefront6targetE1EEEvSK_ ; -- Begin function _ZN7rocprim17ROCPRIM_400000_NS6detail17trampoline_kernelINS0_14default_configENS1_35radix_sort_onesweep_config_selectorIiNS0_10empty_typeEEEZZNS1_29radix_sort_onesweep_iterationIS3_Lb1EN6thrust23THRUST_200600_302600_NS6detail15normal_iteratorINS9_10device_ptrIiEEEESE_PS5_SF_jNS0_19identity_decomposerENS1_16block_id_wrapperIjLb1EEEEE10hipError_tT1_PNSt15iterator_traitsISK_E10value_typeET2_T3_PNSL_ISQ_E10value_typeET4_T5_PSV_SW_PNS1_23onesweep_lookback_stateEbbT6_jjT7_P12ihipStream_tbENKUlT_T0_SK_SP_E_clIPiSE_SF_SF_EEDaS13_S14_SK_SP_EUlS13_E_NS1_11comp_targetILNS1_3genE4ELNS1_11target_archE910ELNS1_3gpuE8ELNS1_3repE0EEENS1_47radix_sort_onesweep_sort_config_static_selectorELNS0_4arch9wavefront6targetE1EEEvSK_
	.globl	_ZN7rocprim17ROCPRIM_400000_NS6detail17trampoline_kernelINS0_14default_configENS1_35radix_sort_onesweep_config_selectorIiNS0_10empty_typeEEEZZNS1_29radix_sort_onesweep_iterationIS3_Lb1EN6thrust23THRUST_200600_302600_NS6detail15normal_iteratorINS9_10device_ptrIiEEEESE_PS5_SF_jNS0_19identity_decomposerENS1_16block_id_wrapperIjLb1EEEEE10hipError_tT1_PNSt15iterator_traitsISK_E10value_typeET2_T3_PNSL_ISQ_E10value_typeET4_T5_PSV_SW_PNS1_23onesweep_lookback_stateEbbT6_jjT7_P12ihipStream_tbENKUlT_T0_SK_SP_E_clIPiSE_SF_SF_EEDaS13_S14_SK_SP_EUlS13_E_NS1_11comp_targetILNS1_3genE4ELNS1_11target_archE910ELNS1_3gpuE8ELNS1_3repE0EEENS1_47radix_sort_onesweep_sort_config_static_selectorELNS0_4arch9wavefront6targetE1EEEvSK_
	.p2align	8
	.type	_ZN7rocprim17ROCPRIM_400000_NS6detail17trampoline_kernelINS0_14default_configENS1_35radix_sort_onesweep_config_selectorIiNS0_10empty_typeEEEZZNS1_29radix_sort_onesweep_iterationIS3_Lb1EN6thrust23THRUST_200600_302600_NS6detail15normal_iteratorINS9_10device_ptrIiEEEESE_PS5_SF_jNS0_19identity_decomposerENS1_16block_id_wrapperIjLb1EEEEE10hipError_tT1_PNSt15iterator_traitsISK_E10value_typeET2_T3_PNSL_ISQ_E10value_typeET4_T5_PSV_SW_PNS1_23onesweep_lookback_stateEbbT6_jjT7_P12ihipStream_tbENKUlT_T0_SK_SP_E_clIPiSE_SF_SF_EEDaS13_S14_SK_SP_EUlS13_E_NS1_11comp_targetILNS1_3genE4ELNS1_11target_archE910ELNS1_3gpuE8ELNS1_3repE0EEENS1_47radix_sort_onesweep_sort_config_static_selectorELNS0_4arch9wavefront6targetE1EEEvSK_,@function
_ZN7rocprim17ROCPRIM_400000_NS6detail17trampoline_kernelINS0_14default_configENS1_35radix_sort_onesweep_config_selectorIiNS0_10empty_typeEEEZZNS1_29radix_sort_onesweep_iterationIS3_Lb1EN6thrust23THRUST_200600_302600_NS6detail15normal_iteratorINS9_10device_ptrIiEEEESE_PS5_SF_jNS0_19identity_decomposerENS1_16block_id_wrapperIjLb1EEEEE10hipError_tT1_PNSt15iterator_traitsISK_E10value_typeET2_T3_PNSL_ISQ_E10value_typeET4_T5_PSV_SW_PNS1_23onesweep_lookback_stateEbbT6_jjT7_P12ihipStream_tbENKUlT_T0_SK_SP_E_clIPiSE_SF_SF_EEDaS13_S14_SK_SP_EUlS13_E_NS1_11comp_targetILNS1_3genE4ELNS1_11target_archE910ELNS1_3gpuE8ELNS1_3repE0EEENS1_47radix_sort_onesweep_sort_config_static_selectorELNS0_4arch9wavefront6targetE1EEEvSK_: ; @_ZN7rocprim17ROCPRIM_400000_NS6detail17trampoline_kernelINS0_14default_configENS1_35radix_sort_onesweep_config_selectorIiNS0_10empty_typeEEEZZNS1_29radix_sort_onesweep_iterationIS3_Lb1EN6thrust23THRUST_200600_302600_NS6detail15normal_iteratorINS9_10device_ptrIiEEEESE_PS5_SF_jNS0_19identity_decomposerENS1_16block_id_wrapperIjLb1EEEEE10hipError_tT1_PNSt15iterator_traitsISK_E10value_typeET2_T3_PNSL_ISQ_E10value_typeET4_T5_PSV_SW_PNS1_23onesweep_lookback_stateEbbT6_jjT7_P12ihipStream_tbENKUlT_T0_SK_SP_E_clIPiSE_SF_SF_EEDaS13_S14_SK_SP_EUlS13_E_NS1_11comp_targetILNS1_3genE4ELNS1_11target_archE910ELNS1_3gpuE8ELNS1_3repE0EEENS1_47radix_sort_onesweep_sort_config_static_selectorELNS0_4arch9wavefront6targetE1EEEvSK_
; %bb.0:
	.section	.rodata,"a",@progbits
	.p2align	6, 0x0
	.amdhsa_kernel _ZN7rocprim17ROCPRIM_400000_NS6detail17trampoline_kernelINS0_14default_configENS1_35radix_sort_onesweep_config_selectorIiNS0_10empty_typeEEEZZNS1_29radix_sort_onesweep_iterationIS3_Lb1EN6thrust23THRUST_200600_302600_NS6detail15normal_iteratorINS9_10device_ptrIiEEEESE_PS5_SF_jNS0_19identity_decomposerENS1_16block_id_wrapperIjLb1EEEEE10hipError_tT1_PNSt15iterator_traitsISK_E10value_typeET2_T3_PNSL_ISQ_E10value_typeET4_T5_PSV_SW_PNS1_23onesweep_lookback_stateEbbT6_jjT7_P12ihipStream_tbENKUlT_T0_SK_SP_E_clIPiSE_SF_SF_EEDaS13_S14_SK_SP_EUlS13_E_NS1_11comp_targetILNS1_3genE4ELNS1_11target_archE910ELNS1_3gpuE8ELNS1_3repE0EEENS1_47radix_sort_onesweep_sort_config_static_selectorELNS0_4arch9wavefront6targetE1EEEvSK_
		.amdhsa_group_segment_fixed_size 0
		.amdhsa_private_segment_fixed_size 0
		.amdhsa_kernarg_size 88
		.amdhsa_user_sgpr_count 2
		.amdhsa_user_sgpr_dispatch_ptr 0
		.amdhsa_user_sgpr_queue_ptr 0
		.amdhsa_user_sgpr_kernarg_segment_ptr 1
		.amdhsa_user_sgpr_dispatch_id 0
		.amdhsa_user_sgpr_kernarg_preload_length 0
		.amdhsa_user_sgpr_kernarg_preload_offset 0
		.amdhsa_user_sgpr_private_segment_size 0
		.amdhsa_uses_dynamic_stack 0
		.amdhsa_enable_private_segment 0
		.amdhsa_system_sgpr_workgroup_id_x 1
		.amdhsa_system_sgpr_workgroup_id_y 0
		.amdhsa_system_sgpr_workgroup_id_z 0
		.amdhsa_system_sgpr_workgroup_info 0
		.amdhsa_system_vgpr_workitem_id 0
		.amdhsa_next_free_vgpr 1
		.amdhsa_next_free_sgpr 0
		.amdhsa_accum_offset 4
		.amdhsa_reserve_vcc 0
		.amdhsa_float_round_mode_32 0
		.amdhsa_float_round_mode_16_64 0
		.amdhsa_float_denorm_mode_32 3
		.amdhsa_float_denorm_mode_16_64 3
		.amdhsa_dx10_clamp 1
		.amdhsa_ieee_mode 1
		.amdhsa_fp16_overflow 0
		.amdhsa_tg_split 0
		.amdhsa_exception_fp_ieee_invalid_op 0
		.amdhsa_exception_fp_denorm_src 0
		.amdhsa_exception_fp_ieee_div_zero 0
		.amdhsa_exception_fp_ieee_overflow 0
		.amdhsa_exception_fp_ieee_underflow 0
		.amdhsa_exception_fp_ieee_inexact 0
		.amdhsa_exception_int_div_zero 0
	.end_amdhsa_kernel
	.section	.text._ZN7rocprim17ROCPRIM_400000_NS6detail17trampoline_kernelINS0_14default_configENS1_35radix_sort_onesweep_config_selectorIiNS0_10empty_typeEEEZZNS1_29radix_sort_onesweep_iterationIS3_Lb1EN6thrust23THRUST_200600_302600_NS6detail15normal_iteratorINS9_10device_ptrIiEEEESE_PS5_SF_jNS0_19identity_decomposerENS1_16block_id_wrapperIjLb1EEEEE10hipError_tT1_PNSt15iterator_traitsISK_E10value_typeET2_T3_PNSL_ISQ_E10value_typeET4_T5_PSV_SW_PNS1_23onesweep_lookback_stateEbbT6_jjT7_P12ihipStream_tbENKUlT_T0_SK_SP_E_clIPiSE_SF_SF_EEDaS13_S14_SK_SP_EUlS13_E_NS1_11comp_targetILNS1_3genE4ELNS1_11target_archE910ELNS1_3gpuE8ELNS1_3repE0EEENS1_47radix_sort_onesweep_sort_config_static_selectorELNS0_4arch9wavefront6targetE1EEEvSK_,"axG",@progbits,_ZN7rocprim17ROCPRIM_400000_NS6detail17trampoline_kernelINS0_14default_configENS1_35radix_sort_onesweep_config_selectorIiNS0_10empty_typeEEEZZNS1_29radix_sort_onesweep_iterationIS3_Lb1EN6thrust23THRUST_200600_302600_NS6detail15normal_iteratorINS9_10device_ptrIiEEEESE_PS5_SF_jNS0_19identity_decomposerENS1_16block_id_wrapperIjLb1EEEEE10hipError_tT1_PNSt15iterator_traitsISK_E10value_typeET2_T3_PNSL_ISQ_E10value_typeET4_T5_PSV_SW_PNS1_23onesweep_lookback_stateEbbT6_jjT7_P12ihipStream_tbENKUlT_T0_SK_SP_E_clIPiSE_SF_SF_EEDaS13_S14_SK_SP_EUlS13_E_NS1_11comp_targetILNS1_3genE4ELNS1_11target_archE910ELNS1_3gpuE8ELNS1_3repE0EEENS1_47radix_sort_onesweep_sort_config_static_selectorELNS0_4arch9wavefront6targetE1EEEvSK_,comdat
.Lfunc_end358:
	.size	_ZN7rocprim17ROCPRIM_400000_NS6detail17trampoline_kernelINS0_14default_configENS1_35radix_sort_onesweep_config_selectorIiNS0_10empty_typeEEEZZNS1_29radix_sort_onesweep_iterationIS3_Lb1EN6thrust23THRUST_200600_302600_NS6detail15normal_iteratorINS9_10device_ptrIiEEEESE_PS5_SF_jNS0_19identity_decomposerENS1_16block_id_wrapperIjLb1EEEEE10hipError_tT1_PNSt15iterator_traitsISK_E10value_typeET2_T3_PNSL_ISQ_E10value_typeET4_T5_PSV_SW_PNS1_23onesweep_lookback_stateEbbT6_jjT7_P12ihipStream_tbENKUlT_T0_SK_SP_E_clIPiSE_SF_SF_EEDaS13_S14_SK_SP_EUlS13_E_NS1_11comp_targetILNS1_3genE4ELNS1_11target_archE910ELNS1_3gpuE8ELNS1_3repE0EEENS1_47radix_sort_onesweep_sort_config_static_selectorELNS0_4arch9wavefront6targetE1EEEvSK_, .Lfunc_end358-_ZN7rocprim17ROCPRIM_400000_NS6detail17trampoline_kernelINS0_14default_configENS1_35radix_sort_onesweep_config_selectorIiNS0_10empty_typeEEEZZNS1_29radix_sort_onesweep_iterationIS3_Lb1EN6thrust23THRUST_200600_302600_NS6detail15normal_iteratorINS9_10device_ptrIiEEEESE_PS5_SF_jNS0_19identity_decomposerENS1_16block_id_wrapperIjLb1EEEEE10hipError_tT1_PNSt15iterator_traitsISK_E10value_typeET2_T3_PNSL_ISQ_E10value_typeET4_T5_PSV_SW_PNS1_23onesweep_lookback_stateEbbT6_jjT7_P12ihipStream_tbENKUlT_T0_SK_SP_E_clIPiSE_SF_SF_EEDaS13_S14_SK_SP_EUlS13_E_NS1_11comp_targetILNS1_3genE4ELNS1_11target_archE910ELNS1_3gpuE8ELNS1_3repE0EEENS1_47radix_sort_onesweep_sort_config_static_selectorELNS0_4arch9wavefront6targetE1EEEvSK_
                                        ; -- End function
	.set _ZN7rocprim17ROCPRIM_400000_NS6detail17trampoline_kernelINS0_14default_configENS1_35radix_sort_onesweep_config_selectorIiNS0_10empty_typeEEEZZNS1_29radix_sort_onesweep_iterationIS3_Lb1EN6thrust23THRUST_200600_302600_NS6detail15normal_iteratorINS9_10device_ptrIiEEEESE_PS5_SF_jNS0_19identity_decomposerENS1_16block_id_wrapperIjLb1EEEEE10hipError_tT1_PNSt15iterator_traitsISK_E10value_typeET2_T3_PNSL_ISQ_E10value_typeET4_T5_PSV_SW_PNS1_23onesweep_lookback_stateEbbT6_jjT7_P12ihipStream_tbENKUlT_T0_SK_SP_E_clIPiSE_SF_SF_EEDaS13_S14_SK_SP_EUlS13_E_NS1_11comp_targetILNS1_3genE4ELNS1_11target_archE910ELNS1_3gpuE8ELNS1_3repE0EEENS1_47radix_sort_onesweep_sort_config_static_selectorELNS0_4arch9wavefront6targetE1EEEvSK_.num_vgpr, 0
	.set _ZN7rocprim17ROCPRIM_400000_NS6detail17trampoline_kernelINS0_14default_configENS1_35radix_sort_onesweep_config_selectorIiNS0_10empty_typeEEEZZNS1_29radix_sort_onesweep_iterationIS3_Lb1EN6thrust23THRUST_200600_302600_NS6detail15normal_iteratorINS9_10device_ptrIiEEEESE_PS5_SF_jNS0_19identity_decomposerENS1_16block_id_wrapperIjLb1EEEEE10hipError_tT1_PNSt15iterator_traitsISK_E10value_typeET2_T3_PNSL_ISQ_E10value_typeET4_T5_PSV_SW_PNS1_23onesweep_lookback_stateEbbT6_jjT7_P12ihipStream_tbENKUlT_T0_SK_SP_E_clIPiSE_SF_SF_EEDaS13_S14_SK_SP_EUlS13_E_NS1_11comp_targetILNS1_3genE4ELNS1_11target_archE910ELNS1_3gpuE8ELNS1_3repE0EEENS1_47radix_sort_onesweep_sort_config_static_selectorELNS0_4arch9wavefront6targetE1EEEvSK_.num_agpr, 0
	.set _ZN7rocprim17ROCPRIM_400000_NS6detail17trampoline_kernelINS0_14default_configENS1_35radix_sort_onesweep_config_selectorIiNS0_10empty_typeEEEZZNS1_29radix_sort_onesweep_iterationIS3_Lb1EN6thrust23THRUST_200600_302600_NS6detail15normal_iteratorINS9_10device_ptrIiEEEESE_PS5_SF_jNS0_19identity_decomposerENS1_16block_id_wrapperIjLb1EEEEE10hipError_tT1_PNSt15iterator_traitsISK_E10value_typeET2_T3_PNSL_ISQ_E10value_typeET4_T5_PSV_SW_PNS1_23onesweep_lookback_stateEbbT6_jjT7_P12ihipStream_tbENKUlT_T0_SK_SP_E_clIPiSE_SF_SF_EEDaS13_S14_SK_SP_EUlS13_E_NS1_11comp_targetILNS1_3genE4ELNS1_11target_archE910ELNS1_3gpuE8ELNS1_3repE0EEENS1_47radix_sort_onesweep_sort_config_static_selectorELNS0_4arch9wavefront6targetE1EEEvSK_.numbered_sgpr, 0
	.set _ZN7rocprim17ROCPRIM_400000_NS6detail17trampoline_kernelINS0_14default_configENS1_35radix_sort_onesweep_config_selectorIiNS0_10empty_typeEEEZZNS1_29radix_sort_onesweep_iterationIS3_Lb1EN6thrust23THRUST_200600_302600_NS6detail15normal_iteratorINS9_10device_ptrIiEEEESE_PS5_SF_jNS0_19identity_decomposerENS1_16block_id_wrapperIjLb1EEEEE10hipError_tT1_PNSt15iterator_traitsISK_E10value_typeET2_T3_PNSL_ISQ_E10value_typeET4_T5_PSV_SW_PNS1_23onesweep_lookback_stateEbbT6_jjT7_P12ihipStream_tbENKUlT_T0_SK_SP_E_clIPiSE_SF_SF_EEDaS13_S14_SK_SP_EUlS13_E_NS1_11comp_targetILNS1_3genE4ELNS1_11target_archE910ELNS1_3gpuE8ELNS1_3repE0EEENS1_47radix_sort_onesweep_sort_config_static_selectorELNS0_4arch9wavefront6targetE1EEEvSK_.num_named_barrier, 0
	.set _ZN7rocprim17ROCPRIM_400000_NS6detail17trampoline_kernelINS0_14default_configENS1_35radix_sort_onesweep_config_selectorIiNS0_10empty_typeEEEZZNS1_29radix_sort_onesweep_iterationIS3_Lb1EN6thrust23THRUST_200600_302600_NS6detail15normal_iteratorINS9_10device_ptrIiEEEESE_PS5_SF_jNS0_19identity_decomposerENS1_16block_id_wrapperIjLb1EEEEE10hipError_tT1_PNSt15iterator_traitsISK_E10value_typeET2_T3_PNSL_ISQ_E10value_typeET4_T5_PSV_SW_PNS1_23onesweep_lookback_stateEbbT6_jjT7_P12ihipStream_tbENKUlT_T0_SK_SP_E_clIPiSE_SF_SF_EEDaS13_S14_SK_SP_EUlS13_E_NS1_11comp_targetILNS1_3genE4ELNS1_11target_archE910ELNS1_3gpuE8ELNS1_3repE0EEENS1_47radix_sort_onesweep_sort_config_static_selectorELNS0_4arch9wavefront6targetE1EEEvSK_.private_seg_size, 0
	.set _ZN7rocprim17ROCPRIM_400000_NS6detail17trampoline_kernelINS0_14default_configENS1_35radix_sort_onesweep_config_selectorIiNS0_10empty_typeEEEZZNS1_29radix_sort_onesweep_iterationIS3_Lb1EN6thrust23THRUST_200600_302600_NS6detail15normal_iteratorINS9_10device_ptrIiEEEESE_PS5_SF_jNS0_19identity_decomposerENS1_16block_id_wrapperIjLb1EEEEE10hipError_tT1_PNSt15iterator_traitsISK_E10value_typeET2_T3_PNSL_ISQ_E10value_typeET4_T5_PSV_SW_PNS1_23onesweep_lookback_stateEbbT6_jjT7_P12ihipStream_tbENKUlT_T0_SK_SP_E_clIPiSE_SF_SF_EEDaS13_S14_SK_SP_EUlS13_E_NS1_11comp_targetILNS1_3genE4ELNS1_11target_archE910ELNS1_3gpuE8ELNS1_3repE0EEENS1_47radix_sort_onesweep_sort_config_static_selectorELNS0_4arch9wavefront6targetE1EEEvSK_.uses_vcc, 0
	.set _ZN7rocprim17ROCPRIM_400000_NS6detail17trampoline_kernelINS0_14default_configENS1_35radix_sort_onesweep_config_selectorIiNS0_10empty_typeEEEZZNS1_29radix_sort_onesweep_iterationIS3_Lb1EN6thrust23THRUST_200600_302600_NS6detail15normal_iteratorINS9_10device_ptrIiEEEESE_PS5_SF_jNS0_19identity_decomposerENS1_16block_id_wrapperIjLb1EEEEE10hipError_tT1_PNSt15iterator_traitsISK_E10value_typeET2_T3_PNSL_ISQ_E10value_typeET4_T5_PSV_SW_PNS1_23onesweep_lookback_stateEbbT6_jjT7_P12ihipStream_tbENKUlT_T0_SK_SP_E_clIPiSE_SF_SF_EEDaS13_S14_SK_SP_EUlS13_E_NS1_11comp_targetILNS1_3genE4ELNS1_11target_archE910ELNS1_3gpuE8ELNS1_3repE0EEENS1_47radix_sort_onesweep_sort_config_static_selectorELNS0_4arch9wavefront6targetE1EEEvSK_.uses_flat_scratch, 0
	.set _ZN7rocprim17ROCPRIM_400000_NS6detail17trampoline_kernelINS0_14default_configENS1_35radix_sort_onesweep_config_selectorIiNS0_10empty_typeEEEZZNS1_29radix_sort_onesweep_iterationIS3_Lb1EN6thrust23THRUST_200600_302600_NS6detail15normal_iteratorINS9_10device_ptrIiEEEESE_PS5_SF_jNS0_19identity_decomposerENS1_16block_id_wrapperIjLb1EEEEE10hipError_tT1_PNSt15iterator_traitsISK_E10value_typeET2_T3_PNSL_ISQ_E10value_typeET4_T5_PSV_SW_PNS1_23onesweep_lookback_stateEbbT6_jjT7_P12ihipStream_tbENKUlT_T0_SK_SP_E_clIPiSE_SF_SF_EEDaS13_S14_SK_SP_EUlS13_E_NS1_11comp_targetILNS1_3genE4ELNS1_11target_archE910ELNS1_3gpuE8ELNS1_3repE0EEENS1_47radix_sort_onesweep_sort_config_static_selectorELNS0_4arch9wavefront6targetE1EEEvSK_.has_dyn_sized_stack, 0
	.set _ZN7rocprim17ROCPRIM_400000_NS6detail17trampoline_kernelINS0_14default_configENS1_35radix_sort_onesweep_config_selectorIiNS0_10empty_typeEEEZZNS1_29radix_sort_onesweep_iterationIS3_Lb1EN6thrust23THRUST_200600_302600_NS6detail15normal_iteratorINS9_10device_ptrIiEEEESE_PS5_SF_jNS0_19identity_decomposerENS1_16block_id_wrapperIjLb1EEEEE10hipError_tT1_PNSt15iterator_traitsISK_E10value_typeET2_T3_PNSL_ISQ_E10value_typeET4_T5_PSV_SW_PNS1_23onesweep_lookback_stateEbbT6_jjT7_P12ihipStream_tbENKUlT_T0_SK_SP_E_clIPiSE_SF_SF_EEDaS13_S14_SK_SP_EUlS13_E_NS1_11comp_targetILNS1_3genE4ELNS1_11target_archE910ELNS1_3gpuE8ELNS1_3repE0EEENS1_47radix_sort_onesweep_sort_config_static_selectorELNS0_4arch9wavefront6targetE1EEEvSK_.has_recursion, 0
	.set _ZN7rocprim17ROCPRIM_400000_NS6detail17trampoline_kernelINS0_14default_configENS1_35radix_sort_onesweep_config_selectorIiNS0_10empty_typeEEEZZNS1_29radix_sort_onesweep_iterationIS3_Lb1EN6thrust23THRUST_200600_302600_NS6detail15normal_iteratorINS9_10device_ptrIiEEEESE_PS5_SF_jNS0_19identity_decomposerENS1_16block_id_wrapperIjLb1EEEEE10hipError_tT1_PNSt15iterator_traitsISK_E10value_typeET2_T3_PNSL_ISQ_E10value_typeET4_T5_PSV_SW_PNS1_23onesweep_lookback_stateEbbT6_jjT7_P12ihipStream_tbENKUlT_T0_SK_SP_E_clIPiSE_SF_SF_EEDaS13_S14_SK_SP_EUlS13_E_NS1_11comp_targetILNS1_3genE4ELNS1_11target_archE910ELNS1_3gpuE8ELNS1_3repE0EEENS1_47radix_sort_onesweep_sort_config_static_selectorELNS0_4arch9wavefront6targetE1EEEvSK_.has_indirect_call, 0
	.section	.AMDGPU.csdata,"",@progbits
; Kernel info:
; codeLenInByte = 0
; TotalNumSgprs: 6
; NumVgprs: 0
; NumAgprs: 0
; TotalNumVgprs: 0
; ScratchSize: 0
; MemoryBound: 0
; FloatMode: 240
; IeeeMode: 1
; LDSByteSize: 0 bytes/workgroup (compile time only)
; SGPRBlocks: 0
; VGPRBlocks: 0
; NumSGPRsForWavesPerEU: 6
; NumVGPRsForWavesPerEU: 1
; AccumOffset: 4
; Occupancy: 8
; WaveLimiterHint : 0
; COMPUTE_PGM_RSRC2:SCRATCH_EN: 0
; COMPUTE_PGM_RSRC2:USER_SGPR: 2
; COMPUTE_PGM_RSRC2:TRAP_HANDLER: 0
; COMPUTE_PGM_RSRC2:TGID_X_EN: 1
; COMPUTE_PGM_RSRC2:TGID_Y_EN: 0
; COMPUTE_PGM_RSRC2:TGID_Z_EN: 0
; COMPUTE_PGM_RSRC2:TIDIG_COMP_CNT: 0
; COMPUTE_PGM_RSRC3_GFX90A:ACCUM_OFFSET: 0
; COMPUTE_PGM_RSRC3_GFX90A:TG_SPLIT: 0
	.section	.text._ZN7rocprim17ROCPRIM_400000_NS6detail17trampoline_kernelINS0_14default_configENS1_35radix_sort_onesweep_config_selectorIiNS0_10empty_typeEEEZZNS1_29radix_sort_onesweep_iterationIS3_Lb1EN6thrust23THRUST_200600_302600_NS6detail15normal_iteratorINS9_10device_ptrIiEEEESE_PS5_SF_jNS0_19identity_decomposerENS1_16block_id_wrapperIjLb1EEEEE10hipError_tT1_PNSt15iterator_traitsISK_E10value_typeET2_T3_PNSL_ISQ_E10value_typeET4_T5_PSV_SW_PNS1_23onesweep_lookback_stateEbbT6_jjT7_P12ihipStream_tbENKUlT_T0_SK_SP_E_clIPiSE_SF_SF_EEDaS13_S14_SK_SP_EUlS13_E_NS1_11comp_targetILNS1_3genE3ELNS1_11target_archE908ELNS1_3gpuE7ELNS1_3repE0EEENS1_47radix_sort_onesweep_sort_config_static_selectorELNS0_4arch9wavefront6targetE1EEEvSK_,"axG",@progbits,_ZN7rocprim17ROCPRIM_400000_NS6detail17trampoline_kernelINS0_14default_configENS1_35radix_sort_onesweep_config_selectorIiNS0_10empty_typeEEEZZNS1_29radix_sort_onesweep_iterationIS3_Lb1EN6thrust23THRUST_200600_302600_NS6detail15normal_iteratorINS9_10device_ptrIiEEEESE_PS5_SF_jNS0_19identity_decomposerENS1_16block_id_wrapperIjLb1EEEEE10hipError_tT1_PNSt15iterator_traitsISK_E10value_typeET2_T3_PNSL_ISQ_E10value_typeET4_T5_PSV_SW_PNS1_23onesweep_lookback_stateEbbT6_jjT7_P12ihipStream_tbENKUlT_T0_SK_SP_E_clIPiSE_SF_SF_EEDaS13_S14_SK_SP_EUlS13_E_NS1_11comp_targetILNS1_3genE3ELNS1_11target_archE908ELNS1_3gpuE7ELNS1_3repE0EEENS1_47radix_sort_onesweep_sort_config_static_selectorELNS0_4arch9wavefront6targetE1EEEvSK_,comdat
	.protected	_ZN7rocprim17ROCPRIM_400000_NS6detail17trampoline_kernelINS0_14default_configENS1_35radix_sort_onesweep_config_selectorIiNS0_10empty_typeEEEZZNS1_29radix_sort_onesweep_iterationIS3_Lb1EN6thrust23THRUST_200600_302600_NS6detail15normal_iteratorINS9_10device_ptrIiEEEESE_PS5_SF_jNS0_19identity_decomposerENS1_16block_id_wrapperIjLb1EEEEE10hipError_tT1_PNSt15iterator_traitsISK_E10value_typeET2_T3_PNSL_ISQ_E10value_typeET4_T5_PSV_SW_PNS1_23onesweep_lookback_stateEbbT6_jjT7_P12ihipStream_tbENKUlT_T0_SK_SP_E_clIPiSE_SF_SF_EEDaS13_S14_SK_SP_EUlS13_E_NS1_11comp_targetILNS1_3genE3ELNS1_11target_archE908ELNS1_3gpuE7ELNS1_3repE0EEENS1_47radix_sort_onesweep_sort_config_static_selectorELNS0_4arch9wavefront6targetE1EEEvSK_ ; -- Begin function _ZN7rocprim17ROCPRIM_400000_NS6detail17trampoline_kernelINS0_14default_configENS1_35radix_sort_onesweep_config_selectorIiNS0_10empty_typeEEEZZNS1_29radix_sort_onesweep_iterationIS3_Lb1EN6thrust23THRUST_200600_302600_NS6detail15normal_iteratorINS9_10device_ptrIiEEEESE_PS5_SF_jNS0_19identity_decomposerENS1_16block_id_wrapperIjLb1EEEEE10hipError_tT1_PNSt15iterator_traitsISK_E10value_typeET2_T3_PNSL_ISQ_E10value_typeET4_T5_PSV_SW_PNS1_23onesweep_lookback_stateEbbT6_jjT7_P12ihipStream_tbENKUlT_T0_SK_SP_E_clIPiSE_SF_SF_EEDaS13_S14_SK_SP_EUlS13_E_NS1_11comp_targetILNS1_3genE3ELNS1_11target_archE908ELNS1_3gpuE7ELNS1_3repE0EEENS1_47radix_sort_onesweep_sort_config_static_selectorELNS0_4arch9wavefront6targetE1EEEvSK_
	.globl	_ZN7rocprim17ROCPRIM_400000_NS6detail17trampoline_kernelINS0_14default_configENS1_35radix_sort_onesweep_config_selectorIiNS0_10empty_typeEEEZZNS1_29radix_sort_onesweep_iterationIS3_Lb1EN6thrust23THRUST_200600_302600_NS6detail15normal_iteratorINS9_10device_ptrIiEEEESE_PS5_SF_jNS0_19identity_decomposerENS1_16block_id_wrapperIjLb1EEEEE10hipError_tT1_PNSt15iterator_traitsISK_E10value_typeET2_T3_PNSL_ISQ_E10value_typeET4_T5_PSV_SW_PNS1_23onesweep_lookback_stateEbbT6_jjT7_P12ihipStream_tbENKUlT_T0_SK_SP_E_clIPiSE_SF_SF_EEDaS13_S14_SK_SP_EUlS13_E_NS1_11comp_targetILNS1_3genE3ELNS1_11target_archE908ELNS1_3gpuE7ELNS1_3repE0EEENS1_47radix_sort_onesweep_sort_config_static_selectorELNS0_4arch9wavefront6targetE1EEEvSK_
	.p2align	8
	.type	_ZN7rocprim17ROCPRIM_400000_NS6detail17trampoline_kernelINS0_14default_configENS1_35radix_sort_onesweep_config_selectorIiNS0_10empty_typeEEEZZNS1_29radix_sort_onesweep_iterationIS3_Lb1EN6thrust23THRUST_200600_302600_NS6detail15normal_iteratorINS9_10device_ptrIiEEEESE_PS5_SF_jNS0_19identity_decomposerENS1_16block_id_wrapperIjLb1EEEEE10hipError_tT1_PNSt15iterator_traitsISK_E10value_typeET2_T3_PNSL_ISQ_E10value_typeET4_T5_PSV_SW_PNS1_23onesweep_lookback_stateEbbT6_jjT7_P12ihipStream_tbENKUlT_T0_SK_SP_E_clIPiSE_SF_SF_EEDaS13_S14_SK_SP_EUlS13_E_NS1_11comp_targetILNS1_3genE3ELNS1_11target_archE908ELNS1_3gpuE7ELNS1_3repE0EEENS1_47radix_sort_onesweep_sort_config_static_selectorELNS0_4arch9wavefront6targetE1EEEvSK_,@function
_ZN7rocprim17ROCPRIM_400000_NS6detail17trampoline_kernelINS0_14default_configENS1_35radix_sort_onesweep_config_selectorIiNS0_10empty_typeEEEZZNS1_29radix_sort_onesweep_iterationIS3_Lb1EN6thrust23THRUST_200600_302600_NS6detail15normal_iteratorINS9_10device_ptrIiEEEESE_PS5_SF_jNS0_19identity_decomposerENS1_16block_id_wrapperIjLb1EEEEE10hipError_tT1_PNSt15iterator_traitsISK_E10value_typeET2_T3_PNSL_ISQ_E10value_typeET4_T5_PSV_SW_PNS1_23onesweep_lookback_stateEbbT6_jjT7_P12ihipStream_tbENKUlT_T0_SK_SP_E_clIPiSE_SF_SF_EEDaS13_S14_SK_SP_EUlS13_E_NS1_11comp_targetILNS1_3genE3ELNS1_11target_archE908ELNS1_3gpuE7ELNS1_3repE0EEENS1_47radix_sort_onesweep_sort_config_static_selectorELNS0_4arch9wavefront6targetE1EEEvSK_: ; @_ZN7rocprim17ROCPRIM_400000_NS6detail17trampoline_kernelINS0_14default_configENS1_35radix_sort_onesweep_config_selectorIiNS0_10empty_typeEEEZZNS1_29radix_sort_onesweep_iterationIS3_Lb1EN6thrust23THRUST_200600_302600_NS6detail15normal_iteratorINS9_10device_ptrIiEEEESE_PS5_SF_jNS0_19identity_decomposerENS1_16block_id_wrapperIjLb1EEEEE10hipError_tT1_PNSt15iterator_traitsISK_E10value_typeET2_T3_PNSL_ISQ_E10value_typeET4_T5_PSV_SW_PNS1_23onesweep_lookback_stateEbbT6_jjT7_P12ihipStream_tbENKUlT_T0_SK_SP_E_clIPiSE_SF_SF_EEDaS13_S14_SK_SP_EUlS13_E_NS1_11comp_targetILNS1_3genE3ELNS1_11target_archE908ELNS1_3gpuE7ELNS1_3repE0EEENS1_47radix_sort_onesweep_sort_config_static_selectorELNS0_4arch9wavefront6targetE1EEEvSK_
; %bb.0:
	.section	.rodata,"a",@progbits
	.p2align	6, 0x0
	.amdhsa_kernel _ZN7rocprim17ROCPRIM_400000_NS6detail17trampoline_kernelINS0_14default_configENS1_35radix_sort_onesweep_config_selectorIiNS0_10empty_typeEEEZZNS1_29radix_sort_onesweep_iterationIS3_Lb1EN6thrust23THRUST_200600_302600_NS6detail15normal_iteratorINS9_10device_ptrIiEEEESE_PS5_SF_jNS0_19identity_decomposerENS1_16block_id_wrapperIjLb1EEEEE10hipError_tT1_PNSt15iterator_traitsISK_E10value_typeET2_T3_PNSL_ISQ_E10value_typeET4_T5_PSV_SW_PNS1_23onesweep_lookback_stateEbbT6_jjT7_P12ihipStream_tbENKUlT_T0_SK_SP_E_clIPiSE_SF_SF_EEDaS13_S14_SK_SP_EUlS13_E_NS1_11comp_targetILNS1_3genE3ELNS1_11target_archE908ELNS1_3gpuE7ELNS1_3repE0EEENS1_47radix_sort_onesweep_sort_config_static_selectorELNS0_4arch9wavefront6targetE1EEEvSK_
		.amdhsa_group_segment_fixed_size 0
		.amdhsa_private_segment_fixed_size 0
		.amdhsa_kernarg_size 88
		.amdhsa_user_sgpr_count 2
		.amdhsa_user_sgpr_dispatch_ptr 0
		.amdhsa_user_sgpr_queue_ptr 0
		.amdhsa_user_sgpr_kernarg_segment_ptr 1
		.amdhsa_user_sgpr_dispatch_id 0
		.amdhsa_user_sgpr_kernarg_preload_length 0
		.amdhsa_user_sgpr_kernarg_preload_offset 0
		.amdhsa_user_sgpr_private_segment_size 0
		.amdhsa_uses_dynamic_stack 0
		.amdhsa_enable_private_segment 0
		.amdhsa_system_sgpr_workgroup_id_x 1
		.amdhsa_system_sgpr_workgroup_id_y 0
		.amdhsa_system_sgpr_workgroup_id_z 0
		.amdhsa_system_sgpr_workgroup_info 0
		.amdhsa_system_vgpr_workitem_id 0
		.amdhsa_next_free_vgpr 1
		.amdhsa_next_free_sgpr 0
		.amdhsa_accum_offset 4
		.amdhsa_reserve_vcc 0
		.amdhsa_float_round_mode_32 0
		.amdhsa_float_round_mode_16_64 0
		.amdhsa_float_denorm_mode_32 3
		.amdhsa_float_denorm_mode_16_64 3
		.amdhsa_dx10_clamp 1
		.amdhsa_ieee_mode 1
		.amdhsa_fp16_overflow 0
		.amdhsa_tg_split 0
		.amdhsa_exception_fp_ieee_invalid_op 0
		.amdhsa_exception_fp_denorm_src 0
		.amdhsa_exception_fp_ieee_div_zero 0
		.amdhsa_exception_fp_ieee_overflow 0
		.amdhsa_exception_fp_ieee_underflow 0
		.amdhsa_exception_fp_ieee_inexact 0
		.amdhsa_exception_int_div_zero 0
	.end_amdhsa_kernel
	.section	.text._ZN7rocprim17ROCPRIM_400000_NS6detail17trampoline_kernelINS0_14default_configENS1_35radix_sort_onesweep_config_selectorIiNS0_10empty_typeEEEZZNS1_29radix_sort_onesweep_iterationIS3_Lb1EN6thrust23THRUST_200600_302600_NS6detail15normal_iteratorINS9_10device_ptrIiEEEESE_PS5_SF_jNS0_19identity_decomposerENS1_16block_id_wrapperIjLb1EEEEE10hipError_tT1_PNSt15iterator_traitsISK_E10value_typeET2_T3_PNSL_ISQ_E10value_typeET4_T5_PSV_SW_PNS1_23onesweep_lookback_stateEbbT6_jjT7_P12ihipStream_tbENKUlT_T0_SK_SP_E_clIPiSE_SF_SF_EEDaS13_S14_SK_SP_EUlS13_E_NS1_11comp_targetILNS1_3genE3ELNS1_11target_archE908ELNS1_3gpuE7ELNS1_3repE0EEENS1_47radix_sort_onesweep_sort_config_static_selectorELNS0_4arch9wavefront6targetE1EEEvSK_,"axG",@progbits,_ZN7rocprim17ROCPRIM_400000_NS6detail17trampoline_kernelINS0_14default_configENS1_35radix_sort_onesweep_config_selectorIiNS0_10empty_typeEEEZZNS1_29radix_sort_onesweep_iterationIS3_Lb1EN6thrust23THRUST_200600_302600_NS6detail15normal_iteratorINS9_10device_ptrIiEEEESE_PS5_SF_jNS0_19identity_decomposerENS1_16block_id_wrapperIjLb1EEEEE10hipError_tT1_PNSt15iterator_traitsISK_E10value_typeET2_T3_PNSL_ISQ_E10value_typeET4_T5_PSV_SW_PNS1_23onesweep_lookback_stateEbbT6_jjT7_P12ihipStream_tbENKUlT_T0_SK_SP_E_clIPiSE_SF_SF_EEDaS13_S14_SK_SP_EUlS13_E_NS1_11comp_targetILNS1_3genE3ELNS1_11target_archE908ELNS1_3gpuE7ELNS1_3repE0EEENS1_47radix_sort_onesweep_sort_config_static_selectorELNS0_4arch9wavefront6targetE1EEEvSK_,comdat
.Lfunc_end359:
	.size	_ZN7rocprim17ROCPRIM_400000_NS6detail17trampoline_kernelINS0_14default_configENS1_35radix_sort_onesweep_config_selectorIiNS0_10empty_typeEEEZZNS1_29radix_sort_onesweep_iterationIS3_Lb1EN6thrust23THRUST_200600_302600_NS6detail15normal_iteratorINS9_10device_ptrIiEEEESE_PS5_SF_jNS0_19identity_decomposerENS1_16block_id_wrapperIjLb1EEEEE10hipError_tT1_PNSt15iterator_traitsISK_E10value_typeET2_T3_PNSL_ISQ_E10value_typeET4_T5_PSV_SW_PNS1_23onesweep_lookback_stateEbbT6_jjT7_P12ihipStream_tbENKUlT_T0_SK_SP_E_clIPiSE_SF_SF_EEDaS13_S14_SK_SP_EUlS13_E_NS1_11comp_targetILNS1_3genE3ELNS1_11target_archE908ELNS1_3gpuE7ELNS1_3repE0EEENS1_47radix_sort_onesweep_sort_config_static_selectorELNS0_4arch9wavefront6targetE1EEEvSK_, .Lfunc_end359-_ZN7rocprim17ROCPRIM_400000_NS6detail17trampoline_kernelINS0_14default_configENS1_35radix_sort_onesweep_config_selectorIiNS0_10empty_typeEEEZZNS1_29radix_sort_onesweep_iterationIS3_Lb1EN6thrust23THRUST_200600_302600_NS6detail15normal_iteratorINS9_10device_ptrIiEEEESE_PS5_SF_jNS0_19identity_decomposerENS1_16block_id_wrapperIjLb1EEEEE10hipError_tT1_PNSt15iterator_traitsISK_E10value_typeET2_T3_PNSL_ISQ_E10value_typeET4_T5_PSV_SW_PNS1_23onesweep_lookback_stateEbbT6_jjT7_P12ihipStream_tbENKUlT_T0_SK_SP_E_clIPiSE_SF_SF_EEDaS13_S14_SK_SP_EUlS13_E_NS1_11comp_targetILNS1_3genE3ELNS1_11target_archE908ELNS1_3gpuE7ELNS1_3repE0EEENS1_47radix_sort_onesweep_sort_config_static_selectorELNS0_4arch9wavefront6targetE1EEEvSK_
                                        ; -- End function
	.set _ZN7rocprim17ROCPRIM_400000_NS6detail17trampoline_kernelINS0_14default_configENS1_35radix_sort_onesweep_config_selectorIiNS0_10empty_typeEEEZZNS1_29radix_sort_onesweep_iterationIS3_Lb1EN6thrust23THRUST_200600_302600_NS6detail15normal_iteratorINS9_10device_ptrIiEEEESE_PS5_SF_jNS0_19identity_decomposerENS1_16block_id_wrapperIjLb1EEEEE10hipError_tT1_PNSt15iterator_traitsISK_E10value_typeET2_T3_PNSL_ISQ_E10value_typeET4_T5_PSV_SW_PNS1_23onesweep_lookback_stateEbbT6_jjT7_P12ihipStream_tbENKUlT_T0_SK_SP_E_clIPiSE_SF_SF_EEDaS13_S14_SK_SP_EUlS13_E_NS1_11comp_targetILNS1_3genE3ELNS1_11target_archE908ELNS1_3gpuE7ELNS1_3repE0EEENS1_47radix_sort_onesweep_sort_config_static_selectorELNS0_4arch9wavefront6targetE1EEEvSK_.num_vgpr, 0
	.set _ZN7rocprim17ROCPRIM_400000_NS6detail17trampoline_kernelINS0_14default_configENS1_35radix_sort_onesweep_config_selectorIiNS0_10empty_typeEEEZZNS1_29radix_sort_onesweep_iterationIS3_Lb1EN6thrust23THRUST_200600_302600_NS6detail15normal_iteratorINS9_10device_ptrIiEEEESE_PS5_SF_jNS0_19identity_decomposerENS1_16block_id_wrapperIjLb1EEEEE10hipError_tT1_PNSt15iterator_traitsISK_E10value_typeET2_T3_PNSL_ISQ_E10value_typeET4_T5_PSV_SW_PNS1_23onesweep_lookback_stateEbbT6_jjT7_P12ihipStream_tbENKUlT_T0_SK_SP_E_clIPiSE_SF_SF_EEDaS13_S14_SK_SP_EUlS13_E_NS1_11comp_targetILNS1_3genE3ELNS1_11target_archE908ELNS1_3gpuE7ELNS1_3repE0EEENS1_47radix_sort_onesweep_sort_config_static_selectorELNS0_4arch9wavefront6targetE1EEEvSK_.num_agpr, 0
	.set _ZN7rocprim17ROCPRIM_400000_NS6detail17trampoline_kernelINS0_14default_configENS1_35radix_sort_onesweep_config_selectorIiNS0_10empty_typeEEEZZNS1_29radix_sort_onesweep_iterationIS3_Lb1EN6thrust23THRUST_200600_302600_NS6detail15normal_iteratorINS9_10device_ptrIiEEEESE_PS5_SF_jNS0_19identity_decomposerENS1_16block_id_wrapperIjLb1EEEEE10hipError_tT1_PNSt15iterator_traitsISK_E10value_typeET2_T3_PNSL_ISQ_E10value_typeET4_T5_PSV_SW_PNS1_23onesweep_lookback_stateEbbT6_jjT7_P12ihipStream_tbENKUlT_T0_SK_SP_E_clIPiSE_SF_SF_EEDaS13_S14_SK_SP_EUlS13_E_NS1_11comp_targetILNS1_3genE3ELNS1_11target_archE908ELNS1_3gpuE7ELNS1_3repE0EEENS1_47radix_sort_onesweep_sort_config_static_selectorELNS0_4arch9wavefront6targetE1EEEvSK_.numbered_sgpr, 0
	.set _ZN7rocprim17ROCPRIM_400000_NS6detail17trampoline_kernelINS0_14default_configENS1_35radix_sort_onesweep_config_selectorIiNS0_10empty_typeEEEZZNS1_29radix_sort_onesweep_iterationIS3_Lb1EN6thrust23THRUST_200600_302600_NS6detail15normal_iteratorINS9_10device_ptrIiEEEESE_PS5_SF_jNS0_19identity_decomposerENS1_16block_id_wrapperIjLb1EEEEE10hipError_tT1_PNSt15iterator_traitsISK_E10value_typeET2_T3_PNSL_ISQ_E10value_typeET4_T5_PSV_SW_PNS1_23onesweep_lookback_stateEbbT6_jjT7_P12ihipStream_tbENKUlT_T0_SK_SP_E_clIPiSE_SF_SF_EEDaS13_S14_SK_SP_EUlS13_E_NS1_11comp_targetILNS1_3genE3ELNS1_11target_archE908ELNS1_3gpuE7ELNS1_3repE0EEENS1_47radix_sort_onesweep_sort_config_static_selectorELNS0_4arch9wavefront6targetE1EEEvSK_.num_named_barrier, 0
	.set _ZN7rocprim17ROCPRIM_400000_NS6detail17trampoline_kernelINS0_14default_configENS1_35radix_sort_onesweep_config_selectorIiNS0_10empty_typeEEEZZNS1_29radix_sort_onesweep_iterationIS3_Lb1EN6thrust23THRUST_200600_302600_NS6detail15normal_iteratorINS9_10device_ptrIiEEEESE_PS5_SF_jNS0_19identity_decomposerENS1_16block_id_wrapperIjLb1EEEEE10hipError_tT1_PNSt15iterator_traitsISK_E10value_typeET2_T3_PNSL_ISQ_E10value_typeET4_T5_PSV_SW_PNS1_23onesweep_lookback_stateEbbT6_jjT7_P12ihipStream_tbENKUlT_T0_SK_SP_E_clIPiSE_SF_SF_EEDaS13_S14_SK_SP_EUlS13_E_NS1_11comp_targetILNS1_3genE3ELNS1_11target_archE908ELNS1_3gpuE7ELNS1_3repE0EEENS1_47radix_sort_onesweep_sort_config_static_selectorELNS0_4arch9wavefront6targetE1EEEvSK_.private_seg_size, 0
	.set _ZN7rocprim17ROCPRIM_400000_NS6detail17trampoline_kernelINS0_14default_configENS1_35radix_sort_onesweep_config_selectorIiNS0_10empty_typeEEEZZNS1_29radix_sort_onesweep_iterationIS3_Lb1EN6thrust23THRUST_200600_302600_NS6detail15normal_iteratorINS9_10device_ptrIiEEEESE_PS5_SF_jNS0_19identity_decomposerENS1_16block_id_wrapperIjLb1EEEEE10hipError_tT1_PNSt15iterator_traitsISK_E10value_typeET2_T3_PNSL_ISQ_E10value_typeET4_T5_PSV_SW_PNS1_23onesweep_lookback_stateEbbT6_jjT7_P12ihipStream_tbENKUlT_T0_SK_SP_E_clIPiSE_SF_SF_EEDaS13_S14_SK_SP_EUlS13_E_NS1_11comp_targetILNS1_3genE3ELNS1_11target_archE908ELNS1_3gpuE7ELNS1_3repE0EEENS1_47radix_sort_onesweep_sort_config_static_selectorELNS0_4arch9wavefront6targetE1EEEvSK_.uses_vcc, 0
	.set _ZN7rocprim17ROCPRIM_400000_NS6detail17trampoline_kernelINS0_14default_configENS1_35radix_sort_onesweep_config_selectorIiNS0_10empty_typeEEEZZNS1_29radix_sort_onesweep_iterationIS3_Lb1EN6thrust23THRUST_200600_302600_NS6detail15normal_iteratorINS9_10device_ptrIiEEEESE_PS5_SF_jNS0_19identity_decomposerENS1_16block_id_wrapperIjLb1EEEEE10hipError_tT1_PNSt15iterator_traitsISK_E10value_typeET2_T3_PNSL_ISQ_E10value_typeET4_T5_PSV_SW_PNS1_23onesweep_lookback_stateEbbT6_jjT7_P12ihipStream_tbENKUlT_T0_SK_SP_E_clIPiSE_SF_SF_EEDaS13_S14_SK_SP_EUlS13_E_NS1_11comp_targetILNS1_3genE3ELNS1_11target_archE908ELNS1_3gpuE7ELNS1_3repE0EEENS1_47radix_sort_onesweep_sort_config_static_selectorELNS0_4arch9wavefront6targetE1EEEvSK_.uses_flat_scratch, 0
	.set _ZN7rocprim17ROCPRIM_400000_NS6detail17trampoline_kernelINS0_14default_configENS1_35radix_sort_onesweep_config_selectorIiNS0_10empty_typeEEEZZNS1_29radix_sort_onesweep_iterationIS3_Lb1EN6thrust23THRUST_200600_302600_NS6detail15normal_iteratorINS9_10device_ptrIiEEEESE_PS5_SF_jNS0_19identity_decomposerENS1_16block_id_wrapperIjLb1EEEEE10hipError_tT1_PNSt15iterator_traitsISK_E10value_typeET2_T3_PNSL_ISQ_E10value_typeET4_T5_PSV_SW_PNS1_23onesweep_lookback_stateEbbT6_jjT7_P12ihipStream_tbENKUlT_T0_SK_SP_E_clIPiSE_SF_SF_EEDaS13_S14_SK_SP_EUlS13_E_NS1_11comp_targetILNS1_3genE3ELNS1_11target_archE908ELNS1_3gpuE7ELNS1_3repE0EEENS1_47radix_sort_onesweep_sort_config_static_selectorELNS0_4arch9wavefront6targetE1EEEvSK_.has_dyn_sized_stack, 0
	.set _ZN7rocprim17ROCPRIM_400000_NS6detail17trampoline_kernelINS0_14default_configENS1_35radix_sort_onesweep_config_selectorIiNS0_10empty_typeEEEZZNS1_29radix_sort_onesweep_iterationIS3_Lb1EN6thrust23THRUST_200600_302600_NS6detail15normal_iteratorINS9_10device_ptrIiEEEESE_PS5_SF_jNS0_19identity_decomposerENS1_16block_id_wrapperIjLb1EEEEE10hipError_tT1_PNSt15iterator_traitsISK_E10value_typeET2_T3_PNSL_ISQ_E10value_typeET4_T5_PSV_SW_PNS1_23onesweep_lookback_stateEbbT6_jjT7_P12ihipStream_tbENKUlT_T0_SK_SP_E_clIPiSE_SF_SF_EEDaS13_S14_SK_SP_EUlS13_E_NS1_11comp_targetILNS1_3genE3ELNS1_11target_archE908ELNS1_3gpuE7ELNS1_3repE0EEENS1_47radix_sort_onesweep_sort_config_static_selectorELNS0_4arch9wavefront6targetE1EEEvSK_.has_recursion, 0
	.set _ZN7rocprim17ROCPRIM_400000_NS6detail17trampoline_kernelINS0_14default_configENS1_35radix_sort_onesweep_config_selectorIiNS0_10empty_typeEEEZZNS1_29radix_sort_onesweep_iterationIS3_Lb1EN6thrust23THRUST_200600_302600_NS6detail15normal_iteratorINS9_10device_ptrIiEEEESE_PS5_SF_jNS0_19identity_decomposerENS1_16block_id_wrapperIjLb1EEEEE10hipError_tT1_PNSt15iterator_traitsISK_E10value_typeET2_T3_PNSL_ISQ_E10value_typeET4_T5_PSV_SW_PNS1_23onesweep_lookback_stateEbbT6_jjT7_P12ihipStream_tbENKUlT_T0_SK_SP_E_clIPiSE_SF_SF_EEDaS13_S14_SK_SP_EUlS13_E_NS1_11comp_targetILNS1_3genE3ELNS1_11target_archE908ELNS1_3gpuE7ELNS1_3repE0EEENS1_47radix_sort_onesweep_sort_config_static_selectorELNS0_4arch9wavefront6targetE1EEEvSK_.has_indirect_call, 0
	.section	.AMDGPU.csdata,"",@progbits
; Kernel info:
; codeLenInByte = 0
; TotalNumSgprs: 6
; NumVgprs: 0
; NumAgprs: 0
; TotalNumVgprs: 0
; ScratchSize: 0
; MemoryBound: 0
; FloatMode: 240
; IeeeMode: 1
; LDSByteSize: 0 bytes/workgroup (compile time only)
; SGPRBlocks: 0
; VGPRBlocks: 0
; NumSGPRsForWavesPerEU: 6
; NumVGPRsForWavesPerEU: 1
; AccumOffset: 4
; Occupancy: 8
; WaveLimiterHint : 0
; COMPUTE_PGM_RSRC2:SCRATCH_EN: 0
; COMPUTE_PGM_RSRC2:USER_SGPR: 2
; COMPUTE_PGM_RSRC2:TRAP_HANDLER: 0
; COMPUTE_PGM_RSRC2:TGID_X_EN: 1
; COMPUTE_PGM_RSRC2:TGID_Y_EN: 0
; COMPUTE_PGM_RSRC2:TGID_Z_EN: 0
; COMPUTE_PGM_RSRC2:TIDIG_COMP_CNT: 0
; COMPUTE_PGM_RSRC3_GFX90A:ACCUM_OFFSET: 0
; COMPUTE_PGM_RSRC3_GFX90A:TG_SPLIT: 0
	.section	.text._ZN7rocprim17ROCPRIM_400000_NS6detail17trampoline_kernelINS0_14default_configENS1_35radix_sort_onesweep_config_selectorIiNS0_10empty_typeEEEZZNS1_29radix_sort_onesweep_iterationIS3_Lb1EN6thrust23THRUST_200600_302600_NS6detail15normal_iteratorINS9_10device_ptrIiEEEESE_PS5_SF_jNS0_19identity_decomposerENS1_16block_id_wrapperIjLb1EEEEE10hipError_tT1_PNSt15iterator_traitsISK_E10value_typeET2_T3_PNSL_ISQ_E10value_typeET4_T5_PSV_SW_PNS1_23onesweep_lookback_stateEbbT6_jjT7_P12ihipStream_tbENKUlT_T0_SK_SP_E_clIPiSE_SF_SF_EEDaS13_S14_SK_SP_EUlS13_E_NS1_11comp_targetILNS1_3genE10ELNS1_11target_archE1201ELNS1_3gpuE5ELNS1_3repE0EEENS1_47radix_sort_onesweep_sort_config_static_selectorELNS0_4arch9wavefront6targetE1EEEvSK_,"axG",@progbits,_ZN7rocprim17ROCPRIM_400000_NS6detail17trampoline_kernelINS0_14default_configENS1_35radix_sort_onesweep_config_selectorIiNS0_10empty_typeEEEZZNS1_29radix_sort_onesweep_iterationIS3_Lb1EN6thrust23THRUST_200600_302600_NS6detail15normal_iteratorINS9_10device_ptrIiEEEESE_PS5_SF_jNS0_19identity_decomposerENS1_16block_id_wrapperIjLb1EEEEE10hipError_tT1_PNSt15iterator_traitsISK_E10value_typeET2_T3_PNSL_ISQ_E10value_typeET4_T5_PSV_SW_PNS1_23onesweep_lookback_stateEbbT6_jjT7_P12ihipStream_tbENKUlT_T0_SK_SP_E_clIPiSE_SF_SF_EEDaS13_S14_SK_SP_EUlS13_E_NS1_11comp_targetILNS1_3genE10ELNS1_11target_archE1201ELNS1_3gpuE5ELNS1_3repE0EEENS1_47radix_sort_onesweep_sort_config_static_selectorELNS0_4arch9wavefront6targetE1EEEvSK_,comdat
	.protected	_ZN7rocprim17ROCPRIM_400000_NS6detail17trampoline_kernelINS0_14default_configENS1_35radix_sort_onesweep_config_selectorIiNS0_10empty_typeEEEZZNS1_29radix_sort_onesweep_iterationIS3_Lb1EN6thrust23THRUST_200600_302600_NS6detail15normal_iteratorINS9_10device_ptrIiEEEESE_PS5_SF_jNS0_19identity_decomposerENS1_16block_id_wrapperIjLb1EEEEE10hipError_tT1_PNSt15iterator_traitsISK_E10value_typeET2_T3_PNSL_ISQ_E10value_typeET4_T5_PSV_SW_PNS1_23onesweep_lookback_stateEbbT6_jjT7_P12ihipStream_tbENKUlT_T0_SK_SP_E_clIPiSE_SF_SF_EEDaS13_S14_SK_SP_EUlS13_E_NS1_11comp_targetILNS1_3genE10ELNS1_11target_archE1201ELNS1_3gpuE5ELNS1_3repE0EEENS1_47radix_sort_onesweep_sort_config_static_selectorELNS0_4arch9wavefront6targetE1EEEvSK_ ; -- Begin function _ZN7rocprim17ROCPRIM_400000_NS6detail17trampoline_kernelINS0_14default_configENS1_35radix_sort_onesweep_config_selectorIiNS0_10empty_typeEEEZZNS1_29radix_sort_onesweep_iterationIS3_Lb1EN6thrust23THRUST_200600_302600_NS6detail15normal_iteratorINS9_10device_ptrIiEEEESE_PS5_SF_jNS0_19identity_decomposerENS1_16block_id_wrapperIjLb1EEEEE10hipError_tT1_PNSt15iterator_traitsISK_E10value_typeET2_T3_PNSL_ISQ_E10value_typeET4_T5_PSV_SW_PNS1_23onesweep_lookback_stateEbbT6_jjT7_P12ihipStream_tbENKUlT_T0_SK_SP_E_clIPiSE_SF_SF_EEDaS13_S14_SK_SP_EUlS13_E_NS1_11comp_targetILNS1_3genE10ELNS1_11target_archE1201ELNS1_3gpuE5ELNS1_3repE0EEENS1_47radix_sort_onesweep_sort_config_static_selectorELNS0_4arch9wavefront6targetE1EEEvSK_
	.globl	_ZN7rocprim17ROCPRIM_400000_NS6detail17trampoline_kernelINS0_14default_configENS1_35radix_sort_onesweep_config_selectorIiNS0_10empty_typeEEEZZNS1_29radix_sort_onesweep_iterationIS3_Lb1EN6thrust23THRUST_200600_302600_NS6detail15normal_iteratorINS9_10device_ptrIiEEEESE_PS5_SF_jNS0_19identity_decomposerENS1_16block_id_wrapperIjLb1EEEEE10hipError_tT1_PNSt15iterator_traitsISK_E10value_typeET2_T3_PNSL_ISQ_E10value_typeET4_T5_PSV_SW_PNS1_23onesweep_lookback_stateEbbT6_jjT7_P12ihipStream_tbENKUlT_T0_SK_SP_E_clIPiSE_SF_SF_EEDaS13_S14_SK_SP_EUlS13_E_NS1_11comp_targetILNS1_3genE10ELNS1_11target_archE1201ELNS1_3gpuE5ELNS1_3repE0EEENS1_47radix_sort_onesweep_sort_config_static_selectorELNS0_4arch9wavefront6targetE1EEEvSK_
	.p2align	8
	.type	_ZN7rocprim17ROCPRIM_400000_NS6detail17trampoline_kernelINS0_14default_configENS1_35radix_sort_onesweep_config_selectorIiNS0_10empty_typeEEEZZNS1_29radix_sort_onesweep_iterationIS3_Lb1EN6thrust23THRUST_200600_302600_NS6detail15normal_iteratorINS9_10device_ptrIiEEEESE_PS5_SF_jNS0_19identity_decomposerENS1_16block_id_wrapperIjLb1EEEEE10hipError_tT1_PNSt15iterator_traitsISK_E10value_typeET2_T3_PNSL_ISQ_E10value_typeET4_T5_PSV_SW_PNS1_23onesweep_lookback_stateEbbT6_jjT7_P12ihipStream_tbENKUlT_T0_SK_SP_E_clIPiSE_SF_SF_EEDaS13_S14_SK_SP_EUlS13_E_NS1_11comp_targetILNS1_3genE10ELNS1_11target_archE1201ELNS1_3gpuE5ELNS1_3repE0EEENS1_47radix_sort_onesweep_sort_config_static_selectorELNS0_4arch9wavefront6targetE1EEEvSK_,@function
_ZN7rocprim17ROCPRIM_400000_NS6detail17trampoline_kernelINS0_14default_configENS1_35radix_sort_onesweep_config_selectorIiNS0_10empty_typeEEEZZNS1_29radix_sort_onesweep_iterationIS3_Lb1EN6thrust23THRUST_200600_302600_NS6detail15normal_iteratorINS9_10device_ptrIiEEEESE_PS5_SF_jNS0_19identity_decomposerENS1_16block_id_wrapperIjLb1EEEEE10hipError_tT1_PNSt15iterator_traitsISK_E10value_typeET2_T3_PNSL_ISQ_E10value_typeET4_T5_PSV_SW_PNS1_23onesweep_lookback_stateEbbT6_jjT7_P12ihipStream_tbENKUlT_T0_SK_SP_E_clIPiSE_SF_SF_EEDaS13_S14_SK_SP_EUlS13_E_NS1_11comp_targetILNS1_3genE10ELNS1_11target_archE1201ELNS1_3gpuE5ELNS1_3repE0EEENS1_47radix_sort_onesweep_sort_config_static_selectorELNS0_4arch9wavefront6targetE1EEEvSK_: ; @_ZN7rocprim17ROCPRIM_400000_NS6detail17trampoline_kernelINS0_14default_configENS1_35radix_sort_onesweep_config_selectorIiNS0_10empty_typeEEEZZNS1_29radix_sort_onesweep_iterationIS3_Lb1EN6thrust23THRUST_200600_302600_NS6detail15normal_iteratorINS9_10device_ptrIiEEEESE_PS5_SF_jNS0_19identity_decomposerENS1_16block_id_wrapperIjLb1EEEEE10hipError_tT1_PNSt15iterator_traitsISK_E10value_typeET2_T3_PNSL_ISQ_E10value_typeET4_T5_PSV_SW_PNS1_23onesweep_lookback_stateEbbT6_jjT7_P12ihipStream_tbENKUlT_T0_SK_SP_E_clIPiSE_SF_SF_EEDaS13_S14_SK_SP_EUlS13_E_NS1_11comp_targetILNS1_3genE10ELNS1_11target_archE1201ELNS1_3gpuE5ELNS1_3repE0EEENS1_47radix_sort_onesweep_sort_config_static_selectorELNS0_4arch9wavefront6targetE1EEEvSK_
; %bb.0:
	.section	.rodata,"a",@progbits
	.p2align	6, 0x0
	.amdhsa_kernel _ZN7rocprim17ROCPRIM_400000_NS6detail17trampoline_kernelINS0_14default_configENS1_35radix_sort_onesweep_config_selectorIiNS0_10empty_typeEEEZZNS1_29radix_sort_onesweep_iterationIS3_Lb1EN6thrust23THRUST_200600_302600_NS6detail15normal_iteratorINS9_10device_ptrIiEEEESE_PS5_SF_jNS0_19identity_decomposerENS1_16block_id_wrapperIjLb1EEEEE10hipError_tT1_PNSt15iterator_traitsISK_E10value_typeET2_T3_PNSL_ISQ_E10value_typeET4_T5_PSV_SW_PNS1_23onesweep_lookback_stateEbbT6_jjT7_P12ihipStream_tbENKUlT_T0_SK_SP_E_clIPiSE_SF_SF_EEDaS13_S14_SK_SP_EUlS13_E_NS1_11comp_targetILNS1_3genE10ELNS1_11target_archE1201ELNS1_3gpuE5ELNS1_3repE0EEENS1_47radix_sort_onesweep_sort_config_static_selectorELNS0_4arch9wavefront6targetE1EEEvSK_
		.amdhsa_group_segment_fixed_size 0
		.amdhsa_private_segment_fixed_size 0
		.amdhsa_kernarg_size 88
		.amdhsa_user_sgpr_count 2
		.amdhsa_user_sgpr_dispatch_ptr 0
		.amdhsa_user_sgpr_queue_ptr 0
		.amdhsa_user_sgpr_kernarg_segment_ptr 1
		.amdhsa_user_sgpr_dispatch_id 0
		.amdhsa_user_sgpr_kernarg_preload_length 0
		.amdhsa_user_sgpr_kernarg_preload_offset 0
		.amdhsa_user_sgpr_private_segment_size 0
		.amdhsa_uses_dynamic_stack 0
		.amdhsa_enable_private_segment 0
		.amdhsa_system_sgpr_workgroup_id_x 1
		.amdhsa_system_sgpr_workgroup_id_y 0
		.amdhsa_system_sgpr_workgroup_id_z 0
		.amdhsa_system_sgpr_workgroup_info 0
		.amdhsa_system_vgpr_workitem_id 0
		.amdhsa_next_free_vgpr 1
		.amdhsa_next_free_sgpr 0
		.amdhsa_accum_offset 4
		.amdhsa_reserve_vcc 0
		.amdhsa_float_round_mode_32 0
		.amdhsa_float_round_mode_16_64 0
		.amdhsa_float_denorm_mode_32 3
		.amdhsa_float_denorm_mode_16_64 3
		.amdhsa_dx10_clamp 1
		.amdhsa_ieee_mode 1
		.amdhsa_fp16_overflow 0
		.amdhsa_tg_split 0
		.amdhsa_exception_fp_ieee_invalid_op 0
		.amdhsa_exception_fp_denorm_src 0
		.amdhsa_exception_fp_ieee_div_zero 0
		.amdhsa_exception_fp_ieee_overflow 0
		.amdhsa_exception_fp_ieee_underflow 0
		.amdhsa_exception_fp_ieee_inexact 0
		.amdhsa_exception_int_div_zero 0
	.end_amdhsa_kernel
	.section	.text._ZN7rocprim17ROCPRIM_400000_NS6detail17trampoline_kernelINS0_14default_configENS1_35radix_sort_onesweep_config_selectorIiNS0_10empty_typeEEEZZNS1_29radix_sort_onesweep_iterationIS3_Lb1EN6thrust23THRUST_200600_302600_NS6detail15normal_iteratorINS9_10device_ptrIiEEEESE_PS5_SF_jNS0_19identity_decomposerENS1_16block_id_wrapperIjLb1EEEEE10hipError_tT1_PNSt15iterator_traitsISK_E10value_typeET2_T3_PNSL_ISQ_E10value_typeET4_T5_PSV_SW_PNS1_23onesweep_lookback_stateEbbT6_jjT7_P12ihipStream_tbENKUlT_T0_SK_SP_E_clIPiSE_SF_SF_EEDaS13_S14_SK_SP_EUlS13_E_NS1_11comp_targetILNS1_3genE10ELNS1_11target_archE1201ELNS1_3gpuE5ELNS1_3repE0EEENS1_47radix_sort_onesweep_sort_config_static_selectorELNS0_4arch9wavefront6targetE1EEEvSK_,"axG",@progbits,_ZN7rocprim17ROCPRIM_400000_NS6detail17trampoline_kernelINS0_14default_configENS1_35radix_sort_onesweep_config_selectorIiNS0_10empty_typeEEEZZNS1_29radix_sort_onesweep_iterationIS3_Lb1EN6thrust23THRUST_200600_302600_NS6detail15normal_iteratorINS9_10device_ptrIiEEEESE_PS5_SF_jNS0_19identity_decomposerENS1_16block_id_wrapperIjLb1EEEEE10hipError_tT1_PNSt15iterator_traitsISK_E10value_typeET2_T3_PNSL_ISQ_E10value_typeET4_T5_PSV_SW_PNS1_23onesweep_lookback_stateEbbT6_jjT7_P12ihipStream_tbENKUlT_T0_SK_SP_E_clIPiSE_SF_SF_EEDaS13_S14_SK_SP_EUlS13_E_NS1_11comp_targetILNS1_3genE10ELNS1_11target_archE1201ELNS1_3gpuE5ELNS1_3repE0EEENS1_47radix_sort_onesweep_sort_config_static_selectorELNS0_4arch9wavefront6targetE1EEEvSK_,comdat
.Lfunc_end360:
	.size	_ZN7rocprim17ROCPRIM_400000_NS6detail17trampoline_kernelINS0_14default_configENS1_35radix_sort_onesweep_config_selectorIiNS0_10empty_typeEEEZZNS1_29radix_sort_onesweep_iterationIS3_Lb1EN6thrust23THRUST_200600_302600_NS6detail15normal_iteratorINS9_10device_ptrIiEEEESE_PS5_SF_jNS0_19identity_decomposerENS1_16block_id_wrapperIjLb1EEEEE10hipError_tT1_PNSt15iterator_traitsISK_E10value_typeET2_T3_PNSL_ISQ_E10value_typeET4_T5_PSV_SW_PNS1_23onesweep_lookback_stateEbbT6_jjT7_P12ihipStream_tbENKUlT_T0_SK_SP_E_clIPiSE_SF_SF_EEDaS13_S14_SK_SP_EUlS13_E_NS1_11comp_targetILNS1_3genE10ELNS1_11target_archE1201ELNS1_3gpuE5ELNS1_3repE0EEENS1_47radix_sort_onesweep_sort_config_static_selectorELNS0_4arch9wavefront6targetE1EEEvSK_, .Lfunc_end360-_ZN7rocprim17ROCPRIM_400000_NS6detail17trampoline_kernelINS0_14default_configENS1_35radix_sort_onesweep_config_selectorIiNS0_10empty_typeEEEZZNS1_29radix_sort_onesweep_iterationIS3_Lb1EN6thrust23THRUST_200600_302600_NS6detail15normal_iteratorINS9_10device_ptrIiEEEESE_PS5_SF_jNS0_19identity_decomposerENS1_16block_id_wrapperIjLb1EEEEE10hipError_tT1_PNSt15iterator_traitsISK_E10value_typeET2_T3_PNSL_ISQ_E10value_typeET4_T5_PSV_SW_PNS1_23onesweep_lookback_stateEbbT6_jjT7_P12ihipStream_tbENKUlT_T0_SK_SP_E_clIPiSE_SF_SF_EEDaS13_S14_SK_SP_EUlS13_E_NS1_11comp_targetILNS1_3genE10ELNS1_11target_archE1201ELNS1_3gpuE5ELNS1_3repE0EEENS1_47radix_sort_onesweep_sort_config_static_selectorELNS0_4arch9wavefront6targetE1EEEvSK_
                                        ; -- End function
	.set _ZN7rocprim17ROCPRIM_400000_NS6detail17trampoline_kernelINS0_14default_configENS1_35radix_sort_onesweep_config_selectorIiNS0_10empty_typeEEEZZNS1_29radix_sort_onesweep_iterationIS3_Lb1EN6thrust23THRUST_200600_302600_NS6detail15normal_iteratorINS9_10device_ptrIiEEEESE_PS5_SF_jNS0_19identity_decomposerENS1_16block_id_wrapperIjLb1EEEEE10hipError_tT1_PNSt15iterator_traitsISK_E10value_typeET2_T3_PNSL_ISQ_E10value_typeET4_T5_PSV_SW_PNS1_23onesweep_lookback_stateEbbT6_jjT7_P12ihipStream_tbENKUlT_T0_SK_SP_E_clIPiSE_SF_SF_EEDaS13_S14_SK_SP_EUlS13_E_NS1_11comp_targetILNS1_3genE10ELNS1_11target_archE1201ELNS1_3gpuE5ELNS1_3repE0EEENS1_47radix_sort_onesweep_sort_config_static_selectorELNS0_4arch9wavefront6targetE1EEEvSK_.num_vgpr, 0
	.set _ZN7rocprim17ROCPRIM_400000_NS6detail17trampoline_kernelINS0_14default_configENS1_35radix_sort_onesweep_config_selectorIiNS0_10empty_typeEEEZZNS1_29radix_sort_onesweep_iterationIS3_Lb1EN6thrust23THRUST_200600_302600_NS6detail15normal_iteratorINS9_10device_ptrIiEEEESE_PS5_SF_jNS0_19identity_decomposerENS1_16block_id_wrapperIjLb1EEEEE10hipError_tT1_PNSt15iterator_traitsISK_E10value_typeET2_T3_PNSL_ISQ_E10value_typeET4_T5_PSV_SW_PNS1_23onesweep_lookback_stateEbbT6_jjT7_P12ihipStream_tbENKUlT_T0_SK_SP_E_clIPiSE_SF_SF_EEDaS13_S14_SK_SP_EUlS13_E_NS1_11comp_targetILNS1_3genE10ELNS1_11target_archE1201ELNS1_3gpuE5ELNS1_3repE0EEENS1_47radix_sort_onesweep_sort_config_static_selectorELNS0_4arch9wavefront6targetE1EEEvSK_.num_agpr, 0
	.set _ZN7rocprim17ROCPRIM_400000_NS6detail17trampoline_kernelINS0_14default_configENS1_35radix_sort_onesweep_config_selectorIiNS0_10empty_typeEEEZZNS1_29radix_sort_onesweep_iterationIS3_Lb1EN6thrust23THRUST_200600_302600_NS6detail15normal_iteratorINS9_10device_ptrIiEEEESE_PS5_SF_jNS0_19identity_decomposerENS1_16block_id_wrapperIjLb1EEEEE10hipError_tT1_PNSt15iterator_traitsISK_E10value_typeET2_T3_PNSL_ISQ_E10value_typeET4_T5_PSV_SW_PNS1_23onesweep_lookback_stateEbbT6_jjT7_P12ihipStream_tbENKUlT_T0_SK_SP_E_clIPiSE_SF_SF_EEDaS13_S14_SK_SP_EUlS13_E_NS1_11comp_targetILNS1_3genE10ELNS1_11target_archE1201ELNS1_3gpuE5ELNS1_3repE0EEENS1_47radix_sort_onesweep_sort_config_static_selectorELNS0_4arch9wavefront6targetE1EEEvSK_.numbered_sgpr, 0
	.set _ZN7rocprim17ROCPRIM_400000_NS6detail17trampoline_kernelINS0_14default_configENS1_35radix_sort_onesweep_config_selectorIiNS0_10empty_typeEEEZZNS1_29radix_sort_onesweep_iterationIS3_Lb1EN6thrust23THRUST_200600_302600_NS6detail15normal_iteratorINS9_10device_ptrIiEEEESE_PS5_SF_jNS0_19identity_decomposerENS1_16block_id_wrapperIjLb1EEEEE10hipError_tT1_PNSt15iterator_traitsISK_E10value_typeET2_T3_PNSL_ISQ_E10value_typeET4_T5_PSV_SW_PNS1_23onesweep_lookback_stateEbbT6_jjT7_P12ihipStream_tbENKUlT_T0_SK_SP_E_clIPiSE_SF_SF_EEDaS13_S14_SK_SP_EUlS13_E_NS1_11comp_targetILNS1_3genE10ELNS1_11target_archE1201ELNS1_3gpuE5ELNS1_3repE0EEENS1_47radix_sort_onesweep_sort_config_static_selectorELNS0_4arch9wavefront6targetE1EEEvSK_.num_named_barrier, 0
	.set _ZN7rocprim17ROCPRIM_400000_NS6detail17trampoline_kernelINS0_14default_configENS1_35radix_sort_onesweep_config_selectorIiNS0_10empty_typeEEEZZNS1_29radix_sort_onesweep_iterationIS3_Lb1EN6thrust23THRUST_200600_302600_NS6detail15normal_iteratorINS9_10device_ptrIiEEEESE_PS5_SF_jNS0_19identity_decomposerENS1_16block_id_wrapperIjLb1EEEEE10hipError_tT1_PNSt15iterator_traitsISK_E10value_typeET2_T3_PNSL_ISQ_E10value_typeET4_T5_PSV_SW_PNS1_23onesweep_lookback_stateEbbT6_jjT7_P12ihipStream_tbENKUlT_T0_SK_SP_E_clIPiSE_SF_SF_EEDaS13_S14_SK_SP_EUlS13_E_NS1_11comp_targetILNS1_3genE10ELNS1_11target_archE1201ELNS1_3gpuE5ELNS1_3repE0EEENS1_47radix_sort_onesweep_sort_config_static_selectorELNS0_4arch9wavefront6targetE1EEEvSK_.private_seg_size, 0
	.set _ZN7rocprim17ROCPRIM_400000_NS6detail17trampoline_kernelINS0_14default_configENS1_35radix_sort_onesweep_config_selectorIiNS0_10empty_typeEEEZZNS1_29radix_sort_onesweep_iterationIS3_Lb1EN6thrust23THRUST_200600_302600_NS6detail15normal_iteratorINS9_10device_ptrIiEEEESE_PS5_SF_jNS0_19identity_decomposerENS1_16block_id_wrapperIjLb1EEEEE10hipError_tT1_PNSt15iterator_traitsISK_E10value_typeET2_T3_PNSL_ISQ_E10value_typeET4_T5_PSV_SW_PNS1_23onesweep_lookback_stateEbbT6_jjT7_P12ihipStream_tbENKUlT_T0_SK_SP_E_clIPiSE_SF_SF_EEDaS13_S14_SK_SP_EUlS13_E_NS1_11comp_targetILNS1_3genE10ELNS1_11target_archE1201ELNS1_3gpuE5ELNS1_3repE0EEENS1_47radix_sort_onesweep_sort_config_static_selectorELNS0_4arch9wavefront6targetE1EEEvSK_.uses_vcc, 0
	.set _ZN7rocprim17ROCPRIM_400000_NS6detail17trampoline_kernelINS0_14default_configENS1_35radix_sort_onesweep_config_selectorIiNS0_10empty_typeEEEZZNS1_29radix_sort_onesweep_iterationIS3_Lb1EN6thrust23THRUST_200600_302600_NS6detail15normal_iteratorINS9_10device_ptrIiEEEESE_PS5_SF_jNS0_19identity_decomposerENS1_16block_id_wrapperIjLb1EEEEE10hipError_tT1_PNSt15iterator_traitsISK_E10value_typeET2_T3_PNSL_ISQ_E10value_typeET4_T5_PSV_SW_PNS1_23onesweep_lookback_stateEbbT6_jjT7_P12ihipStream_tbENKUlT_T0_SK_SP_E_clIPiSE_SF_SF_EEDaS13_S14_SK_SP_EUlS13_E_NS1_11comp_targetILNS1_3genE10ELNS1_11target_archE1201ELNS1_3gpuE5ELNS1_3repE0EEENS1_47radix_sort_onesweep_sort_config_static_selectorELNS0_4arch9wavefront6targetE1EEEvSK_.uses_flat_scratch, 0
	.set _ZN7rocprim17ROCPRIM_400000_NS6detail17trampoline_kernelINS0_14default_configENS1_35radix_sort_onesweep_config_selectorIiNS0_10empty_typeEEEZZNS1_29radix_sort_onesweep_iterationIS3_Lb1EN6thrust23THRUST_200600_302600_NS6detail15normal_iteratorINS9_10device_ptrIiEEEESE_PS5_SF_jNS0_19identity_decomposerENS1_16block_id_wrapperIjLb1EEEEE10hipError_tT1_PNSt15iterator_traitsISK_E10value_typeET2_T3_PNSL_ISQ_E10value_typeET4_T5_PSV_SW_PNS1_23onesweep_lookback_stateEbbT6_jjT7_P12ihipStream_tbENKUlT_T0_SK_SP_E_clIPiSE_SF_SF_EEDaS13_S14_SK_SP_EUlS13_E_NS1_11comp_targetILNS1_3genE10ELNS1_11target_archE1201ELNS1_3gpuE5ELNS1_3repE0EEENS1_47radix_sort_onesweep_sort_config_static_selectorELNS0_4arch9wavefront6targetE1EEEvSK_.has_dyn_sized_stack, 0
	.set _ZN7rocprim17ROCPRIM_400000_NS6detail17trampoline_kernelINS0_14default_configENS1_35radix_sort_onesweep_config_selectorIiNS0_10empty_typeEEEZZNS1_29radix_sort_onesweep_iterationIS3_Lb1EN6thrust23THRUST_200600_302600_NS6detail15normal_iteratorINS9_10device_ptrIiEEEESE_PS5_SF_jNS0_19identity_decomposerENS1_16block_id_wrapperIjLb1EEEEE10hipError_tT1_PNSt15iterator_traitsISK_E10value_typeET2_T3_PNSL_ISQ_E10value_typeET4_T5_PSV_SW_PNS1_23onesweep_lookback_stateEbbT6_jjT7_P12ihipStream_tbENKUlT_T0_SK_SP_E_clIPiSE_SF_SF_EEDaS13_S14_SK_SP_EUlS13_E_NS1_11comp_targetILNS1_3genE10ELNS1_11target_archE1201ELNS1_3gpuE5ELNS1_3repE0EEENS1_47radix_sort_onesweep_sort_config_static_selectorELNS0_4arch9wavefront6targetE1EEEvSK_.has_recursion, 0
	.set _ZN7rocprim17ROCPRIM_400000_NS6detail17trampoline_kernelINS0_14default_configENS1_35radix_sort_onesweep_config_selectorIiNS0_10empty_typeEEEZZNS1_29radix_sort_onesweep_iterationIS3_Lb1EN6thrust23THRUST_200600_302600_NS6detail15normal_iteratorINS9_10device_ptrIiEEEESE_PS5_SF_jNS0_19identity_decomposerENS1_16block_id_wrapperIjLb1EEEEE10hipError_tT1_PNSt15iterator_traitsISK_E10value_typeET2_T3_PNSL_ISQ_E10value_typeET4_T5_PSV_SW_PNS1_23onesweep_lookback_stateEbbT6_jjT7_P12ihipStream_tbENKUlT_T0_SK_SP_E_clIPiSE_SF_SF_EEDaS13_S14_SK_SP_EUlS13_E_NS1_11comp_targetILNS1_3genE10ELNS1_11target_archE1201ELNS1_3gpuE5ELNS1_3repE0EEENS1_47radix_sort_onesweep_sort_config_static_selectorELNS0_4arch9wavefront6targetE1EEEvSK_.has_indirect_call, 0
	.section	.AMDGPU.csdata,"",@progbits
; Kernel info:
; codeLenInByte = 0
; TotalNumSgprs: 6
; NumVgprs: 0
; NumAgprs: 0
; TotalNumVgprs: 0
; ScratchSize: 0
; MemoryBound: 0
; FloatMode: 240
; IeeeMode: 1
; LDSByteSize: 0 bytes/workgroup (compile time only)
; SGPRBlocks: 0
; VGPRBlocks: 0
; NumSGPRsForWavesPerEU: 6
; NumVGPRsForWavesPerEU: 1
; AccumOffset: 4
; Occupancy: 8
; WaveLimiterHint : 0
; COMPUTE_PGM_RSRC2:SCRATCH_EN: 0
; COMPUTE_PGM_RSRC2:USER_SGPR: 2
; COMPUTE_PGM_RSRC2:TRAP_HANDLER: 0
; COMPUTE_PGM_RSRC2:TGID_X_EN: 1
; COMPUTE_PGM_RSRC2:TGID_Y_EN: 0
; COMPUTE_PGM_RSRC2:TGID_Z_EN: 0
; COMPUTE_PGM_RSRC2:TIDIG_COMP_CNT: 0
; COMPUTE_PGM_RSRC3_GFX90A:ACCUM_OFFSET: 0
; COMPUTE_PGM_RSRC3_GFX90A:TG_SPLIT: 0
	.section	.text._ZN7rocprim17ROCPRIM_400000_NS6detail17trampoline_kernelINS0_14default_configENS1_35radix_sort_onesweep_config_selectorIiNS0_10empty_typeEEEZZNS1_29radix_sort_onesweep_iterationIS3_Lb1EN6thrust23THRUST_200600_302600_NS6detail15normal_iteratorINS9_10device_ptrIiEEEESE_PS5_SF_jNS0_19identity_decomposerENS1_16block_id_wrapperIjLb1EEEEE10hipError_tT1_PNSt15iterator_traitsISK_E10value_typeET2_T3_PNSL_ISQ_E10value_typeET4_T5_PSV_SW_PNS1_23onesweep_lookback_stateEbbT6_jjT7_P12ihipStream_tbENKUlT_T0_SK_SP_E_clIPiSE_SF_SF_EEDaS13_S14_SK_SP_EUlS13_E_NS1_11comp_targetILNS1_3genE9ELNS1_11target_archE1100ELNS1_3gpuE3ELNS1_3repE0EEENS1_47radix_sort_onesweep_sort_config_static_selectorELNS0_4arch9wavefront6targetE1EEEvSK_,"axG",@progbits,_ZN7rocprim17ROCPRIM_400000_NS6detail17trampoline_kernelINS0_14default_configENS1_35radix_sort_onesweep_config_selectorIiNS0_10empty_typeEEEZZNS1_29radix_sort_onesweep_iterationIS3_Lb1EN6thrust23THRUST_200600_302600_NS6detail15normal_iteratorINS9_10device_ptrIiEEEESE_PS5_SF_jNS0_19identity_decomposerENS1_16block_id_wrapperIjLb1EEEEE10hipError_tT1_PNSt15iterator_traitsISK_E10value_typeET2_T3_PNSL_ISQ_E10value_typeET4_T5_PSV_SW_PNS1_23onesweep_lookback_stateEbbT6_jjT7_P12ihipStream_tbENKUlT_T0_SK_SP_E_clIPiSE_SF_SF_EEDaS13_S14_SK_SP_EUlS13_E_NS1_11comp_targetILNS1_3genE9ELNS1_11target_archE1100ELNS1_3gpuE3ELNS1_3repE0EEENS1_47radix_sort_onesweep_sort_config_static_selectorELNS0_4arch9wavefront6targetE1EEEvSK_,comdat
	.protected	_ZN7rocprim17ROCPRIM_400000_NS6detail17trampoline_kernelINS0_14default_configENS1_35radix_sort_onesweep_config_selectorIiNS0_10empty_typeEEEZZNS1_29radix_sort_onesweep_iterationIS3_Lb1EN6thrust23THRUST_200600_302600_NS6detail15normal_iteratorINS9_10device_ptrIiEEEESE_PS5_SF_jNS0_19identity_decomposerENS1_16block_id_wrapperIjLb1EEEEE10hipError_tT1_PNSt15iterator_traitsISK_E10value_typeET2_T3_PNSL_ISQ_E10value_typeET4_T5_PSV_SW_PNS1_23onesweep_lookback_stateEbbT6_jjT7_P12ihipStream_tbENKUlT_T0_SK_SP_E_clIPiSE_SF_SF_EEDaS13_S14_SK_SP_EUlS13_E_NS1_11comp_targetILNS1_3genE9ELNS1_11target_archE1100ELNS1_3gpuE3ELNS1_3repE0EEENS1_47radix_sort_onesweep_sort_config_static_selectorELNS0_4arch9wavefront6targetE1EEEvSK_ ; -- Begin function _ZN7rocprim17ROCPRIM_400000_NS6detail17trampoline_kernelINS0_14default_configENS1_35radix_sort_onesweep_config_selectorIiNS0_10empty_typeEEEZZNS1_29radix_sort_onesweep_iterationIS3_Lb1EN6thrust23THRUST_200600_302600_NS6detail15normal_iteratorINS9_10device_ptrIiEEEESE_PS5_SF_jNS0_19identity_decomposerENS1_16block_id_wrapperIjLb1EEEEE10hipError_tT1_PNSt15iterator_traitsISK_E10value_typeET2_T3_PNSL_ISQ_E10value_typeET4_T5_PSV_SW_PNS1_23onesweep_lookback_stateEbbT6_jjT7_P12ihipStream_tbENKUlT_T0_SK_SP_E_clIPiSE_SF_SF_EEDaS13_S14_SK_SP_EUlS13_E_NS1_11comp_targetILNS1_3genE9ELNS1_11target_archE1100ELNS1_3gpuE3ELNS1_3repE0EEENS1_47radix_sort_onesweep_sort_config_static_selectorELNS0_4arch9wavefront6targetE1EEEvSK_
	.globl	_ZN7rocprim17ROCPRIM_400000_NS6detail17trampoline_kernelINS0_14default_configENS1_35radix_sort_onesweep_config_selectorIiNS0_10empty_typeEEEZZNS1_29radix_sort_onesweep_iterationIS3_Lb1EN6thrust23THRUST_200600_302600_NS6detail15normal_iteratorINS9_10device_ptrIiEEEESE_PS5_SF_jNS0_19identity_decomposerENS1_16block_id_wrapperIjLb1EEEEE10hipError_tT1_PNSt15iterator_traitsISK_E10value_typeET2_T3_PNSL_ISQ_E10value_typeET4_T5_PSV_SW_PNS1_23onesweep_lookback_stateEbbT6_jjT7_P12ihipStream_tbENKUlT_T0_SK_SP_E_clIPiSE_SF_SF_EEDaS13_S14_SK_SP_EUlS13_E_NS1_11comp_targetILNS1_3genE9ELNS1_11target_archE1100ELNS1_3gpuE3ELNS1_3repE0EEENS1_47radix_sort_onesweep_sort_config_static_selectorELNS0_4arch9wavefront6targetE1EEEvSK_
	.p2align	8
	.type	_ZN7rocprim17ROCPRIM_400000_NS6detail17trampoline_kernelINS0_14default_configENS1_35radix_sort_onesweep_config_selectorIiNS0_10empty_typeEEEZZNS1_29radix_sort_onesweep_iterationIS3_Lb1EN6thrust23THRUST_200600_302600_NS6detail15normal_iteratorINS9_10device_ptrIiEEEESE_PS5_SF_jNS0_19identity_decomposerENS1_16block_id_wrapperIjLb1EEEEE10hipError_tT1_PNSt15iterator_traitsISK_E10value_typeET2_T3_PNSL_ISQ_E10value_typeET4_T5_PSV_SW_PNS1_23onesweep_lookback_stateEbbT6_jjT7_P12ihipStream_tbENKUlT_T0_SK_SP_E_clIPiSE_SF_SF_EEDaS13_S14_SK_SP_EUlS13_E_NS1_11comp_targetILNS1_3genE9ELNS1_11target_archE1100ELNS1_3gpuE3ELNS1_3repE0EEENS1_47radix_sort_onesweep_sort_config_static_selectorELNS0_4arch9wavefront6targetE1EEEvSK_,@function
_ZN7rocprim17ROCPRIM_400000_NS6detail17trampoline_kernelINS0_14default_configENS1_35radix_sort_onesweep_config_selectorIiNS0_10empty_typeEEEZZNS1_29radix_sort_onesweep_iterationIS3_Lb1EN6thrust23THRUST_200600_302600_NS6detail15normal_iteratorINS9_10device_ptrIiEEEESE_PS5_SF_jNS0_19identity_decomposerENS1_16block_id_wrapperIjLb1EEEEE10hipError_tT1_PNSt15iterator_traitsISK_E10value_typeET2_T3_PNSL_ISQ_E10value_typeET4_T5_PSV_SW_PNS1_23onesweep_lookback_stateEbbT6_jjT7_P12ihipStream_tbENKUlT_T0_SK_SP_E_clIPiSE_SF_SF_EEDaS13_S14_SK_SP_EUlS13_E_NS1_11comp_targetILNS1_3genE9ELNS1_11target_archE1100ELNS1_3gpuE3ELNS1_3repE0EEENS1_47radix_sort_onesweep_sort_config_static_selectorELNS0_4arch9wavefront6targetE1EEEvSK_: ; @_ZN7rocprim17ROCPRIM_400000_NS6detail17trampoline_kernelINS0_14default_configENS1_35radix_sort_onesweep_config_selectorIiNS0_10empty_typeEEEZZNS1_29radix_sort_onesweep_iterationIS3_Lb1EN6thrust23THRUST_200600_302600_NS6detail15normal_iteratorINS9_10device_ptrIiEEEESE_PS5_SF_jNS0_19identity_decomposerENS1_16block_id_wrapperIjLb1EEEEE10hipError_tT1_PNSt15iterator_traitsISK_E10value_typeET2_T3_PNSL_ISQ_E10value_typeET4_T5_PSV_SW_PNS1_23onesweep_lookback_stateEbbT6_jjT7_P12ihipStream_tbENKUlT_T0_SK_SP_E_clIPiSE_SF_SF_EEDaS13_S14_SK_SP_EUlS13_E_NS1_11comp_targetILNS1_3genE9ELNS1_11target_archE1100ELNS1_3gpuE3ELNS1_3repE0EEENS1_47radix_sort_onesweep_sort_config_static_selectorELNS0_4arch9wavefront6targetE1EEEvSK_
; %bb.0:
	.section	.rodata,"a",@progbits
	.p2align	6, 0x0
	.amdhsa_kernel _ZN7rocprim17ROCPRIM_400000_NS6detail17trampoline_kernelINS0_14default_configENS1_35radix_sort_onesweep_config_selectorIiNS0_10empty_typeEEEZZNS1_29radix_sort_onesweep_iterationIS3_Lb1EN6thrust23THRUST_200600_302600_NS6detail15normal_iteratorINS9_10device_ptrIiEEEESE_PS5_SF_jNS0_19identity_decomposerENS1_16block_id_wrapperIjLb1EEEEE10hipError_tT1_PNSt15iterator_traitsISK_E10value_typeET2_T3_PNSL_ISQ_E10value_typeET4_T5_PSV_SW_PNS1_23onesweep_lookback_stateEbbT6_jjT7_P12ihipStream_tbENKUlT_T0_SK_SP_E_clIPiSE_SF_SF_EEDaS13_S14_SK_SP_EUlS13_E_NS1_11comp_targetILNS1_3genE9ELNS1_11target_archE1100ELNS1_3gpuE3ELNS1_3repE0EEENS1_47radix_sort_onesweep_sort_config_static_selectorELNS0_4arch9wavefront6targetE1EEEvSK_
		.amdhsa_group_segment_fixed_size 0
		.amdhsa_private_segment_fixed_size 0
		.amdhsa_kernarg_size 88
		.amdhsa_user_sgpr_count 2
		.amdhsa_user_sgpr_dispatch_ptr 0
		.amdhsa_user_sgpr_queue_ptr 0
		.amdhsa_user_sgpr_kernarg_segment_ptr 1
		.amdhsa_user_sgpr_dispatch_id 0
		.amdhsa_user_sgpr_kernarg_preload_length 0
		.amdhsa_user_sgpr_kernarg_preload_offset 0
		.amdhsa_user_sgpr_private_segment_size 0
		.amdhsa_uses_dynamic_stack 0
		.amdhsa_enable_private_segment 0
		.amdhsa_system_sgpr_workgroup_id_x 1
		.amdhsa_system_sgpr_workgroup_id_y 0
		.amdhsa_system_sgpr_workgroup_id_z 0
		.amdhsa_system_sgpr_workgroup_info 0
		.amdhsa_system_vgpr_workitem_id 0
		.amdhsa_next_free_vgpr 1
		.amdhsa_next_free_sgpr 0
		.amdhsa_accum_offset 4
		.amdhsa_reserve_vcc 0
		.amdhsa_float_round_mode_32 0
		.amdhsa_float_round_mode_16_64 0
		.amdhsa_float_denorm_mode_32 3
		.amdhsa_float_denorm_mode_16_64 3
		.amdhsa_dx10_clamp 1
		.amdhsa_ieee_mode 1
		.amdhsa_fp16_overflow 0
		.amdhsa_tg_split 0
		.amdhsa_exception_fp_ieee_invalid_op 0
		.amdhsa_exception_fp_denorm_src 0
		.amdhsa_exception_fp_ieee_div_zero 0
		.amdhsa_exception_fp_ieee_overflow 0
		.amdhsa_exception_fp_ieee_underflow 0
		.amdhsa_exception_fp_ieee_inexact 0
		.amdhsa_exception_int_div_zero 0
	.end_amdhsa_kernel
	.section	.text._ZN7rocprim17ROCPRIM_400000_NS6detail17trampoline_kernelINS0_14default_configENS1_35radix_sort_onesweep_config_selectorIiNS0_10empty_typeEEEZZNS1_29radix_sort_onesweep_iterationIS3_Lb1EN6thrust23THRUST_200600_302600_NS6detail15normal_iteratorINS9_10device_ptrIiEEEESE_PS5_SF_jNS0_19identity_decomposerENS1_16block_id_wrapperIjLb1EEEEE10hipError_tT1_PNSt15iterator_traitsISK_E10value_typeET2_T3_PNSL_ISQ_E10value_typeET4_T5_PSV_SW_PNS1_23onesweep_lookback_stateEbbT6_jjT7_P12ihipStream_tbENKUlT_T0_SK_SP_E_clIPiSE_SF_SF_EEDaS13_S14_SK_SP_EUlS13_E_NS1_11comp_targetILNS1_3genE9ELNS1_11target_archE1100ELNS1_3gpuE3ELNS1_3repE0EEENS1_47radix_sort_onesweep_sort_config_static_selectorELNS0_4arch9wavefront6targetE1EEEvSK_,"axG",@progbits,_ZN7rocprim17ROCPRIM_400000_NS6detail17trampoline_kernelINS0_14default_configENS1_35radix_sort_onesweep_config_selectorIiNS0_10empty_typeEEEZZNS1_29radix_sort_onesweep_iterationIS3_Lb1EN6thrust23THRUST_200600_302600_NS6detail15normal_iteratorINS9_10device_ptrIiEEEESE_PS5_SF_jNS0_19identity_decomposerENS1_16block_id_wrapperIjLb1EEEEE10hipError_tT1_PNSt15iterator_traitsISK_E10value_typeET2_T3_PNSL_ISQ_E10value_typeET4_T5_PSV_SW_PNS1_23onesweep_lookback_stateEbbT6_jjT7_P12ihipStream_tbENKUlT_T0_SK_SP_E_clIPiSE_SF_SF_EEDaS13_S14_SK_SP_EUlS13_E_NS1_11comp_targetILNS1_3genE9ELNS1_11target_archE1100ELNS1_3gpuE3ELNS1_3repE0EEENS1_47radix_sort_onesweep_sort_config_static_selectorELNS0_4arch9wavefront6targetE1EEEvSK_,comdat
.Lfunc_end361:
	.size	_ZN7rocprim17ROCPRIM_400000_NS6detail17trampoline_kernelINS0_14default_configENS1_35radix_sort_onesweep_config_selectorIiNS0_10empty_typeEEEZZNS1_29radix_sort_onesweep_iterationIS3_Lb1EN6thrust23THRUST_200600_302600_NS6detail15normal_iteratorINS9_10device_ptrIiEEEESE_PS5_SF_jNS0_19identity_decomposerENS1_16block_id_wrapperIjLb1EEEEE10hipError_tT1_PNSt15iterator_traitsISK_E10value_typeET2_T3_PNSL_ISQ_E10value_typeET4_T5_PSV_SW_PNS1_23onesweep_lookback_stateEbbT6_jjT7_P12ihipStream_tbENKUlT_T0_SK_SP_E_clIPiSE_SF_SF_EEDaS13_S14_SK_SP_EUlS13_E_NS1_11comp_targetILNS1_3genE9ELNS1_11target_archE1100ELNS1_3gpuE3ELNS1_3repE0EEENS1_47radix_sort_onesweep_sort_config_static_selectorELNS0_4arch9wavefront6targetE1EEEvSK_, .Lfunc_end361-_ZN7rocprim17ROCPRIM_400000_NS6detail17trampoline_kernelINS0_14default_configENS1_35radix_sort_onesweep_config_selectorIiNS0_10empty_typeEEEZZNS1_29radix_sort_onesweep_iterationIS3_Lb1EN6thrust23THRUST_200600_302600_NS6detail15normal_iteratorINS9_10device_ptrIiEEEESE_PS5_SF_jNS0_19identity_decomposerENS1_16block_id_wrapperIjLb1EEEEE10hipError_tT1_PNSt15iterator_traitsISK_E10value_typeET2_T3_PNSL_ISQ_E10value_typeET4_T5_PSV_SW_PNS1_23onesweep_lookback_stateEbbT6_jjT7_P12ihipStream_tbENKUlT_T0_SK_SP_E_clIPiSE_SF_SF_EEDaS13_S14_SK_SP_EUlS13_E_NS1_11comp_targetILNS1_3genE9ELNS1_11target_archE1100ELNS1_3gpuE3ELNS1_3repE0EEENS1_47radix_sort_onesweep_sort_config_static_selectorELNS0_4arch9wavefront6targetE1EEEvSK_
                                        ; -- End function
	.set _ZN7rocprim17ROCPRIM_400000_NS6detail17trampoline_kernelINS0_14default_configENS1_35radix_sort_onesweep_config_selectorIiNS0_10empty_typeEEEZZNS1_29radix_sort_onesweep_iterationIS3_Lb1EN6thrust23THRUST_200600_302600_NS6detail15normal_iteratorINS9_10device_ptrIiEEEESE_PS5_SF_jNS0_19identity_decomposerENS1_16block_id_wrapperIjLb1EEEEE10hipError_tT1_PNSt15iterator_traitsISK_E10value_typeET2_T3_PNSL_ISQ_E10value_typeET4_T5_PSV_SW_PNS1_23onesweep_lookback_stateEbbT6_jjT7_P12ihipStream_tbENKUlT_T0_SK_SP_E_clIPiSE_SF_SF_EEDaS13_S14_SK_SP_EUlS13_E_NS1_11comp_targetILNS1_3genE9ELNS1_11target_archE1100ELNS1_3gpuE3ELNS1_3repE0EEENS1_47radix_sort_onesweep_sort_config_static_selectorELNS0_4arch9wavefront6targetE1EEEvSK_.num_vgpr, 0
	.set _ZN7rocprim17ROCPRIM_400000_NS6detail17trampoline_kernelINS0_14default_configENS1_35radix_sort_onesweep_config_selectorIiNS0_10empty_typeEEEZZNS1_29radix_sort_onesweep_iterationIS3_Lb1EN6thrust23THRUST_200600_302600_NS6detail15normal_iteratorINS9_10device_ptrIiEEEESE_PS5_SF_jNS0_19identity_decomposerENS1_16block_id_wrapperIjLb1EEEEE10hipError_tT1_PNSt15iterator_traitsISK_E10value_typeET2_T3_PNSL_ISQ_E10value_typeET4_T5_PSV_SW_PNS1_23onesweep_lookback_stateEbbT6_jjT7_P12ihipStream_tbENKUlT_T0_SK_SP_E_clIPiSE_SF_SF_EEDaS13_S14_SK_SP_EUlS13_E_NS1_11comp_targetILNS1_3genE9ELNS1_11target_archE1100ELNS1_3gpuE3ELNS1_3repE0EEENS1_47radix_sort_onesweep_sort_config_static_selectorELNS0_4arch9wavefront6targetE1EEEvSK_.num_agpr, 0
	.set _ZN7rocprim17ROCPRIM_400000_NS6detail17trampoline_kernelINS0_14default_configENS1_35radix_sort_onesweep_config_selectorIiNS0_10empty_typeEEEZZNS1_29radix_sort_onesweep_iterationIS3_Lb1EN6thrust23THRUST_200600_302600_NS6detail15normal_iteratorINS9_10device_ptrIiEEEESE_PS5_SF_jNS0_19identity_decomposerENS1_16block_id_wrapperIjLb1EEEEE10hipError_tT1_PNSt15iterator_traitsISK_E10value_typeET2_T3_PNSL_ISQ_E10value_typeET4_T5_PSV_SW_PNS1_23onesweep_lookback_stateEbbT6_jjT7_P12ihipStream_tbENKUlT_T0_SK_SP_E_clIPiSE_SF_SF_EEDaS13_S14_SK_SP_EUlS13_E_NS1_11comp_targetILNS1_3genE9ELNS1_11target_archE1100ELNS1_3gpuE3ELNS1_3repE0EEENS1_47radix_sort_onesweep_sort_config_static_selectorELNS0_4arch9wavefront6targetE1EEEvSK_.numbered_sgpr, 0
	.set _ZN7rocprim17ROCPRIM_400000_NS6detail17trampoline_kernelINS0_14default_configENS1_35radix_sort_onesweep_config_selectorIiNS0_10empty_typeEEEZZNS1_29radix_sort_onesweep_iterationIS3_Lb1EN6thrust23THRUST_200600_302600_NS6detail15normal_iteratorINS9_10device_ptrIiEEEESE_PS5_SF_jNS0_19identity_decomposerENS1_16block_id_wrapperIjLb1EEEEE10hipError_tT1_PNSt15iterator_traitsISK_E10value_typeET2_T3_PNSL_ISQ_E10value_typeET4_T5_PSV_SW_PNS1_23onesweep_lookback_stateEbbT6_jjT7_P12ihipStream_tbENKUlT_T0_SK_SP_E_clIPiSE_SF_SF_EEDaS13_S14_SK_SP_EUlS13_E_NS1_11comp_targetILNS1_3genE9ELNS1_11target_archE1100ELNS1_3gpuE3ELNS1_3repE0EEENS1_47radix_sort_onesweep_sort_config_static_selectorELNS0_4arch9wavefront6targetE1EEEvSK_.num_named_barrier, 0
	.set _ZN7rocprim17ROCPRIM_400000_NS6detail17trampoline_kernelINS0_14default_configENS1_35radix_sort_onesweep_config_selectorIiNS0_10empty_typeEEEZZNS1_29radix_sort_onesweep_iterationIS3_Lb1EN6thrust23THRUST_200600_302600_NS6detail15normal_iteratorINS9_10device_ptrIiEEEESE_PS5_SF_jNS0_19identity_decomposerENS1_16block_id_wrapperIjLb1EEEEE10hipError_tT1_PNSt15iterator_traitsISK_E10value_typeET2_T3_PNSL_ISQ_E10value_typeET4_T5_PSV_SW_PNS1_23onesweep_lookback_stateEbbT6_jjT7_P12ihipStream_tbENKUlT_T0_SK_SP_E_clIPiSE_SF_SF_EEDaS13_S14_SK_SP_EUlS13_E_NS1_11comp_targetILNS1_3genE9ELNS1_11target_archE1100ELNS1_3gpuE3ELNS1_3repE0EEENS1_47radix_sort_onesweep_sort_config_static_selectorELNS0_4arch9wavefront6targetE1EEEvSK_.private_seg_size, 0
	.set _ZN7rocprim17ROCPRIM_400000_NS6detail17trampoline_kernelINS0_14default_configENS1_35radix_sort_onesweep_config_selectorIiNS0_10empty_typeEEEZZNS1_29radix_sort_onesweep_iterationIS3_Lb1EN6thrust23THRUST_200600_302600_NS6detail15normal_iteratorINS9_10device_ptrIiEEEESE_PS5_SF_jNS0_19identity_decomposerENS1_16block_id_wrapperIjLb1EEEEE10hipError_tT1_PNSt15iterator_traitsISK_E10value_typeET2_T3_PNSL_ISQ_E10value_typeET4_T5_PSV_SW_PNS1_23onesweep_lookback_stateEbbT6_jjT7_P12ihipStream_tbENKUlT_T0_SK_SP_E_clIPiSE_SF_SF_EEDaS13_S14_SK_SP_EUlS13_E_NS1_11comp_targetILNS1_3genE9ELNS1_11target_archE1100ELNS1_3gpuE3ELNS1_3repE0EEENS1_47radix_sort_onesweep_sort_config_static_selectorELNS0_4arch9wavefront6targetE1EEEvSK_.uses_vcc, 0
	.set _ZN7rocprim17ROCPRIM_400000_NS6detail17trampoline_kernelINS0_14default_configENS1_35radix_sort_onesweep_config_selectorIiNS0_10empty_typeEEEZZNS1_29radix_sort_onesweep_iterationIS3_Lb1EN6thrust23THRUST_200600_302600_NS6detail15normal_iteratorINS9_10device_ptrIiEEEESE_PS5_SF_jNS0_19identity_decomposerENS1_16block_id_wrapperIjLb1EEEEE10hipError_tT1_PNSt15iterator_traitsISK_E10value_typeET2_T3_PNSL_ISQ_E10value_typeET4_T5_PSV_SW_PNS1_23onesweep_lookback_stateEbbT6_jjT7_P12ihipStream_tbENKUlT_T0_SK_SP_E_clIPiSE_SF_SF_EEDaS13_S14_SK_SP_EUlS13_E_NS1_11comp_targetILNS1_3genE9ELNS1_11target_archE1100ELNS1_3gpuE3ELNS1_3repE0EEENS1_47radix_sort_onesweep_sort_config_static_selectorELNS0_4arch9wavefront6targetE1EEEvSK_.uses_flat_scratch, 0
	.set _ZN7rocprim17ROCPRIM_400000_NS6detail17trampoline_kernelINS0_14default_configENS1_35radix_sort_onesweep_config_selectorIiNS0_10empty_typeEEEZZNS1_29radix_sort_onesweep_iterationIS3_Lb1EN6thrust23THRUST_200600_302600_NS6detail15normal_iteratorINS9_10device_ptrIiEEEESE_PS5_SF_jNS0_19identity_decomposerENS1_16block_id_wrapperIjLb1EEEEE10hipError_tT1_PNSt15iterator_traitsISK_E10value_typeET2_T3_PNSL_ISQ_E10value_typeET4_T5_PSV_SW_PNS1_23onesweep_lookback_stateEbbT6_jjT7_P12ihipStream_tbENKUlT_T0_SK_SP_E_clIPiSE_SF_SF_EEDaS13_S14_SK_SP_EUlS13_E_NS1_11comp_targetILNS1_3genE9ELNS1_11target_archE1100ELNS1_3gpuE3ELNS1_3repE0EEENS1_47radix_sort_onesweep_sort_config_static_selectorELNS0_4arch9wavefront6targetE1EEEvSK_.has_dyn_sized_stack, 0
	.set _ZN7rocprim17ROCPRIM_400000_NS6detail17trampoline_kernelINS0_14default_configENS1_35radix_sort_onesweep_config_selectorIiNS0_10empty_typeEEEZZNS1_29radix_sort_onesweep_iterationIS3_Lb1EN6thrust23THRUST_200600_302600_NS6detail15normal_iteratorINS9_10device_ptrIiEEEESE_PS5_SF_jNS0_19identity_decomposerENS1_16block_id_wrapperIjLb1EEEEE10hipError_tT1_PNSt15iterator_traitsISK_E10value_typeET2_T3_PNSL_ISQ_E10value_typeET4_T5_PSV_SW_PNS1_23onesweep_lookback_stateEbbT6_jjT7_P12ihipStream_tbENKUlT_T0_SK_SP_E_clIPiSE_SF_SF_EEDaS13_S14_SK_SP_EUlS13_E_NS1_11comp_targetILNS1_3genE9ELNS1_11target_archE1100ELNS1_3gpuE3ELNS1_3repE0EEENS1_47radix_sort_onesweep_sort_config_static_selectorELNS0_4arch9wavefront6targetE1EEEvSK_.has_recursion, 0
	.set _ZN7rocprim17ROCPRIM_400000_NS6detail17trampoline_kernelINS0_14default_configENS1_35radix_sort_onesweep_config_selectorIiNS0_10empty_typeEEEZZNS1_29radix_sort_onesweep_iterationIS3_Lb1EN6thrust23THRUST_200600_302600_NS6detail15normal_iteratorINS9_10device_ptrIiEEEESE_PS5_SF_jNS0_19identity_decomposerENS1_16block_id_wrapperIjLb1EEEEE10hipError_tT1_PNSt15iterator_traitsISK_E10value_typeET2_T3_PNSL_ISQ_E10value_typeET4_T5_PSV_SW_PNS1_23onesweep_lookback_stateEbbT6_jjT7_P12ihipStream_tbENKUlT_T0_SK_SP_E_clIPiSE_SF_SF_EEDaS13_S14_SK_SP_EUlS13_E_NS1_11comp_targetILNS1_3genE9ELNS1_11target_archE1100ELNS1_3gpuE3ELNS1_3repE0EEENS1_47radix_sort_onesweep_sort_config_static_selectorELNS0_4arch9wavefront6targetE1EEEvSK_.has_indirect_call, 0
	.section	.AMDGPU.csdata,"",@progbits
; Kernel info:
; codeLenInByte = 0
; TotalNumSgprs: 6
; NumVgprs: 0
; NumAgprs: 0
; TotalNumVgprs: 0
; ScratchSize: 0
; MemoryBound: 0
; FloatMode: 240
; IeeeMode: 1
; LDSByteSize: 0 bytes/workgroup (compile time only)
; SGPRBlocks: 0
; VGPRBlocks: 0
; NumSGPRsForWavesPerEU: 6
; NumVGPRsForWavesPerEU: 1
; AccumOffset: 4
; Occupancy: 8
; WaveLimiterHint : 0
; COMPUTE_PGM_RSRC2:SCRATCH_EN: 0
; COMPUTE_PGM_RSRC2:USER_SGPR: 2
; COMPUTE_PGM_RSRC2:TRAP_HANDLER: 0
; COMPUTE_PGM_RSRC2:TGID_X_EN: 1
; COMPUTE_PGM_RSRC2:TGID_Y_EN: 0
; COMPUTE_PGM_RSRC2:TGID_Z_EN: 0
; COMPUTE_PGM_RSRC2:TIDIG_COMP_CNT: 0
; COMPUTE_PGM_RSRC3_GFX90A:ACCUM_OFFSET: 0
; COMPUTE_PGM_RSRC3_GFX90A:TG_SPLIT: 0
	.section	.text._ZN7rocprim17ROCPRIM_400000_NS6detail17trampoline_kernelINS0_14default_configENS1_35radix_sort_onesweep_config_selectorIiNS0_10empty_typeEEEZZNS1_29radix_sort_onesweep_iterationIS3_Lb1EN6thrust23THRUST_200600_302600_NS6detail15normal_iteratorINS9_10device_ptrIiEEEESE_PS5_SF_jNS0_19identity_decomposerENS1_16block_id_wrapperIjLb1EEEEE10hipError_tT1_PNSt15iterator_traitsISK_E10value_typeET2_T3_PNSL_ISQ_E10value_typeET4_T5_PSV_SW_PNS1_23onesweep_lookback_stateEbbT6_jjT7_P12ihipStream_tbENKUlT_T0_SK_SP_E_clIPiSE_SF_SF_EEDaS13_S14_SK_SP_EUlS13_E_NS1_11comp_targetILNS1_3genE8ELNS1_11target_archE1030ELNS1_3gpuE2ELNS1_3repE0EEENS1_47radix_sort_onesweep_sort_config_static_selectorELNS0_4arch9wavefront6targetE1EEEvSK_,"axG",@progbits,_ZN7rocprim17ROCPRIM_400000_NS6detail17trampoline_kernelINS0_14default_configENS1_35radix_sort_onesweep_config_selectorIiNS0_10empty_typeEEEZZNS1_29radix_sort_onesweep_iterationIS3_Lb1EN6thrust23THRUST_200600_302600_NS6detail15normal_iteratorINS9_10device_ptrIiEEEESE_PS5_SF_jNS0_19identity_decomposerENS1_16block_id_wrapperIjLb1EEEEE10hipError_tT1_PNSt15iterator_traitsISK_E10value_typeET2_T3_PNSL_ISQ_E10value_typeET4_T5_PSV_SW_PNS1_23onesweep_lookback_stateEbbT6_jjT7_P12ihipStream_tbENKUlT_T0_SK_SP_E_clIPiSE_SF_SF_EEDaS13_S14_SK_SP_EUlS13_E_NS1_11comp_targetILNS1_3genE8ELNS1_11target_archE1030ELNS1_3gpuE2ELNS1_3repE0EEENS1_47radix_sort_onesweep_sort_config_static_selectorELNS0_4arch9wavefront6targetE1EEEvSK_,comdat
	.protected	_ZN7rocprim17ROCPRIM_400000_NS6detail17trampoline_kernelINS0_14default_configENS1_35radix_sort_onesweep_config_selectorIiNS0_10empty_typeEEEZZNS1_29radix_sort_onesweep_iterationIS3_Lb1EN6thrust23THRUST_200600_302600_NS6detail15normal_iteratorINS9_10device_ptrIiEEEESE_PS5_SF_jNS0_19identity_decomposerENS1_16block_id_wrapperIjLb1EEEEE10hipError_tT1_PNSt15iterator_traitsISK_E10value_typeET2_T3_PNSL_ISQ_E10value_typeET4_T5_PSV_SW_PNS1_23onesweep_lookback_stateEbbT6_jjT7_P12ihipStream_tbENKUlT_T0_SK_SP_E_clIPiSE_SF_SF_EEDaS13_S14_SK_SP_EUlS13_E_NS1_11comp_targetILNS1_3genE8ELNS1_11target_archE1030ELNS1_3gpuE2ELNS1_3repE0EEENS1_47radix_sort_onesweep_sort_config_static_selectorELNS0_4arch9wavefront6targetE1EEEvSK_ ; -- Begin function _ZN7rocprim17ROCPRIM_400000_NS6detail17trampoline_kernelINS0_14default_configENS1_35radix_sort_onesweep_config_selectorIiNS0_10empty_typeEEEZZNS1_29radix_sort_onesweep_iterationIS3_Lb1EN6thrust23THRUST_200600_302600_NS6detail15normal_iteratorINS9_10device_ptrIiEEEESE_PS5_SF_jNS0_19identity_decomposerENS1_16block_id_wrapperIjLb1EEEEE10hipError_tT1_PNSt15iterator_traitsISK_E10value_typeET2_T3_PNSL_ISQ_E10value_typeET4_T5_PSV_SW_PNS1_23onesweep_lookback_stateEbbT6_jjT7_P12ihipStream_tbENKUlT_T0_SK_SP_E_clIPiSE_SF_SF_EEDaS13_S14_SK_SP_EUlS13_E_NS1_11comp_targetILNS1_3genE8ELNS1_11target_archE1030ELNS1_3gpuE2ELNS1_3repE0EEENS1_47radix_sort_onesweep_sort_config_static_selectorELNS0_4arch9wavefront6targetE1EEEvSK_
	.globl	_ZN7rocprim17ROCPRIM_400000_NS6detail17trampoline_kernelINS0_14default_configENS1_35radix_sort_onesweep_config_selectorIiNS0_10empty_typeEEEZZNS1_29radix_sort_onesweep_iterationIS3_Lb1EN6thrust23THRUST_200600_302600_NS6detail15normal_iteratorINS9_10device_ptrIiEEEESE_PS5_SF_jNS0_19identity_decomposerENS1_16block_id_wrapperIjLb1EEEEE10hipError_tT1_PNSt15iterator_traitsISK_E10value_typeET2_T3_PNSL_ISQ_E10value_typeET4_T5_PSV_SW_PNS1_23onesweep_lookback_stateEbbT6_jjT7_P12ihipStream_tbENKUlT_T0_SK_SP_E_clIPiSE_SF_SF_EEDaS13_S14_SK_SP_EUlS13_E_NS1_11comp_targetILNS1_3genE8ELNS1_11target_archE1030ELNS1_3gpuE2ELNS1_3repE0EEENS1_47radix_sort_onesweep_sort_config_static_selectorELNS0_4arch9wavefront6targetE1EEEvSK_
	.p2align	8
	.type	_ZN7rocprim17ROCPRIM_400000_NS6detail17trampoline_kernelINS0_14default_configENS1_35radix_sort_onesweep_config_selectorIiNS0_10empty_typeEEEZZNS1_29radix_sort_onesweep_iterationIS3_Lb1EN6thrust23THRUST_200600_302600_NS6detail15normal_iteratorINS9_10device_ptrIiEEEESE_PS5_SF_jNS0_19identity_decomposerENS1_16block_id_wrapperIjLb1EEEEE10hipError_tT1_PNSt15iterator_traitsISK_E10value_typeET2_T3_PNSL_ISQ_E10value_typeET4_T5_PSV_SW_PNS1_23onesweep_lookback_stateEbbT6_jjT7_P12ihipStream_tbENKUlT_T0_SK_SP_E_clIPiSE_SF_SF_EEDaS13_S14_SK_SP_EUlS13_E_NS1_11comp_targetILNS1_3genE8ELNS1_11target_archE1030ELNS1_3gpuE2ELNS1_3repE0EEENS1_47radix_sort_onesweep_sort_config_static_selectorELNS0_4arch9wavefront6targetE1EEEvSK_,@function
_ZN7rocprim17ROCPRIM_400000_NS6detail17trampoline_kernelINS0_14default_configENS1_35radix_sort_onesweep_config_selectorIiNS0_10empty_typeEEEZZNS1_29radix_sort_onesweep_iterationIS3_Lb1EN6thrust23THRUST_200600_302600_NS6detail15normal_iteratorINS9_10device_ptrIiEEEESE_PS5_SF_jNS0_19identity_decomposerENS1_16block_id_wrapperIjLb1EEEEE10hipError_tT1_PNSt15iterator_traitsISK_E10value_typeET2_T3_PNSL_ISQ_E10value_typeET4_T5_PSV_SW_PNS1_23onesweep_lookback_stateEbbT6_jjT7_P12ihipStream_tbENKUlT_T0_SK_SP_E_clIPiSE_SF_SF_EEDaS13_S14_SK_SP_EUlS13_E_NS1_11comp_targetILNS1_3genE8ELNS1_11target_archE1030ELNS1_3gpuE2ELNS1_3repE0EEENS1_47radix_sort_onesweep_sort_config_static_selectorELNS0_4arch9wavefront6targetE1EEEvSK_: ; @_ZN7rocprim17ROCPRIM_400000_NS6detail17trampoline_kernelINS0_14default_configENS1_35radix_sort_onesweep_config_selectorIiNS0_10empty_typeEEEZZNS1_29radix_sort_onesweep_iterationIS3_Lb1EN6thrust23THRUST_200600_302600_NS6detail15normal_iteratorINS9_10device_ptrIiEEEESE_PS5_SF_jNS0_19identity_decomposerENS1_16block_id_wrapperIjLb1EEEEE10hipError_tT1_PNSt15iterator_traitsISK_E10value_typeET2_T3_PNSL_ISQ_E10value_typeET4_T5_PSV_SW_PNS1_23onesweep_lookback_stateEbbT6_jjT7_P12ihipStream_tbENKUlT_T0_SK_SP_E_clIPiSE_SF_SF_EEDaS13_S14_SK_SP_EUlS13_E_NS1_11comp_targetILNS1_3genE8ELNS1_11target_archE1030ELNS1_3gpuE2ELNS1_3repE0EEENS1_47radix_sort_onesweep_sort_config_static_selectorELNS0_4arch9wavefront6targetE1EEEvSK_
; %bb.0:
	.section	.rodata,"a",@progbits
	.p2align	6, 0x0
	.amdhsa_kernel _ZN7rocprim17ROCPRIM_400000_NS6detail17trampoline_kernelINS0_14default_configENS1_35radix_sort_onesweep_config_selectorIiNS0_10empty_typeEEEZZNS1_29radix_sort_onesweep_iterationIS3_Lb1EN6thrust23THRUST_200600_302600_NS6detail15normal_iteratorINS9_10device_ptrIiEEEESE_PS5_SF_jNS0_19identity_decomposerENS1_16block_id_wrapperIjLb1EEEEE10hipError_tT1_PNSt15iterator_traitsISK_E10value_typeET2_T3_PNSL_ISQ_E10value_typeET4_T5_PSV_SW_PNS1_23onesweep_lookback_stateEbbT6_jjT7_P12ihipStream_tbENKUlT_T0_SK_SP_E_clIPiSE_SF_SF_EEDaS13_S14_SK_SP_EUlS13_E_NS1_11comp_targetILNS1_3genE8ELNS1_11target_archE1030ELNS1_3gpuE2ELNS1_3repE0EEENS1_47radix_sort_onesweep_sort_config_static_selectorELNS0_4arch9wavefront6targetE1EEEvSK_
		.amdhsa_group_segment_fixed_size 0
		.amdhsa_private_segment_fixed_size 0
		.amdhsa_kernarg_size 88
		.amdhsa_user_sgpr_count 2
		.amdhsa_user_sgpr_dispatch_ptr 0
		.amdhsa_user_sgpr_queue_ptr 0
		.amdhsa_user_sgpr_kernarg_segment_ptr 1
		.amdhsa_user_sgpr_dispatch_id 0
		.amdhsa_user_sgpr_kernarg_preload_length 0
		.amdhsa_user_sgpr_kernarg_preload_offset 0
		.amdhsa_user_sgpr_private_segment_size 0
		.amdhsa_uses_dynamic_stack 0
		.amdhsa_enable_private_segment 0
		.amdhsa_system_sgpr_workgroup_id_x 1
		.amdhsa_system_sgpr_workgroup_id_y 0
		.amdhsa_system_sgpr_workgroup_id_z 0
		.amdhsa_system_sgpr_workgroup_info 0
		.amdhsa_system_vgpr_workitem_id 0
		.amdhsa_next_free_vgpr 1
		.amdhsa_next_free_sgpr 0
		.amdhsa_accum_offset 4
		.amdhsa_reserve_vcc 0
		.amdhsa_float_round_mode_32 0
		.amdhsa_float_round_mode_16_64 0
		.amdhsa_float_denorm_mode_32 3
		.amdhsa_float_denorm_mode_16_64 3
		.amdhsa_dx10_clamp 1
		.amdhsa_ieee_mode 1
		.amdhsa_fp16_overflow 0
		.amdhsa_tg_split 0
		.amdhsa_exception_fp_ieee_invalid_op 0
		.amdhsa_exception_fp_denorm_src 0
		.amdhsa_exception_fp_ieee_div_zero 0
		.amdhsa_exception_fp_ieee_overflow 0
		.amdhsa_exception_fp_ieee_underflow 0
		.amdhsa_exception_fp_ieee_inexact 0
		.amdhsa_exception_int_div_zero 0
	.end_amdhsa_kernel
	.section	.text._ZN7rocprim17ROCPRIM_400000_NS6detail17trampoline_kernelINS0_14default_configENS1_35radix_sort_onesweep_config_selectorIiNS0_10empty_typeEEEZZNS1_29radix_sort_onesweep_iterationIS3_Lb1EN6thrust23THRUST_200600_302600_NS6detail15normal_iteratorINS9_10device_ptrIiEEEESE_PS5_SF_jNS0_19identity_decomposerENS1_16block_id_wrapperIjLb1EEEEE10hipError_tT1_PNSt15iterator_traitsISK_E10value_typeET2_T3_PNSL_ISQ_E10value_typeET4_T5_PSV_SW_PNS1_23onesweep_lookback_stateEbbT6_jjT7_P12ihipStream_tbENKUlT_T0_SK_SP_E_clIPiSE_SF_SF_EEDaS13_S14_SK_SP_EUlS13_E_NS1_11comp_targetILNS1_3genE8ELNS1_11target_archE1030ELNS1_3gpuE2ELNS1_3repE0EEENS1_47radix_sort_onesweep_sort_config_static_selectorELNS0_4arch9wavefront6targetE1EEEvSK_,"axG",@progbits,_ZN7rocprim17ROCPRIM_400000_NS6detail17trampoline_kernelINS0_14default_configENS1_35radix_sort_onesweep_config_selectorIiNS0_10empty_typeEEEZZNS1_29radix_sort_onesweep_iterationIS3_Lb1EN6thrust23THRUST_200600_302600_NS6detail15normal_iteratorINS9_10device_ptrIiEEEESE_PS5_SF_jNS0_19identity_decomposerENS1_16block_id_wrapperIjLb1EEEEE10hipError_tT1_PNSt15iterator_traitsISK_E10value_typeET2_T3_PNSL_ISQ_E10value_typeET4_T5_PSV_SW_PNS1_23onesweep_lookback_stateEbbT6_jjT7_P12ihipStream_tbENKUlT_T0_SK_SP_E_clIPiSE_SF_SF_EEDaS13_S14_SK_SP_EUlS13_E_NS1_11comp_targetILNS1_3genE8ELNS1_11target_archE1030ELNS1_3gpuE2ELNS1_3repE0EEENS1_47radix_sort_onesweep_sort_config_static_selectorELNS0_4arch9wavefront6targetE1EEEvSK_,comdat
.Lfunc_end362:
	.size	_ZN7rocprim17ROCPRIM_400000_NS6detail17trampoline_kernelINS0_14default_configENS1_35radix_sort_onesweep_config_selectorIiNS0_10empty_typeEEEZZNS1_29radix_sort_onesweep_iterationIS3_Lb1EN6thrust23THRUST_200600_302600_NS6detail15normal_iteratorINS9_10device_ptrIiEEEESE_PS5_SF_jNS0_19identity_decomposerENS1_16block_id_wrapperIjLb1EEEEE10hipError_tT1_PNSt15iterator_traitsISK_E10value_typeET2_T3_PNSL_ISQ_E10value_typeET4_T5_PSV_SW_PNS1_23onesweep_lookback_stateEbbT6_jjT7_P12ihipStream_tbENKUlT_T0_SK_SP_E_clIPiSE_SF_SF_EEDaS13_S14_SK_SP_EUlS13_E_NS1_11comp_targetILNS1_3genE8ELNS1_11target_archE1030ELNS1_3gpuE2ELNS1_3repE0EEENS1_47radix_sort_onesweep_sort_config_static_selectorELNS0_4arch9wavefront6targetE1EEEvSK_, .Lfunc_end362-_ZN7rocprim17ROCPRIM_400000_NS6detail17trampoline_kernelINS0_14default_configENS1_35radix_sort_onesweep_config_selectorIiNS0_10empty_typeEEEZZNS1_29radix_sort_onesweep_iterationIS3_Lb1EN6thrust23THRUST_200600_302600_NS6detail15normal_iteratorINS9_10device_ptrIiEEEESE_PS5_SF_jNS0_19identity_decomposerENS1_16block_id_wrapperIjLb1EEEEE10hipError_tT1_PNSt15iterator_traitsISK_E10value_typeET2_T3_PNSL_ISQ_E10value_typeET4_T5_PSV_SW_PNS1_23onesweep_lookback_stateEbbT6_jjT7_P12ihipStream_tbENKUlT_T0_SK_SP_E_clIPiSE_SF_SF_EEDaS13_S14_SK_SP_EUlS13_E_NS1_11comp_targetILNS1_3genE8ELNS1_11target_archE1030ELNS1_3gpuE2ELNS1_3repE0EEENS1_47radix_sort_onesweep_sort_config_static_selectorELNS0_4arch9wavefront6targetE1EEEvSK_
                                        ; -- End function
	.set _ZN7rocprim17ROCPRIM_400000_NS6detail17trampoline_kernelINS0_14default_configENS1_35radix_sort_onesweep_config_selectorIiNS0_10empty_typeEEEZZNS1_29radix_sort_onesweep_iterationIS3_Lb1EN6thrust23THRUST_200600_302600_NS6detail15normal_iteratorINS9_10device_ptrIiEEEESE_PS5_SF_jNS0_19identity_decomposerENS1_16block_id_wrapperIjLb1EEEEE10hipError_tT1_PNSt15iterator_traitsISK_E10value_typeET2_T3_PNSL_ISQ_E10value_typeET4_T5_PSV_SW_PNS1_23onesweep_lookback_stateEbbT6_jjT7_P12ihipStream_tbENKUlT_T0_SK_SP_E_clIPiSE_SF_SF_EEDaS13_S14_SK_SP_EUlS13_E_NS1_11comp_targetILNS1_3genE8ELNS1_11target_archE1030ELNS1_3gpuE2ELNS1_3repE0EEENS1_47radix_sort_onesweep_sort_config_static_selectorELNS0_4arch9wavefront6targetE1EEEvSK_.num_vgpr, 0
	.set _ZN7rocprim17ROCPRIM_400000_NS6detail17trampoline_kernelINS0_14default_configENS1_35radix_sort_onesweep_config_selectorIiNS0_10empty_typeEEEZZNS1_29radix_sort_onesweep_iterationIS3_Lb1EN6thrust23THRUST_200600_302600_NS6detail15normal_iteratorINS9_10device_ptrIiEEEESE_PS5_SF_jNS0_19identity_decomposerENS1_16block_id_wrapperIjLb1EEEEE10hipError_tT1_PNSt15iterator_traitsISK_E10value_typeET2_T3_PNSL_ISQ_E10value_typeET4_T5_PSV_SW_PNS1_23onesweep_lookback_stateEbbT6_jjT7_P12ihipStream_tbENKUlT_T0_SK_SP_E_clIPiSE_SF_SF_EEDaS13_S14_SK_SP_EUlS13_E_NS1_11comp_targetILNS1_3genE8ELNS1_11target_archE1030ELNS1_3gpuE2ELNS1_3repE0EEENS1_47radix_sort_onesweep_sort_config_static_selectorELNS0_4arch9wavefront6targetE1EEEvSK_.num_agpr, 0
	.set _ZN7rocprim17ROCPRIM_400000_NS6detail17trampoline_kernelINS0_14default_configENS1_35radix_sort_onesweep_config_selectorIiNS0_10empty_typeEEEZZNS1_29radix_sort_onesweep_iterationIS3_Lb1EN6thrust23THRUST_200600_302600_NS6detail15normal_iteratorINS9_10device_ptrIiEEEESE_PS5_SF_jNS0_19identity_decomposerENS1_16block_id_wrapperIjLb1EEEEE10hipError_tT1_PNSt15iterator_traitsISK_E10value_typeET2_T3_PNSL_ISQ_E10value_typeET4_T5_PSV_SW_PNS1_23onesweep_lookback_stateEbbT6_jjT7_P12ihipStream_tbENKUlT_T0_SK_SP_E_clIPiSE_SF_SF_EEDaS13_S14_SK_SP_EUlS13_E_NS1_11comp_targetILNS1_3genE8ELNS1_11target_archE1030ELNS1_3gpuE2ELNS1_3repE0EEENS1_47radix_sort_onesweep_sort_config_static_selectorELNS0_4arch9wavefront6targetE1EEEvSK_.numbered_sgpr, 0
	.set _ZN7rocprim17ROCPRIM_400000_NS6detail17trampoline_kernelINS0_14default_configENS1_35radix_sort_onesweep_config_selectorIiNS0_10empty_typeEEEZZNS1_29radix_sort_onesweep_iterationIS3_Lb1EN6thrust23THRUST_200600_302600_NS6detail15normal_iteratorINS9_10device_ptrIiEEEESE_PS5_SF_jNS0_19identity_decomposerENS1_16block_id_wrapperIjLb1EEEEE10hipError_tT1_PNSt15iterator_traitsISK_E10value_typeET2_T3_PNSL_ISQ_E10value_typeET4_T5_PSV_SW_PNS1_23onesweep_lookback_stateEbbT6_jjT7_P12ihipStream_tbENKUlT_T0_SK_SP_E_clIPiSE_SF_SF_EEDaS13_S14_SK_SP_EUlS13_E_NS1_11comp_targetILNS1_3genE8ELNS1_11target_archE1030ELNS1_3gpuE2ELNS1_3repE0EEENS1_47radix_sort_onesweep_sort_config_static_selectorELNS0_4arch9wavefront6targetE1EEEvSK_.num_named_barrier, 0
	.set _ZN7rocprim17ROCPRIM_400000_NS6detail17trampoline_kernelINS0_14default_configENS1_35radix_sort_onesweep_config_selectorIiNS0_10empty_typeEEEZZNS1_29radix_sort_onesweep_iterationIS3_Lb1EN6thrust23THRUST_200600_302600_NS6detail15normal_iteratorINS9_10device_ptrIiEEEESE_PS5_SF_jNS0_19identity_decomposerENS1_16block_id_wrapperIjLb1EEEEE10hipError_tT1_PNSt15iterator_traitsISK_E10value_typeET2_T3_PNSL_ISQ_E10value_typeET4_T5_PSV_SW_PNS1_23onesweep_lookback_stateEbbT6_jjT7_P12ihipStream_tbENKUlT_T0_SK_SP_E_clIPiSE_SF_SF_EEDaS13_S14_SK_SP_EUlS13_E_NS1_11comp_targetILNS1_3genE8ELNS1_11target_archE1030ELNS1_3gpuE2ELNS1_3repE0EEENS1_47radix_sort_onesweep_sort_config_static_selectorELNS0_4arch9wavefront6targetE1EEEvSK_.private_seg_size, 0
	.set _ZN7rocprim17ROCPRIM_400000_NS6detail17trampoline_kernelINS0_14default_configENS1_35radix_sort_onesweep_config_selectorIiNS0_10empty_typeEEEZZNS1_29radix_sort_onesweep_iterationIS3_Lb1EN6thrust23THRUST_200600_302600_NS6detail15normal_iteratorINS9_10device_ptrIiEEEESE_PS5_SF_jNS0_19identity_decomposerENS1_16block_id_wrapperIjLb1EEEEE10hipError_tT1_PNSt15iterator_traitsISK_E10value_typeET2_T3_PNSL_ISQ_E10value_typeET4_T5_PSV_SW_PNS1_23onesweep_lookback_stateEbbT6_jjT7_P12ihipStream_tbENKUlT_T0_SK_SP_E_clIPiSE_SF_SF_EEDaS13_S14_SK_SP_EUlS13_E_NS1_11comp_targetILNS1_3genE8ELNS1_11target_archE1030ELNS1_3gpuE2ELNS1_3repE0EEENS1_47radix_sort_onesweep_sort_config_static_selectorELNS0_4arch9wavefront6targetE1EEEvSK_.uses_vcc, 0
	.set _ZN7rocprim17ROCPRIM_400000_NS6detail17trampoline_kernelINS0_14default_configENS1_35radix_sort_onesweep_config_selectorIiNS0_10empty_typeEEEZZNS1_29radix_sort_onesweep_iterationIS3_Lb1EN6thrust23THRUST_200600_302600_NS6detail15normal_iteratorINS9_10device_ptrIiEEEESE_PS5_SF_jNS0_19identity_decomposerENS1_16block_id_wrapperIjLb1EEEEE10hipError_tT1_PNSt15iterator_traitsISK_E10value_typeET2_T3_PNSL_ISQ_E10value_typeET4_T5_PSV_SW_PNS1_23onesweep_lookback_stateEbbT6_jjT7_P12ihipStream_tbENKUlT_T0_SK_SP_E_clIPiSE_SF_SF_EEDaS13_S14_SK_SP_EUlS13_E_NS1_11comp_targetILNS1_3genE8ELNS1_11target_archE1030ELNS1_3gpuE2ELNS1_3repE0EEENS1_47radix_sort_onesweep_sort_config_static_selectorELNS0_4arch9wavefront6targetE1EEEvSK_.uses_flat_scratch, 0
	.set _ZN7rocprim17ROCPRIM_400000_NS6detail17trampoline_kernelINS0_14default_configENS1_35radix_sort_onesweep_config_selectorIiNS0_10empty_typeEEEZZNS1_29radix_sort_onesweep_iterationIS3_Lb1EN6thrust23THRUST_200600_302600_NS6detail15normal_iteratorINS9_10device_ptrIiEEEESE_PS5_SF_jNS0_19identity_decomposerENS1_16block_id_wrapperIjLb1EEEEE10hipError_tT1_PNSt15iterator_traitsISK_E10value_typeET2_T3_PNSL_ISQ_E10value_typeET4_T5_PSV_SW_PNS1_23onesweep_lookback_stateEbbT6_jjT7_P12ihipStream_tbENKUlT_T0_SK_SP_E_clIPiSE_SF_SF_EEDaS13_S14_SK_SP_EUlS13_E_NS1_11comp_targetILNS1_3genE8ELNS1_11target_archE1030ELNS1_3gpuE2ELNS1_3repE0EEENS1_47radix_sort_onesweep_sort_config_static_selectorELNS0_4arch9wavefront6targetE1EEEvSK_.has_dyn_sized_stack, 0
	.set _ZN7rocprim17ROCPRIM_400000_NS6detail17trampoline_kernelINS0_14default_configENS1_35radix_sort_onesweep_config_selectorIiNS0_10empty_typeEEEZZNS1_29radix_sort_onesweep_iterationIS3_Lb1EN6thrust23THRUST_200600_302600_NS6detail15normal_iteratorINS9_10device_ptrIiEEEESE_PS5_SF_jNS0_19identity_decomposerENS1_16block_id_wrapperIjLb1EEEEE10hipError_tT1_PNSt15iterator_traitsISK_E10value_typeET2_T3_PNSL_ISQ_E10value_typeET4_T5_PSV_SW_PNS1_23onesweep_lookback_stateEbbT6_jjT7_P12ihipStream_tbENKUlT_T0_SK_SP_E_clIPiSE_SF_SF_EEDaS13_S14_SK_SP_EUlS13_E_NS1_11comp_targetILNS1_3genE8ELNS1_11target_archE1030ELNS1_3gpuE2ELNS1_3repE0EEENS1_47radix_sort_onesweep_sort_config_static_selectorELNS0_4arch9wavefront6targetE1EEEvSK_.has_recursion, 0
	.set _ZN7rocprim17ROCPRIM_400000_NS6detail17trampoline_kernelINS0_14default_configENS1_35radix_sort_onesweep_config_selectorIiNS0_10empty_typeEEEZZNS1_29radix_sort_onesweep_iterationIS3_Lb1EN6thrust23THRUST_200600_302600_NS6detail15normal_iteratorINS9_10device_ptrIiEEEESE_PS5_SF_jNS0_19identity_decomposerENS1_16block_id_wrapperIjLb1EEEEE10hipError_tT1_PNSt15iterator_traitsISK_E10value_typeET2_T3_PNSL_ISQ_E10value_typeET4_T5_PSV_SW_PNS1_23onesweep_lookback_stateEbbT6_jjT7_P12ihipStream_tbENKUlT_T0_SK_SP_E_clIPiSE_SF_SF_EEDaS13_S14_SK_SP_EUlS13_E_NS1_11comp_targetILNS1_3genE8ELNS1_11target_archE1030ELNS1_3gpuE2ELNS1_3repE0EEENS1_47radix_sort_onesweep_sort_config_static_selectorELNS0_4arch9wavefront6targetE1EEEvSK_.has_indirect_call, 0
	.section	.AMDGPU.csdata,"",@progbits
; Kernel info:
; codeLenInByte = 0
; TotalNumSgprs: 6
; NumVgprs: 0
; NumAgprs: 0
; TotalNumVgprs: 0
; ScratchSize: 0
; MemoryBound: 0
; FloatMode: 240
; IeeeMode: 1
; LDSByteSize: 0 bytes/workgroup (compile time only)
; SGPRBlocks: 0
; VGPRBlocks: 0
; NumSGPRsForWavesPerEU: 6
; NumVGPRsForWavesPerEU: 1
; AccumOffset: 4
; Occupancy: 8
; WaveLimiterHint : 0
; COMPUTE_PGM_RSRC2:SCRATCH_EN: 0
; COMPUTE_PGM_RSRC2:USER_SGPR: 2
; COMPUTE_PGM_RSRC2:TRAP_HANDLER: 0
; COMPUTE_PGM_RSRC2:TGID_X_EN: 1
; COMPUTE_PGM_RSRC2:TGID_Y_EN: 0
; COMPUTE_PGM_RSRC2:TGID_Z_EN: 0
; COMPUTE_PGM_RSRC2:TIDIG_COMP_CNT: 0
; COMPUTE_PGM_RSRC3_GFX90A:ACCUM_OFFSET: 0
; COMPUTE_PGM_RSRC3_GFX90A:TG_SPLIT: 0
	.section	.text._ZN7rocprim17ROCPRIM_400000_NS6detail17trampoline_kernelINS0_14default_configENS1_35radix_sort_onesweep_config_selectorIiNS0_10empty_typeEEEZZNS1_29radix_sort_onesweep_iterationIS3_Lb1EN6thrust23THRUST_200600_302600_NS6detail15normal_iteratorINS9_10device_ptrIiEEEESE_PS5_SF_jNS0_19identity_decomposerENS1_16block_id_wrapperIjLb0EEEEE10hipError_tT1_PNSt15iterator_traitsISK_E10value_typeET2_T3_PNSL_ISQ_E10value_typeET4_T5_PSV_SW_PNS1_23onesweep_lookback_stateEbbT6_jjT7_P12ihipStream_tbENKUlT_T0_SK_SP_E_clISE_SE_SF_SF_EEDaS13_S14_SK_SP_EUlS13_E_NS1_11comp_targetILNS1_3genE0ELNS1_11target_archE4294967295ELNS1_3gpuE0ELNS1_3repE0EEENS1_47radix_sort_onesweep_sort_config_static_selectorELNS0_4arch9wavefront6targetE1EEEvSK_,"axG",@progbits,_ZN7rocprim17ROCPRIM_400000_NS6detail17trampoline_kernelINS0_14default_configENS1_35radix_sort_onesweep_config_selectorIiNS0_10empty_typeEEEZZNS1_29radix_sort_onesweep_iterationIS3_Lb1EN6thrust23THRUST_200600_302600_NS6detail15normal_iteratorINS9_10device_ptrIiEEEESE_PS5_SF_jNS0_19identity_decomposerENS1_16block_id_wrapperIjLb0EEEEE10hipError_tT1_PNSt15iterator_traitsISK_E10value_typeET2_T3_PNSL_ISQ_E10value_typeET4_T5_PSV_SW_PNS1_23onesweep_lookback_stateEbbT6_jjT7_P12ihipStream_tbENKUlT_T0_SK_SP_E_clISE_SE_SF_SF_EEDaS13_S14_SK_SP_EUlS13_E_NS1_11comp_targetILNS1_3genE0ELNS1_11target_archE4294967295ELNS1_3gpuE0ELNS1_3repE0EEENS1_47radix_sort_onesweep_sort_config_static_selectorELNS0_4arch9wavefront6targetE1EEEvSK_,comdat
	.protected	_ZN7rocprim17ROCPRIM_400000_NS6detail17trampoline_kernelINS0_14default_configENS1_35radix_sort_onesweep_config_selectorIiNS0_10empty_typeEEEZZNS1_29radix_sort_onesweep_iterationIS3_Lb1EN6thrust23THRUST_200600_302600_NS6detail15normal_iteratorINS9_10device_ptrIiEEEESE_PS5_SF_jNS0_19identity_decomposerENS1_16block_id_wrapperIjLb0EEEEE10hipError_tT1_PNSt15iterator_traitsISK_E10value_typeET2_T3_PNSL_ISQ_E10value_typeET4_T5_PSV_SW_PNS1_23onesweep_lookback_stateEbbT6_jjT7_P12ihipStream_tbENKUlT_T0_SK_SP_E_clISE_SE_SF_SF_EEDaS13_S14_SK_SP_EUlS13_E_NS1_11comp_targetILNS1_3genE0ELNS1_11target_archE4294967295ELNS1_3gpuE0ELNS1_3repE0EEENS1_47radix_sort_onesweep_sort_config_static_selectorELNS0_4arch9wavefront6targetE1EEEvSK_ ; -- Begin function _ZN7rocprim17ROCPRIM_400000_NS6detail17trampoline_kernelINS0_14default_configENS1_35radix_sort_onesweep_config_selectorIiNS0_10empty_typeEEEZZNS1_29radix_sort_onesweep_iterationIS3_Lb1EN6thrust23THRUST_200600_302600_NS6detail15normal_iteratorINS9_10device_ptrIiEEEESE_PS5_SF_jNS0_19identity_decomposerENS1_16block_id_wrapperIjLb0EEEEE10hipError_tT1_PNSt15iterator_traitsISK_E10value_typeET2_T3_PNSL_ISQ_E10value_typeET4_T5_PSV_SW_PNS1_23onesweep_lookback_stateEbbT6_jjT7_P12ihipStream_tbENKUlT_T0_SK_SP_E_clISE_SE_SF_SF_EEDaS13_S14_SK_SP_EUlS13_E_NS1_11comp_targetILNS1_3genE0ELNS1_11target_archE4294967295ELNS1_3gpuE0ELNS1_3repE0EEENS1_47radix_sort_onesweep_sort_config_static_selectorELNS0_4arch9wavefront6targetE1EEEvSK_
	.globl	_ZN7rocprim17ROCPRIM_400000_NS6detail17trampoline_kernelINS0_14default_configENS1_35radix_sort_onesweep_config_selectorIiNS0_10empty_typeEEEZZNS1_29radix_sort_onesweep_iterationIS3_Lb1EN6thrust23THRUST_200600_302600_NS6detail15normal_iteratorINS9_10device_ptrIiEEEESE_PS5_SF_jNS0_19identity_decomposerENS1_16block_id_wrapperIjLb0EEEEE10hipError_tT1_PNSt15iterator_traitsISK_E10value_typeET2_T3_PNSL_ISQ_E10value_typeET4_T5_PSV_SW_PNS1_23onesweep_lookback_stateEbbT6_jjT7_P12ihipStream_tbENKUlT_T0_SK_SP_E_clISE_SE_SF_SF_EEDaS13_S14_SK_SP_EUlS13_E_NS1_11comp_targetILNS1_3genE0ELNS1_11target_archE4294967295ELNS1_3gpuE0ELNS1_3repE0EEENS1_47radix_sort_onesweep_sort_config_static_selectorELNS0_4arch9wavefront6targetE1EEEvSK_
	.p2align	8
	.type	_ZN7rocprim17ROCPRIM_400000_NS6detail17trampoline_kernelINS0_14default_configENS1_35radix_sort_onesweep_config_selectorIiNS0_10empty_typeEEEZZNS1_29radix_sort_onesweep_iterationIS3_Lb1EN6thrust23THRUST_200600_302600_NS6detail15normal_iteratorINS9_10device_ptrIiEEEESE_PS5_SF_jNS0_19identity_decomposerENS1_16block_id_wrapperIjLb0EEEEE10hipError_tT1_PNSt15iterator_traitsISK_E10value_typeET2_T3_PNSL_ISQ_E10value_typeET4_T5_PSV_SW_PNS1_23onesweep_lookback_stateEbbT6_jjT7_P12ihipStream_tbENKUlT_T0_SK_SP_E_clISE_SE_SF_SF_EEDaS13_S14_SK_SP_EUlS13_E_NS1_11comp_targetILNS1_3genE0ELNS1_11target_archE4294967295ELNS1_3gpuE0ELNS1_3repE0EEENS1_47radix_sort_onesweep_sort_config_static_selectorELNS0_4arch9wavefront6targetE1EEEvSK_,@function
_ZN7rocprim17ROCPRIM_400000_NS6detail17trampoline_kernelINS0_14default_configENS1_35radix_sort_onesweep_config_selectorIiNS0_10empty_typeEEEZZNS1_29radix_sort_onesweep_iterationIS3_Lb1EN6thrust23THRUST_200600_302600_NS6detail15normal_iteratorINS9_10device_ptrIiEEEESE_PS5_SF_jNS0_19identity_decomposerENS1_16block_id_wrapperIjLb0EEEEE10hipError_tT1_PNSt15iterator_traitsISK_E10value_typeET2_T3_PNSL_ISQ_E10value_typeET4_T5_PSV_SW_PNS1_23onesweep_lookback_stateEbbT6_jjT7_P12ihipStream_tbENKUlT_T0_SK_SP_E_clISE_SE_SF_SF_EEDaS13_S14_SK_SP_EUlS13_E_NS1_11comp_targetILNS1_3genE0ELNS1_11target_archE4294967295ELNS1_3gpuE0ELNS1_3repE0EEENS1_47radix_sort_onesweep_sort_config_static_selectorELNS0_4arch9wavefront6targetE1EEEvSK_: ; @_ZN7rocprim17ROCPRIM_400000_NS6detail17trampoline_kernelINS0_14default_configENS1_35radix_sort_onesweep_config_selectorIiNS0_10empty_typeEEEZZNS1_29radix_sort_onesweep_iterationIS3_Lb1EN6thrust23THRUST_200600_302600_NS6detail15normal_iteratorINS9_10device_ptrIiEEEESE_PS5_SF_jNS0_19identity_decomposerENS1_16block_id_wrapperIjLb0EEEEE10hipError_tT1_PNSt15iterator_traitsISK_E10value_typeET2_T3_PNSL_ISQ_E10value_typeET4_T5_PSV_SW_PNS1_23onesweep_lookback_stateEbbT6_jjT7_P12ihipStream_tbENKUlT_T0_SK_SP_E_clISE_SE_SF_SF_EEDaS13_S14_SK_SP_EUlS13_E_NS1_11comp_targetILNS1_3genE0ELNS1_11target_archE4294967295ELNS1_3gpuE0ELNS1_3repE0EEENS1_47radix_sort_onesweep_sort_config_static_selectorELNS0_4arch9wavefront6targetE1EEEvSK_
; %bb.0:
	.section	.rodata,"a",@progbits
	.p2align	6, 0x0
	.amdhsa_kernel _ZN7rocprim17ROCPRIM_400000_NS6detail17trampoline_kernelINS0_14default_configENS1_35radix_sort_onesweep_config_selectorIiNS0_10empty_typeEEEZZNS1_29radix_sort_onesweep_iterationIS3_Lb1EN6thrust23THRUST_200600_302600_NS6detail15normal_iteratorINS9_10device_ptrIiEEEESE_PS5_SF_jNS0_19identity_decomposerENS1_16block_id_wrapperIjLb0EEEEE10hipError_tT1_PNSt15iterator_traitsISK_E10value_typeET2_T3_PNSL_ISQ_E10value_typeET4_T5_PSV_SW_PNS1_23onesweep_lookback_stateEbbT6_jjT7_P12ihipStream_tbENKUlT_T0_SK_SP_E_clISE_SE_SF_SF_EEDaS13_S14_SK_SP_EUlS13_E_NS1_11comp_targetILNS1_3genE0ELNS1_11target_archE4294967295ELNS1_3gpuE0ELNS1_3repE0EEENS1_47radix_sort_onesweep_sort_config_static_selectorELNS0_4arch9wavefront6targetE1EEEvSK_
		.amdhsa_group_segment_fixed_size 0
		.amdhsa_private_segment_fixed_size 0
		.amdhsa_kernarg_size 88
		.amdhsa_user_sgpr_count 2
		.amdhsa_user_sgpr_dispatch_ptr 0
		.amdhsa_user_sgpr_queue_ptr 0
		.amdhsa_user_sgpr_kernarg_segment_ptr 1
		.amdhsa_user_sgpr_dispatch_id 0
		.amdhsa_user_sgpr_kernarg_preload_length 0
		.amdhsa_user_sgpr_kernarg_preload_offset 0
		.amdhsa_user_sgpr_private_segment_size 0
		.amdhsa_uses_dynamic_stack 0
		.amdhsa_enable_private_segment 0
		.amdhsa_system_sgpr_workgroup_id_x 1
		.amdhsa_system_sgpr_workgroup_id_y 0
		.amdhsa_system_sgpr_workgroup_id_z 0
		.amdhsa_system_sgpr_workgroup_info 0
		.amdhsa_system_vgpr_workitem_id 0
		.amdhsa_next_free_vgpr 1
		.amdhsa_next_free_sgpr 0
		.amdhsa_accum_offset 4
		.amdhsa_reserve_vcc 0
		.amdhsa_float_round_mode_32 0
		.amdhsa_float_round_mode_16_64 0
		.amdhsa_float_denorm_mode_32 3
		.amdhsa_float_denorm_mode_16_64 3
		.amdhsa_dx10_clamp 1
		.amdhsa_ieee_mode 1
		.amdhsa_fp16_overflow 0
		.amdhsa_tg_split 0
		.amdhsa_exception_fp_ieee_invalid_op 0
		.amdhsa_exception_fp_denorm_src 0
		.amdhsa_exception_fp_ieee_div_zero 0
		.amdhsa_exception_fp_ieee_overflow 0
		.amdhsa_exception_fp_ieee_underflow 0
		.amdhsa_exception_fp_ieee_inexact 0
		.amdhsa_exception_int_div_zero 0
	.end_amdhsa_kernel
	.section	.text._ZN7rocprim17ROCPRIM_400000_NS6detail17trampoline_kernelINS0_14default_configENS1_35radix_sort_onesweep_config_selectorIiNS0_10empty_typeEEEZZNS1_29radix_sort_onesweep_iterationIS3_Lb1EN6thrust23THRUST_200600_302600_NS6detail15normal_iteratorINS9_10device_ptrIiEEEESE_PS5_SF_jNS0_19identity_decomposerENS1_16block_id_wrapperIjLb0EEEEE10hipError_tT1_PNSt15iterator_traitsISK_E10value_typeET2_T3_PNSL_ISQ_E10value_typeET4_T5_PSV_SW_PNS1_23onesweep_lookback_stateEbbT6_jjT7_P12ihipStream_tbENKUlT_T0_SK_SP_E_clISE_SE_SF_SF_EEDaS13_S14_SK_SP_EUlS13_E_NS1_11comp_targetILNS1_3genE0ELNS1_11target_archE4294967295ELNS1_3gpuE0ELNS1_3repE0EEENS1_47radix_sort_onesweep_sort_config_static_selectorELNS0_4arch9wavefront6targetE1EEEvSK_,"axG",@progbits,_ZN7rocprim17ROCPRIM_400000_NS6detail17trampoline_kernelINS0_14default_configENS1_35radix_sort_onesweep_config_selectorIiNS0_10empty_typeEEEZZNS1_29radix_sort_onesweep_iterationIS3_Lb1EN6thrust23THRUST_200600_302600_NS6detail15normal_iteratorINS9_10device_ptrIiEEEESE_PS5_SF_jNS0_19identity_decomposerENS1_16block_id_wrapperIjLb0EEEEE10hipError_tT1_PNSt15iterator_traitsISK_E10value_typeET2_T3_PNSL_ISQ_E10value_typeET4_T5_PSV_SW_PNS1_23onesweep_lookback_stateEbbT6_jjT7_P12ihipStream_tbENKUlT_T0_SK_SP_E_clISE_SE_SF_SF_EEDaS13_S14_SK_SP_EUlS13_E_NS1_11comp_targetILNS1_3genE0ELNS1_11target_archE4294967295ELNS1_3gpuE0ELNS1_3repE0EEENS1_47radix_sort_onesweep_sort_config_static_selectorELNS0_4arch9wavefront6targetE1EEEvSK_,comdat
.Lfunc_end363:
	.size	_ZN7rocprim17ROCPRIM_400000_NS6detail17trampoline_kernelINS0_14default_configENS1_35radix_sort_onesweep_config_selectorIiNS0_10empty_typeEEEZZNS1_29radix_sort_onesweep_iterationIS3_Lb1EN6thrust23THRUST_200600_302600_NS6detail15normal_iteratorINS9_10device_ptrIiEEEESE_PS5_SF_jNS0_19identity_decomposerENS1_16block_id_wrapperIjLb0EEEEE10hipError_tT1_PNSt15iterator_traitsISK_E10value_typeET2_T3_PNSL_ISQ_E10value_typeET4_T5_PSV_SW_PNS1_23onesweep_lookback_stateEbbT6_jjT7_P12ihipStream_tbENKUlT_T0_SK_SP_E_clISE_SE_SF_SF_EEDaS13_S14_SK_SP_EUlS13_E_NS1_11comp_targetILNS1_3genE0ELNS1_11target_archE4294967295ELNS1_3gpuE0ELNS1_3repE0EEENS1_47radix_sort_onesweep_sort_config_static_selectorELNS0_4arch9wavefront6targetE1EEEvSK_, .Lfunc_end363-_ZN7rocprim17ROCPRIM_400000_NS6detail17trampoline_kernelINS0_14default_configENS1_35radix_sort_onesweep_config_selectorIiNS0_10empty_typeEEEZZNS1_29radix_sort_onesweep_iterationIS3_Lb1EN6thrust23THRUST_200600_302600_NS6detail15normal_iteratorINS9_10device_ptrIiEEEESE_PS5_SF_jNS0_19identity_decomposerENS1_16block_id_wrapperIjLb0EEEEE10hipError_tT1_PNSt15iterator_traitsISK_E10value_typeET2_T3_PNSL_ISQ_E10value_typeET4_T5_PSV_SW_PNS1_23onesweep_lookback_stateEbbT6_jjT7_P12ihipStream_tbENKUlT_T0_SK_SP_E_clISE_SE_SF_SF_EEDaS13_S14_SK_SP_EUlS13_E_NS1_11comp_targetILNS1_3genE0ELNS1_11target_archE4294967295ELNS1_3gpuE0ELNS1_3repE0EEENS1_47radix_sort_onesweep_sort_config_static_selectorELNS0_4arch9wavefront6targetE1EEEvSK_
                                        ; -- End function
	.set _ZN7rocprim17ROCPRIM_400000_NS6detail17trampoline_kernelINS0_14default_configENS1_35radix_sort_onesweep_config_selectorIiNS0_10empty_typeEEEZZNS1_29radix_sort_onesweep_iterationIS3_Lb1EN6thrust23THRUST_200600_302600_NS6detail15normal_iteratorINS9_10device_ptrIiEEEESE_PS5_SF_jNS0_19identity_decomposerENS1_16block_id_wrapperIjLb0EEEEE10hipError_tT1_PNSt15iterator_traitsISK_E10value_typeET2_T3_PNSL_ISQ_E10value_typeET4_T5_PSV_SW_PNS1_23onesweep_lookback_stateEbbT6_jjT7_P12ihipStream_tbENKUlT_T0_SK_SP_E_clISE_SE_SF_SF_EEDaS13_S14_SK_SP_EUlS13_E_NS1_11comp_targetILNS1_3genE0ELNS1_11target_archE4294967295ELNS1_3gpuE0ELNS1_3repE0EEENS1_47radix_sort_onesweep_sort_config_static_selectorELNS0_4arch9wavefront6targetE1EEEvSK_.num_vgpr, 0
	.set _ZN7rocprim17ROCPRIM_400000_NS6detail17trampoline_kernelINS0_14default_configENS1_35radix_sort_onesweep_config_selectorIiNS0_10empty_typeEEEZZNS1_29radix_sort_onesweep_iterationIS3_Lb1EN6thrust23THRUST_200600_302600_NS6detail15normal_iteratorINS9_10device_ptrIiEEEESE_PS5_SF_jNS0_19identity_decomposerENS1_16block_id_wrapperIjLb0EEEEE10hipError_tT1_PNSt15iterator_traitsISK_E10value_typeET2_T3_PNSL_ISQ_E10value_typeET4_T5_PSV_SW_PNS1_23onesweep_lookback_stateEbbT6_jjT7_P12ihipStream_tbENKUlT_T0_SK_SP_E_clISE_SE_SF_SF_EEDaS13_S14_SK_SP_EUlS13_E_NS1_11comp_targetILNS1_3genE0ELNS1_11target_archE4294967295ELNS1_3gpuE0ELNS1_3repE0EEENS1_47radix_sort_onesweep_sort_config_static_selectorELNS0_4arch9wavefront6targetE1EEEvSK_.num_agpr, 0
	.set _ZN7rocprim17ROCPRIM_400000_NS6detail17trampoline_kernelINS0_14default_configENS1_35radix_sort_onesweep_config_selectorIiNS0_10empty_typeEEEZZNS1_29radix_sort_onesweep_iterationIS3_Lb1EN6thrust23THRUST_200600_302600_NS6detail15normal_iteratorINS9_10device_ptrIiEEEESE_PS5_SF_jNS0_19identity_decomposerENS1_16block_id_wrapperIjLb0EEEEE10hipError_tT1_PNSt15iterator_traitsISK_E10value_typeET2_T3_PNSL_ISQ_E10value_typeET4_T5_PSV_SW_PNS1_23onesweep_lookback_stateEbbT6_jjT7_P12ihipStream_tbENKUlT_T0_SK_SP_E_clISE_SE_SF_SF_EEDaS13_S14_SK_SP_EUlS13_E_NS1_11comp_targetILNS1_3genE0ELNS1_11target_archE4294967295ELNS1_3gpuE0ELNS1_3repE0EEENS1_47radix_sort_onesweep_sort_config_static_selectorELNS0_4arch9wavefront6targetE1EEEvSK_.numbered_sgpr, 0
	.set _ZN7rocprim17ROCPRIM_400000_NS6detail17trampoline_kernelINS0_14default_configENS1_35radix_sort_onesweep_config_selectorIiNS0_10empty_typeEEEZZNS1_29radix_sort_onesweep_iterationIS3_Lb1EN6thrust23THRUST_200600_302600_NS6detail15normal_iteratorINS9_10device_ptrIiEEEESE_PS5_SF_jNS0_19identity_decomposerENS1_16block_id_wrapperIjLb0EEEEE10hipError_tT1_PNSt15iterator_traitsISK_E10value_typeET2_T3_PNSL_ISQ_E10value_typeET4_T5_PSV_SW_PNS1_23onesweep_lookback_stateEbbT6_jjT7_P12ihipStream_tbENKUlT_T0_SK_SP_E_clISE_SE_SF_SF_EEDaS13_S14_SK_SP_EUlS13_E_NS1_11comp_targetILNS1_3genE0ELNS1_11target_archE4294967295ELNS1_3gpuE0ELNS1_3repE0EEENS1_47radix_sort_onesweep_sort_config_static_selectorELNS0_4arch9wavefront6targetE1EEEvSK_.num_named_barrier, 0
	.set _ZN7rocprim17ROCPRIM_400000_NS6detail17trampoline_kernelINS0_14default_configENS1_35radix_sort_onesweep_config_selectorIiNS0_10empty_typeEEEZZNS1_29radix_sort_onesweep_iterationIS3_Lb1EN6thrust23THRUST_200600_302600_NS6detail15normal_iteratorINS9_10device_ptrIiEEEESE_PS5_SF_jNS0_19identity_decomposerENS1_16block_id_wrapperIjLb0EEEEE10hipError_tT1_PNSt15iterator_traitsISK_E10value_typeET2_T3_PNSL_ISQ_E10value_typeET4_T5_PSV_SW_PNS1_23onesweep_lookback_stateEbbT6_jjT7_P12ihipStream_tbENKUlT_T0_SK_SP_E_clISE_SE_SF_SF_EEDaS13_S14_SK_SP_EUlS13_E_NS1_11comp_targetILNS1_3genE0ELNS1_11target_archE4294967295ELNS1_3gpuE0ELNS1_3repE0EEENS1_47radix_sort_onesweep_sort_config_static_selectorELNS0_4arch9wavefront6targetE1EEEvSK_.private_seg_size, 0
	.set _ZN7rocprim17ROCPRIM_400000_NS6detail17trampoline_kernelINS0_14default_configENS1_35radix_sort_onesweep_config_selectorIiNS0_10empty_typeEEEZZNS1_29radix_sort_onesweep_iterationIS3_Lb1EN6thrust23THRUST_200600_302600_NS6detail15normal_iteratorINS9_10device_ptrIiEEEESE_PS5_SF_jNS0_19identity_decomposerENS1_16block_id_wrapperIjLb0EEEEE10hipError_tT1_PNSt15iterator_traitsISK_E10value_typeET2_T3_PNSL_ISQ_E10value_typeET4_T5_PSV_SW_PNS1_23onesweep_lookback_stateEbbT6_jjT7_P12ihipStream_tbENKUlT_T0_SK_SP_E_clISE_SE_SF_SF_EEDaS13_S14_SK_SP_EUlS13_E_NS1_11comp_targetILNS1_3genE0ELNS1_11target_archE4294967295ELNS1_3gpuE0ELNS1_3repE0EEENS1_47radix_sort_onesweep_sort_config_static_selectorELNS0_4arch9wavefront6targetE1EEEvSK_.uses_vcc, 0
	.set _ZN7rocprim17ROCPRIM_400000_NS6detail17trampoline_kernelINS0_14default_configENS1_35radix_sort_onesweep_config_selectorIiNS0_10empty_typeEEEZZNS1_29radix_sort_onesweep_iterationIS3_Lb1EN6thrust23THRUST_200600_302600_NS6detail15normal_iteratorINS9_10device_ptrIiEEEESE_PS5_SF_jNS0_19identity_decomposerENS1_16block_id_wrapperIjLb0EEEEE10hipError_tT1_PNSt15iterator_traitsISK_E10value_typeET2_T3_PNSL_ISQ_E10value_typeET4_T5_PSV_SW_PNS1_23onesweep_lookback_stateEbbT6_jjT7_P12ihipStream_tbENKUlT_T0_SK_SP_E_clISE_SE_SF_SF_EEDaS13_S14_SK_SP_EUlS13_E_NS1_11comp_targetILNS1_3genE0ELNS1_11target_archE4294967295ELNS1_3gpuE0ELNS1_3repE0EEENS1_47radix_sort_onesweep_sort_config_static_selectorELNS0_4arch9wavefront6targetE1EEEvSK_.uses_flat_scratch, 0
	.set _ZN7rocprim17ROCPRIM_400000_NS6detail17trampoline_kernelINS0_14default_configENS1_35radix_sort_onesweep_config_selectorIiNS0_10empty_typeEEEZZNS1_29radix_sort_onesweep_iterationIS3_Lb1EN6thrust23THRUST_200600_302600_NS6detail15normal_iteratorINS9_10device_ptrIiEEEESE_PS5_SF_jNS0_19identity_decomposerENS1_16block_id_wrapperIjLb0EEEEE10hipError_tT1_PNSt15iterator_traitsISK_E10value_typeET2_T3_PNSL_ISQ_E10value_typeET4_T5_PSV_SW_PNS1_23onesweep_lookback_stateEbbT6_jjT7_P12ihipStream_tbENKUlT_T0_SK_SP_E_clISE_SE_SF_SF_EEDaS13_S14_SK_SP_EUlS13_E_NS1_11comp_targetILNS1_3genE0ELNS1_11target_archE4294967295ELNS1_3gpuE0ELNS1_3repE0EEENS1_47radix_sort_onesweep_sort_config_static_selectorELNS0_4arch9wavefront6targetE1EEEvSK_.has_dyn_sized_stack, 0
	.set _ZN7rocprim17ROCPRIM_400000_NS6detail17trampoline_kernelINS0_14default_configENS1_35radix_sort_onesweep_config_selectorIiNS0_10empty_typeEEEZZNS1_29radix_sort_onesweep_iterationIS3_Lb1EN6thrust23THRUST_200600_302600_NS6detail15normal_iteratorINS9_10device_ptrIiEEEESE_PS5_SF_jNS0_19identity_decomposerENS1_16block_id_wrapperIjLb0EEEEE10hipError_tT1_PNSt15iterator_traitsISK_E10value_typeET2_T3_PNSL_ISQ_E10value_typeET4_T5_PSV_SW_PNS1_23onesweep_lookback_stateEbbT6_jjT7_P12ihipStream_tbENKUlT_T0_SK_SP_E_clISE_SE_SF_SF_EEDaS13_S14_SK_SP_EUlS13_E_NS1_11comp_targetILNS1_3genE0ELNS1_11target_archE4294967295ELNS1_3gpuE0ELNS1_3repE0EEENS1_47radix_sort_onesweep_sort_config_static_selectorELNS0_4arch9wavefront6targetE1EEEvSK_.has_recursion, 0
	.set _ZN7rocprim17ROCPRIM_400000_NS6detail17trampoline_kernelINS0_14default_configENS1_35radix_sort_onesweep_config_selectorIiNS0_10empty_typeEEEZZNS1_29radix_sort_onesweep_iterationIS3_Lb1EN6thrust23THRUST_200600_302600_NS6detail15normal_iteratorINS9_10device_ptrIiEEEESE_PS5_SF_jNS0_19identity_decomposerENS1_16block_id_wrapperIjLb0EEEEE10hipError_tT1_PNSt15iterator_traitsISK_E10value_typeET2_T3_PNSL_ISQ_E10value_typeET4_T5_PSV_SW_PNS1_23onesweep_lookback_stateEbbT6_jjT7_P12ihipStream_tbENKUlT_T0_SK_SP_E_clISE_SE_SF_SF_EEDaS13_S14_SK_SP_EUlS13_E_NS1_11comp_targetILNS1_3genE0ELNS1_11target_archE4294967295ELNS1_3gpuE0ELNS1_3repE0EEENS1_47radix_sort_onesweep_sort_config_static_selectorELNS0_4arch9wavefront6targetE1EEEvSK_.has_indirect_call, 0
	.section	.AMDGPU.csdata,"",@progbits
; Kernel info:
; codeLenInByte = 0
; TotalNumSgprs: 6
; NumVgprs: 0
; NumAgprs: 0
; TotalNumVgprs: 0
; ScratchSize: 0
; MemoryBound: 0
; FloatMode: 240
; IeeeMode: 1
; LDSByteSize: 0 bytes/workgroup (compile time only)
; SGPRBlocks: 0
; VGPRBlocks: 0
; NumSGPRsForWavesPerEU: 6
; NumVGPRsForWavesPerEU: 1
; AccumOffset: 4
; Occupancy: 8
; WaveLimiterHint : 0
; COMPUTE_PGM_RSRC2:SCRATCH_EN: 0
; COMPUTE_PGM_RSRC2:USER_SGPR: 2
; COMPUTE_PGM_RSRC2:TRAP_HANDLER: 0
; COMPUTE_PGM_RSRC2:TGID_X_EN: 1
; COMPUTE_PGM_RSRC2:TGID_Y_EN: 0
; COMPUTE_PGM_RSRC2:TGID_Z_EN: 0
; COMPUTE_PGM_RSRC2:TIDIG_COMP_CNT: 0
; COMPUTE_PGM_RSRC3_GFX90A:ACCUM_OFFSET: 0
; COMPUTE_PGM_RSRC3_GFX90A:TG_SPLIT: 0
	.section	.text._ZN7rocprim17ROCPRIM_400000_NS6detail17trampoline_kernelINS0_14default_configENS1_35radix_sort_onesweep_config_selectorIiNS0_10empty_typeEEEZZNS1_29radix_sort_onesweep_iterationIS3_Lb1EN6thrust23THRUST_200600_302600_NS6detail15normal_iteratorINS9_10device_ptrIiEEEESE_PS5_SF_jNS0_19identity_decomposerENS1_16block_id_wrapperIjLb0EEEEE10hipError_tT1_PNSt15iterator_traitsISK_E10value_typeET2_T3_PNSL_ISQ_E10value_typeET4_T5_PSV_SW_PNS1_23onesweep_lookback_stateEbbT6_jjT7_P12ihipStream_tbENKUlT_T0_SK_SP_E_clISE_SE_SF_SF_EEDaS13_S14_SK_SP_EUlS13_E_NS1_11comp_targetILNS1_3genE6ELNS1_11target_archE950ELNS1_3gpuE13ELNS1_3repE0EEENS1_47radix_sort_onesweep_sort_config_static_selectorELNS0_4arch9wavefront6targetE1EEEvSK_,"axG",@progbits,_ZN7rocprim17ROCPRIM_400000_NS6detail17trampoline_kernelINS0_14default_configENS1_35radix_sort_onesweep_config_selectorIiNS0_10empty_typeEEEZZNS1_29radix_sort_onesweep_iterationIS3_Lb1EN6thrust23THRUST_200600_302600_NS6detail15normal_iteratorINS9_10device_ptrIiEEEESE_PS5_SF_jNS0_19identity_decomposerENS1_16block_id_wrapperIjLb0EEEEE10hipError_tT1_PNSt15iterator_traitsISK_E10value_typeET2_T3_PNSL_ISQ_E10value_typeET4_T5_PSV_SW_PNS1_23onesweep_lookback_stateEbbT6_jjT7_P12ihipStream_tbENKUlT_T0_SK_SP_E_clISE_SE_SF_SF_EEDaS13_S14_SK_SP_EUlS13_E_NS1_11comp_targetILNS1_3genE6ELNS1_11target_archE950ELNS1_3gpuE13ELNS1_3repE0EEENS1_47radix_sort_onesweep_sort_config_static_selectorELNS0_4arch9wavefront6targetE1EEEvSK_,comdat
	.protected	_ZN7rocprim17ROCPRIM_400000_NS6detail17trampoline_kernelINS0_14default_configENS1_35radix_sort_onesweep_config_selectorIiNS0_10empty_typeEEEZZNS1_29radix_sort_onesweep_iterationIS3_Lb1EN6thrust23THRUST_200600_302600_NS6detail15normal_iteratorINS9_10device_ptrIiEEEESE_PS5_SF_jNS0_19identity_decomposerENS1_16block_id_wrapperIjLb0EEEEE10hipError_tT1_PNSt15iterator_traitsISK_E10value_typeET2_T3_PNSL_ISQ_E10value_typeET4_T5_PSV_SW_PNS1_23onesweep_lookback_stateEbbT6_jjT7_P12ihipStream_tbENKUlT_T0_SK_SP_E_clISE_SE_SF_SF_EEDaS13_S14_SK_SP_EUlS13_E_NS1_11comp_targetILNS1_3genE6ELNS1_11target_archE950ELNS1_3gpuE13ELNS1_3repE0EEENS1_47radix_sort_onesweep_sort_config_static_selectorELNS0_4arch9wavefront6targetE1EEEvSK_ ; -- Begin function _ZN7rocprim17ROCPRIM_400000_NS6detail17trampoline_kernelINS0_14default_configENS1_35radix_sort_onesweep_config_selectorIiNS0_10empty_typeEEEZZNS1_29radix_sort_onesweep_iterationIS3_Lb1EN6thrust23THRUST_200600_302600_NS6detail15normal_iteratorINS9_10device_ptrIiEEEESE_PS5_SF_jNS0_19identity_decomposerENS1_16block_id_wrapperIjLb0EEEEE10hipError_tT1_PNSt15iterator_traitsISK_E10value_typeET2_T3_PNSL_ISQ_E10value_typeET4_T5_PSV_SW_PNS1_23onesweep_lookback_stateEbbT6_jjT7_P12ihipStream_tbENKUlT_T0_SK_SP_E_clISE_SE_SF_SF_EEDaS13_S14_SK_SP_EUlS13_E_NS1_11comp_targetILNS1_3genE6ELNS1_11target_archE950ELNS1_3gpuE13ELNS1_3repE0EEENS1_47radix_sort_onesweep_sort_config_static_selectorELNS0_4arch9wavefront6targetE1EEEvSK_
	.globl	_ZN7rocprim17ROCPRIM_400000_NS6detail17trampoline_kernelINS0_14default_configENS1_35radix_sort_onesweep_config_selectorIiNS0_10empty_typeEEEZZNS1_29radix_sort_onesweep_iterationIS3_Lb1EN6thrust23THRUST_200600_302600_NS6detail15normal_iteratorINS9_10device_ptrIiEEEESE_PS5_SF_jNS0_19identity_decomposerENS1_16block_id_wrapperIjLb0EEEEE10hipError_tT1_PNSt15iterator_traitsISK_E10value_typeET2_T3_PNSL_ISQ_E10value_typeET4_T5_PSV_SW_PNS1_23onesweep_lookback_stateEbbT6_jjT7_P12ihipStream_tbENKUlT_T0_SK_SP_E_clISE_SE_SF_SF_EEDaS13_S14_SK_SP_EUlS13_E_NS1_11comp_targetILNS1_3genE6ELNS1_11target_archE950ELNS1_3gpuE13ELNS1_3repE0EEENS1_47radix_sort_onesweep_sort_config_static_selectorELNS0_4arch9wavefront6targetE1EEEvSK_
	.p2align	8
	.type	_ZN7rocprim17ROCPRIM_400000_NS6detail17trampoline_kernelINS0_14default_configENS1_35radix_sort_onesweep_config_selectorIiNS0_10empty_typeEEEZZNS1_29radix_sort_onesweep_iterationIS3_Lb1EN6thrust23THRUST_200600_302600_NS6detail15normal_iteratorINS9_10device_ptrIiEEEESE_PS5_SF_jNS0_19identity_decomposerENS1_16block_id_wrapperIjLb0EEEEE10hipError_tT1_PNSt15iterator_traitsISK_E10value_typeET2_T3_PNSL_ISQ_E10value_typeET4_T5_PSV_SW_PNS1_23onesweep_lookback_stateEbbT6_jjT7_P12ihipStream_tbENKUlT_T0_SK_SP_E_clISE_SE_SF_SF_EEDaS13_S14_SK_SP_EUlS13_E_NS1_11comp_targetILNS1_3genE6ELNS1_11target_archE950ELNS1_3gpuE13ELNS1_3repE0EEENS1_47radix_sort_onesweep_sort_config_static_selectorELNS0_4arch9wavefront6targetE1EEEvSK_,@function
_ZN7rocprim17ROCPRIM_400000_NS6detail17trampoline_kernelINS0_14default_configENS1_35radix_sort_onesweep_config_selectorIiNS0_10empty_typeEEEZZNS1_29radix_sort_onesweep_iterationIS3_Lb1EN6thrust23THRUST_200600_302600_NS6detail15normal_iteratorINS9_10device_ptrIiEEEESE_PS5_SF_jNS0_19identity_decomposerENS1_16block_id_wrapperIjLb0EEEEE10hipError_tT1_PNSt15iterator_traitsISK_E10value_typeET2_T3_PNSL_ISQ_E10value_typeET4_T5_PSV_SW_PNS1_23onesweep_lookback_stateEbbT6_jjT7_P12ihipStream_tbENKUlT_T0_SK_SP_E_clISE_SE_SF_SF_EEDaS13_S14_SK_SP_EUlS13_E_NS1_11comp_targetILNS1_3genE6ELNS1_11target_archE950ELNS1_3gpuE13ELNS1_3repE0EEENS1_47radix_sort_onesweep_sort_config_static_selectorELNS0_4arch9wavefront6targetE1EEEvSK_: ; @_ZN7rocprim17ROCPRIM_400000_NS6detail17trampoline_kernelINS0_14default_configENS1_35radix_sort_onesweep_config_selectorIiNS0_10empty_typeEEEZZNS1_29radix_sort_onesweep_iterationIS3_Lb1EN6thrust23THRUST_200600_302600_NS6detail15normal_iteratorINS9_10device_ptrIiEEEESE_PS5_SF_jNS0_19identity_decomposerENS1_16block_id_wrapperIjLb0EEEEE10hipError_tT1_PNSt15iterator_traitsISK_E10value_typeET2_T3_PNSL_ISQ_E10value_typeET4_T5_PSV_SW_PNS1_23onesweep_lookback_stateEbbT6_jjT7_P12ihipStream_tbENKUlT_T0_SK_SP_E_clISE_SE_SF_SF_EEDaS13_S14_SK_SP_EUlS13_E_NS1_11comp_targetILNS1_3genE6ELNS1_11target_archE950ELNS1_3gpuE13ELNS1_3repE0EEENS1_47radix_sort_onesweep_sort_config_static_selectorELNS0_4arch9wavefront6targetE1EEEvSK_
; %bb.0:
	s_load_dwordx2 s[28:29], s[0:1], 0x38
	s_load_dwordx4 s[20:23], s[0:1], 0x44
	s_load_dwordx4 s[24:27], s[0:1], 0x0
	;; [unrolled: 1-line block ×3, first 2 shown]
	s_mov_b64 s[4:5], -1
	v_mbcnt_lo_u32_b32 v1, -1, 0
	s_waitcnt lgkmcnt(0)
	s_cmp_ge_u32 s2, s22
	s_cbranch_scc0 .LBB364_82
; %bb.1:
	s_load_dword s3, s[0:1], 0x20
	s_lshl_b32 s6, s22, 13
	s_lshl_b32 s4, s2, 13
	s_mov_b32 s5, 0
	v_and_b32_e32 v10, 0x3ff, v0
	s_waitcnt lgkmcnt(0)
	s_sub_i32 s3, s3, s6
	s_lshl_b64 s[4:5], s[4:5], 2
	v_mbcnt_hi_u32_b32 v16, -1, v1
	s_add_u32 s4, s24, s4
	v_and_b32_e32 v6, 63, v16
	v_lshlrev_b32_e32 v2, 3, v10
	s_addc_u32 s5, s25, s5
	v_and_b32_e32 v7, 0x1e00, v2
	v_lshlrev_b32_e32 v2, 2, v6
	v_mov_b32_e32 v3, 0
	v_lshl_add_u64 v[4:5], s[4:5], 0, v[2:3]
	v_lshlrev_b32_e32 v2, 2, v7
	v_lshl_add_u64 v[12:13], v[4:5], 0, v[2:3]
	v_or_b32_e32 v11, v6, v7
	v_bfrev_b32_e32 v2, 1
	v_cmp_gt_u32_e32 vcc, s3, v11
	v_mov_b32_e32 v3, v2
	v_mov_b32_e32 v4, v2
	;; [unrolled: 1-line block ×7, first 2 shown]
	s_and_saveexec_b64 s[4:5], vcc
	s_cbranch_execz .LBB364_3
; %bb.2:
	global_load_dword v18, v[12:13], off
	v_mov_b32_e32 v19, v2
	v_mov_b32_e32 v20, v2
	;; [unrolled: 1-line block ×7, first 2 shown]
	s_waitcnt vmcnt(0)
	v_mov_b64_e32 v[2:3], v[18:19]
	v_mov_b64_e32 v[4:5], v[20:21]
	;; [unrolled: 1-line block ×4, first 2 shown]
.LBB364_3:
	s_or_b64 exec, exec, s[4:5]
	v_or_b32_e32 v14, 64, v11
	v_cmp_gt_u32_e32 vcc, s3, v14
	s_and_saveexec_b64 s[4:5], vcc
	s_cbranch_execz .LBB364_5
; %bb.4:
	global_load_dword v3, v[12:13], off offset:256
.LBB364_5:
	s_or_b64 exec, exec, s[4:5]
	v_or_b32_e32 v14, 0x80, v11
	v_cmp_gt_u32_e32 vcc, s3, v14
	s_and_saveexec_b64 s[4:5], vcc
	s_cbranch_execz .LBB364_7
; %bb.6:
	global_load_dword v4, v[12:13], off offset:512
.LBB364_7:
	;; [unrolled: 8-line block ×7, first 2 shown]
	s_or_b64 exec, exec, s[4:5]
	s_load_dword s4, s[0:1], 0x64
	s_load_dword s22, s[0:1], 0x58
	s_add_u32 s5, s0, 0x58
	s_addc_u32 s6, s1, 0
	v_mov_b32_e32 v13, 0
	s_waitcnt lgkmcnt(0)
	s_lshr_b32 s7, s4, 16
	s_cmp_lt_u32 s2, s22
	s_cselect_b32 s4, 12, 18
	s_add_u32 s4, s5, s4
	s_addc_u32 s5, s6, 0
	global_load_ushort v30, v13, s[4:5]
	v_xor_b32_e32 v11, 0x7fffffff, v2
	v_lshrrev_b32_e32 v15, s20, v11
	s_lshl_b32 s4, -1, s21
	v_bfe_u32 v2, v0, 10, 10
	v_bfe_u32 v12, v0, 20, 10
	v_bitop3_b32 v31, v15, s4, v15 bitop3:0x30
	v_mad_u32_u24 v2, v12, s7, v2
	v_and_b32_e32 v12, 1, v31
	v_lshlrev_b32_e32 v15, 30, v31
	v_mov_b32_e32 v14, v13
	v_mov_b32_e32 v20, v13
	v_lshlrev_b32_e32 v19, 29, v31
	v_lshlrev_b32_e32 v21, 28, v31
	v_lshl_add_u64 v[28:29], v[12:13], 0, -1
	v_cmp_ne_u32_e32 vcc, 0, v12
	v_not_b32_e32 v12, v15
	v_mov_b32_e32 v18, v13
	v_mov_b32_e32 v22, v13
	s_not_b32 s23, s4
	v_lshlrev_b32_e32 v23, 27, v31
	v_cmp_gt_i64_e64 s[4:5], 0, v[14:15]
	v_not_b32_e32 v14, v19
	v_cmp_gt_i64_e64 s[8:9], 0, v[20:21]
	v_not_b32_e32 v15, v21
	v_xor_b32_e32 v21, vcc_hi, v29
	v_ashrrev_i32_e32 v12, 31, v12
	v_mov_b32_e32 v24, v13
	v_lshlrev_b32_e32 v25, 26, v31
	v_cmp_gt_i64_e64 s[6:7], 0, v[18:19]
	v_cmp_gt_i64_e64 s[10:11], 0, v[22:23]
	v_not_b32_e32 v18, v23
	v_xor_b32_e32 v22, vcc_lo, v28
	v_ashrrev_i32_e32 v14, 31, v14
	v_and_b32_e32 v21, exec_hi, v21
	v_xor_b32_e32 v23, s5, v12
	v_cmp_gt_i64_e64 s[12:13], 0, v[24:25]
	v_ashrrev_i32_e32 v15, 31, v15
	v_and_b32_e32 v22, exec_lo, v22
	v_xor_b32_e32 v12, s4, v12
	v_xor_b32_e32 v24, s7, v14
	v_and_b32_e32 v21, v21, v23
	v_mov_b32_e32 v26, v13
	v_lshlrev_b32_e32 v27, 25, v31
	v_not_b32_e32 v19, v25
	v_ashrrev_i32_e32 v18, 31, v18
	v_xor_b32_e32 v14, s6, v14
	v_xor_b32_e32 v25, s9, v15
	v_and_b32_e32 v12, v22, v12
	v_and_b32_e32 v21, v21, v24
	v_cmp_gt_i64_e64 s[14:15], 0, v[26:27]
	v_not_b32_e32 v20, v27
	v_ashrrev_i32_e32 v19, 31, v19
	v_xor_b32_e32 v26, s11, v18
	v_and_b32_e32 v12, v12, v14
	v_and_b32_e32 v14, v21, v25
	v_ashrrev_i32_e32 v20, 31, v20
	v_xor_b32_e32 v15, s8, v15
	v_xor_b32_e32 v27, s13, v19
	v_and_b32_e32 v14, v14, v26
	v_xor_b32_e32 v18, s10, v18
	v_xor_b32_e32 v28, s15, v20
	v_and_b32_e32 v12, v12, v15
	v_and_b32_e32 v14, v14, v27
	;; [unrolled: 1-line block ×4, first 2 shown]
	v_xor_b32_e32 v19, s12, v19
	v_xor_b32_e32 v20, s14, v20
	v_and_b32_e32 v12, v12, v19
	v_and_b32_e32 v12, v12, v20
	s_movk_i32 s30, 0x44
	v_mul_lo_u32 v32, v31, s30
	v_mul_u32_u24_e32 v17, 20, v10
	ds_write2_b32 v17, v13, v13 offset0:16 offset1:17
	ds_write2_b32 v17, v13, v13 offset0:18 offset1:19
	ds_write_b32 v17, v13 offset:80
	s_waitcnt lgkmcnt(0)
	s_barrier
	s_waitcnt vmcnt(0)
	; wave barrier
	v_mad_u64_u32 v[14:15], s[4:5], v2, v30, v[10:11]
	v_lshrrev_b32_e32 v2, 4, v14
	v_lshlrev_b32_e32 v15, 24, v31
	v_and_b32_e32 v30, 0xffffffc, v2
	v_mov_b32_e32 v14, v13
	v_not_b32_e32 v2, v15
	v_cmp_gt_i64_e32 vcc, 0, v[14:15]
	v_ashrrev_i32_e32 v2, 31, v2
	v_add_u32_e32 v22, v30, v32
	v_xor_b32_e32 v14, vcc_hi, v2
	v_xor_b32_e32 v2, vcc_lo, v2
	v_and_b32_e32 v15, v18, v14
	v_and_b32_e32 v14, v12, v2
	v_mbcnt_lo_u32_b32 v2, v14, 0
	v_mbcnt_hi_u32_b32 v18, v15, v2
	v_cmp_eq_u32_e32 vcc, 0, v18
	v_cmp_ne_u64_e64 s[4:5], 0, v[14:15]
	s_and_b64 s[6:7], s[4:5], vcc
	s_and_saveexec_b64 s[4:5], s[6:7]
; %bb.18:
	v_bcnt_u32_b32 v2, v14, 0
	v_bcnt_u32_b32 v2, v15, v2
	ds_write_b32 v22, v2 offset:64
; %bb.19:
	s_or_b64 exec, exec, s[4:5]
	v_xor_b32_e32 v14, 0x7fffffff, v3
	v_lshrrev_b32_e32 v2, s20, v14
	v_and_b32_e32 v15, s23, v2
	v_mul_lo_u32 v2, v15, s30
	v_and_b32_e32 v12, 1, v15
	v_add_u32_e32 v23, v30, v2
	v_lshl_add_u64 v[2:3], v[12:13], 0, -1
	v_cmp_ne_u32_e32 vcc, 0, v12
	; wave barrier
	s_nop 1
	v_xor_b32_e32 v3, vcc_hi, v3
	v_xor_b32_e32 v2, vcc_lo, v2
	v_and_b32_e32 v12, exec_hi, v3
	v_and_b32_e32 v20, exec_lo, v2
	v_lshlrev_b32_e32 v3, 30, v15
	v_mov_b32_e32 v2, v13
	v_cmp_gt_i64_e32 vcc, 0, v[2:3]
	v_not_b32_e32 v2, v3
	v_ashrrev_i32_e32 v2, 31, v2
	v_xor_b32_e32 v3, vcc_hi, v2
	v_xor_b32_e32 v2, vcc_lo, v2
	v_and_b32_e32 v12, v12, v3
	v_and_b32_e32 v20, v20, v2
	v_lshlrev_b32_e32 v3, 29, v15
	v_mov_b32_e32 v2, v13
	v_cmp_gt_i64_e32 vcc, 0, v[2:3]
	v_not_b32_e32 v2, v3
	v_ashrrev_i32_e32 v2, 31, v2
	v_xor_b32_e32 v3, vcc_hi, v2
	v_xor_b32_e32 v2, vcc_lo, v2
	v_and_b32_e32 v12, v12, v3
	v_and_b32_e32 v20, v20, v2
	;; [unrolled: 9-line block ×6, first 2 shown]
	v_lshlrev_b32_e32 v3, 24, v15
	v_mov_b32_e32 v2, v13
	v_cmp_gt_i64_e32 vcc, 0, v[2:3]
	v_not_b32_e32 v2, v3
	v_ashrrev_i32_e32 v2, 31, v2
	v_xor_b32_e32 v3, vcc_hi, v2
	v_xor_b32_e32 v2, vcc_lo, v2
	ds_read_b32 v19, v23 offset:64
	v_and_b32_e32 v2, v20, v2
	v_and_b32_e32 v3, v12, v3
	v_mbcnt_lo_u32_b32 v12, v2, 0
	v_mbcnt_hi_u32_b32 v20, v3, v12
	v_cmp_eq_u32_e32 vcc, 0, v20
	v_cmp_ne_u64_e64 s[4:5], 0, v[2:3]
	s_and_b64 s[6:7], s[4:5], vcc
	; wave barrier
	s_and_saveexec_b64 s[4:5], s[6:7]
	s_cbranch_execz .LBB364_21
; %bb.20:
	v_bcnt_u32_b32 v2, v2, 0
	v_bcnt_u32_b32 v2, v3, v2
	s_waitcnt lgkmcnt(0)
	v_add_u32_e32 v2, v19, v2
	ds_write_b32 v23, v2 offset:64
.LBB364_21:
	s_or_b64 exec, exec, s[4:5]
	v_xor_b32_e32 v15, 0x7fffffff, v4
	v_lshrrev_b32_e32 v2, s20, v15
	v_and_b32_e32 v4, s23, v2
	s_movk_i32 s6, 0x44
	v_mul_lo_u32 v2, v4, s6
	v_add_u32_e32 v27, v30, v2
	v_and_b32_e32 v2, 1, v4
	v_mov_b32_e32 v3, 0
	v_lshl_add_u64 v[12:13], v[2:3], 0, -1
	v_cmp_ne_u32_e32 vcc, 0, v2
	; wave barrier
	s_nop 1
	v_xor_b32_e32 v12, vcc_lo, v12
	v_xor_b32_e32 v2, vcc_hi, v13
	v_and_b32_e32 v24, exec_lo, v12
	v_lshlrev_b32_e32 v13, 30, v4
	v_mov_b32_e32 v12, v3
	v_cmp_gt_i64_e32 vcc, 0, v[12:13]
	v_not_b32_e32 v12, v13
	v_ashrrev_i32_e32 v12, 31, v12
	v_and_b32_e32 v2, exec_hi, v2
	v_xor_b32_e32 v13, vcc_hi, v12
	v_xor_b32_e32 v12, vcc_lo, v12
	v_and_b32_e32 v2, v2, v13
	v_and_b32_e32 v24, v24, v12
	v_lshlrev_b32_e32 v13, 29, v4
	v_mov_b32_e32 v12, v3
	v_cmp_gt_i64_e32 vcc, 0, v[12:13]
	v_not_b32_e32 v12, v13
	v_ashrrev_i32_e32 v12, 31, v12
	v_xor_b32_e32 v13, vcc_hi, v12
	v_xor_b32_e32 v12, vcc_lo, v12
	v_and_b32_e32 v2, v2, v13
	v_and_b32_e32 v24, v24, v12
	v_lshlrev_b32_e32 v13, 28, v4
	v_mov_b32_e32 v12, v3
	v_cmp_gt_i64_e32 vcc, 0, v[12:13]
	v_not_b32_e32 v12, v13
	v_ashrrev_i32_e32 v12, 31, v12
	;; [unrolled: 9-line block ×5, first 2 shown]
	v_xor_b32_e32 v13, vcc_hi, v12
	v_xor_b32_e32 v12, vcc_lo, v12
	v_and_b32_e32 v2, v2, v13
	v_lshlrev_b32_e32 v13, 24, v4
	v_and_b32_e32 v24, v24, v12
	v_mov_b32_e32 v12, v3
	v_not_b32_e32 v4, v13
	v_cmp_gt_i64_e32 vcc, 0, v[12:13]
	v_ashrrev_i32_e32 v4, 31, v4
	ds_read_b32 v21, v27 offset:64
	v_xor_b32_e32 v12, vcc_hi, v4
	v_xor_b32_e32 v4, vcc_lo, v4
	v_and_b32_e32 v13, v2, v12
	v_and_b32_e32 v12, v24, v4
	v_mbcnt_lo_u32_b32 v2, v12, 0
	v_mbcnt_hi_u32_b32 v25, v13, v2
	v_cmp_eq_u32_e32 vcc, 0, v25
	v_cmp_ne_u64_e64 s[4:5], 0, v[12:13]
	s_and_b64 s[8:9], s[4:5], vcc
	; wave barrier
	s_and_saveexec_b64 s[4:5], s[8:9]
	s_cbranch_execz .LBB364_23
; %bb.22:
	v_bcnt_u32_b32 v2, v12, 0
	v_bcnt_u32_b32 v2, v13, v2
	s_waitcnt lgkmcnt(0)
	v_add_u32_e32 v2, v21, v2
	ds_write_b32 v27, v2 offset:64
.LBB364_23:
	s_or_b64 exec, exec, s[4:5]
	v_xor_b32_e32 v12, 0x7fffffff, v5
	v_lshrrev_b32_e32 v2, s20, v12
	v_and_b32_e32 v13, s23, v2
	v_mul_lo_u32 v2, v13, s6
	v_add_u32_e32 v31, v30, v2
	v_and_b32_e32 v2, 1, v13
	v_lshl_add_u64 v[4:5], v[2:3], 0, -1
	v_cmp_ne_u32_e32 vcc, 0, v2
	; wave barrier
	s_nop 1
	v_xor_b32_e32 v4, vcc_lo, v4
	v_xor_b32_e32 v2, vcc_hi, v5
	v_and_b32_e32 v24, exec_lo, v4
	v_lshlrev_b32_e32 v5, 30, v13
	v_mov_b32_e32 v4, v3
	v_cmp_gt_i64_e32 vcc, 0, v[4:5]
	v_not_b32_e32 v4, v5
	v_ashrrev_i32_e32 v4, 31, v4
	v_and_b32_e32 v2, exec_hi, v2
	v_xor_b32_e32 v5, vcc_hi, v4
	v_xor_b32_e32 v4, vcc_lo, v4
	v_and_b32_e32 v2, v2, v5
	v_and_b32_e32 v24, v24, v4
	v_lshlrev_b32_e32 v5, 29, v13
	v_mov_b32_e32 v4, v3
	v_cmp_gt_i64_e32 vcc, 0, v[4:5]
	v_not_b32_e32 v4, v5
	v_ashrrev_i32_e32 v4, 31, v4
	v_xor_b32_e32 v5, vcc_hi, v4
	v_xor_b32_e32 v4, vcc_lo, v4
	v_and_b32_e32 v2, v2, v5
	v_and_b32_e32 v24, v24, v4
	v_lshlrev_b32_e32 v5, 28, v13
	v_mov_b32_e32 v4, v3
	v_cmp_gt_i64_e32 vcc, 0, v[4:5]
	v_not_b32_e32 v4, v5
	v_ashrrev_i32_e32 v4, 31, v4
	;; [unrolled: 9-line block ×5, first 2 shown]
	v_xor_b32_e32 v5, vcc_hi, v4
	v_xor_b32_e32 v4, vcc_lo, v4
	v_and_b32_e32 v2, v2, v5
	v_lshlrev_b32_e32 v5, 24, v13
	v_and_b32_e32 v24, v24, v4
	v_mov_b32_e32 v4, v3
	v_not_b32_e32 v3, v5
	v_cmp_gt_i64_e32 vcc, 0, v[4:5]
	v_ashrrev_i32_e32 v3, 31, v3
	ds_read_b32 v26, v31 offset:64
	v_xor_b32_e32 v4, vcc_hi, v3
	v_xor_b32_e32 v5, vcc_lo, v3
	v_and_b32_e32 v3, v2, v4
	v_and_b32_e32 v2, v24, v5
	v_mbcnt_lo_u32_b32 v4, v2, 0
	v_mbcnt_hi_u32_b32 v28, v3, v4
	v_cmp_eq_u32_e32 vcc, 0, v28
	v_cmp_ne_u64_e64 s[4:5], 0, v[2:3]
	s_and_b64 s[6:7], s[4:5], vcc
	; wave barrier
	s_and_saveexec_b64 s[4:5], s[6:7]
	s_cbranch_execz .LBB364_25
; %bb.24:
	v_bcnt_u32_b32 v2, v2, 0
	v_bcnt_u32_b32 v2, v3, v2
	s_waitcnt lgkmcnt(0)
	v_add_u32_e32 v2, v26, v2
	ds_write_b32 v31, v2 offset:64
.LBB364_25:
	s_or_b64 exec, exec, s[4:5]
	v_xor_b32_e32 v13, 0x7fffffff, v6
	v_lshrrev_b32_e32 v2, s20, v13
	v_and_b32_e32 v24, s23, v2
	s_movk_i32 s6, 0x44
	v_mul_lo_u32 v2, v24, s6
	v_add_u32_e32 v6, v30, v2
	v_and_b32_e32 v2, 1, v24
	v_mov_b32_e32 v3, 0
	v_lshl_add_u64 v[4:5], v[2:3], 0, -1
	v_cmp_ne_u32_e32 vcc, 0, v2
	; wave barrier
	s_nop 1
	v_xor_b32_e32 v4, vcc_lo, v4
	v_xor_b32_e32 v2, vcc_hi, v5
	v_and_b32_e32 v32, exec_lo, v4
	v_lshlrev_b32_e32 v5, 30, v24
	v_mov_b32_e32 v4, v3
	v_cmp_gt_i64_e32 vcc, 0, v[4:5]
	v_not_b32_e32 v4, v5
	v_ashrrev_i32_e32 v4, 31, v4
	v_and_b32_e32 v2, exec_hi, v2
	v_xor_b32_e32 v5, vcc_hi, v4
	v_xor_b32_e32 v4, vcc_lo, v4
	v_and_b32_e32 v2, v2, v5
	v_and_b32_e32 v32, v32, v4
	v_lshlrev_b32_e32 v5, 29, v24
	v_mov_b32_e32 v4, v3
	v_cmp_gt_i64_e32 vcc, 0, v[4:5]
	v_not_b32_e32 v4, v5
	v_ashrrev_i32_e32 v4, 31, v4
	v_xor_b32_e32 v5, vcc_hi, v4
	v_xor_b32_e32 v4, vcc_lo, v4
	v_and_b32_e32 v2, v2, v5
	v_and_b32_e32 v32, v32, v4
	v_lshlrev_b32_e32 v5, 28, v24
	v_mov_b32_e32 v4, v3
	v_cmp_gt_i64_e32 vcc, 0, v[4:5]
	v_not_b32_e32 v4, v5
	v_ashrrev_i32_e32 v4, 31, v4
	;; [unrolled: 9-line block ×6, first 2 shown]
	v_xor_b32_e32 v5, vcc_hi, v4
	v_xor_b32_e32 v4, vcc_lo, v4
	ds_read_b32 v29, v6 offset:64
	v_and_b32_e32 v4, v32, v4
	v_and_b32_e32 v5, v2, v5
	v_mbcnt_lo_u32_b32 v2, v4, 0
	v_mbcnt_hi_u32_b32 v32, v5, v2
	v_cmp_eq_u32_e32 vcc, 0, v32
	v_cmp_ne_u64_e64 s[4:5], 0, v[4:5]
	s_and_b64 s[8:9], s[4:5], vcc
	; wave barrier
	s_and_saveexec_b64 s[4:5], s[8:9]
	s_cbranch_execz .LBB364_27
; %bb.26:
	v_bcnt_u32_b32 v2, v4, 0
	v_bcnt_u32_b32 v2, v5, v2
	s_waitcnt lgkmcnt(0)
	v_add_u32_e32 v2, v29, v2
	ds_write_b32 v6, v2 offset:64
.LBB364_27:
	s_or_b64 exec, exec, s[4:5]
	v_xor_b32_e32 v24, 0x7fffffff, v7
	v_lshrrev_b32_e32 v2, s20, v24
	v_and_b32_e32 v34, s23, v2
	v_mul_lo_u32 v2, v34, s6
	v_add_u32_e32 v7, v30, v2
	v_and_b32_e32 v2, 1, v34
	v_lshl_add_u64 v[4:5], v[2:3], 0, -1
	v_cmp_ne_u32_e32 vcc, 0, v2
	; wave barrier
	s_nop 1
	v_xor_b32_e32 v4, vcc_lo, v4
	v_xor_b32_e32 v2, vcc_hi, v5
	v_and_b32_e32 v35, exec_lo, v4
	v_lshlrev_b32_e32 v5, 30, v34
	v_mov_b32_e32 v4, v3
	v_cmp_gt_i64_e32 vcc, 0, v[4:5]
	v_not_b32_e32 v4, v5
	v_ashrrev_i32_e32 v4, 31, v4
	v_and_b32_e32 v2, exec_hi, v2
	v_xor_b32_e32 v5, vcc_hi, v4
	v_xor_b32_e32 v4, vcc_lo, v4
	v_and_b32_e32 v2, v2, v5
	v_and_b32_e32 v35, v35, v4
	v_lshlrev_b32_e32 v5, 29, v34
	v_mov_b32_e32 v4, v3
	v_cmp_gt_i64_e32 vcc, 0, v[4:5]
	v_not_b32_e32 v4, v5
	v_ashrrev_i32_e32 v4, 31, v4
	v_xor_b32_e32 v5, vcc_hi, v4
	v_xor_b32_e32 v4, vcc_lo, v4
	v_and_b32_e32 v2, v2, v5
	v_and_b32_e32 v35, v35, v4
	v_lshlrev_b32_e32 v5, 28, v34
	v_mov_b32_e32 v4, v3
	v_cmp_gt_i64_e32 vcc, 0, v[4:5]
	v_not_b32_e32 v4, v5
	v_ashrrev_i32_e32 v4, 31, v4
	;; [unrolled: 9-line block ×5, first 2 shown]
	v_xor_b32_e32 v5, vcc_hi, v4
	v_xor_b32_e32 v4, vcc_lo, v4
	v_and_b32_e32 v2, v2, v5
	v_lshlrev_b32_e32 v5, 24, v34
	v_and_b32_e32 v35, v35, v4
	v_mov_b32_e32 v4, v3
	v_not_b32_e32 v3, v5
	v_cmp_gt_i64_e32 vcc, 0, v[4:5]
	v_ashrrev_i32_e32 v3, 31, v3
	ds_read_b32 v33, v7 offset:64
	v_xor_b32_e32 v4, vcc_hi, v3
	v_xor_b32_e32 v5, vcc_lo, v3
	v_and_b32_e32 v3, v2, v4
	v_and_b32_e32 v2, v35, v5
	v_mbcnt_lo_u32_b32 v4, v2, 0
	v_mbcnt_hi_u32_b32 v34, v3, v4
	v_cmp_eq_u32_e32 vcc, 0, v34
	v_cmp_ne_u64_e64 s[4:5], 0, v[2:3]
	s_and_b64 s[6:7], s[4:5], vcc
	; wave barrier
	s_and_saveexec_b64 s[4:5], s[6:7]
	s_cbranch_execz .LBB364_29
; %bb.28:
	v_bcnt_u32_b32 v2, v2, 0
	v_bcnt_u32_b32 v2, v3, v2
	s_waitcnt lgkmcnt(0)
	v_add_u32_e32 v2, v33, v2
	ds_write_b32 v7, v2 offset:64
.LBB364_29:
	s_or_b64 exec, exec, s[4:5]
	v_xor_b32_e32 v8, 0x7fffffff, v8
	v_lshrrev_b32_e32 v2, s20, v8
	v_and_b32_e32 v36, s23, v2
	s_movk_i32 s6, 0x44
	v_mul_lo_u32 v2, v36, s6
	v_add_u32_e32 v38, v30, v2
	v_and_b32_e32 v2, 1, v36
	v_mov_b32_e32 v3, 0
	v_lshl_add_u64 v[4:5], v[2:3], 0, -1
	v_cmp_ne_u32_e32 vcc, 0, v2
	; wave barrier
	s_nop 1
	v_xor_b32_e32 v4, vcc_lo, v4
	v_xor_b32_e32 v2, vcc_hi, v5
	v_and_b32_e32 v37, exec_lo, v4
	v_lshlrev_b32_e32 v5, 30, v36
	v_mov_b32_e32 v4, v3
	v_cmp_gt_i64_e32 vcc, 0, v[4:5]
	v_not_b32_e32 v4, v5
	v_ashrrev_i32_e32 v4, 31, v4
	v_and_b32_e32 v2, exec_hi, v2
	v_xor_b32_e32 v5, vcc_hi, v4
	v_xor_b32_e32 v4, vcc_lo, v4
	v_and_b32_e32 v2, v2, v5
	v_and_b32_e32 v37, v37, v4
	v_lshlrev_b32_e32 v5, 29, v36
	v_mov_b32_e32 v4, v3
	v_cmp_gt_i64_e32 vcc, 0, v[4:5]
	v_not_b32_e32 v4, v5
	v_ashrrev_i32_e32 v4, 31, v4
	v_xor_b32_e32 v5, vcc_hi, v4
	v_xor_b32_e32 v4, vcc_lo, v4
	v_and_b32_e32 v2, v2, v5
	v_and_b32_e32 v37, v37, v4
	v_lshlrev_b32_e32 v5, 28, v36
	v_mov_b32_e32 v4, v3
	v_cmp_gt_i64_e32 vcc, 0, v[4:5]
	v_not_b32_e32 v4, v5
	v_ashrrev_i32_e32 v4, 31, v4
	;; [unrolled: 9-line block ×6, first 2 shown]
	v_xor_b32_e32 v5, vcc_hi, v4
	v_xor_b32_e32 v4, vcc_lo, v4
	ds_read_b32 v35, v38 offset:64
	v_and_b32_e32 v4, v37, v4
	v_and_b32_e32 v5, v2, v5
	v_mbcnt_lo_u32_b32 v2, v4, 0
	v_mbcnt_hi_u32_b32 v36, v5, v2
	v_cmp_eq_u32_e32 vcc, 0, v36
	v_cmp_ne_u64_e64 s[4:5], 0, v[4:5]
	s_and_b64 s[8:9], s[4:5], vcc
	; wave barrier
	s_and_saveexec_b64 s[4:5], s[8:9]
	s_cbranch_execz .LBB364_31
; %bb.30:
	v_bcnt_u32_b32 v2, v4, 0
	v_bcnt_u32_b32 v2, v5, v2
	s_waitcnt lgkmcnt(0)
	v_add_u32_e32 v2, v35, v2
	ds_write_b32 v38, v2 offset:64
.LBB364_31:
	s_or_b64 exec, exec, s[4:5]
	v_xor_b32_e32 v9, 0x7fffffff, v9
	v_lshrrev_b32_e32 v2, s20, v9
	v_and_b32_e32 v39, s23, v2
	v_mul_lo_u32 v2, v39, s6
	v_add_u32_e32 v40, v30, v2
	v_and_b32_e32 v2, 1, v39
	v_lshl_add_u64 v[4:5], v[2:3], 0, -1
	v_cmp_ne_u32_e32 vcc, 0, v2
	; wave barrier
	s_nop 1
	v_xor_b32_e32 v4, vcc_lo, v4
	v_xor_b32_e32 v2, vcc_hi, v5
	v_and_b32_e32 v30, exec_lo, v4
	v_lshlrev_b32_e32 v5, 30, v39
	v_mov_b32_e32 v4, v3
	v_cmp_gt_i64_e32 vcc, 0, v[4:5]
	v_not_b32_e32 v4, v5
	v_ashrrev_i32_e32 v4, 31, v4
	v_and_b32_e32 v2, exec_hi, v2
	v_xor_b32_e32 v5, vcc_hi, v4
	v_xor_b32_e32 v4, vcc_lo, v4
	v_and_b32_e32 v2, v2, v5
	v_and_b32_e32 v30, v30, v4
	v_lshlrev_b32_e32 v5, 29, v39
	v_mov_b32_e32 v4, v3
	v_cmp_gt_i64_e32 vcc, 0, v[4:5]
	v_not_b32_e32 v4, v5
	v_ashrrev_i32_e32 v4, 31, v4
	v_xor_b32_e32 v5, vcc_hi, v4
	v_xor_b32_e32 v4, vcc_lo, v4
	v_and_b32_e32 v2, v2, v5
	v_and_b32_e32 v30, v30, v4
	v_lshlrev_b32_e32 v5, 28, v39
	v_mov_b32_e32 v4, v3
	v_cmp_gt_i64_e32 vcc, 0, v[4:5]
	v_not_b32_e32 v4, v5
	v_ashrrev_i32_e32 v4, 31, v4
	;; [unrolled: 9-line block ×5, first 2 shown]
	v_xor_b32_e32 v5, vcc_hi, v4
	v_xor_b32_e32 v4, vcc_lo, v4
	v_and_b32_e32 v2, v2, v5
	v_lshlrev_b32_e32 v5, 24, v39
	v_and_b32_e32 v30, v30, v4
	v_mov_b32_e32 v4, v3
	v_not_b32_e32 v3, v5
	v_cmp_gt_i64_e32 vcc, 0, v[4:5]
	v_ashrrev_i32_e32 v3, 31, v3
	ds_read_b32 v37, v40 offset:64
	v_xor_b32_e32 v4, vcc_hi, v3
	v_xor_b32_e32 v5, vcc_lo, v3
	v_and_b32_e32 v3, v2, v4
	v_and_b32_e32 v2, v30, v5
	v_mbcnt_lo_u32_b32 v4, v2, 0
	v_mbcnt_hi_u32_b32 v39, v3, v4
	v_cmp_eq_u32_e32 vcc, 0, v39
	v_cmp_ne_u64_e64 s[4:5], 0, v[2:3]
	s_and_b64 s[6:7], s[4:5], vcc
	; wave barrier
	s_and_saveexec_b64 s[4:5], s[6:7]
	s_cbranch_execz .LBB364_33
; %bb.32:
	v_bcnt_u32_b32 v2, v2, 0
	v_bcnt_u32_b32 v2, v3, v2
	s_waitcnt lgkmcnt(0)
	v_add_u32_e32 v2, v37, v2
	ds_write_b32 v40, v2 offset:64
.LBB364_33:
	s_or_b64 exec, exec, s[4:5]
	; wave barrier
	s_waitcnt lgkmcnt(0)
	s_barrier
	ds_read2_b32 v[4:5], v17 offset0:16 offset1:17
	ds_read2_b32 v[2:3], v17 offset0:18 offset1:19
	ds_read_b32 v30, v17 offset:80
	v_cmp_lt_u32_e64 s[10:11], 31, v16
	s_waitcnt lgkmcnt(1)
	v_add3_u32 v41, v5, v4, v2
	s_waitcnt lgkmcnt(0)
	v_add3_u32 v30, v41, v3, v30
	v_and_b32_e32 v41, 15, v16
	v_cmp_eq_u32_e32 vcc, 0, v41
	v_mov_b32_dpp v42, v30 row_shr:1 row_mask:0xf bank_mask:0xf
	v_cmp_lt_u32_e64 s[8:9], 1, v41
	v_cndmask_b32_e64 v42, v42, 0, vcc
	v_add_u32_e32 v30, v42, v30
	v_cmp_lt_u32_e64 s[4:5], 3, v41
	v_cmp_lt_u32_e64 s[6:7], 7, v41
	v_mov_b32_dpp v42, v30 row_shr:2 row_mask:0xf bank_mask:0xf
	v_cndmask_b32_e64 v42, 0, v42, s[8:9]
	v_add_u32_e32 v30, v30, v42
	s_nop 1
	v_mov_b32_dpp v42, v30 row_shr:4 row_mask:0xf bank_mask:0xf
	v_cndmask_b32_e64 v42, 0, v42, s[4:5]
	v_add_u32_e32 v30, v30, v42
	s_nop 1
	v_mov_b32_dpp v42, v30 row_shr:8 row_mask:0xf bank_mask:0xf
	v_cndmask_b32_e64 v41, 0, v42, s[6:7]
	v_add_u32_e32 v30, v30, v41
	v_bfe_i32 v42, v16, 4, 1
	s_nop 0
	v_mov_b32_dpp v41, v30 row_bcast:15 row_mask:0xf bank_mask:0xf
	v_and_b32_e32 v41, v42, v41
	v_add_u32_e32 v30, v30, v41
	v_lshrrev_b32_e32 v42, 6, v10
	s_nop 0
	v_mov_b32_dpp v41, v30 row_bcast:31 row_mask:0xf bank_mask:0xf
	v_cndmask_b32_e64 v41, 0, v41, s[10:11]
	v_add_u32_e32 v41, v30, v41
	v_and_b32_e32 v30, 63, v10
	v_cmp_eq_u32_e64 s[10:11], 63, v30
	s_and_saveexec_b64 s[12:13], s[10:11]
; %bb.34:
	v_lshlrev_b32_e32 v30, 2, v42
	ds_write_b32 v30, v41
; %bb.35:
	s_or_b64 exec, exec, s[12:13]
	v_cmp_gt_u32_e64 s[10:11], 16, v10
	v_lshlrev_b32_e32 v30, 2, v10
	s_waitcnt lgkmcnt(0)
	s_barrier
	s_and_saveexec_b64 s[12:13], s[10:11]
	s_cbranch_execz .LBB364_37
; %bb.36:
	ds_read_b32 v43, v30
	s_waitcnt lgkmcnt(0)
	s_nop 0
	v_mov_b32_dpp v44, v43 row_shr:1 row_mask:0xf bank_mask:0xf
	v_cndmask_b32_e64 v44, v44, 0, vcc
	v_add_u32_e32 v43, v44, v43
	s_nop 1
	v_mov_b32_dpp v44, v43 row_shr:2 row_mask:0xf bank_mask:0xf
	v_cndmask_b32_e64 v44, 0, v44, s[8:9]
	v_add_u32_e32 v43, v43, v44
	s_nop 1
	v_mov_b32_dpp v44, v43 row_shr:4 row_mask:0xf bank_mask:0xf
	v_cndmask_b32_e64 v44, 0, v44, s[4:5]
	;; [unrolled: 4-line block ×3, first 2 shown]
	v_add_u32_e32 v43, v43, v44
	ds_write_b32 v30, v43
.LBB364_37:
	s_or_b64 exec, exec, s[12:13]
	v_cmp_lt_u32_e32 vcc, 63, v10
	v_mov_b32_e32 v43, 0
	s_waitcnt lgkmcnt(0)
	s_barrier
	s_and_saveexec_b64 s[4:5], vcc
; %bb.38:
	v_lshl_add_u32 v42, v42, 2, -4
	ds_read_b32 v43, v42
; %bb.39:
	s_or_b64 exec, exec, s[4:5]
	v_subrev_co_u32_e32 v42, vcc, 1, v16
	v_and_b32_e32 v44, 64, v16
	v_cmp_lt_i32_e64 s[4:5], v42, v44
	s_waitcnt lgkmcnt(0)
	v_add_u32_e32 v41, v43, v41
	s_movk_i32 s6, 0x100
	v_cndmask_b32_e64 v16, v42, v16, s[4:5]
	v_lshlrev_b32_e32 v16, 2, v16
	ds_bpermute_b32 v16, v16, v41
	s_movk_i32 s4, 0xff
	v_cmp_lt_u32_e64 s[4:5], s4, v10
	s_waitcnt lgkmcnt(0)
	v_cndmask_b32_e32 v16, v16, v43, vcc
	v_cmp_ne_u32_e32 vcc, 0, v10
	s_nop 1
	v_cndmask_b32_e32 v16, 0, v16, vcc
	v_add_u32_e32 v4, v16, v4
	v_add_u32_e32 v5, v4, v5
	;; [unrolled: 1-line block ×4, first 2 shown]
	ds_write2_b32 v17, v16, v4 offset0:16 offset1:17
	ds_write2_b32 v17, v5, v2 offset0:18 offset1:19
	ds_write_b32 v17, v3 offset:80
	s_waitcnt lgkmcnt(0)
	s_barrier
	ds_read_b32 v22, v22 offset:64
	ds_read_b32 v23, v23 offset:64
	;; [unrolled: 1-line block ×8, first 2 shown]
	v_cmp_gt_u32_e32 vcc, s6, v10
                                        ; implicit-def: $vgpr16
                                        ; implicit-def: $vgpr17
	s_and_saveexec_b64 s[8:9], vcc
	s_cbranch_execz .LBB364_43
; %bb.40:
	v_mul_u32_u24_e32 v2, 0x44, v10
	ds_read_b32 v16, v2 offset:64
	v_add_u32_e32 v3, 1, v10
	v_cmp_ne_u32_e64 s[6:7], s6, v3
	v_mov_b32_e32 v2, 0x2000
	s_and_saveexec_b64 s[10:11], s[6:7]
; %bb.41:
	v_mul_u32_u24_e32 v2, 0x44, v3
	ds_read_b32 v2, v2 offset:64
; %bb.42:
	s_or_b64 exec, exec, s[10:11]
	s_waitcnt lgkmcnt(0)
	v_sub_u32_e32 v17, v2, v16
.LBB364_43:
	s_or_b64 exec, exec, s[8:9]
	v_mov_b32_e32 v3, 0
	s_waitcnt lgkmcnt(0)
	s_barrier
	s_and_saveexec_b64 s[6:7], vcc
	s_cbranch_execz .LBB364_53
; %bb.44:
	v_lshl_add_u32 v2, s2, 8, v10
	v_lshl_add_u64 v[4:5], v[2:3], 2, s[28:29]
	v_or_b32_e32 v2, 2.0, v17
	s_mov_b64 s[8:9], 0
	s_brev_b32 s14, -4
	s_mov_b32 s15, s2
	v_mov_b32_e32 v43, 0
	global_store_dword v[4:5], v2, off sc1
                                        ; implicit-def: $sgpr10_sgpr11
	s_branch .LBB364_47
.LBB364_45:                             ;   in Loop: Header=BB364_47 Depth=1
	s_or_b64 exec, exec, s[12:13]
.LBB364_46:                             ;   in Loop: Header=BB364_47 Depth=1
	s_or_b64 exec, exec, s[10:11]
	v_and_b32_e32 v6, 0x3fffffff, v2
	v_add_u32_e32 v43, v6, v43
	v_cmp_gt_i32_e64 s[10:11], -2.0, v2
	s_and_b64 s[12:13], exec, s[10:11]
	s_or_b64 s[8:9], s[12:13], s[8:9]
	s_andn2_b64 exec, exec, s[8:9]
	s_cbranch_execz .LBB364_52
.LBB364_47:                             ; =>This Loop Header: Depth=1
                                        ;     Child Loop BB364_50 Depth 2
	s_or_b64 s[10:11], s[10:11], exec
	s_cmp_eq_u32 s15, 0
	s_cbranch_scc1 .LBB364_51
; %bb.48:                               ;   in Loop: Header=BB364_47 Depth=1
	s_add_i32 s15, s15, -1
	v_lshl_or_b32 v2, s15, 8, v10
	v_lshl_add_u64 v[6:7], v[2:3], 2, s[28:29]
	global_load_dword v2, v[6:7], off sc1
	s_waitcnt vmcnt(0)
	v_cmp_gt_u32_e32 vcc, 2.0, v2
	s_and_saveexec_b64 s[10:11], vcc
	s_cbranch_execz .LBB364_46
; %bb.49:                               ;   in Loop: Header=BB364_47 Depth=1
	s_mov_b64 s[12:13], 0
.LBB364_50:                             ;   Parent Loop BB364_47 Depth=1
                                        ; =>  This Inner Loop Header: Depth=2
	global_load_dword v2, v[6:7], off sc1
	s_waitcnt vmcnt(0)
	v_cmp_lt_u32_e32 vcc, s14, v2
	s_or_b64 s[12:13], vcc, s[12:13]
	s_andn2_b64 exec, exec, s[12:13]
	s_cbranch_execnz .LBB364_50
	s_branch .LBB364_45
.LBB364_51:                             ;   in Loop: Header=BB364_47 Depth=1
                                        ; implicit-def: $sgpr15
	s_and_b64 s[12:13], exec, s[10:11]
	s_or_b64 s[8:9], s[12:13], s[8:9]
	s_andn2_b64 exec, exec, s[8:9]
	s_cbranch_execnz .LBB364_47
.LBB364_52:
	s_or_b64 exec, exec, s[8:9]
	v_add_u32_e32 v2, v43, v17
	v_or_b32_e32 v2, 0x80000000, v2
	global_store_dword v[4:5], v2, off sc1
	global_load_dword v2, v30, s[16:17]
	v_sub_u32_e32 v3, v43, v16
	s_waitcnt vmcnt(0)
	v_add_u32_e32 v2, v3, v2
	ds_write_b32 v30, v2
.LBB364_53:
	s_or_b64 exec, exec, s[6:7]
	v_add_u32_e32 v4, v22, v18
	v_add3_u32 v5, v20, v19, v23
	v_add3_u32 v6, v25, v21, v27
	;; [unrolled: 1-line block ×7, first 2 shown]
	v_lshlrev_b32_e32 v22, 2, v21
	v_lshlrev_b32_e32 v23, 2, v20
	;; [unrolled: 1-line block ×8, first 2 shown]
	s_mov_b64 s[6:7], -1
	s_mov_b32 s10, 0
	v_mov_b32_e32 v3, 0
	s_movk_i32 s11, 0x400
	s_movk_i32 s12, 0x800
	;; [unrolled: 1-line block ×3, first 2 shown]
	s_branch .LBB364_55
.LBB364_54:                             ;   in Loop: Header=BB364_55 Depth=1
	s_or_b64 exec, exec, s[8:9]
	s_xor_b64 s[8:9], s[6:7], -1
	s_addk_i32 s10, 0xc000
	v_add_u32_e32 v10, 0x1000, v10
	s_mov_b64 s[6:7], 0
	s_and_b64 vcc, exec, s[8:9]
	s_barrier
	s_cbranch_vccnz .LBB364_79
.LBB364_55:                             ; =>This Inner Loop Header: Depth=1
	v_subrev_co_u32_e32 v4, vcc, 0x1000, v4
	s_and_saveexec_b64 s[8:9], vcc
	s_cbranch_execz .LBB364_63
; %bb.56:                               ;   in Loop: Header=BB364_55 Depth=1
	v_add_u32_e32 v2, s10, v31
	ds_write_b32 v2, v11 offset:1024
	s_or_b64 exec, exec, s[8:9]
	v_subrev_co_u32_e32 v5, vcc, 0x1000, v5
	s_and_saveexec_b64 s[8:9], vcc
	s_cbranch_execnz .LBB364_64
.LBB364_57:                             ;   in Loop: Header=BB364_55 Depth=1
	s_or_b64 exec, exec, s[8:9]
	v_subrev_co_u32_e32 v6, vcc, 0x1000, v6
	s_and_saveexec_b64 s[8:9], vcc
	s_cbranch_execz .LBB364_65
.LBB364_58:                             ;   in Loop: Header=BB364_55 Depth=1
	v_add_u32_e32 v2, s10, v28
	ds_write_b32 v2, v15 offset:1024
	s_or_b64 exec, exec, s[8:9]
	v_subrev_co_u32_e32 v7, vcc, 0x1000, v7
	s_and_saveexec_b64 s[8:9], vcc
	s_cbranch_execnz .LBB364_66
.LBB364_59:                             ;   in Loop: Header=BB364_55 Depth=1
	s_or_b64 exec, exec, s[8:9]
	v_subrev_co_u32_e32 v18, vcc, 0x1000, v18
	s_and_saveexec_b64 s[8:9], vcc
	s_cbranch_execz .LBB364_67
.LBB364_60:                             ;   in Loop: Header=BB364_55 Depth=1
	v_add_u32_e32 v2, s10, v26
	ds_write_b32 v2, v13 offset:1024
	s_or_b64 exec, exec, s[8:9]
	v_subrev_co_u32_e32 v19, vcc, 0x1000, v19
	s_and_saveexec_b64 s[8:9], vcc
	s_cbranch_execnz .LBB364_68
.LBB364_61:                             ;   in Loop: Header=BB364_55 Depth=1
	s_or_b64 exec, exec, s[8:9]
	v_subrev_co_u32_e32 v20, vcc, 0x1000, v20
	s_and_saveexec_b64 s[8:9], vcc
	s_cbranch_execz .LBB364_69
.LBB364_62:                             ;   in Loop: Header=BB364_55 Depth=1
	v_add_u32_e32 v2, s10, v23
	ds_write_b32 v2, v8 offset:1024
	s_or_b64 exec, exec, s[8:9]
	v_subrev_co_u32_e32 v21, vcc, 0x1000, v21
	s_and_saveexec_b64 s[8:9], vcc
	s_cbranch_execnz .LBB364_70
	s_branch .LBB364_71
.LBB364_63:                             ;   in Loop: Header=BB364_55 Depth=1
	s_or_b64 exec, exec, s[8:9]
	v_subrev_co_u32_e32 v5, vcc, 0x1000, v5
	s_and_saveexec_b64 s[8:9], vcc
	s_cbranch_execz .LBB364_57
.LBB364_64:                             ;   in Loop: Header=BB364_55 Depth=1
	v_add_u32_e32 v2, s10, v29
	ds_write_b32 v2, v14 offset:1024
	s_or_b64 exec, exec, s[8:9]
	v_subrev_co_u32_e32 v6, vcc, 0x1000, v6
	s_and_saveexec_b64 s[8:9], vcc
	s_cbranch_execnz .LBB364_58
.LBB364_65:                             ;   in Loop: Header=BB364_55 Depth=1
	s_or_b64 exec, exec, s[8:9]
	v_subrev_co_u32_e32 v7, vcc, 0x1000, v7
	s_and_saveexec_b64 s[8:9], vcc
	s_cbranch_execz .LBB364_59
.LBB364_66:                             ;   in Loop: Header=BB364_55 Depth=1
	v_add_u32_e32 v2, s10, v27
	ds_write_b32 v2, v12 offset:1024
	s_or_b64 exec, exec, s[8:9]
	v_subrev_co_u32_e32 v18, vcc, 0x1000, v18
	s_and_saveexec_b64 s[8:9], vcc
	s_cbranch_execnz .LBB364_60
.LBB364_67:                             ;   in Loop: Header=BB364_55 Depth=1
	s_or_b64 exec, exec, s[8:9]
	v_subrev_co_u32_e32 v19, vcc, 0x1000, v19
	s_and_saveexec_b64 s[8:9], vcc
	s_cbranch_execz .LBB364_61
.LBB364_68:                             ;   in Loop: Header=BB364_55 Depth=1
	v_add_u32_e32 v2, s10, v25
	ds_write_b32 v2, v24 offset:1024
	s_or_b64 exec, exec, s[8:9]
	v_subrev_co_u32_e32 v20, vcc, 0x1000, v20
	s_and_saveexec_b64 s[8:9], vcc
	s_cbranch_execnz .LBB364_62
.LBB364_69:                             ;   in Loop: Header=BB364_55 Depth=1
	s_or_b64 exec, exec, s[8:9]
	v_subrev_co_u32_e32 v21, vcc, 0x1000, v21
	s_and_saveexec_b64 s[8:9], vcc
.LBB364_70:                             ;   in Loop: Header=BB364_55 Depth=1
	v_add_u32_e32 v2, s10, v22
	ds_write_b32 v2, v9 offset:1024
.LBB364_71:                             ;   in Loop: Header=BB364_55 Depth=1
	s_or_b64 exec, exec, s[8:9]
	v_cmp_gt_u32_e32 vcc, s3, v10
	s_waitcnt lgkmcnt(0)
	s_barrier
	s_and_saveexec_b64 s[8:9], vcc
	s_cbranch_execz .LBB364_73
; %bb.72:                               ;   in Loop: Header=BB364_55 Depth=1
	ds_read_b32 v2, v30 offset:1024
	s_waitcnt lgkmcnt(0)
	v_lshrrev_b32_e32 v32, s20, v2
	v_and_b32_e32 v32, s23, v32
	v_lshlrev_b32_e32 v32, 2, v32
	ds_read_b32 v32, v32
	v_xor_b32_e32 v34, 0x7fffffff, v2
	s_waitcnt lgkmcnt(0)
	v_add_u32_e32 v2, v10, v32
	v_lshl_add_u64 v[32:33], v[2:3], 2, s[26:27]
	global_store_dword v[32:33], v34, off
.LBB364_73:                             ;   in Loop: Header=BB364_55 Depth=1
	s_or_b64 exec, exec, s[8:9]
	v_add_u32_e32 v2, 0x400, v10
	v_cmp_gt_u32_e32 vcc, s3, v2
	s_and_saveexec_b64 s[8:9], vcc
	s_cbranch_execz .LBB364_75
; %bb.74:                               ;   in Loop: Header=BB364_55 Depth=1
	ds_read_b32 v2, v30 offset:5120
	s_waitcnt lgkmcnt(0)
	v_lshrrev_b32_e32 v32, s20, v2
	v_and_b32_e32 v32, s23, v32
	v_lshlrev_b32_e32 v32, 2, v32
	ds_read_b32 v32, v32
	v_xor_b32_e32 v34, 0x7fffffff, v2
	s_waitcnt lgkmcnt(0)
	v_add3_u32 v2, v10, v32, s11
	v_lshl_add_u64 v[32:33], v[2:3], 2, s[26:27]
	global_store_dword v[32:33], v34, off
.LBB364_75:                             ;   in Loop: Header=BB364_55 Depth=1
	s_or_b64 exec, exec, s[8:9]
	v_add_u32_e32 v2, 0x800, v10
	v_cmp_gt_u32_e32 vcc, s3, v2
	s_and_saveexec_b64 s[8:9], vcc
	s_cbranch_execz .LBB364_77
; %bb.76:                               ;   in Loop: Header=BB364_55 Depth=1
	ds_read_b32 v2, v30 offset:9216
	s_waitcnt lgkmcnt(0)
	v_lshrrev_b32_e32 v32, s20, v2
	v_and_b32_e32 v32, s23, v32
	v_lshlrev_b32_e32 v32, 2, v32
	ds_read_b32 v32, v32
	v_xor_b32_e32 v34, 0x7fffffff, v2
	s_waitcnt lgkmcnt(0)
	v_add3_u32 v2, v10, v32, s12
	v_lshl_add_u64 v[32:33], v[2:3], 2, s[26:27]
	global_store_dword v[32:33], v34, off
.LBB364_77:                             ;   in Loop: Header=BB364_55 Depth=1
	s_or_b64 exec, exec, s[8:9]
	v_add_u32_e32 v2, 0xc00, v10
	v_cmp_gt_u32_e32 vcc, s3, v2
	s_and_saveexec_b64 s[8:9], vcc
	s_cbranch_execz .LBB364_54
; %bb.78:                               ;   in Loop: Header=BB364_55 Depth=1
	ds_read_b32 v2, v30 offset:13312
	s_waitcnt lgkmcnt(0)
	v_lshrrev_b32_e32 v32, s20, v2
	v_and_b32_e32 v32, s23, v32
	v_lshlrev_b32_e32 v32, 2, v32
	ds_read_b32 v32, v32
	v_xor_b32_e32 v34, 0x7fffffff, v2
	s_waitcnt lgkmcnt(0)
	v_add3_u32 v2, v10, v32, s13
	v_lshl_add_u64 v[32:33], v[2:3], 2, s[26:27]
	global_store_dword v[32:33], v34, off
	s_branch .LBB364_54
.LBB364_79:
	s_add_i32 s22, s22, -1
	s_cmp_eq_u32 s2, s22
	s_cselect_b64 s[6:7], -1, 0
	s_xor_b64 s[4:5], s[4:5], -1
	s_and_b64 s[6:7], s[4:5], s[6:7]
	s_and_saveexec_b64 s[4:5], s[6:7]
	s_cbranch_execz .LBB364_81
; %bb.80:
	ds_read_b32 v2, v30
	s_waitcnt lgkmcnt(0)
	v_add3_u32 v2, v16, v17, v2
	global_store_dword v30, v2, s[18:19]
.LBB364_81:
	s_or_b64 exec, exec, s[4:5]
	s_mov_b64 s[4:5], 0
.LBB364_82:
	s_and_b64 vcc, exec, s[4:5]
	s_cbranch_vccz .LBB364_139
; %bb.83:
	s_lshl_b32 s4, s2, 13
	s_mov_b32 s5, 0
	s_lshl_b64 s[4:5], s[4:5], 2
	v_mbcnt_hi_u32_b32 v6, -1, v1
	v_and_b32_e32 v2, 0x3ff, v0
	s_add_u32 s4, s24, s4
	v_and_b32_e32 v1, 63, v6
	s_addc_u32 s5, s25, s5
	v_lshlrev_b32_e32 v4, 2, v1
	v_mov_b32_e32 v5, 0
	v_lshlrev_b32_e32 v1, 5, v2
	v_lshl_add_u64 v[8:9], s[4:5], 0, v[4:5]
	v_and_b32_e32 v4, 0x7800, v1
	v_lshl_add_u64 v[10:11], v[8:9], 0, v[4:5]
	global_load_dword v1, v[10:11], off
	s_load_dword s4, s[0:1], 0x64
	s_load_dword s3, s[0:1], 0x58
	s_add_u32 s0, s0, 0x58
	s_addc_u32 s1, s1, 0
	v_mul_u32_u24_e32 v7, 20, v2
	s_waitcnt lgkmcnt(0)
	s_lshr_b32 s4, s4, 16
	s_cmp_lt_u32 s2, s3
	s_cselect_b32 s5, 12, 18
	s_add_u32 s0, s0, s5
	s_addc_u32 s1, s1, 0
	global_load_ushort v13, v5, s[0:1]
	ds_write2_b32 v7, v5, v5 offset0:16 offset1:17
	ds_write2_b32 v7, v5, v5 offset0:18 offset1:19
	ds_write_b32 v7, v5 offset:80
	global_load_dword v8, v[10:11], off offset:256
	global_load_dword v9, v[10:11], off offset:512
	;; [unrolled: 1-line block ×7, first 2 shown]
	v_bfe_u32 v3, v0, 10, 10
	v_bfe_u32 v4, v0, 20, 10
	v_mad_u32_u24 v10, v4, s4, v3
	s_lshl_b32 s0, -1, s21
	v_mov_b32_e32 v0, v5
	s_not_b32 s12, s0
	v_mov_b32_e32 v16, v5
	v_mov_b32_e32 v18, v5
	;; [unrolled: 1-line block ×3, first 2 shown]
	s_movk_i32 s10, 0x44
	s_waitcnt lgkmcnt(0)
	s_barrier
	s_waitcnt vmcnt(8)
	; wave barrier
	v_xor_b32_e32 v3, 0x7fffffff, v1
	v_lshrrev_b32_e32 v1, s20, v3
	v_bitop3_b32 v14, v1, s0, v1 bitop3:0x30
	v_and_b32_e32 v4, 1, v14
	v_lshlrev_b32_e32 v1, 30, v14
	v_lshlrev_b32_e32 v17, 29, v14
	v_lshl_add_u64 v[28:29], v[4:5], 0, -1
	v_cmp_ne_u32_e32 vcc, 0, v4
	v_lshlrev_b32_e32 v19, 28, v14
	v_cmp_gt_i64_e64 s[4:5], 0, v[16:17]
	s_waitcnt vmcnt(7)
	v_mad_u64_u32 v[24:25], s[0:1], v10, v13, v[2:3]
	v_cmp_gt_i64_e64 s[0:1], 0, v[0:1]
	v_not_b32_e32 v0, v1
	v_not_b32_e32 v1, v17
	v_lshrrev_b32_e32 v13, 4, v24
	v_xor_b32_e32 v16, vcc_hi, v29
	v_xor_b32_e32 v17, vcc_lo, v28
	v_ashrrev_i32_e32 v0, 31, v0
	v_lshlrev_b32_e32 v23, 27, v14
	v_not_b32_e32 v4, v19
	v_ashrrev_i32_e32 v1, 31, v1
	v_and_b32_e32 v24, 0xffffffc, v13
	v_and_b32_e32 v13, exec_hi, v16
	v_and_b32_e32 v16, exec_lo, v17
	v_xor_b32_e32 v17, s1, v0
	v_xor_b32_e32 v0, s0, v0
	v_cmp_gt_i64_e64 s[6:7], 0, v[18:19]
	v_not_b32_e32 v10, v23
	v_ashrrev_i32_e32 v4, 31, v4
	v_xor_b32_e32 v18, s5, v1
	v_xor_b32_e32 v1, s4, v1
	v_and_b32_e32 v0, v16, v0
	v_cmp_gt_i64_e64 s[8:9], 0, v[22:23]
	v_ashrrev_i32_e32 v10, 31, v10
	v_xor_b32_e32 v19, s7, v4
	v_xor_b32_e32 v4, s6, v4
	v_and_b32_e32 v0, v0, v1
	v_lshlrev_b32_e32 v11, 26, v14
	v_xor_b32_e32 v22, s9, v10
	v_xor_b32_e32 v10, s8, v10
	v_and_b32_e32 v13, v13, v17
	v_and_b32_e32 v0, v0, v4
	v_and_b32_e32 v13, v13, v18
	v_and_b32_e32 v0, v0, v10
	v_mov_b32_e32 v10, v5
	v_not_b32_e32 v4, v11
	v_and_b32_e32 v1, v13, v19
	v_cmp_gt_i64_e32 vcc, 0, v[10:11]
	v_ashrrev_i32_e32 v4, 31, v4
	v_and_b32_e32 v1, v1, v22
	v_xor_b32_e32 v10, vcc_hi, v4
	v_xor_b32_e32 v4, vcc_lo, v4
	v_and_b32_e32 v10, v1, v10
	v_and_b32_e32 v4, v0, v4
	v_lshlrev_b32_e32 v1, 25, v14
	v_mov_b32_e32 v0, v5
	v_cmp_gt_i64_e32 vcc, 0, v[0:1]
	v_not_b32_e32 v0, v1
	v_ashrrev_i32_e32 v0, 31, v0
	v_xor_b32_e32 v1, vcc_hi, v0
	v_xor_b32_e32 v0, vcc_lo, v0
	v_and_b32_e32 v10, v10, v1
	v_and_b32_e32 v4, v4, v0
	v_lshlrev_b32_e32 v1, 24, v14
	v_mov_b32_e32 v0, v5
	v_cmp_gt_i64_e32 vcc, 0, v[0:1]
	v_not_b32_e32 v0, v1
	v_ashrrev_i32_e32 v0, 31, v0
	v_xor_b32_e32 v1, vcc_hi, v0
	v_xor_b32_e32 v0, vcc_lo, v0
	v_and_b32_e32 v0, v4, v0
	v_and_b32_e32 v1, v10, v1
	v_mbcnt_lo_u32_b32 v4, v0, 0
	v_mbcnt_hi_u32_b32 v10, v1, v4
	v_mul_lo_u32 v27, v14, s10
	v_cmp_eq_u32_e32 vcc, 0, v10
	v_cmp_ne_u64_e64 s[0:1], 0, v[0:1]
	s_and_b64 s[4:5], s[0:1], vcc
	v_add_u32_e32 v16, v24, v27
	s_and_saveexec_b64 s[0:1], s[4:5]
; %bb.84:
	v_bcnt_u32_b32 v0, v0, 0
	v_bcnt_u32_b32 v0, v1, v0
	ds_write_b32 v16, v0 offset:64
; %bb.85:
	s_or_b64 exec, exec, s[0:1]
	s_waitcnt vmcnt(6)
	v_xor_b32_e32 v8, 0x7fffffff, v8
	v_lshrrev_b32_e32 v0, s20, v8
	v_and_b32_e32 v13, s12, v0
	v_mul_lo_u32 v0, v13, s10
	v_and_b32_e32 v4, 1, v13
	v_add_u32_e32 v17, v24, v0
	v_lshl_add_u64 v[0:1], v[4:5], 0, -1
	v_cmp_ne_u32_e32 vcc, 0, v4
	; wave barrier
	s_nop 1
	v_xor_b32_e32 v1, vcc_hi, v1
	v_xor_b32_e32 v0, vcc_lo, v0
	v_and_b32_e32 v4, exec_hi, v1
	v_and_b32_e32 v14, exec_lo, v0
	v_lshlrev_b32_e32 v1, 30, v13
	v_mov_b32_e32 v0, v5
	v_cmp_gt_i64_e32 vcc, 0, v[0:1]
	v_not_b32_e32 v0, v1
	v_ashrrev_i32_e32 v0, 31, v0
	v_xor_b32_e32 v1, vcc_hi, v0
	v_xor_b32_e32 v0, vcc_lo, v0
	v_and_b32_e32 v4, v4, v1
	v_and_b32_e32 v14, v14, v0
	v_lshlrev_b32_e32 v1, 29, v13
	v_mov_b32_e32 v0, v5
	v_cmp_gt_i64_e32 vcc, 0, v[0:1]
	v_not_b32_e32 v0, v1
	v_ashrrev_i32_e32 v0, 31, v0
	v_xor_b32_e32 v1, vcc_hi, v0
	v_xor_b32_e32 v0, vcc_lo, v0
	v_and_b32_e32 v4, v4, v1
	v_and_b32_e32 v14, v14, v0
	;; [unrolled: 9-line block ×6, first 2 shown]
	v_lshlrev_b32_e32 v1, 24, v13
	v_mov_b32_e32 v0, v5
	v_cmp_gt_i64_e32 vcc, 0, v[0:1]
	v_not_b32_e32 v0, v1
	v_ashrrev_i32_e32 v0, 31, v0
	v_xor_b32_e32 v1, vcc_hi, v0
	v_xor_b32_e32 v0, vcc_lo, v0
	ds_read_b32 v11, v17 offset:64
	v_and_b32_e32 v0, v14, v0
	v_and_b32_e32 v1, v4, v1
	v_mbcnt_lo_u32_b32 v4, v0, 0
	v_mbcnt_hi_u32_b32 v13, v1, v4
	v_cmp_eq_u32_e32 vcc, 0, v13
	v_cmp_ne_u64_e64 s[0:1], 0, v[0:1]
	s_and_b64 s[4:5], s[0:1], vcc
	; wave barrier
	s_and_saveexec_b64 s[0:1], s[4:5]
	s_cbranch_execz .LBB364_87
; %bb.86:
	v_bcnt_u32_b32 v0, v0, 0
	v_bcnt_u32_b32 v0, v1, v0
	s_waitcnt lgkmcnt(0)
	v_add_u32_e32 v0, v11, v0
	ds_write_b32 v17, v0 offset:64
.LBB364_87:
	s_or_b64 exec, exec, s[0:1]
	s_waitcnt vmcnt(5)
	v_xor_b32_e32 v9, 0x7fffffff, v9
	v_lshrrev_b32_e32 v0, s20, v9
	v_and_b32_e32 v18, s12, v0
	s_movk_i32 s4, 0x44
	v_mul_lo_u32 v0, v18, s4
	v_add_u32_e32 v22, v24, v0
	v_and_b32_e32 v0, 1, v18
	v_mov_b32_e32 v1, 0
	v_lshl_add_u64 v[4:5], v[0:1], 0, -1
	v_cmp_ne_u32_e32 vcc, 0, v0
	; wave barrier
	s_nop 1
	v_xor_b32_e32 v4, vcc_lo, v4
	v_xor_b32_e32 v0, vcc_hi, v5
	v_and_b32_e32 v19, exec_lo, v4
	v_lshlrev_b32_e32 v5, 30, v18
	v_mov_b32_e32 v4, v1
	v_cmp_gt_i64_e32 vcc, 0, v[4:5]
	v_not_b32_e32 v4, v5
	v_ashrrev_i32_e32 v4, 31, v4
	v_and_b32_e32 v0, exec_hi, v0
	v_xor_b32_e32 v5, vcc_hi, v4
	v_xor_b32_e32 v4, vcc_lo, v4
	v_and_b32_e32 v0, v0, v5
	v_and_b32_e32 v19, v19, v4
	v_lshlrev_b32_e32 v5, 29, v18
	v_mov_b32_e32 v4, v1
	v_cmp_gt_i64_e32 vcc, 0, v[4:5]
	v_not_b32_e32 v4, v5
	v_ashrrev_i32_e32 v4, 31, v4
	v_xor_b32_e32 v5, vcc_hi, v4
	v_xor_b32_e32 v4, vcc_lo, v4
	v_and_b32_e32 v0, v0, v5
	v_and_b32_e32 v19, v19, v4
	v_lshlrev_b32_e32 v5, 28, v18
	v_mov_b32_e32 v4, v1
	v_cmp_gt_i64_e32 vcc, 0, v[4:5]
	v_not_b32_e32 v4, v5
	v_ashrrev_i32_e32 v4, 31, v4
	;; [unrolled: 9-line block ×6, first 2 shown]
	v_xor_b32_e32 v5, vcc_hi, v4
	v_xor_b32_e32 v4, vcc_lo, v4
	ds_read_b32 v14, v22 offset:64
	v_and_b32_e32 v4, v19, v4
	v_and_b32_e32 v5, v0, v5
	v_mbcnt_lo_u32_b32 v0, v4, 0
	v_mbcnt_hi_u32_b32 v18, v5, v0
	v_cmp_eq_u32_e32 vcc, 0, v18
	v_cmp_ne_u64_e64 s[0:1], 0, v[4:5]
	s_and_b64 s[6:7], s[0:1], vcc
	; wave barrier
	s_and_saveexec_b64 s[0:1], s[6:7]
	s_cbranch_execz .LBB364_89
; %bb.88:
	v_bcnt_u32_b32 v0, v4, 0
	v_bcnt_u32_b32 v0, v5, v0
	s_waitcnt lgkmcnt(0)
	v_add_u32_e32 v0, v14, v0
	ds_write_b32 v22, v0 offset:64
.LBB364_89:
	s_or_b64 exec, exec, s[0:1]
	s_waitcnt vmcnt(4)
	v_xor_b32_e32 v12, 0x7fffffff, v12
	v_lshrrev_b32_e32 v0, s20, v12
	v_and_b32_e32 v23, s12, v0
	v_mul_lo_u32 v0, v23, s4
	v_add_u32_e32 v27, v24, v0
	v_and_b32_e32 v0, 1, v23
	v_lshl_add_u64 v[4:5], v[0:1], 0, -1
	v_cmp_ne_u32_e32 vcc, 0, v0
	; wave barrier
	s_nop 1
	v_xor_b32_e32 v4, vcc_lo, v4
	v_xor_b32_e32 v0, vcc_hi, v5
	v_and_b32_e32 v25, exec_lo, v4
	v_lshlrev_b32_e32 v5, 30, v23
	v_mov_b32_e32 v4, v1
	v_cmp_gt_i64_e32 vcc, 0, v[4:5]
	v_not_b32_e32 v4, v5
	v_ashrrev_i32_e32 v4, 31, v4
	v_and_b32_e32 v0, exec_hi, v0
	v_xor_b32_e32 v5, vcc_hi, v4
	v_xor_b32_e32 v4, vcc_lo, v4
	v_and_b32_e32 v0, v0, v5
	v_and_b32_e32 v25, v25, v4
	v_lshlrev_b32_e32 v5, 29, v23
	v_mov_b32_e32 v4, v1
	v_cmp_gt_i64_e32 vcc, 0, v[4:5]
	v_not_b32_e32 v4, v5
	v_ashrrev_i32_e32 v4, 31, v4
	v_xor_b32_e32 v5, vcc_hi, v4
	v_xor_b32_e32 v4, vcc_lo, v4
	v_and_b32_e32 v0, v0, v5
	v_and_b32_e32 v25, v25, v4
	v_lshlrev_b32_e32 v5, 28, v23
	v_mov_b32_e32 v4, v1
	v_cmp_gt_i64_e32 vcc, 0, v[4:5]
	v_not_b32_e32 v4, v5
	v_ashrrev_i32_e32 v4, 31, v4
	;; [unrolled: 9-line block ×5, first 2 shown]
	v_xor_b32_e32 v5, vcc_hi, v4
	v_xor_b32_e32 v4, vcc_lo, v4
	v_and_b32_e32 v0, v0, v5
	v_lshlrev_b32_e32 v5, 24, v23
	v_and_b32_e32 v25, v25, v4
	v_mov_b32_e32 v4, v1
	v_not_b32_e32 v1, v5
	v_cmp_gt_i64_e32 vcc, 0, v[4:5]
	v_ashrrev_i32_e32 v1, 31, v1
	ds_read_b32 v19, v27 offset:64
	v_xor_b32_e32 v4, vcc_hi, v1
	v_xor_b32_e32 v5, vcc_lo, v1
	v_and_b32_e32 v1, v0, v4
	v_and_b32_e32 v0, v25, v5
	v_mbcnt_lo_u32_b32 v4, v0, 0
	v_mbcnt_hi_u32_b32 v23, v1, v4
	v_cmp_eq_u32_e32 vcc, 0, v23
	v_cmp_ne_u64_e64 s[0:1], 0, v[0:1]
	s_and_b64 s[4:5], s[0:1], vcc
	; wave barrier
	s_and_saveexec_b64 s[0:1], s[4:5]
	s_cbranch_execz .LBB364_91
; %bb.90:
	v_bcnt_u32_b32 v0, v0, 0
	v_bcnt_u32_b32 v0, v1, v0
	s_waitcnt lgkmcnt(0)
	v_add_u32_e32 v0, v19, v0
	ds_write_b32 v27, v0 offset:64
.LBB364_91:
	s_or_b64 exec, exec, s[0:1]
	s_waitcnt vmcnt(3)
	v_xor_b32_e32 v15, 0x7fffffff, v15
	v_lshrrev_b32_e32 v0, s20, v15
	v_and_b32_e32 v28, s12, v0
	s_movk_i32 s4, 0x44
	v_mul_lo_u32 v0, v28, s4
	v_add_u32_e32 v30, v24, v0
	v_and_b32_e32 v0, 1, v28
	v_mov_b32_e32 v1, 0
	v_lshl_add_u64 v[4:5], v[0:1], 0, -1
	v_cmp_ne_u32_e32 vcc, 0, v0
	; wave barrier
	s_nop 1
	v_xor_b32_e32 v4, vcc_lo, v4
	v_xor_b32_e32 v0, vcc_hi, v5
	v_and_b32_e32 v29, exec_lo, v4
	v_lshlrev_b32_e32 v5, 30, v28
	v_mov_b32_e32 v4, v1
	v_cmp_gt_i64_e32 vcc, 0, v[4:5]
	v_not_b32_e32 v4, v5
	v_ashrrev_i32_e32 v4, 31, v4
	v_and_b32_e32 v0, exec_hi, v0
	v_xor_b32_e32 v5, vcc_hi, v4
	v_xor_b32_e32 v4, vcc_lo, v4
	v_and_b32_e32 v0, v0, v5
	v_and_b32_e32 v29, v29, v4
	v_lshlrev_b32_e32 v5, 29, v28
	v_mov_b32_e32 v4, v1
	v_cmp_gt_i64_e32 vcc, 0, v[4:5]
	v_not_b32_e32 v4, v5
	v_ashrrev_i32_e32 v4, 31, v4
	v_xor_b32_e32 v5, vcc_hi, v4
	v_xor_b32_e32 v4, vcc_lo, v4
	v_and_b32_e32 v0, v0, v5
	v_and_b32_e32 v29, v29, v4
	v_lshlrev_b32_e32 v5, 28, v28
	v_mov_b32_e32 v4, v1
	v_cmp_gt_i64_e32 vcc, 0, v[4:5]
	v_not_b32_e32 v4, v5
	v_ashrrev_i32_e32 v4, 31, v4
	;; [unrolled: 9-line block ×6, first 2 shown]
	v_xor_b32_e32 v5, vcc_hi, v4
	v_xor_b32_e32 v4, vcc_lo, v4
	ds_read_b32 v25, v30 offset:64
	v_and_b32_e32 v4, v29, v4
	v_and_b32_e32 v5, v0, v5
	v_mbcnt_lo_u32_b32 v0, v4, 0
	v_mbcnt_hi_u32_b32 v28, v5, v0
	v_cmp_eq_u32_e32 vcc, 0, v28
	v_cmp_ne_u64_e64 s[0:1], 0, v[4:5]
	s_and_b64 s[6:7], s[0:1], vcc
	; wave barrier
	s_and_saveexec_b64 s[0:1], s[6:7]
	s_cbranch_execz .LBB364_93
; %bb.92:
	v_bcnt_u32_b32 v0, v4, 0
	v_bcnt_u32_b32 v0, v5, v0
	s_waitcnt lgkmcnt(0)
	v_add_u32_e32 v0, v25, v0
	ds_write_b32 v30, v0 offset:64
.LBB364_93:
	s_or_b64 exec, exec, s[0:1]
	s_waitcnt vmcnt(2)
	v_xor_b32_e32 v20, 0x7fffffff, v20
	v_lshrrev_b32_e32 v0, s20, v20
	v_and_b32_e32 v31, s12, v0
	v_mul_lo_u32 v0, v31, s4
	v_add_u32_e32 v33, v24, v0
	v_and_b32_e32 v0, 1, v31
	v_lshl_add_u64 v[4:5], v[0:1], 0, -1
	v_cmp_ne_u32_e32 vcc, 0, v0
	; wave barrier
	s_nop 1
	v_xor_b32_e32 v4, vcc_lo, v4
	v_xor_b32_e32 v0, vcc_hi, v5
	v_and_b32_e32 v32, exec_lo, v4
	v_lshlrev_b32_e32 v5, 30, v31
	v_mov_b32_e32 v4, v1
	v_cmp_gt_i64_e32 vcc, 0, v[4:5]
	v_not_b32_e32 v4, v5
	v_ashrrev_i32_e32 v4, 31, v4
	v_and_b32_e32 v0, exec_hi, v0
	v_xor_b32_e32 v5, vcc_hi, v4
	v_xor_b32_e32 v4, vcc_lo, v4
	v_and_b32_e32 v0, v0, v5
	v_and_b32_e32 v32, v32, v4
	v_lshlrev_b32_e32 v5, 29, v31
	v_mov_b32_e32 v4, v1
	v_cmp_gt_i64_e32 vcc, 0, v[4:5]
	v_not_b32_e32 v4, v5
	v_ashrrev_i32_e32 v4, 31, v4
	v_xor_b32_e32 v5, vcc_hi, v4
	v_xor_b32_e32 v4, vcc_lo, v4
	v_and_b32_e32 v0, v0, v5
	v_and_b32_e32 v32, v32, v4
	v_lshlrev_b32_e32 v5, 28, v31
	v_mov_b32_e32 v4, v1
	v_cmp_gt_i64_e32 vcc, 0, v[4:5]
	v_not_b32_e32 v4, v5
	v_ashrrev_i32_e32 v4, 31, v4
	v_xor_b32_e32 v5, vcc_hi, v4
	v_xor_b32_e32 v4, vcc_lo, v4
	v_and_b32_e32 v0, v0, v5
	v_and_b32_e32 v32, v32, v4
	v_lshlrev_b32_e32 v5, 27, v31
	v_mov_b32_e32 v4, v1
	v_cmp_gt_i64_e32 vcc, 0, v[4:5]
	v_not_b32_e32 v4, v5
	v_ashrrev_i32_e32 v4, 31, v4
	v_xor_b32_e32 v5, vcc_hi, v4
	v_xor_b32_e32 v4, vcc_lo, v4
	v_and_b32_e32 v0, v0, v5
	v_and_b32_e32 v32, v32, v4
	v_lshlrev_b32_e32 v5, 26, v31
	v_mov_b32_e32 v4, v1
	v_cmp_gt_i64_e32 vcc, 0, v[4:5]
	v_not_b32_e32 v4, v5
	v_ashrrev_i32_e32 v4, 31, v4
	v_xor_b32_e32 v5, vcc_hi, v4
	v_xor_b32_e32 v4, vcc_lo, v4
	v_and_b32_e32 v0, v0, v5
	v_and_b32_e32 v32, v32, v4
	v_lshlrev_b32_e32 v5, 25, v31
	v_mov_b32_e32 v4, v1
	v_cmp_gt_i64_e32 vcc, 0, v[4:5]
	v_not_b32_e32 v4, v5
	v_ashrrev_i32_e32 v4, 31, v4
	v_xor_b32_e32 v5, vcc_hi, v4
	v_xor_b32_e32 v4, vcc_lo, v4
	v_and_b32_e32 v0, v0, v5
	v_lshlrev_b32_e32 v5, 24, v31
	v_and_b32_e32 v32, v32, v4
	v_mov_b32_e32 v4, v1
	v_not_b32_e32 v1, v5
	v_cmp_gt_i64_e32 vcc, 0, v[4:5]
	v_ashrrev_i32_e32 v1, 31, v1
	ds_read_b32 v29, v33 offset:64
	v_xor_b32_e32 v4, vcc_hi, v1
	v_xor_b32_e32 v5, vcc_lo, v1
	v_and_b32_e32 v1, v0, v4
	v_and_b32_e32 v0, v32, v5
	v_mbcnt_lo_u32_b32 v4, v0, 0
	v_mbcnt_hi_u32_b32 v31, v1, v4
	v_cmp_eq_u32_e32 vcc, 0, v31
	v_cmp_ne_u64_e64 s[0:1], 0, v[0:1]
	s_and_b64 s[4:5], s[0:1], vcc
	; wave barrier
	s_and_saveexec_b64 s[0:1], s[4:5]
	s_cbranch_execz .LBB364_95
; %bb.94:
	v_bcnt_u32_b32 v0, v0, 0
	v_bcnt_u32_b32 v0, v1, v0
	s_waitcnt lgkmcnt(0)
	v_add_u32_e32 v0, v29, v0
	ds_write_b32 v33, v0 offset:64
.LBB364_95:
	s_or_b64 exec, exec, s[0:1]
	s_waitcnt vmcnt(1)
	v_xor_b32_e32 v26, 0x7fffffff, v26
	v_lshrrev_b32_e32 v0, s20, v26
	v_and_b32_e32 v34, s12, v0
	s_movk_i32 s4, 0x44
	v_mul_lo_u32 v0, v34, s4
	v_add_u32_e32 v36, v24, v0
	v_and_b32_e32 v0, 1, v34
	v_mov_b32_e32 v1, 0
	v_lshl_add_u64 v[4:5], v[0:1], 0, -1
	v_cmp_ne_u32_e32 vcc, 0, v0
	; wave barrier
	s_nop 1
	v_xor_b32_e32 v4, vcc_lo, v4
	v_xor_b32_e32 v0, vcc_hi, v5
	v_and_b32_e32 v35, exec_lo, v4
	v_lshlrev_b32_e32 v5, 30, v34
	v_mov_b32_e32 v4, v1
	v_cmp_gt_i64_e32 vcc, 0, v[4:5]
	v_not_b32_e32 v4, v5
	v_ashrrev_i32_e32 v4, 31, v4
	v_and_b32_e32 v0, exec_hi, v0
	v_xor_b32_e32 v5, vcc_hi, v4
	v_xor_b32_e32 v4, vcc_lo, v4
	v_and_b32_e32 v0, v0, v5
	v_and_b32_e32 v35, v35, v4
	v_lshlrev_b32_e32 v5, 29, v34
	v_mov_b32_e32 v4, v1
	v_cmp_gt_i64_e32 vcc, 0, v[4:5]
	v_not_b32_e32 v4, v5
	v_ashrrev_i32_e32 v4, 31, v4
	v_xor_b32_e32 v5, vcc_hi, v4
	v_xor_b32_e32 v4, vcc_lo, v4
	v_and_b32_e32 v0, v0, v5
	v_and_b32_e32 v35, v35, v4
	v_lshlrev_b32_e32 v5, 28, v34
	v_mov_b32_e32 v4, v1
	v_cmp_gt_i64_e32 vcc, 0, v[4:5]
	v_not_b32_e32 v4, v5
	v_ashrrev_i32_e32 v4, 31, v4
	;; [unrolled: 9-line block ×6, first 2 shown]
	v_xor_b32_e32 v5, vcc_hi, v4
	v_xor_b32_e32 v4, vcc_lo, v4
	ds_read_b32 v32, v36 offset:64
	v_and_b32_e32 v4, v35, v4
	v_and_b32_e32 v5, v0, v5
	v_mbcnt_lo_u32_b32 v0, v4, 0
	v_mbcnt_hi_u32_b32 v34, v5, v0
	v_cmp_eq_u32_e32 vcc, 0, v34
	v_cmp_ne_u64_e64 s[0:1], 0, v[4:5]
	s_and_b64 s[6:7], s[0:1], vcc
	; wave barrier
	s_and_saveexec_b64 s[0:1], s[6:7]
	s_cbranch_execz .LBB364_97
; %bb.96:
	v_bcnt_u32_b32 v0, v4, 0
	v_bcnt_u32_b32 v0, v5, v0
	s_waitcnt lgkmcnt(0)
	v_add_u32_e32 v0, v32, v0
	ds_write_b32 v36, v0 offset:64
.LBB364_97:
	s_or_b64 exec, exec, s[0:1]
	s_waitcnt vmcnt(0)
	v_xor_b32_e32 v21, 0x7fffffff, v21
	v_lshrrev_b32_e32 v0, s20, v21
	v_and_b32_e32 v37, s12, v0
	v_mul_lo_u32 v0, v37, s4
	v_add_u32_e32 v38, v24, v0
	v_and_b32_e32 v0, 1, v37
	v_lshl_add_u64 v[4:5], v[0:1], 0, -1
	v_cmp_ne_u32_e32 vcc, 0, v0
	; wave barrier
	s_nop 1
	v_xor_b32_e32 v4, vcc_lo, v4
	v_xor_b32_e32 v0, vcc_hi, v5
	v_and_b32_e32 v24, exec_lo, v4
	v_lshlrev_b32_e32 v5, 30, v37
	v_mov_b32_e32 v4, v1
	v_cmp_gt_i64_e32 vcc, 0, v[4:5]
	v_not_b32_e32 v4, v5
	v_ashrrev_i32_e32 v4, 31, v4
	v_and_b32_e32 v0, exec_hi, v0
	v_xor_b32_e32 v5, vcc_hi, v4
	v_xor_b32_e32 v4, vcc_lo, v4
	v_and_b32_e32 v0, v0, v5
	v_and_b32_e32 v24, v24, v4
	v_lshlrev_b32_e32 v5, 29, v37
	v_mov_b32_e32 v4, v1
	v_cmp_gt_i64_e32 vcc, 0, v[4:5]
	v_not_b32_e32 v4, v5
	v_ashrrev_i32_e32 v4, 31, v4
	v_xor_b32_e32 v5, vcc_hi, v4
	v_xor_b32_e32 v4, vcc_lo, v4
	v_and_b32_e32 v0, v0, v5
	v_and_b32_e32 v24, v24, v4
	v_lshlrev_b32_e32 v5, 28, v37
	v_mov_b32_e32 v4, v1
	v_cmp_gt_i64_e32 vcc, 0, v[4:5]
	v_not_b32_e32 v4, v5
	v_ashrrev_i32_e32 v4, 31, v4
	;; [unrolled: 9-line block ×5, first 2 shown]
	v_xor_b32_e32 v5, vcc_hi, v4
	v_xor_b32_e32 v4, vcc_lo, v4
	v_and_b32_e32 v0, v0, v5
	v_lshlrev_b32_e32 v5, 24, v37
	v_and_b32_e32 v24, v24, v4
	v_mov_b32_e32 v4, v1
	v_not_b32_e32 v1, v5
	v_cmp_gt_i64_e32 vcc, 0, v[4:5]
	v_ashrrev_i32_e32 v1, 31, v1
	ds_read_b32 v35, v38 offset:64
	v_xor_b32_e32 v4, vcc_hi, v1
	v_xor_b32_e32 v5, vcc_lo, v1
	v_and_b32_e32 v1, v0, v4
	v_and_b32_e32 v0, v24, v5
	v_mbcnt_lo_u32_b32 v4, v0, 0
	v_mbcnt_hi_u32_b32 v37, v1, v4
	v_cmp_eq_u32_e32 vcc, 0, v37
	v_cmp_ne_u64_e64 s[0:1], 0, v[0:1]
	s_and_b64 s[4:5], s[0:1], vcc
	; wave barrier
	s_and_saveexec_b64 s[0:1], s[4:5]
	s_cbranch_execz .LBB364_99
; %bb.98:
	v_bcnt_u32_b32 v0, v0, 0
	v_bcnt_u32_b32 v0, v1, v0
	s_waitcnt lgkmcnt(0)
	v_add_u32_e32 v0, v35, v0
	ds_write_b32 v38, v0 offset:64
.LBB364_99:
	s_or_b64 exec, exec, s[0:1]
	; wave barrier
	s_waitcnt lgkmcnt(0)
	s_barrier
	ds_read2_b32 v[4:5], v7 offset0:16 offset1:17
	ds_read2_b32 v[0:1], v7 offset0:18 offset1:19
	ds_read_b32 v24, v7 offset:80
	v_cmp_lt_u32_e64 s[8:9], 31, v6
	s_waitcnt lgkmcnt(1)
	v_add3_u32 v39, v5, v4, v0
	s_waitcnt lgkmcnt(0)
	v_add3_u32 v24, v39, v1, v24
	v_and_b32_e32 v39, 15, v6
	v_cmp_eq_u32_e32 vcc, 0, v39
	v_mov_b32_dpp v40, v24 row_shr:1 row_mask:0xf bank_mask:0xf
	v_cmp_lt_u32_e64 s[0:1], 1, v39
	v_cndmask_b32_e64 v40, v40, 0, vcc
	v_add_u32_e32 v24, v40, v24
	v_cmp_lt_u32_e64 s[6:7], 3, v39
	v_cmp_lt_u32_e64 s[4:5], 7, v39
	v_mov_b32_dpp v40, v24 row_shr:2 row_mask:0xf bank_mask:0xf
	v_cndmask_b32_e64 v40, 0, v40, s[0:1]
	v_add_u32_e32 v24, v24, v40
	s_nop 1
	v_mov_b32_dpp v40, v24 row_shr:4 row_mask:0xf bank_mask:0xf
	v_cndmask_b32_e64 v40, 0, v40, s[6:7]
	v_add_u32_e32 v24, v24, v40
	s_nop 1
	v_mov_b32_dpp v40, v24 row_shr:8 row_mask:0xf bank_mask:0xf
	v_cndmask_b32_e64 v39, 0, v40, s[4:5]
	v_add_u32_e32 v24, v24, v39
	v_bfe_i32 v40, v6, 4, 1
	s_nop 0
	v_mov_b32_dpp v39, v24 row_bcast:15 row_mask:0xf bank_mask:0xf
	v_and_b32_e32 v39, v40, v39
	v_add_u32_e32 v24, v24, v39
	v_lshrrev_b32_e32 v40, 6, v2
	s_nop 0
	v_mov_b32_dpp v39, v24 row_bcast:31 row_mask:0xf bank_mask:0xf
	v_cndmask_b32_e64 v39, 0, v39, s[8:9]
	v_add_u32_e32 v39, v24, v39
	v_and_b32_e32 v24, 63, v2
	v_cmp_eq_u32_e64 s[8:9], 63, v24
	s_and_saveexec_b64 s[10:11], s[8:9]
; %bb.100:
	v_lshlrev_b32_e32 v24, 2, v40
	ds_write_b32 v24, v39
; %bb.101:
	s_or_b64 exec, exec, s[10:11]
	v_cmp_gt_u32_e64 s[8:9], 16, v2
	v_lshlrev_b32_e32 v24, 2, v2
	s_waitcnt lgkmcnt(0)
	s_barrier
	s_and_saveexec_b64 s[10:11], s[8:9]
	s_cbranch_execz .LBB364_103
; %bb.102:
	ds_read_b32 v41, v24
	s_waitcnt lgkmcnt(0)
	s_nop 0
	v_mov_b32_dpp v42, v41 row_shr:1 row_mask:0xf bank_mask:0xf
	v_cndmask_b32_e64 v42, v42, 0, vcc
	v_add_u32_e32 v41, v42, v41
	s_nop 1
	v_mov_b32_dpp v42, v41 row_shr:2 row_mask:0xf bank_mask:0xf
	v_cndmask_b32_e64 v42, 0, v42, s[0:1]
	v_add_u32_e32 v41, v41, v42
	s_nop 1
	v_mov_b32_dpp v42, v41 row_shr:4 row_mask:0xf bank_mask:0xf
	v_cndmask_b32_e64 v42, 0, v42, s[6:7]
	;; [unrolled: 4-line block ×3, first 2 shown]
	v_add_u32_e32 v41, v41, v42
	ds_write_b32 v24, v41
.LBB364_103:
	s_or_b64 exec, exec, s[10:11]
	v_cmp_lt_u32_e32 vcc, 63, v2
	v_mov_b32_e32 v41, 0
	s_waitcnt lgkmcnt(0)
	s_barrier
	s_and_saveexec_b64 s[0:1], vcc
; %bb.104:
	v_lshl_add_u32 v40, v40, 2, -4
	ds_read_b32 v41, v40
; %bb.105:
	s_or_b64 exec, exec, s[0:1]
	v_subrev_co_u32_e32 v40, vcc, 1, v6
	v_and_b32_e32 v42, 64, v6
	v_cmp_lt_i32_e64 s[0:1], v40, v42
	s_waitcnt lgkmcnt(0)
	v_add_u32_e32 v39, v41, v39
	s_movk_i32 s4, 0x100
	v_cndmask_b32_e64 v6, v40, v6, s[0:1]
	v_lshlrev_b32_e32 v6, 2, v6
	ds_bpermute_b32 v6, v6, v39
	s_movk_i32 s0, 0xff
	v_cmp_lt_u32_e64 s[0:1], s0, v2
	s_waitcnt lgkmcnt(0)
	v_cndmask_b32_e32 v6, v6, v41, vcc
	v_cmp_ne_u32_e32 vcc, 0, v2
	s_nop 1
	v_cndmask_b32_e32 v6, 0, v6, vcc
	v_add_u32_e32 v4, v6, v4
	v_add_u32_e32 v5, v4, v5
	;; [unrolled: 1-line block ×4, first 2 shown]
	ds_write2_b32 v7, v6, v4 offset0:16 offset1:17
	ds_write2_b32 v7, v5, v0 offset0:18 offset1:19
	ds_write_b32 v7, v1 offset:80
	s_waitcnt lgkmcnt(0)
	s_barrier
	ds_read_b32 v42, v16 offset:64
	ds_read_b32 v39, v17 offset:64
	ds_read_b32 v40, v22 offset:64
	ds_read_b32 v41, v27 offset:64
	ds_read_b32 v30, v30 offset:64
	ds_read_b32 v27, v33 offset:64
	ds_read_b32 v22, v36 offset:64
	ds_read_b32 v33, v38 offset:64
	v_cmp_gt_u32_e32 vcc, s4, v2
                                        ; implicit-def: $vgpr16
                                        ; implicit-def: $vgpr17
	s_and_saveexec_b64 s[6:7], vcc
	s_cbranch_execz .LBB364_109
; %bb.106:
	v_mul_u32_u24_e32 v0, 0x44, v2
	ds_read_b32 v16, v0 offset:64
	v_add_u32_e32 v1, 1, v2
	v_cmp_ne_u32_e64 s[4:5], s4, v1
	v_mov_b32_e32 v0, 0x2000
	s_and_saveexec_b64 s[8:9], s[4:5]
; %bb.107:
	v_mul_u32_u24_e32 v0, 0x44, v1
	ds_read_b32 v0, v0 offset:64
; %bb.108:
	s_or_b64 exec, exec, s[8:9]
	s_waitcnt lgkmcnt(0)
	v_sub_u32_e32 v17, v0, v16
.LBB364_109:
	s_or_b64 exec, exec, s[6:7]
	v_mov_b32_e32 v1, 0
	s_waitcnt lgkmcnt(0)
	s_barrier
	s_and_saveexec_b64 s[4:5], vcc
	s_cbranch_execz .LBB364_119
; %bb.110:
	v_lshl_add_u32 v0, s2, 8, v2
	v_lshl_add_u64 v[4:5], v[0:1], 2, s[28:29]
	v_or_b32_e32 v0, 2.0, v17
	s_mov_b64 s[6:7], 0
	s_brev_b32 s13, -4
	s_mov_b32 s14, s2
	v_mov_b32_e32 v36, 0
	global_store_dword v[4:5], v0, off sc1
                                        ; implicit-def: $sgpr8_sgpr9
	s_branch .LBB364_113
.LBB364_111:                            ;   in Loop: Header=BB364_113 Depth=1
	s_or_b64 exec, exec, s[10:11]
.LBB364_112:                            ;   in Loop: Header=BB364_113 Depth=1
	s_or_b64 exec, exec, s[8:9]
	v_and_b32_e32 v6, 0x3fffffff, v0
	v_add_u32_e32 v36, v6, v36
	v_cmp_gt_i32_e64 s[8:9], -2.0, v0
	s_and_b64 s[10:11], exec, s[8:9]
	s_or_b64 s[6:7], s[10:11], s[6:7]
	s_andn2_b64 exec, exec, s[6:7]
	s_cbranch_execz .LBB364_118
.LBB364_113:                            ; =>This Loop Header: Depth=1
                                        ;     Child Loop BB364_116 Depth 2
	s_or_b64 s[8:9], s[8:9], exec
	s_cmp_eq_u32 s14, 0
	s_cbranch_scc1 .LBB364_117
; %bb.114:                              ;   in Loop: Header=BB364_113 Depth=1
	s_add_i32 s14, s14, -1
	v_lshl_or_b32 v0, s14, 8, v2
	v_lshl_add_u64 v[6:7], v[0:1], 2, s[28:29]
	global_load_dword v0, v[6:7], off sc1
	s_waitcnt vmcnt(0)
	v_cmp_gt_u32_e32 vcc, 2.0, v0
	s_and_saveexec_b64 s[8:9], vcc
	s_cbranch_execz .LBB364_112
; %bb.115:                              ;   in Loop: Header=BB364_113 Depth=1
	s_mov_b64 s[10:11], 0
.LBB364_116:                            ;   Parent Loop BB364_113 Depth=1
                                        ; =>  This Inner Loop Header: Depth=2
	global_load_dword v0, v[6:7], off sc1
	s_waitcnt vmcnt(0)
	v_cmp_lt_u32_e32 vcc, s13, v0
	s_or_b64 s[10:11], vcc, s[10:11]
	s_andn2_b64 exec, exec, s[10:11]
	s_cbranch_execnz .LBB364_116
	s_branch .LBB364_111
.LBB364_117:                            ;   in Loop: Header=BB364_113 Depth=1
                                        ; implicit-def: $sgpr14
	s_and_b64 s[10:11], exec, s[8:9]
	s_or_b64 s[6:7], s[10:11], s[6:7]
	s_andn2_b64 exec, exec, s[6:7]
	s_cbranch_execnz .LBB364_113
.LBB364_118:
	s_or_b64 exec, exec, s[6:7]
	v_add_u32_e32 v0, v36, v17
	v_or_b32_e32 v0, 0x80000000, v0
	global_store_dword v[4:5], v0, off sc1
	global_load_dword v0, v24, s[16:17]
	v_sub_u32_e32 v1, v36, v16
	s_waitcnt vmcnt(0)
	v_add_u32_e32 v0, v1, v0
	ds_write_b32 v24, v0
.LBB364_119:
	s_or_b64 exec, exec, s[4:5]
	v_add_u32_e32 v0, v37, v35
	v_add_u32_e32 v1, v34, v32
	v_add_u32_e32 v36, v31, v29
	v_add_u32_e32 v38, v28, v25
	v_add_u32_e32 v43, v23, v19
	v_add_u32_e32 v44, v18, v14
	v_add_u32_e32 v45, v13, v11
	v_add_u32_e32 v4, v42, v10
	v_add_lshl_u32 v5, v0, v33, 2
	v_add3_u32 v6, v37, v33, v35
	v_add_lshl_u32 v7, v1, v22, 2
	v_add3_u32 v10, v34, v22, v32
	;; [unrolled: 2-line block ×7, first 2 shown]
	v_lshlrev_b32_e32 v13, 2, v4
	s_mov_b64 s[4:5], -1
	s_mov_b32 s8, 0
	s_movk_i32 s9, 0x1000
	v_mov_b32_e32 v1, 0
	s_movk_i32 s10, 0x400
	s_movk_i32 s11, 0x800
	;; [unrolled: 1-line block ×3, first 2 shown]
	s_mov_b32 s14, 0
	s_branch .LBB364_121
.LBB364_120:                            ;   in Loop: Header=BB364_121 Depth=1
	s_or_b64 exec, exec, s[6:7]
	s_waitcnt lgkmcnt(0)
	s_barrier
	ds_read2st64_b32 v[30:31], v24 offset0:4 offset1:20
	s_xor_b64 s[6:7], s[4:5], -1
	s_addk_i32 s14, 0xc000
	s_addk_i32 s8, 0xf000
	s_mov_b64 s[4:5], 0
	s_waitcnt lgkmcnt(0)
	v_lshrrev_b32_e32 v0, s20, v30
	v_and_b32_e32 v0, s12, v0
	v_lshlrev_b32_e32 v0, 2, v0
	ds_read2st64_b32 v[32:33], v24 offset0:36 offset1:52
	ds_read_b32 v0, v0
	v_lshrrev_b32_e32 v34, s20, v31
	v_and_b32_e32 v34, s12, v34
	v_lshlrev_b32_e32 v34, 2, v34
	s_waitcnt lgkmcnt(1)
	v_lshrrev_b32_e32 v36, s20, v33
	v_lshrrev_b32_e32 v35, s20, v32
	v_and_b32_e32 v36, s12, v36
	v_and_b32_e32 v35, s12, v35
	v_lshlrev_b32_e32 v36, 2, v36
	v_lshlrev_b32_e32 v35, 2, v35
	ds_read_b32 v37, v34
	ds_read_b32 v38, v35
	;; [unrolled: 1-line block ×3, first 2 shown]
	s_waitcnt lgkmcnt(3)
	v_add_u32_e32 v0, v2, v0
	v_xor_b32_e32 v30, 0x7fffffff, v30
	v_lshl_add_u64 v[34:35], v[0:1], 2, s[26:27]
	s_waitcnt lgkmcnt(2)
	v_add3_u32 v0, v2, v37, s10
	global_store_dword v[34:35], v30, off
	v_xor_b32_e32 v34, 0x7fffffff, v31
	v_lshl_add_u64 v[30:31], v[0:1], 2, s[26:27]
	s_waitcnt lgkmcnt(1)
	v_add3_u32 v0, v2, v38, s11
	global_store_dword v[30:31], v34, off
	;; [unrolled: 5-line block ×3, first 2 shown]
	v_xor_b32_e32 v32, 0x7fffffff, v33
	v_lshl_add_u64 v[30:31], v[0:1], 2, s[26:27]
	v_add_u32_e32 v2, 0x1000, v2
	s_and_b64 vcc, exec, s[6:7]
	global_store_dword v[30:31], v32, off
	s_barrier
	s_cbranch_vccnz .LBB364_137
.LBB364_121:                            ; =>This Inner Loop Header: Depth=1
	v_add_u32_e32 v0, s8, v4
	v_cmp_gt_u32_e32 vcc, s9, v0
	s_and_saveexec_b64 s[6:7], vcc
; %bb.122:                              ;   in Loop: Header=BB364_121 Depth=1
	v_add_u32_e32 v0, s14, v13
	ds_write_b32 v0, v3 offset:1024
; %bb.123:                              ;   in Loop: Header=BB364_121 Depth=1
	s_or_b64 exec, exec, s[6:7]
	v_add_u32_e32 v0, s8, v11
	v_cmp_gt_u32_e32 vcc, s9, v0
	s_and_saveexec_b64 s[6:7], vcc
; %bb.124:                              ;   in Loop: Header=BB364_121 Depth=1
	v_add_u32_e32 v0, s14, v18
	ds_write_b32 v0, v8 offset:1024
; %bb.125:                              ;   in Loop: Header=BB364_121 Depth=1
	s_or_b64 exec, exec, s[6:7]
	;; [unrolled: 8-line block ×7, first 2 shown]
	v_add_u32_e32 v0, s8, v6
	v_cmp_gt_u32_e32 vcc, s9, v0
	s_and_saveexec_b64 s[6:7], vcc
	s_cbranch_execz .LBB364_120
; %bb.136:                              ;   in Loop: Header=BB364_121 Depth=1
	v_add_u32_e32 v0, s14, v5
	ds_write_b32 v0, v21 offset:1024
	s_branch .LBB364_120
.LBB364_137:
	s_add_i32 s3, s3, -1
	s_cmp_eq_u32 s2, s3
	s_cselect_b64 s[2:3], -1, 0
	s_xor_b64 s[0:1], s[0:1], -1
	s_and_b64 s[0:1], s[0:1], s[2:3]
	s_and_saveexec_b64 s[2:3], s[0:1]
	s_cbranch_execz .LBB364_139
; %bb.138:
	ds_read_b32 v0, v24
	s_waitcnt lgkmcnt(0)
	v_add3_u32 v0, v16, v17, v0
	global_store_dword v24, v0, s[18:19]
.LBB364_139:
	s_endpgm
	.section	.rodata,"a",@progbits
	.p2align	6, 0x0
	.amdhsa_kernel _ZN7rocprim17ROCPRIM_400000_NS6detail17trampoline_kernelINS0_14default_configENS1_35radix_sort_onesweep_config_selectorIiNS0_10empty_typeEEEZZNS1_29radix_sort_onesweep_iterationIS3_Lb1EN6thrust23THRUST_200600_302600_NS6detail15normal_iteratorINS9_10device_ptrIiEEEESE_PS5_SF_jNS0_19identity_decomposerENS1_16block_id_wrapperIjLb0EEEEE10hipError_tT1_PNSt15iterator_traitsISK_E10value_typeET2_T3_PNSL_ISQ_E10value_typeET4_T5_PSV_SW_PNS1_23onesweep_lookback_stateEbbT6_jjT7_P12ihipStream_tbENKUlT_T0_SK_SP_E_clISE_SE_SF_SF_EEDaS13_S14_SK_SP_EUlS13_E_NS1_11comp_targetILNS1_3genE6ELNS1_11target_archE950ELNS1_3gpuE13ELNS1_3repE0EEENS1_47radix_sort_onesweep_sort_config_static_selectorELNS0_4arch9wavefront6targetE1EEEvSK_
		.amdhsa_group_segment_fixed_size 20552
		.amdhsa_private_segment_fixed_size 0
		.amdhsa_kernarg_size 344
		.amdhsa_user_sgpr_count 2
		.amdhsa_user_sgpr_dispatch_ptr 0
		.amdhsa_user_sgpr_queue_ptr 0
		.amdhsa_user_sgpr_kernarg_segment_ptr 1
		.amdhsa_user_sgpr_dispatch_id 0
		.amdhsa_user_sgpr_kernarg_preload_length 0
		.amdhsa_user_sgpr_kernarg_preload_offset 0
		.amdhsa_user_sgpr_private_segment_size 0
		.amdhsa_uses_dynamic_stack 0
		.amdhsa_enable_private_segment 0
		.amdhsa_system_sgpr_workgroup_id_x 1
		.amdhsa_system_sgpr_workgroup_id_y 0
		.amdhsa_system_sgpr_workgroup_id_z 0
		.amdhsa_system_sgpr_workgroup_info 0
		.amdhsa_system_vgpr_workitem_id 2
		.amdhsa_next_free_vgpr 46
		.amdhsa_next_free_sgpr 31
		.amdhsa_accum_offset 48
		.amdhsa_reserve_vcc 1
		.amdhsa_float_round_mode_32 0
		.amdhsa_float_round_mode_16_64 0
		.amdhsa_float_denorm_mode_32 3
		.amdhsa_float_denorm_mode_16_64 3
		.amdhsa_dx10_clamp 1
		.amdhsa_ieee_mode 1
		.amdhsa_fp16_overflow 0
		.amdhsa_tg_split 0
		.amdhsa_exception_fp_ieee_invalid_op 0
		.amdhsa_exception_fp_denorm_src 0
		.amdhsa_exception_fp_ieee_div_zero 0
		.amdhsa_exception_fp_ieee_overflow 0
		.amdhsa_exception_fp_ieee_underflow 0
		.amdhsa_exception_fp_ieee_inexact 0
		.amdhsa_exception_int_div_zero 0
	.end_amdhsa_kernel
	.section	.text._ZN7rocprim17ROCPRIM_400000_NS6detail17trampoline_kernelINS0_14default_configENS1_35radix_sort_onesweep_config_selectorIiNS0_10empty_typeEEEZZNS1_29radix_sort_onesweep_iterationIS3_Lb1EN6thrust23THRUST_200600_302600_NS6detail15normal_iteratorINS9_10device_ptrIiEEEESE_PS5_SF_jNS0_19identity_decomposerENS1_16block_id_wrapperIjLb0EEEEE10hipError_tT1_PNSt15iterator_traitsISK_E10value_typeET2_T3_PNSL_ISQ_E10value_typeET4_T5_PSV_SW_PNS1_23onesweep_lookback_stateEbbT6_jjT7_P12ihipStream_tbENKUlT_T0_SK_SP_E_clISE_SE_SF_SF_EEDaS13_S14_SK_SP_EUlS13_E_NS1_11comp_targetILNS1_3genE6ELNS1_11target_archE950ELNS1_3gpuE13ELNS1_3repE0EEENS1_47radix_sort_onesweep_sort_config_static_selectorELNS0_4arch9wavefront6targetE1EEEvSK_,"axG",@progbits,_ZN7rocprim17ROCPRIM_400000_NS6detail17trampoline_kernelINS0_14default_configENS1_35radix_sort_onesweep_config_selectorIiNS0_10empty_typeEEEZZNS1_29radix_sort_onesweep_iterationIS3_Lb1EN6thrust23THRUST_200600_302600_NS6detail15normal_iteratorINS9_10device_ptrIiEEEESE_PS5_SF_jNS0_19identity_decomposerENS1_16block_id_wrapperIjLb0EEEEE10hipError_tT1_PNSt15iterator_traitsISK_E10value_typeET2_T3_PNSL_ISQ_E10value_typeET4_T5_PSV_SW_PNS1_23onesweep_lookback_stateEbbT6_jjT7_P12ihipStream_tbENKUlT_T0_SK_SP_E_clISE_SE_SF_SF_EEDaS13_S14_SK_SP_EUlS13_E_NS1_11comp_targetILNS1_3genE6ELNS1_11target_archE950ELNS1_3gpuE13ELNS1_3repE0EEENS1_47radix_sort_onesweep_sort_config_static_selectorELNS0_4arch9wavefront6targetE1EEEvSK_,comdat
.Lfunc_end364:
	.size	_ZN7rocprim17ROCPRIM_400000_NS6detail17trampoline_kernelINS0_14default_configENS1_35radix_sort_onesweep_config_selectorIiNS0_10empty_typeEEEZZNS1_29radix_sort_onesweep_iterationIS3_Lb1EN6thrust23THRUST_200600_302600_NS6detail15normal_iteratorINS9_10device_ptrIiEEEESE_PS5_SF_jNS0_19identity_decomposerENS1_16block_id_wrapperIjLb0EEEEE10hipError_tT1_PNSt15iterator_traitsISK_E10value_typeET2_T3_PNSL_ISQ_E10value_typeET4_T5_PSV_SW_PNS1_23onesweep_lookback_stateEbbT6_jjT7_P12ihipStream_tbENKUlT_T0_SK_SP_E_clISE_SE_SF_SF_EEDaS13_S14_SK_SP_EUlS13_E_NS1_11comp_targetILNS1_3genE6ELNS1_11target_archE950ELNS1_3gpuE13ELNS1_3repE0EEENS1_47radix_sort_onesweep_sort_config_static_selectorELNS0_4arch9wavefront6targetE1EEEvSK_, .Lfunc_end364-_ZN7rocprim17ROCPRIM_400000_NS6detail17trampoline_kernelINS0_14default_configENS1_35radix_sort_onesweep_config_selectorIiNS0_10empty_typeEEEZZNS1_29radix_sort_onesweep_iterationIS3_Lb1EN6thrust23THRUST_200600_302600_NS6detail15normal_iteratorINS9_10device_ptrIiEEEESE_PS5_SF_jNS0_19identity_decomposerENS1_16block_id_wrapperIjLb0EEEEE10hipError_tT1_PNSt15iterator_traitsISK_E10value_typeET2_T3_PNSL_ISQ_E10value_typeET4_T5_PSV_SW_PNS1_23onesweep_lookback_stateEbbT6_jjT7_P12ihipStream_tbENKUlT_T0_SK_SP_E_clISE_SE_SF_SF_EEDaS13_S14_SK_SP_EUlS13_E_NS1_11comp_targetILNS1_3genE6ELNS1_11target_archE950ELNS1_3gpuE13ELNS1_3repE0EEENS1_47radix_sort_onesweep_sort_config_static_selectorELNS0_4arch9wavefront6targetE1EEEvSK_
                                        ; -- End function
	.set _ZN7rocprim17ROCPRIM_400000_NS6detail17trampoline_kernelINS0_14default_configENS1_35radix_sort_onesweep_config_selectorIiNS0_10empty_typeEEEZZNS1_29radix_sort_onesweep_iterationIS3_Lb1EN6thrust23THRUST_200600_302600_NS6detail15normal_iteratorINS9_10device_ptrIiEEEESE_PS5_SF_jNS0_19identity_decomposerENS1_16block_id_wrapperIjLb0EEEEE10hipError_tT1_PNSt15iterator_traitsISK_E10value_typeET2_T3_PNSL_ISQ_E10value_typeET4_T5_PSV_SW_PNS1_23onesweep_lookback_stateEbbT6_jjT7_P12ihipStream_tbENKUlT_T0_SK_SP_E_clISE_SE_SF_SF_EEDaS13_S14_SK_SP_EUlS13_E_NS1_11comp_targetILNS1_3genE6ELNS1_11target_archE950ELNS1_3gpuE13ELNS1_3repE0EEENS1_47radix_sort_onesweep_sort_config_static_selectorELNS0_4arch9wavefront6targetE1EEEvSK_.num_vgpr, 46
	.set _ZN7rocprim17ROCPRIM_400000_NS6detail17trampoline_kernelINS0_14default_configENS1_35radix_sort_onesweep_config_selectorIiNS0_10empty_typeEEEZZNS1_29radix_sort_onesweep_iterationIS3_Lb1EN6thrust23THRUST_200600_302600_NS6detail15normal_iteratorINS9_10device_ptrIiEEEESE_PS5_SF_jNS0_19identity_decomposerENS1_16block_id_wrapperIjLb0EEEEE10hipError_tT1_PNSt15iterator_traitsISK_E10value_typeET2_T3_PNSL_ISQ_E10value_typeET4_T5_PSV_SW_PNS1_23onesweep_lookback_stateEbbT6_jjT7_P12ihipStream_tbENKUlT_T0_SK_SP_E_clISE_SE_SF_SF_EEDaS13_S14_SK_SP_EUlS13_E_NS1_11comp_targetILNS1_3genE6ELNS1_11target_archE950ELNS1_3gpuE13ELNS1_3repE0EEENS1_47radix_sort_onesweep_sort_config_static_selectorELNS0_4arch9wavefront6targetE1EEEvSK_.num_agpr, 0
	.set _ZN7rocprim17ROCPRIM_400000_NS6detail17trampoline_kernelINS0_14default_configENS1_35radix_sort_onesweep_config_selectorIiNS0_10empty_typeEEEZZNS1_29radix_sort_onesweep_iterationIS3_Lb1EN6thrust23THRUST_200600_302600_NS6detail15normal_iteratorINS9_10device_ptrIiEEEESE_PS5_SF_jNS0_19identity_decomposerENS1_16block_id_wrapperIjLb0EEEEE10hipError_tT1_PNSt15iterator_traitsISK_E10value_typeET2_T3_PNSL_ISQ_E10value_typeET4_T5_PSV_SW_PNS1_23onesweep_lookback_stateEbbT6_jjT7_P12ihipStream_tbENKUlT_T0_SK_SP_E_clISE_SE_SF_SF_EEDaS13_S14_SK_SP_EUlS13_E_NS1_11comp_targetILNS1_3genE6ELNS1_11target_archE950ELNS1_3gpuE13ELNS1_3repE0EEENS1_47radix_sort_onesweep_sort_config_static_selectorELNS0_4arch9wavefront6targetE1EEEvSK_.numbered_sgpr, 31
	.set _ZN7rocprim17ROCPRIM_400000_NS6detail17trampoline_kernelINS0_14default_configENS1_35radix_sort_onesweep_config_selectorIiNS0_10empty_typeEEEZZNS1_29radix_sort_onesweep_iterationIS3_Lb1EN6thrust23THRUST_200600_302600_NS6detail15normal_iteratorINS9_10device_ptrIiEEEESE_PS5_SF_jNS0_19identity_decomposerENS1_16block_id_wrapperIjLb0EEEEE10hipError_tT1_PNSt15iterator_traitsISK_E10value_typeET2_T3_PNSL_ISQ_E10value_typeET4_T5_PSV_SW_PNS1_23onesweep_lookback_stateEbbT6_jjT7_P12ihipStream_tbENKUlT_T0_SK_SP_E_clISE_SE_SF_SF_EEDaS13_S14_SK_SP_EUlS13_E_NS1_11comp_targetILNS1_3genE6ELNS1_11target_archE950ELNS1_3gpuE13ELNS1_3repE0EEENS1_47radix_sort_onesweep_sort_config_static_selectorELNS0_4arch9wavefront6targetE1EEEvSK_.num_named_barrier, 0
	.set _ZN7rocprim17ROCPRIM_400000_NS6detail17trampoline_kernelINS0_14default_configENS1_35radix_sort_onesweep_config_selectorIiNS0_10empty_typeEEEZZNS1_29radix_sort_onesweep_iterationIS3_Lb1EN6thrust23THRUST_200600_302600_NS6detail15normal_iteratorINS9_10device_ptrIiEEEESE_PS5_SF_jNS0_19identity_decomposerENS1_16block_id_wrapperIjLb0EEEEE10hipError_tT1_PNSt15iterator_traitsISK_E10value_typeET2_T3_PNSL_ISQ_E10value_typeET4_T5_PSV_SW_PNS1_23onesweep_lookback_stateEbbT6_jjT7_P12ihipStream_tbENKUlT_T0_SK_SP_E_clISE_SE_SF_SF_EEDaS13_S14_SK_SP_EUlS13_E_NS1_11comp_targetILNS1_3genE6ELNS1_11target_archE950ELNS1_3gpuE13ELNS1_3repE0EEENS1_47radix_sort_onesweep_sort_config_static_selectorELNS0_4arch9wavefront6targetE1EEEvSK_.private_seg_size, 0
	.set _ZN7rocprim17ROCPRIM_400000_NS6detail17trampoline_kernelINS0_14default_configENS1_35radix_sort_onesweep_config_selectorIiNS0_10empty_typeEEEZZNS1_29radix_sort_onesweep_iterationIS3_Lb1EN6thrust23THRUST_200600_302600_NS6detail15normal_iteratorINS9_10device_ptrIiEEEESE_PS5_SF_jNS0_19identity_decomposerENS1_16block_id_wrapperIjLb0EEEEE10hipError_tT1_PNSt15iterator_traitsISK_E10value_typeET2_T3_PNSL_ISQ_E10value_typeET4_T5_PSV_SW_PNS1_23onesweep_lookback_stateEbbT6_jjT7_P12ihipStream_tbENKUlT_T0_SK_SP_E_clISE_SE_SF_SF_EEDaS13_S14_SK_SP_EUlS13_E_NS1_11comp_targetILNS1_3genE6ELNS1_11target_archE950ELNS1_3gpuE13ELNS1_3repE0EEENS1_47radix_sort_onesweep_sort_config_static_selectorELNS0_4arch9wavefront6targetE1EEEvSK_.uses_vcc, 1
	.set _ZN7rocprim17ROCPRIM_400000_NS6detail17trampoline_kernelINS0_14default_configENS1_35radix_sort_onesweep_config_selectorIiNS0_10empty_typeEEEZZNS1_29radix_sort_onesweep_iterationIS3_Lb1EN6thrust23THRUST_200600_302600_NS6detail15normal_iteratorINS9_10device_ptrIiEEEESE_PS5_SF_jNS0_19identity_decomposerENS1_16block_id_wrapperIjLb0EEEEE10hipError_tT1_PNSt15iterator_traitsISK_E10value_typeET2_T3_PNSL_ISQ_E10value_typeET4_T5_PSV_SW_PNS1_23onesweep_lookback_stateEbbT6_jjT7_P12ihipStream_tbENKUlT_T0_SK_SP_E_clISE_SE_SF_SF_EEDaS13_S14_SK_SP_EUlS13_E_NS1_11comp_targetILNS1_3genE6ELNS1_11target_archE950ELNS1_3gpuE13ELNS1_3repE0EEENS1_47radix_sort_onesweep_sort_config_static_selectorELNS0_4arch9wavefront6targetE1EEEvSK_.uses_flat_scratch, 0
	.set _ZN7rocprim17ROCPRIM_400000_NS6detail17trampoline_kernelINS0_14default_configENS1_35radix_sort_onesweep_config_selectorIiNS0_10empty_typeEEEZZNS1_29radix_sort_onesweep_iterationIS3_Lb1EN6thrust23THRUST_200600_302600_NS6detail15normal_iteratorINS9_10device_ptrIiEEEESE_PS5_SF_jNS0_19identity_decomposerENS1_16block_id_wrapperIjLb0EEEEE10hipError_tT1_PNSt15iterator_traitsISK_E10value_typeET2_T3_PNSL_ISQ_E10value_typeET4_T5_PSV_SW_PNS1_23onesweep_lookback_stateEbbT6_jjT7_P12ihipStream_tbENKUlT_T0_SK_SP_E_clISE_SE_SF_SF_EEDaS13_S14_SK_SP_EUlS13_E_NS1_11comp_targetILNS1_3genE6ELNS1_11target_archE950ELNS1_3gpuE13ELNS1_3repE0EEENS1_47radix_sort_onesweep_sort_config_static_selectorELNS0_4arch9wavefront6targetE1EEEvSK_.has_dyn_sized_stack, 0
	.set _ZN7rocprim17ROCPRIM_400000_NS6detail17trampoline_kernelINS0_14default_configENS1_35radix_sort_onesweep_config_selectorIiNS0_10empty_typeEEEZZNS1_29radix_sort_onesweep_iterationIS3_Lb1EN6thrust23THRUST_200600_302600_NS6detail15normal_iteratorINS9_10device_ptrIiEEEESE_PS5_SF_jNS0_19identity_decomposerENS1_16block_id_wrapperIjLb0EEEEE10hipError_tT1_PNSt15iterator_traitsISK_E10value_typeET2_T3_PNSL_ISQ_E10value_typeET4_T5_PSV_SW_PNS1_23onesweep_lookback_stateEbbT6_jjT7_P12ihipStream_tbENKUlT_T0_SK_SP_E_clISE_SE_SF_SF_EEDaS13_S14_SK_SP_EUlS13_E_NS1_11comp_targetILNS1_3genE6ELNS1_11target_archE950ELNS1_3gpuE13ELNS1_3repE0EEENS1_47radix_sort_onesweep_sort_config_static_selectorELNS0_4arch9wavefront6targetE1EEEvSK_.has_recursion, 0
	.set _ZN7rocprim17ROCPRIM_400000_NS6detail17trampoline_kernelINS0_14default_configENS1_35radix_sort_onesweep_config_selectorIiNS0_10empty_typeEEEZZNS1_29radix_sort_onesweep_iterationIS3_Lb1EN6thrust23THRUST_200600_302600_NS6detail15normal_iteratorINS9_10device_ptrIiEEEESE_PS5_SF_jNS0_19identity_decomposerENS1_16block_id_wrapperIjLb0EEEEE10hipError_tT1_PNSt15iterator_traitsISK_E10value_typeET2_T3_PNSL_ISQ_E10value_typeET4_T5_PSV_SW_PNS1_23onesweep_lookback_stateEbbT6_jjT7_P12ihipStream_tbENKUlT_T0_SK_SP_E_clISE_SE_SF_SF_EEDaS13_S14_SK_SP_EUlS13_E_NS1_11comp_targetILNS1_3genE6ELNS1_11target_archE950ELNS1_3gpuE13ELNS1_3repE0EEENS1_47radix_sort_onesweep_sort_config_static_selectorELNS0_4arch9wavefront6targetE1EEEvSK_.has_indirect_call, 0
	.section	.AMDGPU.csdata,"",@progbits
; Kernel info:
; codeLenInByte = 11196
; TotalNumSgprs: 37
; NumVgprs: 46
; NumAgprs: 0
; TotalNumVgprs: 46
; ScratchSize: 0
; MemoryBound: 0
; FloatMode: 240
; IeeeMode: 1
; LDSByteSize: 20552 bytes/workgroup (compile time only)
; SGPRBlocks: 4
; VGPRBlocks: 5
; NumSGPRsForWavesPerEU: 37
; NumVGPRsForWavesPerEU: 46
; AccumOffset: 48
; Occupancy: 8
; WaveLimiterHint : 1
; COMPUTE_PGM_RSRC2:SCRATCH_EN: 0
; COMPUTE_PGM_RSRC2:USER_SGPR: 2
; COMPUTE_PGM_RSRC2:TRAP_HANDLER: 0
; COMPUTE_PGM_RSRC2:TGID_X_EN: 1
; COMPUTE_PGM_RSRC2:TGID_Y_EN: 0
; COMPUTE_PGM_RSRC2:TGID_Z_EN: 0
; COMPUTE_PGM_RSRC2:TIDIG_COMP_CNT: 2
; COMPUTE_PGM_RSRC3_GFX90A:ACCUM_OFFSET: 11
; COMPUTE_PGM_RSRC3_GFX90A:TG_SPLIT: 0
	.section	.text._ZN7rocprim17ROCPRIM_400000_NS6detail17trampoline_kernelINS0_14default_configENS1_35radix_sort_onesweep_config_selectorIiNS0_10empty_typeEEEZZNS1_29radix_sort_onesweep_iterationIS3_Lb1EN6thrust23THRUST_200600_302600_NS6detail15normal_iteratorINS9_10device_ptrIiEEEESE_PS5_SF_jNS0_19identity_decomposerENS1_16block_id_wrapperIjLb0EEEEE10hipError_tT1_PNSt15iterator_traitsISK_E10value_typeET2_T3_PNSL_ISQ_E10value_typeET4_T5_PSV_SW_PNS1_23onesweep_lookback_stateEbbT6_jjT7_P12ihipStream_tbENKUlT_T0_SK_SP_E_clISE_SE_SF_SF_EEDaS13_S14_SK_SP_EUlS13_E_NS1_11comp_targetILNS1_3genE5ELNS1_11target_archE942ELNS1_3gpuE9ELNS1_3repE0EEENS1_47radix_sort_onesweep_sort_config_static_selectorELNS0_4arch9wavefront6targetE1EEEvSK_,"axG",@progbits,_ZN7rocprim17ROCPRIM_400000_NS6detail17trampoline_kernelINS0_14default_configENS1_35radix_sort_onesweep_config_selectorIiNS0_10empty_typeEEEZZNS1_29radix_sort_onesweep_iterationIS3_Lb1EN6thrust23THRUST_200600_302600_NS6detail15normal_iteratorINS9_10device_ptrIiEEEESE_PS5_SF_jNS0_19identity_decomposerENS1_16block_id_wrapperIjLb0EEEEE10hipError_tT1_PNSt15iterator_traitsISK_E10value_typeET2_T3_PNSL_ISQ_E10value_typeET4_T5_PSV_SW_PNS1_23onesweep_lookback_stateEbbT6_jjT7_P12ihipStream_tbENKUlT_T0_SK_SP_E_clISE_SE_SF_SF_EEDaS13_S14_SK_SP_EUlS13_E_NS1_11comp_targetILNS1_3genE5ELNS1_11target_archE942ELNS1_3gpuE9ELNS1_3repE0EEENS1_47radix_sort_onesweep_sort_config_static_selectorELNS0_4arch9wavefront6targetE1EEEvSK_,comdat
	.protected	_ZN7rocprim17ROCPRIM_400000_NS6detail17trampoline_kernelINS0_14default_configENS1_35radix_sort_onesweep_config_selectorIiNS0_10empty_typeEEEZZNS1_29radix_sort_onesweep_iterationIS3_Lb1EN6thrust23THRUST_200600_302600_NS6detail15normal_iteratorINS9_10device_ptrIiEEEESE_PS5_SF_jNS0_19identity_decomposerENS1_16block_id_wrapperIjLb0EEEEE10hipError_tT1_PNSt15iterator_traitsISK_E10value_typeET2_T3_PNSL_ISQ_E10value_typeET4_T5_PSV_SW_PNS1_23onesweep_lookback_stateEbbT6_jjT7_P12ihipStream_tbENKUlT_T0_SK_SP_E_clISE_SE_SF_SF_EEDaS13_S14_SK_SP_EUlS13_E_NS1_11comp_targetILNS1_3genE5ELNS1_11target_archE942ELNS1_3gpuE9ELNS1_3repE0EEENS1_47radix_sort_onesweep_sort_config_static_selectorELNS0_4arch9wavefront6targetE1EEEvSK_ ; -- Begin function _ZN7rocprim17ROCPRIM_400000_NS6detail17trampoline_kernelINS0_14default_configENS1_35radix_sort_onesweep_config_selectorIiNS0_10empty_typeEEEZZNS1_29radix_sort_onesweep_iterationIS3_Lb1EN6thrust23THRUST_200600_302600_NS6detail15normal_iteratorINS9_10device_ptrIiEEEESE_PS5_SF_jNS0_19identity_decomposerENS1_16block_id_wrapperIjLb0EEEEE10hipError_tT1_PNSt15iterator_traitsISK_E10value_typeET2_T3_PNSL_ISQ_E10value_typeET4_T5_PSV_SW_PNS1_23onesweep_lookback_stateEbbT6_jjT7_P12ihipStream_tbENKUlT_T0_SK_SP_E_clISE_SE_SF_SF_EEDaS13_S14_SK_SP_EUlS13_E_NS1_11comp_targetILNS1_3genE5ELNS1_11target_archE942ELNS1_3gpuE9ELNS1_3repE0EEENS1_47radix_sort_onesweep_sort_config_static_selectorELNS0_4arch9wavefront6targetE1EEEvSK_
	.globl	_ZN7rocprim17ROCPRIM_400000_NS6detail17trampoline_kernelINS0_14default_configENS1_35radix_sort_onesweep_config_selectorIiNS0_10empty_typeEEEZZNS1_29radix_sort_onesweep_iterationIS3_Lb1EN6thrust23THRUST_200600_302600_NS6detail15normal_iteratorINS9_10device_ptrIiEEEESE_PS5_SF_jNS0_19identity_decomposerENS1_16block_id_wrapperIjLb0EEEEE10hipError_tT1_PNSt15iterator_traitsISK_E10value_typeET2_T3_PNSL_ISQ_E10value_typeET4_T5_PSV_SW_PNS1_23onesweep_lookback_stateEbbT6_jjT7_P12ihipStream_tbENKUlT_T0_SK_SP_E_clISE_SE_SF_SF_EEDaS13_S14_SK_SP_EUlS13_E_NS1_11comp_targetILNS1_3genE5ELNS1_11target_archE942ELNS1_3gpuE9ELNS1_3repE0EEENS1_47radix_sort_onesweep_sort_config_static_selectorELNS0_4arch9wavefront6targetE1EEEvSK_
	.p2align	8
	.type	_ZN7rocprim17ROCPRIM_400000_NS6detail17trampoline_kernelINS0_14default_configENS1_35radix_sort_onesweep_config_selectorIiNS0_10empty_typeEEEZZNS1_29radix_sort_onesweep_iterationIS3_Lb1EN6thrust23THRUST_200600_302600_NS6detail15normal_iteratorINS9_10device_ptrIiEEEESE_PS5_SF_jNS0_19identity_decomposerENS1_16block_id_wrapperIjLb0EEEEE10hipError_tT1_PNSt15iterator_traitsISK_E10value_typeET2_T3_PNSL_ISQ_E10value_typeET4_T5_PSV_SW_PNS1_23onesweep_lookback_stateEbbT6_jjT7_P12ihipStream_tbENKUlT_T0_SK_SP_E_clISE_SE_SF_SF_EEDaS13_S14_SK_SP_EUlS13_E_NS1_11comp_targetILNS1_3genE5ELNS1_11target_archE942ELNS1_3gpuE9ELNS1_3repE0EEENS1_47radix_sort_onesweep_sort_config_static_selectorELNS0_4arch9wavefront6targetE1EEEvSK_,@function
_ZN7rocprim17ROCPRIM_400000_NS6detail17trampoline_kernelINS0_14default_configENS1_35radix_sort_onesweep_config_selectorIiNS0_10empty_typeEEEZZNS1_29radix_sort_onesweep_iterationIS3_Lb1EN6thrust23THRUST_200600_302600_NS6detail15normal_iteratorINS9_10device_ptrIiEEEESE_PS5_SF_jNS0_19identity_decomposerENS1_16block_id_wrapperIjLb0EEEEE10hipError_tT1_PNSt15iterator_traitsISK_E10value_typeET2_T3_PNSL_ISQ_E10value_typeET4_T5_PSV_SW_PNS1_23onesweep_lookback_stateEbbT6_jjT7_P12ihipStream_tbENKUlT_T0_SK_SP_E_clISE_SE_SF_SF_EEDaS13_S14_SK_SP_EUlS13_E_NS1_11comp_targetILNS1_3genE5ELNS1_11target_archE942ELNS1_3gpuE9ELNS1_3repE0EEENS1_47radix_sort_onesweep_sort_config_static_selectorELNS0_4arch9wavefront6targetE1EEEvSK_: ; @_ZN7rocprim17ROCPRIM_400000_NS6detail17trampoline_kernelINS0_14default_configENS1_35radix_sort_onesweep_config_selectorIiNS0_10empty_typeEEEZZNS1_29radix_sort_onesweep_iterationIS3_Lb1EN6thrust23THRUST_200600_302600_NS6detail15normal_iteratorINS9_10device_ptrIiEEEESE_PS5_SF_jNS0_19identity_decomposerENS1_16block_id_wrapperIjLb0EEEEE10hipError_tT1_PNSt15iterator_traitsISK_E10value_typeET2_T3_PNSL_ISQ_E10value_typeET4_T5_PSV_SW_PNS1_23onesweep_lookback_stateEbbT6_jjT7_P12ihipStream_tbENKUlT_T0_SK_SP_E_clISE_SE_SF_SF_EEDaS13_S14_SK_SP_EUlS13_E_NS1_11comp_targetILNS1_3genE5ELNS1_11target_archE942ELNS1_3gpuE9ELNS1_3repE0EEENS1_47radix_sort_onesweep_sort_config_static_selectorELNS0_4arch9wavefront6targetE1EEEvSK_
; %bb.0:
	.section	.rodata,"a",@progbits
	.p2align	6, 0x0
	.amdhsa_kernel _ZN7rocprim17ROCPRIM_400000_NS6detail17trampoline_kernelINS0_14default_configENS1_35radix_sort_onesweep_config_selectorIiNS0_10empty_typeEEEZZNS1_29radix_sort_onesweep_iterationIS3_Lb1EN6thrust23THRUST_200600_302600_NS6detail15normal_iteratorINS9_10device_ptrIiEEEESE_PS5_SF_jNS0_19identity_decomposerENS1_16block_id_wrapperIjLb0EEEEE10hipError_tT1_PNSt15iterator_traitsISK_E10value_typeET2_T3_PNSL_ISQ_E10value_typeET4_T5_PSV_SW_PNS1_23onesweep_lookback_stateEbbT6_jjT7_P12ihipStream_tbENKUlT_T0_SK_SP_E_clISE_SE_SF_SF_EEDaS13_S14_SK_SP_EUlS13_E_NS1_11comp_targetILNS1_3genE5ELNS1_11target_archE942ELNS1_3gpuE9ELNS1_3repE0EEENS1_47radix_sort_onesweep_sort_config_static_selectorELNS0_4arch9wavefront6targetE1EEEvSK_
		.amdhsa_group_segment_fixed_size 0
		.amdhsa_private_segment_fixed_size 0
		.amdhsa_kernarg_size 88
		.amdhsa_user_sgpr_count 2
		.amdhsa_user_sgpr_dispatch_ptr 0
		.amdhsa_user_sgpr_queue_ptr 0
		.amdhsa_user_sgpr_kernarg_segment_ptr 1
		.amdhsa_user_sgpr_dispatch_id 0
		.amdhsa_user_sgpr_kernarg_preload_length 0
		.amdhsa_user_sgpr_kernarg_preload_offset 0
		.amdhsa_user_sgpr_private_segment_size 0
		.amdhsa_uses_dynamic_stack 0
		.amdhsa_enable_private_segment 0
		.amdhsa_system_sgpr_workgroup_id_x 1
		.amdhsa_system_sgpr_workgroup_id_y 0
		.amdhsa_system_sgpr_workgroup_id_z 0
		.amdhsa_system_sgpr_workgroup_info 0
		.amdhsa_system_vgpr_workitem_id 0
		.amdhsa_next_free_vgpr 1
		.amdhsa_next_free_sgpr 0
		.amdhsa_accum_offset 4
		.amdhsa_reserve_vcc 0
		.amdhsa_float_round_mode_32 0
		.amdhsa_float_round_mode_16_64 0
		.amdhsa_float_denorm_mode_32 3
		.amdhsa_float_denorm_mode_16_64 3
		.amdhsa_dx10_clamp 1
		.amdhsa_ieee_mode 1
		.amdhsa_fp16_overflow 0
		.amdhsa_tg_split 0
		.amdhsa_exception_fp_ieee_invalid_op 0
		.amdhsa_exception_fp_denorm_src 0
		.amdhsa_exception_fp_ieee_div_zero 0
		.amdhsa_exception_fp_ieee_overflow 0
		.amdhsa_exception_fp_ieee_underflow 0
		.amdhsa_exception_fp_ieee_inexact 0
		.amdhsa_exception_int_div_zero 0
	.end_amdhsa_kernel
	.section	.text._ZN7rocprim17ROCPRIM_400000_NS6detail17trampoline_kernelINS0_14default_configENS1_35radix_sort_onesweep_config_selectorIiNS0_10empty_typeEEEZZNS1_29radix_sort_onesweep_iterationIS3_Lb1EN6thrust23THRUST_200600_302600_NS6detail15normal_iteratorINS9_10device_ptrIiEEEESE_PS5_SF_jNS0_19identity_decomposerENS1_16block_id_wrapperIjLb0EEEEE10hipError_tT1_PNSt15iterator_traitsISK_E10value_typeET2_T3_PNSL_ISQ_E10value_typeET4_T5_PSV_SW_PNS1_23onesweep_lookback_stateEbbT6_jjT7_P12ihipStream_tbENKUlT_T0_SK_SP_E_clISE_SE_SF_SF_EEDaS13_S14_SK_SP_EUlS13_E_NS1_11comp_targetILNS1_3genE5ELNS1_11target_archE942ELNS1_3gpuE9ELNS1_3repE0EEENS1_47radix_sort_onesweep_sort_config_static_selectorELNS0_4arch9wavefront6targetE1EEEvSK_,"axG",@progbits,_ZN7rocprim17ROCPRIM_400000_NS6detail17trampoline_kernelINS0_14default_configENS1_35radix_sort_onesweep_config_selectorIiNS0_10empty_typeEEEZZNS1_29radix_sort_onesweep_iterationIS3_Lb1EN6thrust23THRUST_200600_302600_NS6detail15normal_iteratorINS9_10device_ptrIiEEEESE_PS5_SF_jNS0_19identity_decomposerENS1_16block_id_wrapperIjLb0EEEEE10hipError_tT1_PNSt15iterator_traitsISK_E10value_typeET2_T3_PNSL_ISQ_E10value_typeET4_T5_PSV_SW_PNS1_23onesweep_lookback_stateEbbT6_jjT7_P12ihipStream_tbENKUlT_T0_SK_SP_E_clISE_SE_SF_SF_EEDaS13_S14_SK_SP_EUlS13_E_NS1_11comp_targetILNS1_3genE5ELNS1_11target_archE942ELNS1_3gpuE9ELNS1_3repE0EEENS1_47radix_sort_onesweep_sort_config_static_selectorELNS0_4arch9wavefront6targetE1EEEvSK_,comdat
.Lfunc_end365:
	.size	_ZN7rocprim17ROCPRIM_400000_NS6detail17trampoline_kernelINS0_14default_configENS1_35radix_sort_onesweep_config_selectorIiNS0_10empty_typeEEEZZNS1_29radix_sort_onesweep_iterationIS3_Lb1EN6thrust23THRUST_200600_302600_NS6detail15normal_iteratorINS9_10device_ptrIiEEEESE_PS5_SF_jNS0_19identity_decomposerENS1_16block_id_wrapperIjLb0EEEEE10hipError_tT1_PNSt15iterator_traitsISK_E10value_typeET2_T3_PNSL_ISQ_E10value_typeET4_T5_PSV_SW_PNS1_23onesweep_lookback_stateEbbT6_jjT7_P12ihipStream_tbENKUlT_T0_SK_SP_E_clISE_SE_SF_SF_EEDaS13_S14_SK_SP_EUlS13_E_NS1_11comp_targetILNS1_3genE5ELNS1_11target_archE942ELNS1_3gpuE9ELNS1_3repE0EEENS1_47radix_sort_onesweep_sort_config_static_selectorELNS0_4arch9wavefront6targetE1EEEvSK_, .Lfunc_end365-_ZN7rocprim17ROCPRIM_400000_NS6detail17trampoline_kernelINS0_14default_configENS1_35radix_sort_onesweep_config_selectorIiNS0_10empty_typeEEEZZNS1_29radix_sort_onesweep_iterationIS3_Lb1EN6thrust23THRUST_200600_302600_NS6detail15normal_iteratorINS9_10device_ptrIiEEEESE_PS5_SF_jNS0_19identity_decomposerENS1_16block_id_wrapperIjLb0EEEEE10hipError_tT1_PNSt15iterator_traitsISK_E10value_typeET2_T3_PNSL_ISQ_E10value_typeET4_T5_PSV_SW_PNS1_23onesweep_lookback_stateEbbT6_jjT7_P12ihipStream_tbENKUlT_T0_SK_SP_E_clISE_SE_SF_SF_EEDaS13_S14_SK_SP_EUlS13_E_NS1_11comp_targetILNS1_3genE5ELNS1_11target_archE942ELNS1_3gpuE9ELNS1_3repE0EEENS1_47radix_sort_onesweep_sort_config_static_selectorELNS0_4arch9wavefront6targetE1EEEvSK_
                                        ; -- End function
	.set _ZN7rocprim17ROCPRIM_400000_NS6detail17trampoline_kernelINS0_14default_configENS1_35radix_sort_onesweep_config_selectorIiNS0_10empty_typeEEEZZNS1_29radix_sort_onesweep_iterationIS3_Lb1EN6thrust23THRUST_200600_302600_NS6detail15normal_iteratorINS9_10device_ptrIiEEEESE_PS5_SF_jNS0_19identity_decomposerENS1_16block_id_wrapperIjLb0EEEEE10hipError_tT1_PNSt15iterator_traitsISK_E10value_typeET2_T3_PNSL_ISQ_E10value_typeET4_T5_PSV_SW_PNS1_23onesweep_lookback_stateEbbT6_jjT7_P12ihipStream_tbENKUlT_T0_SK_SP_E_clISE_SE_SF_SF_EEDaS13_S14_SK_SP_EUlS13_E_NS1_11comp_targetILNS1_3genE5ELNS1_11target_archE942ELNS1_3gpuE9ELNS1_3repE0EEENS1_47radix_sort_onesweep_sort_config_static_selectorELNS0_4arch9wavefront6targetE1EEEvSK_.num_vgpr, 0
	.set _ZN7rocprim17ROCPRIM_400000_NS6detail17trampoline_kernelINS0_14default_configENS1_35radix_sort_onesweep_config_selectorIiNS0_10empty_typeEEEZZNS1_29radix_sort_onesweep_iterationIS3_Lb1EN6thrust23THRUST_200600_302600_NS6detail15normal_iteratorINS9_10device_ptrIiEEEESE_PS5_SF_jNS0_19identity_decomposerENS1_16block_id_wrapperIjLb0EEEEE10hipError_tT1_PNSt15iterator_traitsISK_E10value_typeET2_T3_PNSL_ISQ_E10value_typeET4_T5_PSV_SW_PNS1_23onesweep_lookback_stateEbbT6_jjT7_P12ihipStream_tbENKUlT_T0_SK_SP_E_clISE_SE_SF_SF_EEDaS13_S14_SK_SP_EUlS13_E_NS1_11comp_targetILNS1_3genE5ELNS1_11target_archE942ELNS1_3gpuE9ELNS1_3repE0EEENS1_47radix_sort_onesweep_sort_config_static_selectorELNS0_4arch9wavefront6targetE1EEEvSK_.num_agpr, 0
	.set _ZN7rocprim17ROCPRIM_400000_NS6detail17trampoline_kernelINS0_14default_configENS1_35radix_sort_onesweep_config_selectorIiNS0_10empty_typeEEEZZNS1_29radix_sort_onesweep_iterationIS3_Lb1EN6thrust23THRUST_200600_302600_NS6detail15normal_iteratorINS9_10device_ptrIiEEEESE_PS5_SF_jNS0_19identity_decomposerENS1_16block_id_wrapperIjLb0EEEEE10hipError_tT1_PNSt15iterator_traitsISK_E10value_typeET2_T3_PNSL_ISQ_E10value_typeET4_T5_PSV_SW_PNS1_23onesweep_lookback_stateEbbT6_jjT7_P12ihipStream_tbENKUlT_T0_SK_SP_E_clISE_SE_SF_SF_EEDaS13_S14_SK_SP_EUlS13_E_NS1_11comp_targetILNS1_3genE5ELNS1_11target_archE942ELNS1_3gpuE9ELNS1_3repE0EEENS1_47radix_sort_onesweep_sort_config_static_selectorELNS0_4arch9wavefront6targetE1EEEvSK_.numbered_sgpr, 0
	.set _ZN7rocprim17ROCPRIM_400000_NS6detail17trampoline_kernelINS0_14default_configENS1_35radix_sort_onesweep_config_selectorIiNS0_10empty_typeEEEZZNS1_29radix_sort_onesweep_iterationIS3_Lb1EN6thrust23THRUST_200600_302600_NS6detail15normal_iteratorINS9_10device_ptrIiEEEESE_PS5_SF_jNS0_19identity_decomposerENS1_16block_id_wrapperIjLb0EEEEE10hipError_tT1_PNSt15iterator_traitsISK_E10value_typeET2_T3_PNSL_ISQ_E10value_typeET4_T5_PSV_SW_PNS1_23onesweep_lookback_stateEbbT6_jjT7_P12ihipStream_tbENKUlT_T0_SK_SP_E_clISE_SE_SF_SF_EEDaS13_S14_SK_SP_EUlS13_E_NS1_11comp_targetILNS1_3genE5ELNS1_11target_archE942ELNS1_3gpuE9ELNS1_3repE0EEENS1_47radix_sort_onesweep_sort_config_static_selectorELNS0_4arch9wavefront6targetE1EEEvSK_.num_named_barrier, 0
	.set _ZN7rocprim17ROCPRIM_400000_NS6detail17trampoline_kernelINS0_14default_configENS1_35radix_sort_onesweep_config_selectorIiNS0_10empty_typeEEEZZNS1_29radix_sort_onesweep_iterationIS3_Lb1EN6thrust23THRUST_200600_302600_NS6detail15normal_iteratorINS9_10device_ptrIiEEEESE_PS5_SF_jNS0_19identity_decomposerENS1_16block_id_wrapperIjLb0EEEEE10hipError_tT1_PNSt15iterator_traitsISK_E10value_typeET2_T3_PNSL_ISQ_E10value_typeET4_T5_PSV_SW_PNS1_23onesweep_lookback_stateEbbT6_jjT7_P12ihipStream_tbENKUlT_T0_SK_SP_E_clISE_SE_SF_SF_EEDaS13_S14_SK_SP_EUlS13_E_NS1_11comp_targetILNS1_3genE5ELNS1_11target_archE942ELNS1_3gpuE9ELNS1_3repE0EEENS1_47radix_sort_onesweep_sort_config_static_selectorELNS0_4arch9wavefront6targetE1EEEvSK_.private_seg_size, 0
	.set _ZN7rocprim17ROCPRIM_400000_NS6detail17trampoline_kernelINS0_14default_configENS1_35radix_sort_onesweep_config_selectorIiNS0_10empty_typeEEEZZNS1_29radix_sort_onesweep_iterationIS3_Lb1EN6thrust23THRUST_200600_302600_NS6detail15normal_iteratorINS9_10device_ptrIiEEEESE_PS5_SF_jNS0_19identity_decomposerENS1_16block_id_wrapperIjLb0EEEEE10hipError_tT1_PNSt15iterator_traitsISK_E10value_typeET2_T3_PNSL_ISQ_E10value_typeET4_T5_PSV_SW_PNS1_23onesweep_lookback_stateEbbT6_jjT7_P12ihipStream_tbENKUlT_T0_SK_SP_E_clISE_SE_SF_SF_EEDaS13_S14_SK_SP_EUlS13_E_NS1_11comp_targetILNS1_3genE5ELNS1_11target_archE942ELNS1_3gpuE9ELNS1_3repE0EEENS1_47radix_sort_onesweep_sort_config_static_selectorELNS0_4arch9wavefront6targetE1EEEvSK_.uses_vcc, 0
	.set _ZN7rocprim17ROCPRIM_400000_NS6detail17trampoline_kernelINS0_14default_configENS1_35radix_sort_onesweep_config_selectorIiNS0_10empty_typeEEEZZNS1_29radix_sort_onesweep_iterationIS3_Lb1EN6thrust23THRUST_200600_302600_NS6detail15normal_iteratorINS9_10device_ptrIiEEEESE_PS5_SF_jNS0_19identity_decomposerENS1_16block_id_wrapperIjLb0EEEEE10hipError_tT1_PNSt15iterator_traitsISK_E10value_typeET2_T3_PNSL_ISQ_E10value_typeET4_T5_PSV_SW_PNS1_23onesweep_lookback_stateEbbT6_jjT7_P12ihipStream_tbENKUlT_T0_SK_SP_E_clISE_SE_SF_SF_EEDaS13_S14_SK_SP_EUlS13_E_NS1_11comp_targetILNS1_3genE5ELNS1_11target_archE942ELNS1_3gpuE9ELNS1_3repE0EEENS1_47radix_sort_onesweep_sort_config_static_selectorELNS0_4arch9wavefront6targetE1EEEvSK_.uses_flat_scratch, 0
	.set _ZN7rocprim17ROCPRIM_400000_NS6detail17trampoline_kernelINS0_14default_configENS1_35radix_sort_onesweep_config_selectorIiNS0_10empty_typeEEEZZNS1_29radix_sort_onesweep_iterationIS3_Lb1EN6thrust23THRUST_200600_302600_NS6detail15normal_iteratorINS9_10device_ptrIiEEEESE_PS5_SF_jNS0_19identity_decomposerENS1_16block_id_wrapperIjLb0EEEEE10hipError_tT1_PNSt15iterator_traitsISK_E10value_typeET2_T3_PNSL_ISQ_E10value_typeET4_T5_PSV_SW_PNS1_23onesweep_lookback_stateEbbT6_jjT7_P12ihipStream_tbENKUlT_T0_SK_SP_E_clISE_SE_SF_SF_EEDaS13_S14_SK_SP_EUlS13_E_NS1_11comp_targetILNS1_3genE5ELNS1_11target_archE942ELNS1_3gpuE9ELNS1_3repE0EEENS1_47radix_sort_onesweep_sort_config_static_selectorELNS0_4arch9wavefront6targetE1EEEvSK_.has_dyn_sized_stack, 0
	.set _ZN7rocprim17ROCPRIM_400000_NS6detail17trampoline_kernelINS0_14default_configENS1_35radix_sort_onesweep_config_selectorIiNS0_10empty_typeEEEZZNS1_29radix_sort_onesweep_iterationIS3_Lb1EN6thrust23THRUST_200600_302600_NS6detail15normal_iteratorINS9_10device_ptrIiEEEESE_PS5_SF_jNS0_19identity_decomposerENS1_16block_id_wrapperIjLb0EEEEE10hipError_tT1_PNSt15iterator_traitsISK_E10value_typeET2_T3_PNSL_ISQ_E10value_typeET4_T5_PSV_SW_PNS1_23onesweep_lookback_stateEbbT6_jjT7_P12ihipStream_tbENKUlT_T0_SK_SP_E_clISE_SE_SF_SF_EEDaS13_S14_SK_SP_EUlS13_E_NS1_11comp_targetILNS1_3genE5ELNS1_11target_archE942ELNS1_3gpuE9ELNS1_3repE0EEENS1_47radix_sort_onesweep_sort_config_static_selectorELNS0_4arch9wavefront6targetE1EEEvSK_.has_recursion, 0
	.set _ZN7rocprim17ROCPRIM_400000_NS6detail17trampoline_kernelINS0_14default_configENS1_35radix_sort_onesweep_config_selectorIiNS0_10empty_typeEEEZZNS1_29radix_sort_onesweep_iterationIS3_Lb1EN6thrust23THRUST_200600_302600_NS6detail15normal_iteratorINS9_10device_ptrIiEEEESE_PS5_SF_jNS0_19identity_decomposerENS1_16block_id_wrapperIjLb0EEEEE10hipError_tT1_PNSt15iterator_traitsISK_E10value_typeET2_T3_PNSL_ISQ_E10value_typeET4_T5_PSV_SW_PNS1_23onesweep_lookback_stateEbbT6_jjT7_P12ihipStream_tbENKUlT_T0_SK_SP_E_clISE_SE_SF_SF_EEDaS13_S14_SK_SP_EUlS13_E_NS1_11comp_targetILNS1_3genE5ELNS1_11target_archE942ELNS1_3gpuE9ELNS1_3repE0EEENS1_47radix_sort_onesweep_sort_config_static_selectorELNS0_4arch9wavefront6targetE1EEEvSK_.has_indirect_call, 0
	.section	.AMDGPU.csdata,"",@progbits
; Kernel info:
; codeLenInByte = 0
; TotalNumSgprs: 6
; NumVgprs: 0
; NumAgprs: 0
; TotalNumVgprs: 0
; ScratchSize: 0
; MemoryBound: 0
; FloatMode: 240
; IeeeMode: 1
; LDSByteSize: 0 bytes/workgroup (compile time only)
; SGPRBlocks: 0
; VGPRBlocks: 0
; NumSGPRsForWavesPerEU: 6
; NumVGPRsForWavesPerEU: 1
; AccumOffset: 4
; Occupancy: 8
; WaveLimiterHint : 0
; COMPUTE_PGM_RSRC2:SCRATCH_EN: 0
; COMPUTE_PGM_RSRC2:USER_SGPR: 2
; COMPUTE_PGM_RSRC2:TRAP_HANDLER: 0
; COMPUTE_PGM_RSRC2:TGID_X_EN: 1
; COMPUTE_PGM_RSRC2:TGID_Y_EN: 0
; COMPUTE_PGM_RSRC2:TGID_Z_EN: 0
; COMPUTE_PGM_RSRC2:TIDIG_COMP_CNT: 0
; COMPUTE_PGM_RSRC3_GFX90A:ACCUM_OFFSET: 0
; COMPUTE_PGM_RSRC3_GFX90A:TG_SPLIT: 0
	.section	.text._ZN7rocprim17ROCPRIM_400000_NS6detail17trampoline_kernelINS0_14default_configENS1_35radix_sort_onesweep_config_selectorIiNS0_10empty_typeEEEZZNS1_29radix_sort_onesweep_iterationIS3_Lb1EN6thrust23THRUST_200600_302600_NS6detail15normal_iteratorINS9_10device_ptrIiEEEESE_PS5_SF_jNS0_19identity_decomposerENS1_16block_id_wrapperIjLb0EEEEE10hipError_tT1_PNSt15iterator_traitsISK_E10value_typeET2_T3_PNSL_ISQ_E10value_typeET4_T5_PSV_SW_PNS1_23onesweep_lookback_stateEbbT6_jjT7_P12ihipStream_tbENKUlT_T0_SK_SP_E_clISE_SE_SF_SF_EEDaS13_S14_SK_SP_EUlS13_E_NS1_11comp_targetILNS1_3genE2ELNS1_11target_archE906ELNS1_3gpuE6ELNS1_3repE0EEENS1_47radix_sort_onesweep_sort_config_static_selectorELNS0_4arch9wavefront6targetE1EEEvSK_,"axG",@progbits,_ZN7rocprim17ROCPRIM_400000_NS6detail17trampoline_kernelINS0_14default_configENS1_35radix_sort_onesweep_config_selectorIiNS0_10empty_typeEEEZZNS1_29radix_sort_onesweep_iterationIS3_Lb1EN6thrust23THRUST_200600_302600_NS6detail15normal_iteratorINS9_10device_ptrIiEEEESE_PS5_SF_jNS0_19identity_decomposerENS1_16block_id_wrapperIjLb0EEEEE10hipError_tT1_PNSt15iterator_traitsISK_E10value_typeET2_T3_PNSL_ISQ_E10value_typeET4_T5_PSV_SW_PNS1_23onesweep_lookback_stateEbbT6_jjT7_P12ihipStream_tbENKUlT_T0_SK_SP_E_clISE_SE_SF_SF_EEDaS13_S14_SK_SP_EUlS13_E_NS1_11comp_targetILNS1_3genE2ELNS1_11target_archE906ELNS1_3gpuE6ELNS1_3repE0EEENS1_47radix_sort_onesweep_sort_config_static_selectorELNS0_4arch9wavefront6targetE1EEEvSK_,comdat
	.protected	_ZN7rocprim17ROCPRIM_400000_NS6detail17trampoline_kernelINS0_14default_configENS1_35radix_sort_onesweep_config_selectorIiNS0_10empty_typeEEEZZNS1_29radix_sort_onesweep_iterationIS3_Lb1EN6thrust23THRUST_200600_302600_NS6detail15normal_iteratorINS9_10device_ptrIiEEEESE_PS5_SF_jNS0_19identity_decomposerENS1_16block_id_wrapperIjLb0EEEEE10hipError_tT1_PNSt15iterator_traitsISK_E10value_typeET2_T3_PNSL_ISQ_E10value_typeET4_T5_PSV_SW_PNS1_23onesweep_lookback_stateEbbT6_jjT7_P12ihipStream_tbENKUlT_T0_SK_SP_E_clISE_SE_SF_SF_EEDaS13_S14_SK_SP_EUlS13_E_NS1_11comp_targetILNS1_3genE2ELNS1_11target_archE906ELNS1_3gpuE6ELNS1_3repE0EEENS1_47radix_sort_onesweep_sort_config_static_selectorELNS0_4arch9wavefront6targetE1EEEvSK_ ; -- Begin function _ZN7rocprim17ROCPRIM_400000_NS6detail17trampoline_kernelINS0_14default_configENS1_35radix_sort_onesweep_config_selectorIiNS0_10empty_typeEEEZZNS1_29radix_sort_onesweep_iterationIS3_Lb1EN6thrust23THRUST_200600_302600_NS6detail15normal_iteratorINS9_10device_ptrIiEEEESE_PS5_SF_jNS0_19identity_decomposerENS1_16block_id_wrapperIjLb0EEEEE10hipError_tT1_PNSt15iterator_traitsISK_E10value_typeET2_T3_PNSL_ISQ_E10value_typeET4_T5_PSV_SW_PNS1_23onesweep_lookback_stateEbbT6_jjT7_P12ihipStream_tbENKUlT_T0_SK_SP_E_clISE_SE_SF_SF_EEDaS13_S14_SK_SP_EUlS13_E_NS1_11comp_targetILNS1_3genE2ELNS1_11target_archE906ELNS1_3gpuE6ELNS1_3repE0EEENS1_47radix_sort_onesweep_sort_config_static_selectorELNS0_4arch9wavefront6targetE1EEEvSK_
	.globl	_ZN7rocprim17ROCPRIM_400000_NS6detail17trampoline_kernelINS0_14default_configENS1_35radix_sort_onesweep_config_selectorIiNS0_10empty_typeEEEZZNS1_29radix_sort_onesweep_iterationIS3_Lb1EN6thrust23THRUST_200600_302600_NS6detail15normal_iteratorINS9_10device_ptrIiEEEESE_PS5_SF_jNS0_19identity_decomposerENS1_16block_id_wrapperIjLb0EEEEE10hipError_tT1_PNSt15iterator_traitsISK_E10value_typeET2_T3_PNSL_ISQ_E10value_typeET4_T5_PSV_SW_PNS1_23onesweep_lookback_stateEbbT6_jjT7_P12ihipStream_tbENKUlT_T0_SK_SP_E_clISE_SE_SF_SF_EEDaS13_S14_SK_SP_EUlS13_E_NS1_11comp_targetILNS1_3genE2ELNS1_11target_archE906ELNS1_3gpuE6ELNS1_3repE0EEENS1_47radix_sort_onesweep_sort_config_static_selectorELNS0_4arch9wavefront6targetE1EEEvSK_
	.p2align	8
	.type	_ZN7rocprim17ROCPRIM_400000_NS6detail17trampoline_kernelINS0_14default_configENS1_35radix_sort_onesweep_config_selectorIiNS0_10empty_typeEEEZZNS1_29radix_sort_onesweep_iterationIS3_Lb1EN6thrust23THRUST_200600_302600_NS6detail15normal_iteratorINS9_10device_ptrIiEEEESE_PS5_SF_jNS0_19identity_decomposerENS1_16block_id_wrapperIjLb0EEEEE10hipError_tT1_PNSt15iterator_traitsISK_E10value_typeET2_T3_PNSL_ISQ_E10value_typeET4_T5_PSV_SW_PNS1_23onesweep_lookback_stateEbbT6_jjT7_P12ihipStream_tbENKUlT_T0_SK_SP_E_clISE_SE_SF_SF_EEDaS13_S14_SK_SP_EUlS13_E_NS1_11comp_targetILNS1_3genE2ELNS1_11target_archE906ELNS1_3gpuE6ELNS1_3repE0EEENS1_47radix_sort_onesweep_sort_config_static_selectorELNS0_4arch9wavefront6targetE1EEEvSK_,@function
_ZN7rocprim17ROCPRIM_400000_NS6detail17trampoline_kernelINS0_14default_configENS1_35radix_sort_onesweep_config_selectorIiNS0_10empty_typeEEEZZNS1_29radix_sort_onesweep_iterationIS3_Lb1EN6thrust23THRUST_200600_302600_NS6detail15normal_iteratorINS9_10device_ptrIiEEEESE_PS5_SF_jNS0_19identity_decomposerENS1_16block_id_wrapperIjLb0EEEEE10hipError_tT1_PNSt15iterator_traitsISK_E10value_typeET2_T3_PNSL_ISQ_E10value_typeET4_T5_PSV_SW_PNS1_23onesweep_lookback_stateEbbT6_jjT7_P12ihipStream_tbENKUlT_T0_SK_SP_E_clISE_SE_SF_SF_EEDaS13_S14_SK_SP_EUlS13_E_NS1_11comp_targetILNS1_3genE2ELNS1_11target_archE906ELNS1_3gpuE6ELNS1_3repE0EEENS1_47radix_sort_onesweep_sort_config_static_selectorELNS0_4arch9wavefront6targetE1EEEvSK_: ; @_ZN7rocprim17ROCPRIM_400000_NS6detail17trampoline_kernelINS0_14default_configENS1_35radix_sort_onesweep_config_selectorIiNS0_10empty_typeEEEZZNS1_29radix_sort_onesweep_iterationIS3_Lb1EN6thrust23THRUST_200600_302600_NS6detail15normal_iteratorINS9_10device_ptrIiEEEESE_PS5_SF_jNS0_19identity_decomposerENS1_16block_id_wrapperIjLb0EEEEE10hipError_tT1_PNSt15iterator_traitsISK_E10value_typeET2_T3_PNSL_ISQ_E10value_typeET4_T5_PSV_SW_PNS1_23onesweep_lookback_stateEbbT6_jjT7_P12ihipStream_tbENKUlT_T0_SK_SP_E_clISE_SE_SF_SF_EEDaS13_S14_SK_SP_EUlS13_E_NS1_11comp_targetILNS1_3genE2ELNS1_11target_archE906ELNS1_3gpuE6ELNS1_3repE0EEENS1_47radix_sort_onesweep_sort_config_static_selectorELNS0_4arch9wavefront6targetE1EEEvSK_
; %bb.0:
	.section	.rodata,"a",@progbits
	.p2align	6, 0x0
	.amdhsa_kernel _ZN7rocprim17ROCPRIM_400000_NS6detail17trampoline_kernelINS0_14default_configENS1_35radix_sort_onesweep_config_selectorIiNS0_10empty_typeEEEZZNS1_29radix_sort_onesweep_iterationIS3_Lb1EN6thrust23THRUST_200600_302600_NS6detail15normal_iteratorINS9_10device_ptrIiEEEESE_PS5_SF_jNS0_19identity_decomposerENS1_16block_id_wrapperIjLb0EEEEE10hipError_tT1_PNSt15iterator_traitsISK_E10value_typeET2_T3_PNSL_ISQ_E10value_typeET4_T5_PSV_SW_PNS1_23onesweep_lookback_stateEbbT6_jjT7_P12ihipStream_tbENKUlT_T0_SK_SP_E_clISE_SE_SF_SF_EEDaS13_S14_SK_SP_EUlS13_E_NS1_11comp_targetILNS1_3genE2ELNS1_11target_archE906ELNS1_3gpuE6ELNS1_3repE0EEENS1_47radix_sort_onesweep_sort_config_static_selectorELNS0_4arch9wavefront6targetE1EEEvSK_
		.amdhsa_group_segment_fixed_size 0
		.amdhsa_private_segment_fixed_size 0
		.amdhsa_kernarg_size 88
		.amdhsa_user_sgpr_count 2
		.amdhsa_user_sgpr_dispatch_ptr 0
		.amdhsa_user_sgpr_queue_ptr 0
		.amdhsa_user_sgpr_kernarg_segment_ptr 1
		.amdhsa_user_sgpr_dispatch_id 0
		.amdhsa_user_sgpr_kernarg_preload_length 0
		.amdhsa_user_sgpr_kernarg_preload_offset 0
		.amdhsa_user_sgpr_private_segment_size 0
		.amdhsa_uses_dynamic_stack 0
		.amdhsa_enable_private_segment 0
		.amdhsa_system_sgpr_workgroup_id_x 1
		.amdhsa_system_sgpr_workgroup_id_y 0
		.amdhsa_system_sgpr_workgroup_id_z 0
		.amdhsa_system_sgpr_workgroup_info 0
		.amdhsa_system_vgpr_workitem_id 0
		.amdhsa_next_free_vgpr 1
		.amdhsa_next_free_sgpr 0
		.amdhsa_accum_offset 4
		.amdhsa_reserve_vcc 0
		.amdhsa_float_round_mode_32 0
		.amdhsa_float_round_mode_16_64 0
		.amdhsa_float_denorm_mode_32 3
		.amdhsa_float_denorm_mode_16_64 3
		.amdhsa_dx10_clamp 1
		.amdhsa_ieee_mode 1
		.amdhsa_fp16_overflow 0
		.amdhsa_tg_split 0
		.amdhsa_exception_fp_ieee_invalid_op 0
		.amdhsa_exception_fp_denorm_src 0
		.amdhsa_exception_fp_ieee_div_zero 0
		.amdhsa_exception_fp_ieee_overflow 0
		.amdhsa_exception_fp_ieee_underflow 0
		.amdhsa_exception_fp_ieee_inexact 0
		.amdhsa_exception_int_div_zero 0
	.end_amdhsa_kernel
	.section	.text._ZN7rocprim17ROCPRIM_400000_NS6detail17trampoline_kernelINS0_14default_configENS1_35radix_sort_onesweep_config_selectorIiNS0_10empty_typeEEEZZNS1_29radix_sort_onesweep_iterationIS3_Lb1EN6thrust23THRUST_200600_302600_NS6detail15normal_iteratorINS9_10device_ptrIiEEEESE_PS5_SF_jNS0_19identity_decomposerENS1_16block_id_wrapperIjLb0EEEEE10hipError_tT1_PNSt15iterator_traitsISK_E10value_typeET2_T3_PNSL_ISQ_E10value_typeET4_T5_PSV_SW_PNS1_23onesweep_lookback_stateEbbT6_jjT7_P12ihipStream_tbENKUlT_T0_SK_SP_E_clISE_SE_SF_SF_EEDaS13_S14_SK_SP_EUlS13_E_NS1_11comp_targetILNS1_3genE2ELNS1_11target_archE906ELNS1_3gpuE6ELNS1_3repE0EEENS1_47radix_sort_onesweep_sort_config_static_selectorELNS0_4arch9wavefront6targetE1EEEvSK_,"axG",@progbits,_ZN7rocprim17ROCPRIM_400000_NS6detail17trampoline_kernelINS0_14default_configENS1_35radix_sort_onesweep_config_selectorIiNS0_10empty_typeEEEZZNS1_29radix_sort_onesweep_iterationIS3_Lb1EN6thrust23THRUST_200600_302600_NS6detail15normal_iteratorINS9_10device_ptrIiEEEESE_PS5_SF_jNS0_19identity_decomposerENS1_16block_id_wrapperIjLb0EEEEE10hipError_tT1_PNSt15iterator_traitsISK_E10value_typeET2_T3_PNSL_ISQ_E10value_typeET4_T5_PSV_SW_PNS1_23onesweep_lookback_stateEbbT6_jjT7_P12ihipStream_tbENKUlT_T0_SK_SP_E_clISE_SE_SF_SF_EEDaS13_S14_SK_SP_EUlS13_E_NS1_11comp_targetILNS1_3genE2ELNS1_11target_archE906ELNS1_3gpuE6ELNS1_3repE0EEENS1_47radix_sort_onesweep_sort_config_static_selectorELNS0_4arch9wavefront6targetE1EEEvSK_,comdat
.Lfunc_end366:
	.size	_ZN7rocprim17ROCPRIM_400000_NS6detail17trampoline_kernelINS0_14default_configENS1_35radix_sort_onesweep_config_selectorIiNS0_10empty_typeEEEZZNS1_29radix_sort_onesweep_iterationIS3_Lb1EN6thrust23THRUST_200600_302600_NS6detail15normal_iteratorINS9_10device_ptrIiEEEESE_PS5_SF_jNS0_19identity_decomposerENS1_16block_id_wrapperIjLb0EEEEE10hipError_tT1_PNSt15iterator_traitsISK_E10value_typeET2_T3_PNSL_ISQ_E10value_typeET4_T5_PSV_SW_PNS1_23onesweep_lookback_stateEbbT6_jjT7_P12ihipStream_tbENKUlT_T0_SK_SP_E_clISE_SE_SF_SF_EEDaS13_S14_SK_SP_EUlS13_E_NS1_11comp_targetILNS1_3genE2ELNS1_11target_archE906ELNS1_3gpuE6ELNS1_3repE0EEENS1_47radix_sort_onesweep_sort_config_static_selectorELNS0_4arch9wavefront6targetE1EEEvSK_, .Lfunc_end366-_ZN7rocprim17ROCPRIM_400000_NS6detail17trampoline_kernelINS0_14default_configENS1_35radix_sort_onesweep_config_selectorIiNS0_10empty_typeEEEZZNS1_29radix_sort_onesweep_iterationIS3_Lb1EN6thrust23THRUST_200600_302600_NS6detail15normal_iteratorINS9_10device_ptrIiEEEESE_PS5_SF_jNS0_19identity_decomposerENS1_16block_id_wrapperIjLb0EEEEE10hipError_tT1_PNSt15iterator_traitsISK_E10value_typeET2_T3_PNSL_ISQ_E10value_typeET4_T5_PSV_SW_PNS1_23onesweep_lookback_stateEbbT6_jjT7_P12ihipStream_tbENKUlT_T0_SK_SP_E_clISE_SE_SF_SF_EEDaS13_S14_SK_SP_EUlS13_E_NS1_11comp_targetILNS1_3genE2ELNS1_11target_archE906ELNS1_3gpuE6ELNS1_3repE0EEENS1_47radix_sort_onesweep_sort_config_static_selectorELNS0_4arch9wavefront6targetE1EEEvSK_
                                        ; -- End function
	.set _ZN7rocprim17ROCPRIM_400000_NS6detail17trampoline_kernelINS0_14default_configENS1_35radix_sort_onesweep_config_selectorIiNS0_10empty_typeEEEZZNS1_29radix_sort_onesweep_iterationIS3_Lb1EN6thrust23THRUST_200600_302600_NS6detail15normal_iteratorINS9_10device_ptrIiEEEESE_PS5_SF_jNS0_19identity_decomposerENS1_16block_id_wrapperIjLb0EEEEE10hipError_tT1_PNSt15iterator_traitsISK_E10value_typeET2_T3_PNSL_ISQ_E10value_typeET4_T5_PSV_SW_PNS1_23onesweep_lookback_stateEbbT6_jjT7_P12ihipStream_tbENKUlT_T0_SK_SP_E_clISE_SE_SF_SF_EEDaS13_S14_SK_SP_EUlS13_E_NS1_11comp_targetILNS1_3genE2ELNS1_11target_archE906ELNS1_3gpuE6ELNS1_3repE0EEENS1_47radix_sort_onesweep_sort_config_static_selectorELNS0_4arch9wavefront6targetE1EEEvSK_.num_vgpr, 0
	.set _ZN7rocprim17ROCPRIM_400000_NS6detail17trampoline_kernelINS0_14default_configENS1_35radix_sort_onesweep_config_selectorIiNS0_10empty_typeEEEZZNS1_29radix_sort_onesweep_iterationIS3_Lb1EN6thrust23THRUST_200600_302600_NS6detail15normal_iteratorINS9_10device_ptrIiEEEESE_PS5_SF_jNS0_19identity_decomposerENS1_16block_id_wrapperIjLb0EEEEE10hipError_tT1_PNSt15iterator_traitsISK_E10value_typeET2_T3_PNSL_ISQ_E10value_typeET4_T5_PSV_SW_PNS1_23onesweep_lookback_stateEbbT6_jjT7_P12ihipStream_tbENKUlT_T0_SK_SP_E_clISE_SE_SF_SF_EEDaS13_S14_SK_SP_EUlS13_E_NS1_11comp_targetILNS1_3genE2ELNS1_11target_archE906ELNS1_3gpuE6ELNS1_3repE0EEENS1_47radix_sort_onesweep_sort_config_static_selectorELNS0_4arch9wavefront6targetE1EEEvSK_.num_agpr, 0
	.set _ZN7rocprim17ROCPRIM_400000_NS6detail17trampoline_kernelINS0_14default_configENS1_35radix_sort_onesweep_config_selectorIiNS0_10empty_typeEEEZZNS1_29radix_sort_onesweep_iterationIS3_Lb1EN6thrust23THRUST_200600_302600_NS6detail15normal_iteratorINS9_10device_ptrIiEEEESE_PS5_SF_jNS0_19identity_decomposerENS1_16block_id_wrapperIjLb0EEEEE10hipError_tT1_PNSt15iterator_traitsISK_E10value_typeET2_T3_PNSL_ISQ_E10value_typeET4_T5_PSV_SW_PNS1_23onesweep_lookback_stateEbbT6_jjT7_P12ihipStream_tbENKUlT_T0_SK_SP_E_clISE_SE_SF_SF_EEDaS13_S14_SK_SP_EUlS13_E_NS1_11comp_targetILNS1_3genE2ELNS1_11target_archE906ELNS1_3gpuE6ELNS1_3repE0EEENS1_47radix_sort_onesweep_sort_config_static_selectorELNS0_4arch9wavefront6targetE1EEEvSK_.numbered_sgpr, 0
	.set _ZN7rocprim17ROCPRIM_400000_NS6detail17trampoline_kernelINS0_14default_configENS1_35radix_sort_onesweep_config_selectorIiNS0_10empty_typeEEEZZNS1_29radix_sort_onesweep_iterationIS3_Lb1EN6thrust23THRUST_200600_302600_NS6detail15normal_iteratorINS9_10device_ptrIiEEEESE_PS5_SF_jNS0_19identity_decomposerENS1_16block_id_wrapperIjLb0EEEEE10hipError_tT1_PNSt15iterator_traitsISK_E10value_typeET2_T3_PNSL_ISQ_E10value_typeET4_T5_PSV_SW_PNS1_23onesweep_lookback_stateEbbT6_jjT7_P12ihipStream_tbENKUlT_T0_SK_SP_E_clISE_SE_SF_SF_EEDaS13_S14_SK_SP_EUlS13_E_NS1_11comp_targetILNS1_3genE2ELNS1_11target_archE906ELNS1_3gpuE6ELNS1_3repE0EEENS1_47radix_sort_onesweep_sort_config_static_selectorELNS0_4arch9wavefront6targetE1EEEvSK_.num_named_barrier, 0
	.set _ZN7rocprim17ROCPRIM_400000_NS6detail17trampoline_kernelINS0_14default_configENS1_35radix_sort_onesweep_config_selectorIiNS0_10empty_typeEEEZZNS1_29radix_sort_onesweep_iterationIS3_Lb1EN6thrust23THRUST_200600_302600_NS6detail15normal_iteratorINS9_10device_ptrIiEEEESE_PS5_SF_jNS0_19identity_decomposerENS1_16block_id_wrapperIjLb0EEEEE10hipError_tT1_PNSt15iterator_traitsISK_E10value_typeET2_T3_PNSL_ISQ_E10value_typeET4_T5_PSV_SW_PNS1_23onesweep_lookback_stateEbbT6_jjT7_P12ihipStream_tbENKUlT_T0_SK_SP_E_clISE_SE_SF_SF_EEDaS13_S14_SK_SP_EUlS13_E_NS1_11comp_targetILNS1_3genE2ELNS1_11target_archE906ELNS1_3gpuE6ELNS1_3repE0EEENS1_47radix_sort_onesweep_sort_config_static_selectorELNS0_4arch9wavefront6targetE1EEEvSK_.private_seg_size, 0
	.set _ZN7rocprim17ROCPRIM_400000_NS6detail17trampoline_kernelINS0_14default_configENS1_35radix_sort_onesweep_config_selectorIiNS0_10empty_typeEEEZZNS1_29radix_sort_onesweep_iterationIS3_Lb1EN6thrust23THRUST_200600_302600_NS6detail15normal_iteratorINS9_10device_ptrIiEEEESE_PS5_SF_jNS0_19identity_decomposerENS1_16block_id_wrapperIjLb0EEEEE10hipError_tT1_PNSt15iterator_traitsISK_E10value_typeET2_T3_PNSL_ISQ_E10value_typeET4_T5_PSV_SW_PNS1_23onesweep_lookback_stateEbbT6_jjT7_P12ihipStream_tbENKUlT_T0_SK_SP_E_clISE_SE_SF_SF_EEDaS13_S14_SK_SP_EUlS13_E_NS1_11comp_targetILNS1_3genE2ELNS1_11target_archE906ELNS1_3gpuE6ELNS1_3repE0EEENS1_47radix_sort_onesweep_sort_config_static_selectorELNS0_4arch9wavefront6targetE1EEEvSK_.uses_vcc, 0
	.set _ZN7rocprim17ROCPRIM_400000_NS6detail17trampoline_kernelINS0_14default_configENS1_35radix_sort_onesweep_config_selectorIiNS0_10empty_typeEEEZZNS1_29radix_sort_onesweep_iterationIS3_Lb1EN6thrust23THRUST_200600_302600_NS6detail15normal_iteratorINS9_10device_ptrIiEEEESE_PS5_SF_jNS0_19identity_decomposerENS1_16block_id_wrapperIjLb0EEEEE10hipError_tT1_PNSt15iterator_traitsISK_E10value_typeET2_T3_PNSL_ISQ_E10value_typeET4_T5_PSV_SW_PNS1_23onesweep_lookback_stateEbbT6_jjT7_P12ihipStream_tbENKUlT_T0_SK_SP_E_clISE_SE_SF_SF_EEDaS13_S14_SK_SP_EUlS13_E_NS1_11comp_targetILNS1_3genE2ELNS1_11target_archE906ELNS1_3gpuE6ELNS1_3repE0EEENS1_47radix_sort_onesweep_sort_config_static_selectorELNS0_4arch9wavefront6targetE1EEEvSK_.uses_flat_scratch, 0
	.set _ZN7rocprim17ROCPRIM_400000_NS6detail17trampoline_kernelINS0_14default_configENS1_35radix_sort_onesweep_config_selectorIiNS0_10empty_typeEEEZZNS1_29radix_sort_onesweep_iterationIS3_Lb1EN6thrust23THRUST_200600_302600_NS6detail15normal_iteratorINS9_10device_ptrIiEEEESE_PS5_SF_jNS0_19identity_decomposerENS1_16block_id_wrapperIjLb0EEEEE10hipError_tT1_PNSt15iterator_traitsISK_E10value_typeET2_T3_PNSL_ISQ_E10value_typeET4_T5_PSV_SW_PNS1_23onesweep_lookback_stateEbbT6_jjT7_P12ihipStream_tbENKUlT_T0_SK_SP_E_clISE_SE_SF_SF_EEDaS13_S14_SK_SP_EUlS13_E_NS1_11comp_targetILNS1_3genE2ELNS1_11target_archE906ELNS1_3gpuE6ELNS1_3repE0EEENS1_47radix_sort_onesweep_sort_config_static_selectorELNS0_4arch9wavefront6targetE1EEEvSK_.has_dyn_sized_stack, 0
	.set _ZN7rocprim17ROCPRIM_400000_NS6detail17trampoline_kernelINS0_14default_configENS1_35radix_sort_onesweep_config_selectorIiNS0_10empty_typeEEEZZNS1_29radix_sort_onesweep_iterationIS3_Lb1EN6thrust23THRUST_200600_302600_NS6detail15normal_iteratorINS9_10device_ptrIiEEEESE_PS5_SF_jNS0_19identity_decomposerENS1_16block_id_wrapperIjLb0EEEEE10hipError_tT1_PNSt15iterator_traitsISK_E10value_typeET2_T3_PNSL_ISQ_E10value_typeET4_T5_PSV_SW_PNS1_23onesweep_lookback_stateEbbT6_jjT7_P12ihipStream_tbENKUlT_T0_SK_SP_E_clISE_SE_SF_SF_EEDaS13_S14_SK_SP_EUlS13_E_NS1_11comp_targetILNS1_3genE2ELNS1_11target_archE906ELNS1_3gpuE6ELNS1_3repE0EEENS1_47radix_sort_onesweep_sort_config_static_selectorELNS0_4arch9wavefront6targetE1EEEvSK_.has_recursion, 0
	.set _ZN7rocprim17ROCPRIM_400000_NS6detail17trampoline_kernelINS0_14default_configENS1_35radix_sort_onesweep_config_selectorIiNS0_10empty_typeEEEZZNS1_29radix_sort_onesweep_iterationIS3_Lb1EN6thrust23THRUST_200600_302600_NS6detail15normal_iteratorINS9_10device_ptrIiEEEESE_PS5_SF_jNS0_19identity_decomposerENS1_16block_id_wrapperIjLb0EEEEE10hipError_tT1_PNSt15iterator_traitsISK_E10value_typeET2_T3_PNSL_ISQ_E10value_typeET4_T5_PSV_SW_PNS1_23onesweep_lookback_stateEbbT6_jjT7_P12ihipStream_tbENKUlT_T0_SK_SP_E_clISE_SE_SF_SF_EEDaS13_S14_SK_SP_EUlS13_E_NS1_11comp_targetILNS1_3genE2ELNS1_11target_archE906ELNS1_3gpuE6ELNS1_3repE0EEENS1_47radix_sort_onesweep_sort_config_static_selectorELNS0_4arch9wavefront6targetE1EEEvSK_.has_indirect_call, 0
	.section	.AMDGPU.csdata,"",@progbits
; Kernel info:
; codeLenInByte = 0
; TotalNumSgprs: 6
; NumVgprs: 0
; NumAgprs: 0
; TotalNumVgprs: 0
; ScratchSize: 0
; MemoryBound: 0
; FloatMode: 240
; IeeeMode: 1
; LDSByteSize: 0 bytes/workgroup (compile time only)
; SGPRBlocks: 0
; VGPRBlocks: 0
; NumSGPRsForWavesPerEU: 6
; NumVGPRsForWavesPerEU: 1
; AccumOffset: 4
; Occupancy: 8
; WaveLimiterHint : 0
; COMPUTE_PGM_RSRC2:SCRATCH_EN: 0
; COMPUTE_PGM_RSRC2:USER_SGPR: 2
; COMPUTE_PGM_RSRC2:TRAP_HANDLER: 0
; COMPUTE_PGM_RSRC2:TGID_X_EN: 1
; COMPUTE_PGM_RSRC2:TGID_Y_EN: 0
; COMPUTE_PGM_RSRC2:TGID_Z_EN: 0
; COMPUTE_PGM_RSRC2:TIDIG_COMP_CNT: 0
; COMPUTE_PGM_RSRC3_GFX90A:ACCUM_OFFSET: 0
; COMPUTE_PGM_RSRC3_GFX90A:TG_SPLIT: 0
	.section	.text._ZN7rocprim17ROCPRIM_400000_NS6detail17trampoline_kernelINS0_14default_configENS1_35radix_sort_onesweep_config_selectorIiNS0_10empty_typeEEEZZNS1_29radix_sort_onesweep_iterationIS3_Lb1EN6thrust23THRUST_200600_302600_NS6detail15normal_iteratorINS9_10device_ptrIiEEEESE_PS5_SF_jNS0_19identity_decomposerENS1_16block_id_wrapperIjLb0EEEEE10hipError_tT1_PNSt15iterator_traitsISK_E10value_typeET2_T3_PNSL_ISQ_E10value_typeET4_T5_PSV_SW_PNS1_23onesweep_lookback_stateEbbT6_jjT7_P12ihipStream_tbENKUlT_T0_SK_SP_E_clISE_SE_SF_SF_EEDaS13_S14_SK_SP_EUlS13_E_NS1_11comp_targetILNS1_3genE4ELNS1_11target_archE910ELNS1_3gpuE8ELNS1_3repE0EEENS1_47radix_sort_onesweep_sort_config_static_selectorELNS0_4arch9wavefront6targetE1EEEvSK_,"axG",@progbits,_ZN7rocprim17ROCPRIM_400000_NS6detail17trampoline_kernelINS0_14default_configENS1_35radix_sort_onesweep_config_selectorIiNS0_10empty_typeEEEZZNS1_29radix_sort_onesweep_iterationIS3_Lb1EN6thrust23THRUST_200600_302600_NS6detail15normal_iteratorINS9_10device_ptrIiEEEESE_PS5_SF_jNS0_19identity_decomposerENS1_16block_id_wrapperIjLb0EEEEE10hipError_tT1_PNSt15iterator_traitsISK_E10value_typeET2_T3_PNSL_ISQ_E10value_typeET4_T5_PSV_SW_PNS1_23onesweep_lookback_stateEbbT6_jjT7_P12ihipStream_tbENKUlT_T0_SK_SP_E_clISE_SE_SF_SF_EEDaS13_S14_SK_SP_EUlS13_E_NS1_11comp_targetILNS1_3genE4ELNS1_11target_archE910ELNS1_3gpuE8ELNS1_3repE0EEENS1_47radix_sort_onesweep_sort_config_static_selectorELNS0_4arch9wavefront6targetE1EEEvSK_,comdat
	.protected	_ZN7rocprim17ROCPRIM_400000_NS6detail17trampoline_kernelINS0_14default_configENS1_35radix_sort_onesweep_config_selectorIiNS0_10empty_typeEEEZZNS1_29radix_sort_onesweep_iterationIS3_Lb1EN6thrust23THRUST_200600_302600_NS6detail15normal_iteratorINS9_10device_ptrIiEEEESE_PS5_SF_jNS0_19identity_decomposerENS1_16block_id_wrapperIjLb0EEEEE10hipError_tT1_PNSt15iterator_traitsISK_E10value_typeET2_T3_PNSL_ISQ_E10value_typeET4_T5_PSV_SW_PNS1_23onesweep_lookback_stateEbbT6_jjT7_P12ihipStream_tbENKUlT_T0_SK_SP_E_clISE_SE_SF_SF_EEDaS13_S14_SK_SP_EUlS13_E_NS1_11comp_targetILNS1_3genE4ELNS1_11target_archE910ELNS1_3gpuE8ELNS1_3repE0EEENS1_47radix_sort_onesweep_sort_config_static_selectorELNS0_4arch9wavefront6targetE1EEEvSK_ ; -- Begin function _ZN7rocprim17ROCPRIM_400000_NS6detail17trampoline_kernelINS0_14default_configENS1_35radix_sort_onesweep_config_selectorIiNS0_10empty_typeEEEZZNS1_29radix_sort_onesweep_iterationIS3_Lb1EN6thrust23THRUST_200600_302600_NS6detail15normal_iteratorINS9_10device_ptrIiEEEESE_PS5_SF_jNS0_19identity_decomposerENS1_16block_id_wrapperIjLb0EEEEE10hipError_tT1_PNSt15iterator_traitsISK_E10value_typeET2_T3_PNSL_ISQ_E10value_typeET4_T5_PSV_SW_PNS1_23onesweep_lookback_stateEbbT6_jjT7_P12ihipStream_tbENKUlT_T0_SK_SP_E_clISE_SE_SF_SF_EEDaS13_S14_SK_SP_EUlS13_E_NS1_11comp_targetILNS1_3genE4ELNS1_11target_archE910ELNS1_3gpuE8ELNS1_3repE0EEENS1_47radix_sort_onesweep_sort_config_static_selectorELNS0_4arch9wavefront6targetE1EEEvSK_
	.globl	_ZN7rocprim17ROCPRIM_400000_NS6detail17trampoline_kernelINS0_14default_configENS1_35radix_sort_onesweep_config_selectorIiNS0_10empty_typeEEEZZNS1_29radix_sort_onesweep_iterationIS3_Lb1EN6thrust23THRUST_200600_302600_NS6detail15normal_iteratorINS9_10device_ptrIiEEEESE_PS5_SF_jNS0_19identity_decomposerENS1_16block_id_wrapperIjLb0EEEEE10hipError_tT1_PNSt15iterator_traitsISK_E10value_typeET2_T3_PNSL_ISQ_E10value_typeET4_T5_PSV_SW_PNS1_23onesweep_lookback_stateEbbT6_jjT7_P12ihipStream_tbENKUlT_T0_SK_SP_E_clISE_SE_SF_SF_EEDaS13_S14_SK_SP_EUlS13_E_NS1_11comp_targetILNS1_3genE4ELNS1_11target_archE910ELNS1_3gpuE8ELNS1_3repE0EEENS1_47radix_sort_onesweep_sort_config_static_selectorELNS0_4arch9wavefront6targetE1EEEvSK_
	.p2align	8
	.type	_ZN7rocprim17ROCPRIM_400000_NS6detail17trampoline_kernelINS0_14default_configENS1_35radix_sort_onesweep_config_selectorIiNS0_10empty_typeEEEZZNS1_29radix_sort_onesweep_iterationIS3_Lb1EN6thrust23THRUST_200600_302600_NS6detail15normal_iteratorINS9_10device_ptrIiEEEESE_PS5_SF_jNS0_19identity_decomposerENS1_16block_id_wrapperIjLb0EEEEE10hipError_tT1_PNSt15iterator_traitsISK_E10value_typeET2_T3_PNSL_ISQ_E10value_typeET4_T5_PSV_SW_PNS1_23onesweep_lookback_stateEbbT6_jjT7_P12ihipStream_tbENKUlT_T0_SK_SP_E_clISE_SE_SF_SF_EEDaS13_S14_SK_SP_EUlS13_E_NS1_11comp_targetILNS1_3genE4ELNS1_11target_archE910ELNS1_3gpuE8ELNS1_3repE0EEENS1_47radix_sort_onesweep_sort_config_static_selectorELNS0_4arch9wavefront6targetE1EEEvSK_,@function
_ZN7rocprim17ROCPRIM_400000_NS6detail17trampoline_kernelINS0_14default_configENS1_35radix_sort_onesweep_config_selectorIiNS0_10empty_typeEEEZZNS1_29radix_sort_onesweep_iterationIS3_Lb1EN6thrust23THRUST_200600_302600_NS6detail15normal_iteratorINS9_10device_ptrIiEEEESE_PS5_SF_jNS0_19identity_decomposerENS1_16block_id_wrapperIjLb0EEEEE10hipError_tT1_PNSt15iterator_traitsISK_E10value_typeET2_T3_PNSL_ISQ_E10value_typeET4_T5_PSV_SW_PNS1_23onesweep_lookback_stateEbbT6_jjT7_P12ihipStream_tbENKUlT_T0_SK_SP_E_clISE_SE_SF_SF_EEDaS13_S14_SK_SP_EUlS13_E_NS1_11comp_targetILNS1_3genE4ELNS1_11target_archE910ELNS1_3gpuE8ELNS1_3repE0EEENS1_47radix_sort_onesweep_sort_config_static_selectorELNS0_4arch9wavefront6targetE1EEEvSK_: ; @_ZN7rocprim17ROCPRIM_400000_NS6detail17trampoline_kernelINS0_14default_configENS1_35radix_sort_onesweep_config_selectorIiNS0_10empty_typeEEEZZNS1_29radix_sort_onesweep_iterationIS3_Lb1EN6thrust23THRUST_200600_302600_NS6detail15normal_iteratorINS9_10device_ptrIiEEEESE_PS5_SF_jNS0_19identity_decomposerENS1_16block_id_wrapperIjLb0EEEEE10hipError_tT1_PNSt15iterator_traitsISK_E10value_typeET2_T3_PNSL_ISQ_E10value_typeET4_T5_PSV_SW_PNS1_23onesweep_lookback_stateEbbT6_jjT7_P12ihipStream_tbENKUlT_T0_SK_SP_E_clISE_SE_SF_SF_EEDaS13_S14_SK_SP_EUlS13_E_NS1_11comp_targetILNS1_3genE4ELNS1_11target_archE910ELNS1_3gpuE8ELNS1_3repE0EEENS1_47radix_sort_onesweep_sort_config_static_selectorELNS0_4arch9wavefront6targetE1EEEvSK_
; %bb.0:
	.section	.rodata,"a",@progbits
	.p2align	6, 0x0
	.amdhsa_kernel _ZN7rocprim17ROCPRIM_400000_NS6detail17trampoline_kernelINS0_14default_configENS1_35radix_sort_onesweep_config_selectorIiNS0_10empty_typeEEEZZNS1_29radix_sort_onesweep_iterationIS3_Lb1EN6thrust23THRUST_200600_302600_NS6detail15normal_iteratorINS9_10device_ptrIiEEEESE_PS5_SF_jNS0_19identity_decomposerENS1_16block_id_wrapperIjLb0EEEEE10hipError_tT1_PNSt15iterator_traitsISK_E10value_typeET2_T3_PNSL_ISQ_E10value_typeET4_T5_PSV_SW_PNS1_23onesweep_lookback_stateEbbT6_jjT7_P12ihipStream_tbENKUlT_T0_SK_SP_E_clISE_SE_SF_SF_EEDaS13_S14_SK_SP_EUlS13_E_NS1_11comp_targetILNS1_3genE4ELNS1_11target_archE910ELNS1_3gpuE8ELNS1_3repE0EEENS1_47radix_sort_onesweep_sort_config_static_selectorELNS0_4arch9wavefront6targetE1EEEvSK_
		.amdhsa_group_segment_fixed_size 0
		.amdhsa_private_segment_fixed_size 0
		.amdhsa_kernarg_size 88
		.amdhsa_user_sgpr_count 2
		.amdhsa_user_sgpr_dispatch_ptr 0
		.amdhsa_user_sgpr_queue_ptr 0
		.amdhsa_user_sgpr_kernarg_segment_ptr 1
		.amdhsa_user_sgpr_dispatch_id 0
		.amdhsa_user_sgpr_kernarg_preload_length 0
		.amdhsa_user_sgpr_kernarg_preload_offset 0
		.amdhsa_user_sgpr_private_segment_size 0
		.amdhsa_uses_dynamic_stack 0
		.amdhsa_enable_private_segment 0
		.amdhsa_system_sgpr_workgroup_id_x 1
		.amdhsa_system_sgpr_workgroup_id_y 0
		.amdhsa_system_sgpr_workgroup_id_z 0
		.amdhsa_system_sgpr_workgroup_info 0
		.amdhsa_system_vgpr_workitem_id 0
		.amdhsa_next_free_vgpr 1
		.amdhsa_next_free_sgpr 0
		.amdhsa_accum_offset 4
		.amdhsa_reserve_vcc 0
		.amdhsa_float_round_mode_32 0
		.amdhsa_float_round_mode_16_64 0
		.amdhsa_float_denorm_mode_32 3
		.amdhsa_float_denorm_mode_16_64 3
		.amdhsa_dx10_clamp 1
		.amdhsa_ieee_mode 1
		.amdhsa_fp16_overflow 0
		.amdhsa_tg_split 0
		.amdhsa_exception_fp_ieee_invalid_op 0
		.amdhsa_exception_fp_denorm_src 0
		.amdhsa_exception_fp_ieee_div_zero 0
		.amdhsa_exception_fp_ieee_overflow 0
		.amdhsa_exception_fp_ieee_underflow 0
		.amdhsa_exception_fp_ieee_inexact 0
		.amdhsa_exception_int_div_zero 0
	.end_amdhsa_kernel
	.section	.text._ZN7rocprim17ROCPRIM_400000_NS6detail17trampoline_kernelINS0_14default_configENS1_35radix_sort_onesweep_config_selectorIiNS0_10empty_typeEEEZZNS1_29radix_sort_onesweep_iterationIS3_Lb1EN6thrust23THRUST_200600_302600_NS6detail15normal_iteratorINS9_10device_ptrIiEEEESE_PS5_SF_jNS0_19identity_decomposerENS1_16block_id_wrapperIjLb0EEEEE10hipError_tT1_PNSt15iterator_traitsISK_E10value_typeET2_T3_PNSL_ISQ_E10value_typeET4_T5_PSV_SW_PNS1_23onesweep_lookback_stateEbbT6_jjT7_P12ihipStream_tbENKUlT_T0_SK_SP_E_clISE_SE_SF_SF_EEDaS13_S14_SK_SP_EUlS13_E_NS1_11comp_targetILNS1_3genE4ELNS1_11target_archE910ELNS1_3gpuE8ELNS1_3repE0EEENS1_47radix_sort_onesweep_sort_config_static_selectorELNS0_4arch9wavefront6targetE1EEEvSK_,"axG",@progbits,_ZN7rocprim17ROCPRIM_400000_NS6detail17trampoline_kernelINS0_14default_configENS1_35radix_sort_onesweep_config_selectorIiNS0_10empty_typeEEEZZNS1_29radix_sort_onesweep_iterationIS3_Lb1EN6thrust23THRUST_200600_302600_NS6detail15normal_iteratorINS9_10device_ptrIiEEEESE_PS5_SF_jNS0_19identity_decomposerENS1_16block_id_wrapperIjLb0EEEEE10hipError_tT1_PNSt15iterator_traitsISK_E10value_typeET2_T3_PNSL_ISQ_E10value_typeET4_T5_PSV_SW_PNS1_23onesweep_lookback_stateEbbT6_jjT7_P12ihipStream_tbENKUlT_T0_SK_SP_E_clISE_SE_SF_SF_EEDaS13_S14_SK_SP_EUlS13_E_NS1_11comp_targetILNS1_3genE4ELNS1_11target_archE910ELNS1_3gpuE8ELNS1_3repE0EEENS1_47radix_sort_onesweep_sort_config_static_selectorELNS0_4arch9wavefront6targetE1EEEvSK_,comdat
.Lfunc_end367:
	.size	_ZN7rocprim17ROCPRIM_400000_NS6detail17trampoline_kernelINS0_14default_configENS1_35radix_sort_onesweep_config_selectorIiNS0_10empty_typeEEEZZNS1_29radix_sort_onesweep_iterationIS3_Lb1EN6thrust23THRUST_200600_302600_NS6detail15normal_iteratorINS9_10device_ptrIiEEEESE_PS5_SF_jNS0_19identity_decomposerENS1_16block_id_wrapperIjLb0EEEEE10hipError_tT1_PNSt15iterator_traitsISK_E10value_typeET2_T3_PNSL_ISQ_E10value_typeET4_T5_PSV_SW_PNS1_23onesweep_lookback_stateEbbT6_jjT7_P12ihipStream_tbENKUlT_T0_SK_SP_E_clISE_SE_SF_SF_EEDaS13_S14_SK_SP_EUlS13_E_NS1_11comp_targetILNS1_3genE4ELNS1_11target_archE910ELNS1_3gpuE8ELNS1_3repE0EEENS1_47radix_sort_onesweep_sort_config_static_selectorELNS0_4arch9wavefront6targetE1EEEvSK_, .Lfunc_end367-_ZN7rocprim17ROCPRIM_400000_NS6detail17trampoline_kernelINS0_14default_configENS1_35radix_sort_onesweep_config_selectorIiNS0_10empty_typeEEEZZNS1_29radix_sort_onesweep_iterationIS3_Lb1EN6thrust23THRUST_200600_302600_NS6detail15normal_iteratorINS9_10device_ptrIiEEEESE_PS5_SF_jNS0_19identity_decomposerENS1_16block_id_wrapperIjLb0EEEEE10hipError_tT1_PNSt15iterator_traitsISK_E10value_typeET2_T3_PNSL_ISQ_E10value_typeET4_T5_PSV_SW_PNS1_23onesweep_lookback_stateEbbT6_jjT7_P12ihipStream_tbENKUlT_T0_SK_SP_E_clISE_SE_SF_SF_EEDaS13_S14_SK_SP_EUlS13_E_NS1_11comp_targetILNS1_3genE4ELNS1_11target_archE910ELNS1_3gpuE8ELNS1_3repE0EEENS1_47radix_sort_onesweep_sort_config_static_selectorELNS0_4arch9wavefront6targetE1EEEvSK_
                                        ; -- End function
	.set _ZN7rocprim17ROCPRIM_400000_NS6detail17trampoline_kernelINS0_14default_configENS1_35radix_sort_onesweep_config_selectorIiNS0_10empty_typeEEEZZNS1_29radix_sort_onesweep_iterationIS3_Lb1EN6thrust23THRUST_200600_302600_NS6detail15normal_iteratorINS9_10device_ptrIiEEEESE_PS5_SF_jNS0_19identity_decomposerENS1_16block_id_wrapperIjLb0EEEEE10hipError_tT1_PNSt15iterator_traitsISK_E10value_typeET2_T3_PNSL_ISQ_E10value_typeET4_T5_PSV_SW_PNS1_23onesweep_lookback_stateEbbT6_jjT7_P12ihipStream_tbENKUlT_T0_SK_SP_E_clISE_SE_SF_SF_EEDaS13_S14_SK_SP_EUlS13_E_NS1_11comp_targetILNS1_3genE4ELNS1_11target_archE910ELNS1_3gpuE8ELNS1_3repE0EEENS1_47radix_sort_onesweep_sort_config_static_selectorELNS0_4arch9wavefront6targetE1EEEvSK_.num_vgpr, 0
	.set _ZN7rocprim17ROCPRIM_400000_NS6detail17trampoline_kernelINS0_14default_configENS1_35radix_sort_onesweep_config_selectorIiNS0_10empty_typeEEEZZNS1_29radix_sort_onesweep_iterationIS3_Lb1EN6thrust23THRUST_200600_302600_NS6detail15normal_iteratorINS9_10device_ptrIiEEEESE_PS5_SF_jNS0_19identity_decomposerENS1_16block_id_wrapperIjLb0EEEEE10hipError_tT1_PNSt15iterator_traitsISK_E10value_typeET2_T3_PNSL_ISQ_E10value_typeET4_T5_PSV_SW_PNS1_23onesweep_lookback_stateEbbT6_jjT7_P12ihipStream_tbENKUlT_T0_SK_SP_E_clISE_SE_SF_SF_EEDaS13_S14_SK_SP_EUlS13_E_NS1_11comp_targetILNS1_3genE4ELNS1_11target_archE910ELNS1_3gpuE8ELNS1_3repE0EEENS1_47radix_sort_onesweep_sort_config_static_selectorELNS0_4arch9wavefront6targetE1EEEvSK_.num_agpr, 0
	.set _ZN7rocprim17ROCPRIM_400000_NS6detail17trampoline_kernelINS0_14default_configENS1_35radix_sort_onesweep_config_selectorIiNS0_10empty_typeEEEZZNS1_29radix_sort_onesweep_iterationIS3_Lb1EN6thrust23THRUST_200600_302600_NS6detail15normal_iteratorINS9_10device_ptrIiEEEESE_PS5_SF_jNS0_19identity_decomposerENS1_16block_id_wrapperIjLb0EEEEE10hipError_tT1_PNSt15iterator_traitsISK_E10value_typeET2_T3_PNSL_ISQ_E10value_typeET4_T5_PSV_SW_PNS1_23onesweep_lookback_stateEbbT6_jjT7_P12ihipStream_tbENKUlT_T0_SK_SP_E_clISE_SE_SF_SF_EEDaS13_S14_SK_SP_EUlS13_E_NS1_11comp_targetILNS1_3genE4ELNS1_11target_archE910ELNS1_3gpuE8ELNS1_3repE0EEENS1_47radix_sort_onesweep_sort_config_static_selectorELNS0_4arch9wavefront6targetE1EEEvSK_.numbered_sgpr, 0
	.set _ZN7rocprim17ROCPRIM_400000_NS6detail17trampoline_kernelINS0_14default_configENS1_35radix_sort_onesweep_config_selectorIiNS0_10empty_typeEEEZZNS1_29radix_sort_onesweep_iterationIS3_Lb1EN6thrust23THRUST_200600_302600_NS6detail15normal_iteratorINS9_10device_ptrIiEEEESE_PS5_SF_jNS0_19identity_decomposerENS1_16block_id_wrapperIjLb0EEEEE10hipError_tT1_PNSt15iterator_traitsISK_E10value_typeET2_T3_PNSL_ISQ_E10value_typeET4_T5_PSV_SW_PNS1_23onesweep_lookback_stateEbbT6_jjT7_P12ihipStream_tbENKUlT_T0_SK_SP_E_clISE_SE_SF_SF_EEDaS13_S14_SK_SP_EUlS13_E_NS1_11comp_targetILNS1_3genE4ELNS1_11target_archE910ELNS1_3gpuE8ELNS1_3repE0EEENS1_47radix_sort_onesweep_sort_config_static_selectorELNS0_4arch9wavefront6targetE1EEEvSK_.num_named_barrier, 0
	.set _ZN7rocprim17ROCPRIM_400000_NS6detail17trampoline_kernelINS0_14default_configENS1_35radix_sort_onesweep_config_selectorIiNS0_10empty_typeEEEZZNS1_29radix_sort_onesweep_iterationIS3_Lb1EN6thrust23THRUST_200600_302600_NS6detail15normal_iteratorINS9_10device_ptrIiEEEESE_PS5_SF_jNS0_19identity_decomposerENS1_16block_id_wrapperIjLb0EEEEE10hipError_tT1_PNSt15iterator_traitsISK_E10value_typeET2_T3_PNSL_ISQ_E10value_typeET4_T5_PSV_SW_PNS1_23onesweep_lookback_stateEbbT6_jjT7_P12ihipStream_tbENKUlT_T0_SK_SP_E_clISE_SE_SF_SF_EEDaS13_S14_SK_SP_EUlS13_E_NS1_11comp_targetILNS1_3genE4ELNS1_11target_archE910ELNS1_3gpuE8ELNS1_3repE0EEENS1_47radix_sort_onesweep_sort_config_static_selectorELNS0_4arch9wavefront6targetE1EEEvSK_.private_seg_size, 0
	.set _ZN7rocprim17ROCPRIM_400000_NS6detail17trampoline_kernelINS0_14default_configENS1_35radix_sort_onesweep_config_selectorIiNS0_10empty_typeEEEZZNS1_29radix_sort_onesweep_iterationIS3_Lb1EN6thrust23THRUST_200600_302600_NS6detail15normal_iteratorINS9_10device_ptrIiEEEESE_PS5_SF_jNS0_19identity_decomposerENS1_16block_id_wrapperIjLb0EEEEE10hipError_tT1_PNSt15iterator_traitsISK_E10value_typeET2_T3_PNSL_ISQ_E10value_typeET4_T5_PSV_SW_PNS1_23onesweep_lookback_stateEbbT6_jjT7_P12ihipStream_tbENKUlT_T0_SK_SP_E_clISE_SE_SF_SF_EEDaS13_S14_SK_SP_EUlS13_E_NS1_11comp_targetILNS1_3genE4ELNS1_11target_archE910ELNS1_3gpuE8ELNS1_3repE0EEENS1_47radix_sort_onesweep_sort_config_static_selectorELNS0_4arch9wavefront6targetE1EEEvSK_.uses_vcc, 0
	.set _ZN7rocprim17ROCPRIM_400000_NS6detail17trampoline_kernelINS0_14default_configENS1_35radix_sort_onesweep_config_selectorIiNS0_10empty_typeEEEZZNS1_29radix_sort_onesweep_iterationIS3_Lb1EN6thrust23THRUST_200600_302600_NS6detail15normal_iteratorINS9_10device_ptrIiEEEESE_PS5_SF_jNS0_19identity_decomposerENS1_16block_id_wrapperIjLb0EEEEE10hipError_tT1_PNSt15iterator_traitsISK_E10value_typeET2_T3_PNSL_ISQ_E10value_typeET4_T5_PSV_SW_PNS1_23onesweep_lookback_stateEbbT6_jjT7_P12ihipStream_tbENKUlT_T0_SK_SP_E_clISE_SE_SF_SF_EEDaS13_S14_SK_SP_EUlS13_E_NS1_11comp_targetILNS1_3genE4ELNS1_11target_archE910ELNS1_3gpuE8ELNS1_3repE0EEENS1_47radix_sort_onesweep_sort_config_static_selectorELNS0_4arch9wavefront6targetE1EEEvSK_.uses_flat_scratch, 0
	.set _ZN7rocprim17ROCPRIM_400000_NS6detail17trampoline_kernelINS0_14default_configENS1_35radix_sort_onesweep_config_selectorIiNS0_10empty_typeEEEZZNS1_29radix_sort_onesweep_iterationIS3_Lb1EN6thrust23THRUST_200600_302600_NS6detail15normal_iteratorINS9_10device_ptrIiEEEESE_PS5_SF_jNS0_19identity_decomposerENS1_16block_id_wrapperIjLb0EEEEE10hipError_tT1_PNSt15iterator_traitsISK_E10value_typeET2_T3_PNSL_ISQ_E10value_typeET4_T5_PSV_SW_PNS1_23onesweep_lookback_stateEbbT6_jjT7_P12ihipStream_tbENKUlT_T0_SK_SP_E_clISE_SE_SF_SF_EEDaS13_S14_SK_SP_EUlS13_E_NS1_11comp_targetILNS1_3genE4ELNS1_11target_archE910ELNS1_3gpuE8ELNS1_3repE0EEENS1_47radix_sort_onesweep_sort_config_static_selectorELNS0_4arch9wavefront6targetE1EEEvSK_.has_dyn_sized_stack, 0
	.set _ZN7rocprim17ROCPRIM_400000_NS6detail17trampoline_kernelINS0_14default_configENS1_35radix_sort_onesweep_config_selectorIiNS0_10empty_typeEEEZZNS1_29radix_sort_onesweep_iterationIS3_Lb1EN6thrust23THRUST_200600_302600_NS6detail15normal_iteratorINS9_10device_ptrIiEEEESE_PS5_SF_jNS0_19identity_decomposerENS1_16block_id_wrapperIjLb0EEEEE10hipError_tT1_PNSt15iterator_traitsISK_E10value_typeET2_T3_PNSL_ISQ_E10value_typeET4_T5_PSV_SW_PNS1_23onesweep_lookback_stateEbbT6_jjT7_P12ihipStream_tbENKUlT_T0_SK_SP_E_clISE_SE_SF_SF_EEDaS13_S14_SK_SP_EUlS13_E_NS1_11comp_targetILNS1_3genE4ELNS1_11target_archE910ELNS1_3gpuE8ELNS1_3repE0EEENS1_47radix_sort_onesweep_sort_config_static_selectorELNS0_4arch9wavefront6targetE1EEEvSK_.has_recursion, 0
	.set _ZN7rocprim17ROCPRIM_400000_NS6detail17trampoline_kernelINS0_14default_configENS1_35radix_sort_onesweep_config_selectorIiNS0_10empty_typeEEEZZNS1_29radix_sort_onesweep_iterationIS3_Lb1EN6thrust23THRUST_200600_302600_NS6detail15normal_iteratorINS9_10device_ptrIiEEEESE_PS5_SF_jNS0_19identity_decomposerENS1_16block_id_wrapperIjLb0EEEEE10hipError_tT1_PNSt15iterator_traitsISK_E10value_typeET2_T3_PNSL_ISQ_E10value_typeET4_T5_PSV_SW_PNS1_23onesweep_lookback_stateEbbT6_jjT7_P12ihipStream_tbENKUlT_T0_SK_SP_E_clISE_SE_SF_SF_EEDaS13_S14_SK_SP_EUlS13_E_NS1_11comp_targetILNS1_3genE4ELNS1_11target_archE910ELNS1_3gpuE8ELNS1_3repE0EEENS1_47radix_sort_onesweep_sort_config_static_selectorELNS0_4arch9wavefront6targetE1EEEvSK_.has_indirect_call, 0
	.section	.AMDGPU.csdata,"",@progbits
; Kernel info:
; codeLenInByte = 0
; TotalNumSgprs: 6
; NumVgprs: 0
; NumAgprs: 0
; TotalNumVgprs: 0
; ScratchSize: 0
; MemoryBound: 0
; FloatMode: 240
; IeeeMode: 1
; LDSByteSize: 0 bytes/workgroup (compile time only)
; SGPRBlocks: 0
; VGPRBlocks: 0
; NumSGPRsForWavesPerEU: 6
; NumVGPRsForWavesPerEU: 1
; AccumOffset: 4
; Occupancy: 8
; WaveLimiterHint : 0
; COMPUTE_PGM_RSRC2:SCRATCH_EN: 0
; COMPUTE_PGM_RSRC2:USER_SGPR: 2
; COMPUTE_PGM_RSRC2:TRAP_HANDLER: 0
; COMPUTE_PGM_RSRC2:TGID_X_EN: 1
; COMPUTE_PGM_RSRC2:TGID_Y_EN: 0
; COMPUTE_PGM_RSRC2:TGID_Z_EN: 0
; COMPUTE_PGM_RSRC2:TIDIG_COMP_CNT: 0
; COMPUTE_PGM_RSRC3_GFX90A:ACCUM_OFFSET: 0
; COMPUTE_PGM_RSRC3_GFX90A:TG_SPLIT: 0
	.section	.text._ZN7rocprim17ROCPRIM_400000_NS6detail17trampoline_kernelINS0_14default_configENS1_35radix_sort_onesweep_config_selectorIiNS0_10empty_typeEEEZZNS1_29radix_sort_onesweep_iterationIS3_Lb1EN6thrust23THRUST_200600_302600_NS6detail15normal_iteratorINS9_10device_ptrIiEEEESE_PS5_SF_jNS0_19identity_decomposerENS1_16block_id_wrapperIjLb0EEEEE10hipError_tT1_PNSt15iterator_traitsISK_E10value_typeET2_T3_PNSL_ISQ_E10value_typeET4_T5_PSV_SW_PNS1_23onesweep_lookback_stateEbbT6_jjT7_P12ihipStream_tbENKUlT_T0_SK_SP_E_clISE_SE_SF_SF_EEDaS13_S14_SK_SP_EUlS13_E_NS1_11comp_targetILNS1_3genE3ELNS1_11target_archE908ELNS1_3gpuE7ELNS1_3repE0EEENS1_47radix_sort_onesweep_sort_config_static_selectorELNS0_4arch9wavefront6targetE1EEEvSK_,"axG",@progbits,_ZN7rocprim17ROCPRIM_400000_NS6detail17trampoline_kernelINS0_14default_configENS1_35radix_sort_onesweep_config_selectorIiNS0_10empty_typeEEEZZNS1_29radix_sort_onesweep_iterationIS3_Lb1EN6thrust23THRUST_200600_302600_NS6detail15normal_iteratorINS9_10device_ptrIiEEEESE_PS5_SF_jNS0_19identity_decomposerENS1_16block_id_wrapperIjLb0EEEEE10hipError_tT1_PNSt15iterator_traitsISK_E10value_typeET2_T3_PNSL_ISQ_E10value_typeET4_T5_PSV_SW_PNS1_23onesweep_lookback_stateEbbT6_jjT7_P12ihipStream_tbENKUlT_T0_SK_SP_E_clISE_SE_SF_SF_EEDaS13_S14_SK_SP_EUlS13_E_NS1_11comp_targetILNS1_3genE3ELNS1_11target_archE908ELNS1_3gpuE7ELNS1_3repE0EEENS1_47radix_sort_onesweep_sort_config_static_selectorELNS0_4arch9wavefront6targetE1EEEvSK_,comdat
	.protected	_ZN7rocprim17ROCPRIM_400000_NS6detail17trampoline_kernelINS0_14default_configENS1_35radix_sort_onesweep_config_selectorIiNS0_10empty_typeEEEZZNS1_29radix_sort_onesweep_iterationIS3_Lb1EN6thrust23THRUST_200600_302600_NS6detail15normal_iteratorINS9_10device_ptrIiEEEESE_PS5_SF_jNS0_19identity_decomposerENS1_16block_id_wrapperIjLb0EEEEE10hipError_tT1_PNSt15iterator_traitsISK_E10value_typeET2_T3_PNSL_ISQ_E10value_typeET4_T5_PSV_SW_PNS1_23onesweep_lookback_stateEbbT6_jjT7_P12ihipStream_tbENKUlT_T0_SK_SP_E_clISE_SE_SF_SF_EEDaS13_S14_SK_SP_EUlS13_E_NS1_11comp_targetILNS1_3genE3ELNS1_11target_archE908ELNS1_3gpuE7ELNS1_3repE0EEENS1_47radix_sort_onesweep_sort_config_static_selectorELNS0_4arch9wavefront6targetE1EEEvSK_ ; -- Begin function _ZN7rocprim17ROCPRIM_400000_NS6detail17trampoline_kernelINS0_14default_configENS1_35radix_sort_onesweep_config_selectorIiNS0_10empty_typeEEEZZNS1_29radix_sort_onesweep_iterationIS3_Lb1EN6thrust23THRUST_200600_302600_NS6detail15normal_iteratorINS9_10device_ptrIiEEEESE_PS5_SF_jNS0_19identity_decomposerENS1_16block_id_wrapperIjLb0EEEEE10hipError_tT1_PNSt15iterator_traitsISK_E10value_typeET2_T3_PNSL_ISQ_E10value_typeET4_T5_PSV_SW_PNS1_23onesweep_lookback_stateEbbT6_jjT7_P12ihipStream_tbENKUlT_T0_SK_SP_E_clISE_SE_SF_SF_EEDaS13_S14_SK_SP_EUlS13_E_NS1_11comp_targetILNS1_3genE3ELNS1_11target_archE908ELNS1_3gpuE7ELNS1_3repE0EEENS1_47radix_sort_onesweep_sort_config_static_selectorELNS0_4arch9wavefront6targetE1EEEvSK_
	.globl	_ZN7rocprim17ROCPRIM_400000_NS6detail17trampoline_kernelINS0_14default_configENS1_35radix_sort_onesweep_config_selectorIiNS0_10empty_typeEEEZZNS1_29radix_sort_onesweep_iterationIS3_Lb1EN6thrust23THRUST_200600_302600_NS6detail15normal_iteratorINS9_10device_ptrIiEEEESE_PS5_SF_jNS0_19identity_decomposerENS1_16block_id_wrapperIjLb0EEEEE10hipError_tT1_PNSt15iterator_traitsISK_E10value_typeET2_T3_PNSL_ISQ_E10value_typeET4_T5_PSV_SW_PNS1_23onesweep_lookback_stateEbbT6_jjT7_P12ihipStream_tbENKUlT_T0_SK_SP_E_clISE_SE_SF_SF_EEDaS13_S14_SK_SP_EUlS13_E_NS1_11comp_targetILNS1_3genE3ELNS1_11target_archE908ELNS1_3gpuE7ELNS1_3repE0EEENS1_47radix_sort_onesweep_sort_config_static_selectorELNS0_4arch9wavefront6targetE1EEEvSK_
	.p2align	8
	.type	_ZN7rocprim17ROCPRIM_400000_NS6detail17trampoline_kernelINS0_14default_configENS1_35radix_sort_onesweep_config_selectorIiNS0_10empty_typeEEEZZNS1_29radix_sort_onesweep_iterationIS3_Lb1EN6thrust23THRUST_200600_302600_NS6detail15normal_iteratorINS9_10device_ptrIiEEEESE_PS5_SF_jNS0_19identity_decomposerENS1_16block_id_wrapperIjLb0EEEEE10hipError_tT1_PNSt15iterator_traitsISK_E10value_typeET2_T3_PNSL_ISQ_E10value_typeET4_T5_PSV_SW_PNS1_23onesweep_lookback_stateEbbT6_jjT7_P12ihipStream_tbENKUlT_T0_SK_SP_E_clISE_SE_SF_SF_EEDaS13_S14_SK_SP_EUlS13_E_NS1_11comp_targetILNS1_3genE3ELNS1_11target_archE908ELNS1_3gpuE7ELNS1_3repE0EEENS1_47radix_sort_onesweep_sort_config_static_selectorELNS0_4arch9wavefront6targetE1EEEvSK_,@function
_ZN7rocprim17ROCPRIM_400000_NS6detail17trampoline_kernelINS0_14default_configENS1_35radix_sort_onesweep_config_selectorIiNS0_10empty_typeEEEZZNS1_29radix_sort_onesweep_iterationIS3_Lb1EN6thrust23THRUST_200600_302600_NS6detail15normal_iteratorINS9_10device_ptrIiEEEESE_PS5_SF_jNS0_19identity_decomposerENS1_16block_id_wrapperIjLb0EEEEE10hipError_tT1_PNSt15iterator_traitsISK_E10value_typeET2_T3_PNSL_ISQ_E10value_typeET4_T5_PSV_SW_PNS1_23onesweep_lookback_stateEbbT6_jjT7_P12ihipStream_tbENKUlT_T0_SK_SP_E_clISE_SE_SF_SF_EEDaS13_S14_SK_SP_EUlS13_E_NS1_11comp_targetILNS1_3genE3ELNS1_11target_archE908ELNS1_3gpuE7ELNS1_3repE0EEENS1_47radix_sort_onesweep_sort_config_static_selectorELNS0_4arch9wavefront6targetE1EEEvSK_: ; @_ZN7rocprim17ROCPRIM_400000_NS6detail17trampoline_kernelINS0_14default_configENS1_35radix_sort_onesweep_config_selectorIiNS0_10empty_typeEEEZZNS1_29radix_sort_onesweep_iterationIS3_Lb1EN6thrust23THRUST_200600_302600_NS6detail15normal_iteratorINS9_10device_ptrIiEEEESE_PS5_SF_jNS0_19identity_decomposerENS1_16block_id_wrapperIjLb0EEEEE10hipError_tT1_PNSt15iterator_traitsISK_E10value_typeET2_T3_PNSL_ISQ_E10value_typeET4_T5_PSV_SW_PNS1_23onesweep_lookback_stateEbbT6_jjT7_P12ihipStream_tbENKUlT_T0_SK_SP_E_clISE_SE_SF_SF_EEDaS13_S14_SK_SP_EUlS13_E_NS1_11comp_targetILNS1_3genE3ELNS1_11target_archE908ELNS1_3gpuE7ELNS1_3repE0EEENS1_47radix_sort_onesweep_sort_config_static_selectorELNS0_4arch9wavefront6targetE1EEEvSK_
; %bb.0:
	.section	.rodata,"a",@progbits
	.p2align	6, 0x0
	.amdhsa_kernel _ZN7rocprim17ROCPRIM_400000_NS6detail17trampoline_kernelINS0_14default_configENS1_35radix_sort_onesweep_config_selectorIiNS0_10empty_typeEEEZZNS1_29radix_sort_onesweep_iterationIS3_Lb1EN6thrust23THRUST_200600_302600_NS6detail15normal_iteratorINS9_10device_ptrIiEEEESE_PS5_SF_jNS0_19identity_decomposerENS1_16block_id_wrapperIjLb0EEEEE10hipError_tT1_PNSt15iterator_traitsISK_E10value_typeET2_T3_PNSL_ISQ_E10value_typeET4_T5_PSV_SW_PNS1_23onesweep_lookback_stateEbbT6_jjT7_P12ihipStream_tbENKUlT_T0_SK_SP_E_clISE_SE_SF_SF_EEDaS13_S14_SK_SP_EUlS13_E_NS1_11comp_targetILNS1_3genE3ELNS1_11target_archE908ELNS1_3gpuE7ELNS1_3repE0EEENS1_47radix_sort_onesweep_sort_config_static_selectorELNS0_4arch9wavefront6targetE1EEEvSK_
		.amdhsa_group_segment_fixed_size 0
		.amdhsa_private_segment_fixed_size 0
		.amdhsa_kernarg_size 88
		.amdhsa_user_sgpr_count 2
		.amdhsa_user_sgpr_dispatch_ptr 0
		.amdhsa_user_sgpr_queue_ptr 0
		.amdhsa_user_sgpr_kernarg_segment_ptr 1
		.amdhsa_user_sgpr_dispatch_id 0
		.amdhsa_user_sgpr_kernarg_preload_length 0
		.amdhsa_user_sgpr_kernarg_preload_offset 0
		.amdhsa_user_sgpr_private_segment_size 0
		.amdhsa_uses_dynamic_stack 0
		.amdhsa_enable_private_segment 0
		.amdhsa_system_sgpr_workgroup_id_x 1
		.amdhsa_system_sgpr_workgroup_id_y 0
		.amdhsa_system_sgpr_workgroup_id_z 0
		.amdhsa_system_sgpr_workgroup_info 0
		.amdhsa_system_vgpr_workitem_id 0
		.amdhsa_next_free_vgpr 1
		.amdhsa_next_free_sgpr 0
		.amdhsa_accum_offset 4
		.amdhsa_reserve_vcc 0
		.amdhsa_float_round_mode_32 0
		.amdhsa_float_round_mode_16_64 0
		.amdhsa_float_denorm_mode_32 3
		.amdhsa_float_denorm_mode_16_64 3
		.amdhsa_dx10_clamp 1
		.amdhsa_ieee_mode 1
		.amdhsa_fp16_overflow 0
		.amdhsa_tg_split 0
		.amdhsa_exception_fp_ieee_invalid_op 0
		.amdhsa_exception_fp_denorm_src 0
		.amdhsa_exception_fp_ieee_div_zero 0
		.amdhsa_exception_fp_ieee_overflow 0
		.amdhsa_exception_fp_ieee_underflow 0
		.amdhsa_exception_fp_ieee_inexact 0
		.amdhsa_exception_int_div_zero 0
	.end_amdhsa_kernel
	.section	.text._ZN7rocprim17ROCPRIM_400000_NS6detail17trampoline_kernelINS0_14default_configENS1_35radix_sort_onesweep_config_selectorIiNS0_10empty_typeEEEZZNS1_29radix_sort_onesweep_iterationIS3_Lb1EN6thrust23THRUST_200600_302600_NS6detail15normal_iteratorINS9_10device_ptrIiEEEESE_PS5_SF_jNS0_19identity_decomposerENS1_16block_id_wrapperIjLb0EEEEE10hipError_tT1_PNSt15iterator_traitsISK_E10value_typeET2_T3_PNSL_ISQ_E10value_typeET4_T5_PSV_SW_PNS1_23onesweep_lookback_stateEbbT6_jjT7_P12ihipStream_tbENKUlT_T0_SK_SP_E_clISE_SE_SF_SF_EEDaS13_S14_SK_SP_EUlS13_E_NS1_11comp_targetILNS1_3genE3ELNS1_11target_archE908ELNS1_3gpuE7ELNS1_3repE0EEENS1_47radix_sort_onesweep_sort_config_static_selectorELNS0_4arch9wavefront6targetE1EEEvSK_,"axG",@progbits,_ZN7rocprim17ROCPRIM_400000_NS6detail17trampoline_kernelINS0_14default_configENS1_35radix_sort_onesweep_config_selectorIiNS0_10empty_typeEEEZZNS1_29radix_sort_onesweep_iterationIS3_Lb1EN6thrust23THRUST_200600_302600_NS6detail15normal_iteratorINS9_10device_ptrIiEEEESE_PS5_SF_jNS0_19identity_decomposerENS1_16block_id_wrapperIjLb0EEEEE10hipError_tT1_PNSt15iterator_traitsISK_E10value_typeET2_T3_PNSL_ISQ_E10value_typeET4_T5_PSV_SW_PNS1_23onesweep_lookback_stateEbbT6_jjT7_P12ihipStream_tbENKUlT_T0_SK_SP_E_clISE_SE_SF_SF_EEDaS13_S14_SK_SP_EUlS13_E_NS1_11comp_targetILNS1_3genE3ELNS1_11target_archE908ELNS1_3gpuE7ELNS1_3repE0EEENS1_47radix_sort_onesweep_sort_config_static_selectorELNS0_4arch9wavefront6targetE1EEEvSK_,comdat
.Lfunc_end368:
	.size	_ZN7rocprim17ROCPRIM_400000_NS6detail17trampoline_kernelINS0_14default_configENS1_35radix_sort_onesweep_config_selectorIiNS0_10empty_typeEEEZZNS1_29radix_sort_onesweep_iterationIS3_Lb1EN6thrust23THRUST_200600_302600_NS6detail15normal_iteratorINS9_10device_ptrIiEEEESE_PS5_SF_jNS0_19identity_decomposerENS1_16block_id_wrapperIjLb0EEEEE10hipError_tT1_PNSt15iterator_traitsISK_E10value_typeET2_T3_PNSL_ISQ_E10value_typeET4_T5_PSV_SW_PNS1_23onesweep_lookback_stateEbbT6_jjT7_P12ihipStream_tbENKUlT_T0_SK_SP_E_clISE_SE_SF_SF_EEDaS13_S14_SK_SP_EUlS13_E_NS1_11comp_targetILNS1_3genE3ELNS1_11target_archE908ELNS1_3gpuE7ELNS1_3repE0EEENS1_47radix_sort_onesweep_sort_config_static_selectorELNS0_4arch9wavefront6targetE1EEEvSK_, .Lfunc_end368-_ZN7rocprim17ROCPRIM_400000_NS6detail17trampoline_kernelINS0_14default_configENS1_35radix_sort_onesweep_config_selectorIiNS0_10empty_typeEEEZZNS1_29radix_sort_onesweep_iterationIS3_Lb1EN6thrust23THRUST_200600_302600_NS6detail15normal_iteratorINS9_10device_ptrIiEEEESE_PS5_SF_jNS0_19identity_decomposerENS1_16block_id_wrapperIjLb0EEEEE10hipError_tT1_PNSt15iterator_traitsISK_E10value_typeET2_T3_PNSL_ISQ_E10value_typeET4_T5_PSV_SW_PNS1_23onesweep_lookback_stateEbbT6_jjT7_P12ihipStream_tbENKUlT_T0_SK_SP_E_clISE_SE_SF_SF_EEDaS13_S14_SK_SP_EUlS13_E_NS1_11comp_targetILNS1_3genE3ELNS1_11target_archE908ELNS1_3gpuE7ELNS1_3repE0EEENS1_47radix_sort_onesweep_sort_config_static_selectorELNS0_4arch9wavefront6targetE1EEEvSK_
                                        ; -- End function
	.set _ZN7rocprim17ROCPRIM_400000_NS6detail17trampoline_kernelINS0_14default_configENS1_35radix_sort_onesweep_config_selectorIiNS0_10empty_typeEEEZZNS1_29radix_sort_onesweep_iterationIS3_Lb1EN6thrust23THRUST_200600_302600_NS6detail15normal_iteratorINS9_10device_ptrIiEEEESE_PS5_SF_jNS0_19identity_decomposerENS1_16block_id_wrapperIjLb0EEEEE10hipError_tT1_PNSt15iterator_traitsISK_E10value_typeET2_T3_PNSL_ISQ_E10value_typeET4_T5_PSV_SW_PNS1_23onesweep_lookback_stateEbbT6_jjT7_P12ihipStream_tbENKUlT_T0_SK_SP_E_clISE_SE_SF_SF_EEDaS13_S14_SK_SP_EUlS13_E_NS1_11comp_targetILNS1_3genE3ELNS1_11target_archE908ELNS1_3gpuE7ELNS1_3repE0EEENS1_47radix_sort_onesweep_sort_config_static_selectorELNS0_4arch9wavefront6targetE1EEEvSK_.num_vgpr, 0
	.set _ZN7rocprim17ROCPRIM_400000_NS6detail17trampoline_kernelINS0_14default_configENS1_35radix_sort_onesweep_config_selectorIiNS0_10empty_typeEEEZZNS1_29radix_sort_onesweep_iterationIS3_Lb1EN6thrust23THRUST_200600_302600_NS6detail15normal_iteratorINS9_10device_ptrIiEEEESE_PS5_SF_jNS0_19identity_decomposerENS1_16block_id_wrapperIjLb0EEEEE10hipError_tT1_PNSt15iterator_traitsISK_E10value_typeET2_T3_PNSL_ISQ_E10value_typeET4_T5_PSV_SW_PNS1_23onesweep_lookback_stateEbbT6_jjT7_P12ihipStream_tbENKUlT_T0_SK_SP_E_clISE_SE_SF_SF_EEDaS13_S14_SK_SP_EUlS13_E_NS1_11comp_targetILNS1_3genE3ELNS1_11target_archE908ELNS1_3gpuE7ELNS1_3repE0EEENS1_47radix_sort_onesweep_sort_config_static_selectorELNS0_4arch9wavefront6targetE1EEEvSK_.num_agpr, 0
	.set _ZN7rocprim17ROCPRIM_400000_NS6detail17trampoline_kernelINS0_14default_configENS1_35radix_sort_onesweep_config_selectorIiNS0_10empty_typeEEEZZNS1_29radix_sort_onesweep_iterationIS3_Lb1EN6thrust23THRUST_200600_302600_NS6detail15normal_iteratorINS9_10device_ptrIiEEEESE_PS5_SF_jNS0_19identity_decomposerENS1_16block_id_wrapperIjLb0EEEEE10hipError_tT1_PNSt15iterator_traitsISK_E10value_typeET2_T3_PNSL_ISQ_E10value_typeET4_T5_PSV_SW_PNS1_23onesweep_lookback_stateEbbT6_jjT7_P12ihipStream_tbENKUlT_T0_SK_SP_E_clISE_SE_SF_SF_EEDaS13_S14_SK_SP_EUlS13_E_NS1_11comp_targetILNS1_3genE3ELNS1_11target_archE908ELNS1_3gpuE7ELNS1_3repE0EEENS1_47radix_sort_onesweep_sort_config_static_selectorELNS0_4arch9wavefront6targetE1EEEvSK_.numbered_sgpr, 0
	.set _ZN7rocprim17ROCPRIM_400000_NS6detail17trampoline_kernelINS0_14default_configENS1_35radix_sort_onesweep_config_selectorIiNS0_10empty_typeEEEZZNS1_29radix_sort_onesweep_iterationIS3_Lb1EN6thrust23THRUST_200600_302600_NS6detail15normal_iteratorINS9_10device_ptrIiEEEESE_PS5_SF_jNS0_19identity_decomposerENS1_16block_id_wrapperIjLb0EEEEE10hipError_tT1_PNSt15iterator_traitsISK_E10value_typeET2_T3_PNSL_ISQ_E10value_typeET4_T5_PSV_SW_PNS1_23onesweep_lookback_stateEbbT6_jjT7_P12ihipStream_tbENKUlT_T0_SK_SP_E_clISE_SE_SF_SF_EEDaS13_S14_SK_SP_EUlS13_E_NS1_11comp_targetILNS1_3genE3ELNS1_11target_archE908ELNS1_3gpuE7ELNS1_3repE0EEENS1_47radix_sort_onesweep_sort_config_static_selectorELNS0_4arch9wavefront6targetE1EEEvSK_.num_named_barrier, 0
	.set _ZN7rocprim17ROCPRIM_400000_NS6detail17trampoline_kernelINS0_14default_configENS1_35radix_sort_onesweep_config_selectorIiNS0_10empty_typeEEEZZNS1_29radix_sort_onesweep_iterationIS3_Lb1EN6thrust23THRUST_200600_302600_NS6detail15normal_iteratorINS9_10device_ptrIiEEEESE_PS5_SF_jNS0_19identity_decomposerENS1_16block_id_wrapperIjLb0EEEEE10hipError_tT1_PNSt15iterator_traitsISK_E10value_typeET2_T3_PNSL_ISQ_E10value_typeET4_T5_PSV_SW_PNS1_23onesweep_lookback_stateEbbT6_jjT7_P12ihipStream_tbENKUlT_T0_SK_SP_E_clISE_SE_SF_SF_EEDaS13_S14_SK_SP_EUlS13_E_NS1_11comp_targetILNS1_3genE3ELNS1_11target_archE908ELNS1_3gpuE7ELNS1_3repE0EEENS1_47radix_sort_onesweep_sort_config_static_selectorELNS0_4arch9wavefront6targetE1EEEvSK_.private_seg_size, 0
	.set _ZN7rocprim17ROCPRIM_400000_NS6detail17trampoline_kernelINS0_14default_configENS1_35radix_sort_onesweep_config_selectorIiNS0_10empty_typeEEEZZNS1_29radix_sort_onesweep_iterationIS3_Lb1EN6thrust23THRUST_200600_302600_NS6detail15normal_iteratorINS9_10device_ptrIiEEEESE_PS5_SF_jNS0_19identity_decomposerENS1_16block_id_wrapperIjLb0EEEEE10hipError_tT1_PNSt15iterator_traitsISK_E10value_typeET2_T3_PNSL_ISQ_E10value_typeET4_T5_PSV_SW_PNS1_23onesweep_lookback_stateEbbT6_jjT7_P12ihipStream_tbENKUlT_T0_SK_SP_E_clISE_SE_SF_SF_EEDaS13_S14_SK_SP_EUlS13_E_NS1_11comp_targetILNS1_3genE3ELNS1_11target_archE908ELNS1_3gpuE7ELNS1_3repE0EEENS1_47radix_sort_onesweep_sort_config_static_selectorELNS0_4arch9wavefront6targetE1EEEvSK_.uses_vcc, 0
	.set _ZN7rocprim17ROCPRIM_400000_NS6detail17trampoline_kernelINS0_14default_configENS1_35radix_sort_onesweep_config_selectorIiNS0_10empty_typeEEEZZNS1_29radix_sort_onesweep_iterationIS3_Lb1EN6thrust23THRUST_200600_302600_NS6detail15normal_iteratorINS9_10device_ptrIiEEEESE_PS5_SF_jNS0_19identity_decomposerENS1_16block_id_wrapperIjLb0EEEEE10hipError_tT1_PNSt15iterator_traitsISK_E10value_typeET2_T3_PNSL_ISQ_E10value_typeET4_T5_PSV_SW_PNS1_23onesweep_lookback_stateEbbT6_jjT7_P12ihipStream_tbENKUlT_T0_SK_SP_E_clISE_SE_SF_SF_EEDaS13_S14_SK_SP_EUlS13_E_NS1_11comp_targetILNS1_3genE3ELNS1_11target_archE908ELNS1_3gpuE7ELNS1_3repE0EEENS1_47radix_sort_onesweep_sort_config_static_selectorELNS0_4arch9wavefront6targetE1EEEvSK_.uses_flat_scratch, 0
	.set _ZN7rocprim17ROCPRIM_400000_NS6detail17trampoline_kernelINS0_14default_configENS1_35radix_sort_onesweep_config_selectorIiNS0_10empty_typeEEEZZNS1_29radix_sort_onesweep_iterationIS3_Lb1EN6thrust23THRUST_200600_302600_NS6detail15normal_iteratorINS9_10device_ptrIiEEEESE_PS5_SF_jNS0_19identity_decomposerENS1_16block_id_wrapperIjLb0EEEEE10hipError_tT1_PNSt15iterator_traitsISK_E10value_typeET2_T3_PNSL_ISQ_E10value_typeET4_T5_PSV_SW_PNS1_23onesweep_lookback_stateEbbT6_jjT7_P12ihipStream_tbENKUlT_T0_SK_SP_E_clISE_SE_SF_SF_EEDaS13_S14_SK_SP_EUlS13_E_NS1_11comp_targetILNS1_3genE3ELNS1_11target_archE908ELNS1_3gpuE7ELNS1_3repE0EEENS1_47radix_sort_onesweep_sort_config_static_selectorELNS0_4arch9wavefront6targetE1EEEvSK_.has_dyn_sized_stack, 0
	.set _ZN7rocprim17ROCPRIM_400000_NS6detail17trampoline_kernelINS0_14default_configENS1_35radix_sort_onesweep_config_selectorIiNS0_10empty_typeEEEZZNS1_29radix_sort_onesweep_iterationIS3_Lb1EN6thrust23THRUST_200600_302600_NS6detail15normal_iteratorINS9_10device_ptrIiEEEESE_PS5_SF_jNS0_19identity_decomposerENS1_16block_id_wrapperIjLb0EEEEE10hipError_tT1_PNSt15iterator_traitsISK_E10value_typeET2_T3_PNSL_ISQ_E10value_typeET4_T5_PSV_SW_PNS1_23onesweep_lookback_stateEbbT6_jjT7_P12ihipStream_tbENKUlT_T0_SK_SP_E_clISE_SE_SF_SF_EEDaS13_S14_SK_SP_EUlS13_E_NS1_11comp_targetILNS1_3genE3ELNS1_11target_archE908ELNS1_3gpuE7ELNS1_3repE0EEENS1_47radix_sort_onesweep_sort_config_static_selectorELNS0_4arch9wavefront6targetE1EEEvSK_.has_recursion, 0
	.set _ZN7rocprim17ROCPRIM_400000_NS6detail17trampoline_kernelINS0_14default_configENS1_35radix_sort_onesweep_config_selectorIiNS0_10empty_typeEEEZZNS1_29radix_sort_onesweep_iterationIS3_Lb1EN6thrust23THRUST_200600_302600_NS6detail15normal_iteratorINS9_10device_ptrIiEEEESE_PS5_SF_jNS0_19identity_decomposerENS1_16block_id_wrapperIjLb0EEEEE10hipError_tT1_PNSt15iterator_traitsISK_E10value_typeET2_T3_PNSL_ISQ_E10value_typeET4_T5_PSV_SW_PNS1_23onesweep_lookback_stateEbbT6_jjT7_P12ihipStream_tbENKUlT_T0_SK_SP_E_clISE_SE_SF_SF_EEDaS13_S14_SK_SP_EUlS13_E_NS1_11comp_targetILNS1_3genE3ELNS1_11target_archE908ELNS1_3gpuE7ELNS1_3repE0EEENS1_47radix_sort_onesweep_sort_config_static_selectorELNS0_4arch9wavefront6targetE1EEEvSK_.has_indirect_call, 0
	.section	.AMDGPU.csdata,"",@progbits
; Kernel info:
; codeLenInByte = 0
; TotalNumSgprs: 6
; NumVgprs: 0
; NumAgprs: 0
; TotalNumVgprs: 0
; ScratchSize: 0
; MemoryBound: 0
; FloatMode: 240
; IeeeMode: 1
; LDSByteSize: 0 bytes/workgroup (compile time only)
; SGPRBlocks: 0
; VGPRBlocks: 0
; NumSGPRsForWavesPerEU: 6
; NumVGPRsForWavesPerEU: 1
; AccumOffset: 4
; Occupancy: 8
; WaveLimiterHint : 0
; COMPUTE_PGM_RSRC2:SCRATCH_EN: 0
; COMPUTE_PGM_RSRC2:USER_SGPR: 2
; COMPUTE_PGM_RSRC2:TRAP_HANDLER: 0
; COMPUTE_PGM_RSRC2:TGID_X_EN: 1
; COMPUTE_PGM_RSRC2:TGID_Y_EN: 0
; COMPUTE_PGM_RSRC2:TGID_Z_EN: 0
; COMPUTE_PGM_RSRC2:TIDIG_COMP_CNT: 0
; COMPUTE_PGM_RSRC3_GFX90A:ACCUM_OFFSET: 0
; COMPUTE_PGM_RSRC3_GFX90A:TG_SPLIT: 0
	.section	.text._ZN7rocprim17ROCPRIM_400000_NS6detail17trampoline_kernelINS0_14default_configENS1_35radix_sort_onesweep_config_selectorIiNS0_10empty_typeEEEZZNS1_29radix_sort_onesweep_iterationIS3_Lb1EN6thrust23THRUST_200600_302600_NS6detail15normal_iteratorINS9_10device_ptrIiEEEESE_PS5_SF_jNS0_19identity_decomposerENS1_16block_id_wrapperIjLb0EEEEE10hipError_tT1_PNSt15iterator_traitsISK_E10value_typeET2_T3_PNSL_ISQ_E10value_typeET4_T5_PSV_SW_PNS1_23onesweep_lookback_stateEbbT6_jjT7_P12ihipStream_tbENKUlT_T0_SK_SP_E_clISE_SE_SF_SF_EEDaS13_S14_SK_SP_EUlS13_E_NS1_11comp_targetILNS1_3genE10ELNS1_11target_archE1201ELNS1_3gpuE5ELNS1_3repE0EEENS1_47radix_sort_onesweep_sort_config_static_selectorELNS0_4arch9wavefront6targetE1EEEvSK_,"axG",@progbits,_ZN7rocprim17ROCPRIM_400000_NS6detail17trampoline_kernelINS0_14default_configENS1_35radix_sort_onesweep_config_selectorIiNS0_10empty_typeEEEZZNS1_29radix_sort_onesweep_iterationIS3_Lb1EN6thrust23THRUST_200600_302600_NS6detail15normal_iteratorINS9_10device_ptrIiEEEESE_PS5_SF_jNS0_19identity_decomposerENS1_16block_id_wrapperIjLb0EEEEE10hipError_tT1_PNSt15iterator_traitsISK_E10value_typeET2_T3_PNSL_ISQ_E10value_typeET4_T5_PSV_SW_PNS1_23onesweep_lookback_stateEbbT6_jjT7_P12ihipStream_tbENKUlT_T0_SK_SP_E_clISE_SE_SF_SF_EEDaS13_S14_SK_SP_EUlS13_E_NS1_11comp_targetILNS1_3genE10ELNS1_11target_archE1201ELNS1_3gpuE5ELNS1_3repE0EEENS1_47radix_sort_onesweep_sort_config_static_selectorELNS0_4arch9wavefront6targetE1EEEvSK_,comdat
	.protected	_ZN7rocprim17ROCPRIM_400000_NS6detail17trampoline_kernelINS0_14default_configENS1_35radix_sort_onesweep_config_selectorIiNS0_10empty_typeEEEZZNS1_29radix_sort_onesweep_iterationIS3_Lb1EN6thrust23THRUST_200600_302600_NS6detail15normal_iteratorINS9_10device_ptrIiEEEESE_PS5_SF_jNS0_19identity_decomposerENS1_16block_id_wrapperIjLb0EEEEE10hipError_tT1_PNSt15iterator_traitsISK_E10value_typeET2_T3_PNSL_ISQ_E10value_typeET4_T5_PSV_SW_PNS1_23onesweep_lookback_stateEbbT6_jjT7_P12ihipStream_tbENKUlT_T0_SK_SP_E_clISE_SE_SF_SF_EEDaS13_S14_SK_SP_EUlS13_E_NS1_11comp_targetILNS1_3genE10ELNS1_11target_archE1201ELNS1_3gpuE5ELNS1_3repE0EEENS1_47radix_sort_onesweep_sort_config_static_selectorELNS0_4arch9wavefront6targetE1EEEvSK_ ; -- Begin function _ZN7rocprim17ROCPRIM_400000_NS6detail17trampoline_kernelINS0_14default_configENS1_35radix_sort_onesweep_config_selectorIiNS0_10empty_typeEEEZZNS1_29radix_sort_onesweep_iterationIS3_Lb1EN6thrust23THRUST_200600_302600_NS6detail15normal_iteratorINS9_10device_ptrIiEEEESE_PS5_SF_jNS0_19identity_decomposerENS1_16block_id_wrapperIjLb0EEEEE10hipError_tT1_PNSt15iterator_traitsISK_E10value_typeET2_T3_PNSL_ISQ_E10value_typeET4_T5_PSV_SW_PNS1_23onesweep_lookback_stateEbbT6_jjT7_P12ihipStream_tbENKUlT_T0_SK_SP_E_clISE_SE_SF_SF_EEDaS13_S14_SK_SP_EUlS13_E_NS1_11comp_targetILNS1_3genE10ELNS1_11target_archE1201ELNS1_3gpuE5ELNS1_3repE0EEENS1_47radix_sort_onesweep_sort_config_static_selectorELNS0_4arch9wavefront6targetE1EEEvSK_
	.globl	_ZN7rocprim17ROCPRIM_400000_NS6detail17trampoline_kernelINS0_14default_configENS1_35radix_sort_onesweep_config_selectorIiNS0_10empty_typeEEEZZNS1_29radix_sort_onesweep_iterationIS3_Lb1EN6thrust23THRUST_200600_302600_NS6detail15normal_iteratorINS9_10device_ptrIiEEEESE_PS5_SF_jNS0_19identity_decomposerENS1_16block_id_wrapperIjLb0EEEEE10hipError_tT1_PNSt15iterator_traitsISK_E10value_typeET2_T3_PNSL_ISQ_E10value_typeET4_T5_PSV_SW_PNS1_23onesweep_lookback_stateEbbT6_jjT7_P12ihipStream_tbENKUlT_T0_SK_SP_E_clISE_SE_SF_SF_EEDaS13_S14_SK_SP_EUlS13_E_NS1_11comp_targetILNS1_3genE10ELNS1_11target_archE1201ELNS1_3gpuE5ELNS1_3repE0EEENS1_47radix_sort_onesweep_sort_config_static_selectorELNS0_4arch9wavefront6targetE1EEEvSK_
	.p2align	8
	.type	_ZN7rocprim17ROCPRIM_400000_NS6detail17trampoline_kernelINS0_14default_configENS1_35radix_sort_onesweep_config_selectorIiNS0_10empty_typeEEEZZNS1_29radix_sort_onesweep_iterationIS3_Lb1EN6thrust23THRUST_200600_302600_NS6detail15normal_iteratorINS9_10device_ptrIiEEEESE_PS5_SF_jNS0_19identity_decomposerENS1_16block_id_wrapperIjLb0EEEEE10hipError_tT1_PNSt15iterator_traitsISK_E10value_typeET2_T3_PNSL_ISQ_E10value_typeET4_T5_PSV_SW_PNS1_23onesweep_lookback_stateEbbT6_jjT7_P12ihipStream_tbENKUlT_T0_SK_SP_E_clISE_SE_SF_SF_EEDaS13_S14_SK_SP_EUlS13_E_NS1_11comp_targetILNS1_3genE10ELNS1_11target_archE1201ELNS1_3gpuE5ELNS1_3repE0EEENS1_47radix_sort_onesweep_sort_config_static_selectorELNS0_4arch9wavefront6targetE1EEEvSK_,@function
_ZN7rocprim17ROCPRIM_400000_NS6detail17trampoline_kernelINS0_14default_configENS1_35radix_sort_onesweep_config_selectorIiNS0_10empty_typeEEEZZNS1_29radix_sort_onesweep_iterationIS3_Lb1EN6thrust23THRUST_200600_302600_NS6detail15normal_iteratorINS9_10device_ptrIiEEEESE_PS5_SF_jNS0_19identity_decomposerENS1_16block_id_wrapperIjLb0EEEEE10hipError_tT1_PNSt15iterator_traitsISK_E10value_typeET2_T3_PNSL_ISQ_E10value_typeET4_T5_PSV_SW_PNS1_23onesweep_lookback_stateEbbT6_jjT7_P12ihipStream_tbENKUlT_T0_SK_SP_E_clISE_SE_SF_SF_EEDaS13_S14_SK_SP_EUlS13_E_NS1_11comp_targetILNS1_3genE10ELNS1_11target_archE1201ELNS1_3gpuE5ELNS1_3repE0EEENS1_47radix_sort_onesweep_sort_config_static_selectorELNS0_4arch9wavefront6targetE1EEEvSK_: ; @_ZN7rocprim17ROCPRIM_400000_NS6detail17trampoline_kernelINS0_14default_configENS1_35radix_sort_onesweep_config_selectorIiNS0_10empty_typeEEEZZNS1_29radix_sort_onesweep_iterationIS3_Lb1EN6thrust23THRUST_200600_302600_NS6detail15normal_iteratorINS9_10device_ptrIiEEEESE_PS5_SF_jNS0_19identity_decomposerENS1_16block_id_wrapperIjLb0EEEEE10hipError_tT1_PNSt15iterator_traitsISK_E10value_typeET2_T3_PNSL_ISQ_E10value_typeET4_T5_PSV_SW_PNS1_23onesweep_lookback_stateEbbT6_jjT7_P12ihipStream_tbENKUlT_T0_SK_SP_E_clISE_SE_SF_SF_EEDaS13_S14_SK_SP_EUlS13_E_NS1_11comp_targetILNS1_3genE10ELNS1_11target_archE1201ELNS1_3gpuE5ELNS1_3repE0EEENS1_47radix_sort_onesweep_sort_config_static_selectorELNS0_4arch9wavefront6targetE1EEEvSK_
; %bb.0:
	.section	.rodata,"a",@progbits
	.p2align	6, 0x0
	.amdhsa_kernel _ZN7rocprim17ROCPRIM_400000_NS6detail17trampoline_kernelINS0_14default_configENS1_35radix_sort_onesweep_config_selectorIiNS0_10empty_typeEEEZZNS1_29radix_sort_onesweep_iterationIS3_Lb1EN6thrust23THRUST_200600_302600_NS6detail15normal_iteratorINS9_10device_ptrIiEEEESE_PS5_SF_jNS0_19identity_decomposerENS1_16block_id_wrapperIjLb0EEEEE10hipError_tT1_PNSt15iterator_traitsISK_E10value_typeET2_T3_PNSL_ISQ_E10value_typeET4_T5_PSV_SW_PNS1_23onesweep_lookback_stateEbbT6_jjT7_P12ihipStream_tbENKUlT_T0_SK_SP_E_clISE_SE_SF_SF_EEDaS13_S14_SK_SP_EUlS13_E_NS1_11comp_targetILNS1_3genE10ELNS1_11target_archE1201ELNS1_3gpuE5ELNS1_3repE0EEENS1_47radix_sort_onesweep_sort_config_static_selectorELNS0_4arch9wavefront6targetE1EEEvSK_
		.amdhsa_group_segment_fixed_size 0
		.amdhsa_private_segment_fixed_size 0
		.amdhsa_kernarg_size 88
		.amdhsa_user_sgpr_count 2
		.amdhsa_user_sgpr_dispatch_ptr 0
		.amdhsa_user_sgpr_queue_ptr 0
		.amdhsa_user_sgpr_kernarg_segment_ptr 1
		.amdhsa_user_sgpr_dispatch_id 0
		.amdhsa_user_sgpr_kernarg_preload_length 0
		.amdhsa_user_sgpr_kernarg_preload_offset 0
		.amdhsa_user_sgpr_private_segment_size 0
		.amdhsa_uses_dynamic_stack 0
		.amdhsa_enable_private_segment 0
		.amdhsa_system_sgpr_workgroup_id_x 1
		.amdhsa_system_sgpr_workgroup_id_y 0
		.amdhsa_system_sgpr_workgroup_id_z 0
		.amdhsa_system_sgpr_workgroup_info 0
		.amdhsa_system_vgpr_workitem_id 0
		.amdhsa_next_free_vgpr 1
		.amdhsa_next_free_sgpr 0
		.amdhsa_accum_offset 4
		.amdhsa_reserve_vcc 0
		.amdhsa_float_round_mode_32 0
		.amdhsa_float_round_mode_16_64 0
		.amdhsa_float_denorm_mode_32 3
		.amdhsa_float_denorm_mode_16_64 3
		.amdhsa_dx10_clamp 1
		.amdhsa_ieee_mode 1
		.amdhsa_fp16_overflow 0
		.amdhsa_tg_split 0
		.amdhsa_exception_fp_ieee_invalid_op 0
		.amdhsa_exception_fp_denorm_src 0
		.amdhsa_exception_fp_ieee_div_zero 0
		.amdhsa_exception_fp_ieee_overflow 0
		.amdhsa_exception_fp_ieee_underflow 0
		.amdhsa_exception_fp_ieee_inexact 0
		.amdhsa_exception_int_div_zero 0
	.end_amdhsa_kernel
	.section	.text._ZN7rocprim17ROCPRIM_400000_NS6detail17trampoline_kernelINS0_14default_configENS1_35radix_sort_onesweep_config_selectorIiNS0_10empty_typeEEEZZNS1_29radix_sort_onesweep_iterationIS3_Lb1EN6thrust23THRUST_200600_302600_NS6detail15normal_iteratorINS9_10device_ptrIiEEEESE_PS5_SF_jNS0_19identity_decomposerENS1_16block_id_wrapperIjLb0EEEEE10hipError_tT1_PNSt15iterator_traitsISK_E10value_typeET2_T3_PNSL_ISQ_E10value_typeET4_T5_PSV_SW_PNS1_23onesweep_lookback_stateEbbT6_jjT7_P12ihipStream_tbENKUlT_T0_SK_SP_E_clISE_SE_SF_SF_EEDaS13_S14_SK_SP_EUlS13_E_NS1_11comp_targetILNS1_3genE10ELNS1_11target_archE1201ELNS1_3gpuE5ELNS1_3repE0EEENS1_47radix_sort_onesweep_sort_config_static_selectorELNS0_4arch9wavefront6targetE1EEEvSK_,"axG",@progbits,_ZN7rocprim17ROCPRIM_400000_NS6detail17trampoline_kernelINS0_14default_configENS1_35radix_sort_onesweep_config_selectorIiNS0_10empty_typeEEEZZNS1_29radix_sort_onesweep_iterationIS3_Lb1EN6thrust23THRUST_200600_302600_NS6detail15normal_iteratorINS9_10device_ptrIiEEEESE_PS5_SF_jNS0_19identity_decomposerENS1_16block_id_wrapperIjLb0EEEEE10hipError_tT1_PNSt15iterator_traitsISK_E10value_typeET2_T3_PNSL_ISQ_E10value_typeET4_T5_PSV_SW_PNS1_23onesweep_lookback_stateEbbT6_jjT7_P12ihipStream_tbENKUlT_T0_SK_SP_E_clISE_SE_SF_SF_EEDaS13_S14_SK_SP_EUlS13_E_NS1_11comp_targetILNS1_3genE10ELNS1_11target_archE1201ELNS1_3gpuE5ELNS1_3repE0EEENS1_47radix_sort_onesweep_sort_config_static_selectorELNS0_4arch9wavefront6targetE1EEEvSK_,comdat
.Lfunc_end369:
	.size	_ZN7rocprim17ROCPRIM_400000_NS6detail17trampoline_kernelINS0_14default_configENS1_35radix_sort_onesweep_config_selectorIiNS0_10empty_typeEEEZZNS1_29radix_sort_onesweep_iterationIS3_Lb1EN6thrust23THRUST_200600_302600_NS6detail15normal_iteratorINS9_10device_ptrIiEEEESE_PS5_SF_jNS0_19identity_decomposerENS1_16block_id_wrapperIjLb0EEEEE10hipError_tT1_PNSt15iterator_traitsISK_E10value_typeET2_T3_PNSL_ISQ_E10value_typeET4_T5_PSV_SW_PNS1_23onesweep_lookback_stateEbbT6_jjT7_P12ihipStream_tbENKUlT_T0_SK_SP_E_clISE_SE_SF_SF_EEDaS13_S14_SK_SP_EUlS13_E_NS1_11comp_targetILNS1_3genE10ELNS1_11target_archE1201ELNS1_3gpuE5ELNS1_3repE0EEENS1_47radix_sort_onesweep_sort_config_static_selectorELNS0_4arch9wavefront6targetE1EEEvSK_, .Lfunc_end369-_ZN7rocprim17ROCPRIM_400000_NS6detail17trampoline_kernelINS0_14default_configENS1_35radix_sort_onesweep_config_selectorIiNS0_10empty_typeEEEZZNS1_29radix_sort_onesweep_iterationIS3_Lb1EN6thrust23THRUST_200600_302600_NS6detail15normal_iteratorINS9_10device_ptrIiEEEESE_PS5_SF_jNS0_19identity_decomposerENS1_16block_id_wrapperIjLb0EEEEE10hipError_tT1_PNSt15iterator_traitsISK_E10value_typeET2_T3_PNSL_ISQ_E10value_typeET4_T5_PSV_SW_PNS1_23onesweep_lookback_stateEbbT6_jjT7_P12ihipStream_tbENKUlT_T0_SK_SP_E_clISE_SE_SF_SF_EEDaS13_S14_SK_SP_EUlS13_E_NS1_11comp_targetILNS1_3genE10ELNS1_11target_archE1201ELNS1_3gpuE5ELNS1_3repE0EEENS1_47radix_sort_onesweep_sort_config_static_selectorELNS0_4arch9wavefront6targetE1EEEvSK_
                                        ; -- End function
	.set _ZN7rocprim17ROCPRIM_400000_NS6detail17trampoline_kernelINS0_14default_configENS1_35radix_sort_onesweep_config_selectorIiNS0_10empty_typeEEEZZNS1_29radix_sort_onesweep_iterationIS3_Lb1EN6thrust23THRUST_200600_302600_NS6detail15normal_iteratorINS9_10device_ptrIiEEEESE_PS5_SF_jNS0_19identity_decomposerENS1_16block_id_wrapperIjLb0EEEEE10hipError_tT1_PNSt15iterator_traitsISK_E10value_typeET2_T3_PNSL_ISQ_E10value_typeET4_T5_PSV_SW_PNS1_23onesweep_lookback_stateEbbT6_jjT7_P12ihipStream_tbENKUlT_T0_SK_SP_E_clISE_SE_SF_SF_EEDaS13_S14_SK_SP_EUlS13_E_NS1_11comp_targetILNS1_3genE10ELNS1_11target_archE1201ELNS1_3gpuE5ELNS1_3repE0EEENS1_47radix_sort_onesweep_sort_config_static_selectorELNS0_4arch9wavefront6targetE1EEEvSK_.num_vgpr, 0
	.set _ZN7rocprim17ROCPRIM_400000_NS6detail17trampoline_kernelINS0_14default_configENS1_35radix_sort_onesweep_config_selectorIiNS0_10empty_typeEEEZZNS1_29radix_sort_onesweep_iterationIS3_Lb1EN6thrust23THRUST_200600_302600_NS6detail15normal_iteratorINS9_10device_ptrIiEEEESE_PS5_SF_jNS0_19identity_decomposerENS1_16block_id_wrapperIjLb0EEEEE10hipError_tT1_PNSt15iterator_traitsISK_E10value_typeET2_T3_PNSL_ISQ_E10value_typeET4_T5_PSV_SW_PNS1_23onesweep_lookback_stateEbbT6_jjT7_P12ihipStream_tbENKUlT_T0_SK_SP_E_clISE_SE_SF_SF_EEDaS13_S14_SK_SP_EUlS13_E_NS1_11comp_targetILNS1_3genE10ELNS1_11target_archE1201ELNS1_3gpuE5ELNS1_3repE0EEENS1_47radix_sort_onesweep_sort_config_static_selectorELNS0_4arch9wavefront6targetE1EEEvSK_.num_agpr, 0
	.set _ZN7rocprim17ROCPRIM_400000_NS6detail17trampoline_kernelINS0_14default_configENS1_35radix_sort_onesweep_config_selectorIiNS0_10empty_typeEEEZZNS1_29radix_sort_onesweep_iterationIS3_Lb1EN6thrust23THRUST_200600_302600_NS6detail15normal_iteratorINS9_10device_ptrIiEEEESE_PS5_SF_jNS0_19identity_decomposerENS1_16block_id_wrapperIjLb0EEEEE10hipError_tT1_PNSt15iterator_traitsISK_E10value_typeET2_T3_PNSL_ISQ_E10value_typeET4_T5_PSV_SW_PNS1_23onesweep_lookback_stateEbbT6_jjT7_P12ihipStream_tbENKUlT_T0_SK_SP_E_clISE_SE_SF_SF_EEDaS13_S14_SK_SP_EUlS13_E_NS1_11comp_targetILNS1_3genE10ELNS1_11target_archE1201ELNS1_3gpuE5ELNS1_3repE0EEENS1_47radix_sort_onesweep_sort_config_static_selectorELNS0_4arch9wavefront6targetE1EEEvSK_.numbered_sgpr, 0
	.set _ZN7rocprim17ROCPRIM_400000_NS6detail17trampoline_kernelINS0_14default_configENS1_35radix_sort_onesweep_config_selectorIiNS0_10empty_typeEEEZZNS1_29radix_sort_onesweep_iterationIS3_Lb1EN6thrust23THRUST_200600_302600_NS6detail15normal_iteratorINS9_10device_ptrIiEEEESE_PS5_SF_jNS0_19identity_decomposerENS1_16block_id_wrapperIjLb0EEEEE10hipError_tT1_PNSt15iterator_traitsISK_E10value_typeET2_T3_PNSL_ISQ_E10value_typeET4_T5_PSV_SW_PNS1_23onesweep_lookback_stateEbbT6_jjT7_P12ihipStream_tbENKUlT_T0_SK_SP_E_clISE_SE_SF_SF_EEDaS13_S14_SK_SP_EUlS13_E_NS1_11comp_targetILNS1_3genE10ELNS1_11target_archE1201ELNS1_3gpuE5ELNS1_3repE0EEENS1_47radix_sort_onesweep_sort_config_static_selectorELNS0_4arch9wavefront6targetE1EEEvSK_.num_named_barrier, 0
	.set _ZN7rocprim17ROCPRIM_400000_NS6detail17trampoline_kernelINS0_14default_configENS1_35radix_sort_onesweep_config_selectorIiNS0_10empty_typeEEEZZNS1_29radix_sort_onesweep_iterationIS3_Lb1EN6thrust23THRUST_200600_302600_NS6detail15normal_iteratorINS9_10device_ptrIiEEEESE_PS5_SF_jNS0_19identity_decomposerENS1_16block_id_wrapperIjLb0EEEEE10hipError_tT1_PNSt15iterator_traitsISK_E10value_typeET2_T3_PNSL_ISQ_E10value_typeET4_T5_PSV_SW_PNS1_23onesweep_lookback_stateEbbT6_jjT7_P12ihipStream_tbENKUlT_T0_SK_SP_E_clISE_SE_SF_SF_EEDaS13_S14_SK_SP_EUlS13_E_NS1_11comp_targetILNS1_3genE10ELNS1_11target_archE1201ELNS1_3gpuE5ELNS1_3repE0EEENS1_47radix_sort_onesweep_sort_config_static_selectorELNS0_4arch9wavefront6targetE1EEEvSK_.private_seg_size, 0
	.set _ZN7rocprim17ROCPRIM_400000_NS6detail17trampoline_kernelINS0_14default_configENS1_35radix_sort_onesweep_config_selectorIiNS0_10empty_typeEEEZZNS1_29radix_sort_onesweep_iterationIS3_Lb1EN6thrust23THRUST_200600_302600_NS6detail15normal_iteratorINS9_10device_ptrIiEEEESE_PS5_SF_jNS0_19identity_decomposerENS1_16block_id_wrapperIjLb0EEEEE10hipError_tT1_PNSt15iterator_traitsISK_E10value_typeET2_T3_PNSL_ISQ_E10value_typeET4_T5_PSV_SW_PNS1_23onesweep_lookback_stateEbbT6_jjT7_P12ihipStream_tbENKUlT_T0_SK_SP_E_clISE_SE_SF_SF_EEDaS13_S14_SK_SP_EUlS13_E_NS1_11comp_targetILNS1_3genE10ELNS1_11target_archE1201ELNS1_3gpuE5ELNS1_3repE0EEENS1_47radix_sort_onesweep_sort_config_static_selectorELNS0_4arch9wavefront6targetE1EEEvSK_.uses_vcc, 0
	.set _ZN7rocprim17ROCPRIM_400000_NS6detail17trampoline_kernelINS0_14default_configENS1_35radix_sort_onesweep_config_selectorIiNS0_10empty_typeEEEZZNS1_29radix_sort_onesweep_iterationIS3_Lb1EN6thrust23THRUST_200600_302600_NS6detail15normal_iteratorINS9_10device_ptrIiEEEESE_PS5_SF_jNS0_19identity_decomposerENS1_16block_id_wrapperIjLb0EEEEE10hipError_tT1_PNSt15iterator_traitsISK_E10value_typeET2_T3_PNSL_ISQ_E10value_typeET4_T5_PSV_SW_PNS1_23onesweep_lookback_stateEbbT6_jjT7_P12ihipStream_tbENKUlT_T0_SK_SP_E_clISE_SE_SF_SF_EEDaS13_S14_SK_SP_EUlS13_E_NS1_11comp_targetILNS1_3genE10ELNS1_11target_archE1201ELNS1_3gpuE5ELNS1_3repE0EEENS1_47radix_sort_onesweep_sort_config_static_selectorELNS0_4arch9wavefront6targetE1EEEvSK_.uses_flat_scratch, 0
	.set _ZN7rocprim17ROCPRIM_400000_NS6detail17trampoline_kernelINS0_14default_configENS1_35radix_sort_onesweep_config_selectorIiNS0_10empty_typeEEEZZNS1_29radix_sort_onesweep_iterationIS3_Lb1EN6thrust23THRUST_200600_302600_NS6detail15normal_iteratorINS9_10device_ptrIiEEEESE_PS5_SF_jNS0_19identity_decomposerENS1_16block_id_wrapperIjLb0EEEEE10hipError_tT1_PNSt15iterator_traitsISK_E10value_typeET2_T3_PNSL_ISQ_E10value_typeET4_T5_PSV_SW_PNS1_23onesweep_lookback_stateEbbT6_jjT7_P12ihipStream_tbENKUlT_T0_SK_SP_E_clISE_SE_SF_SF_EEDaS13_S14_SK_SP_EUlS13_E_NS1_11comp_targetILNS1_3genE10ELNS1_11target_archE1201ELNS1_3gpuE5ELNS1_3repE0EEENS1_47radix_sort_onesweep_sort_config_static_selectorELNS0_4arch9wavefront6targetE1EEEvSK_.has_dyn_sized_stack, 0
	.set _ZN7rocprim17ROCPRIM_400000_NS6detail17trampoline_kernelINS0_14default_configENS1_35radix_sort_onesweep_config_selectorIiNS0_10empty_typeEEEZZNS1_29radix_sort_onesweep_iterationIS3_Lb1EN6thrust23THRUST_200600_302600_NS6detail15normal_iteratorINS9_10device_ptrIiEEEESE_PS5_SF_jNS0_19identity_decomposerENS1_16block_id_wrapperIjLb0EEEEE10hipError_tT1_PNSt15iterator_traitsISK_E10value_typeET2_T3_PNSL_ISQ_E10value_typeET4_T5_PSV_SW_PNS1_23onesweep_lookback_stateEbbT6_jjT7_P12ihipStream_tbENKUlT_T0_SK_SP_E_clISE_SE_SF_SF_EEDaS13_S14_SK_SP_EUlS13_E_NS1_11comp_targetILNS1_3genE10ELNS1_11target_archE1201ELNS1_3gpuE5ELNS1_3repE0EEENS1_47radix_sort_onesweep_sort_config_static_selectorELNS0_4arch9wavefront6targetE1EEEvSK_.has_recursion, 0
	.set _ZN7rocprim17ROCPRIM_400000_NS6detail17trampoline_kernelINS0_14default_configENS1_35radix_sort_onesweep_config_selectorIiNS0_10empty_typeEEEZZNS1_29radix_sort_onesweep_iterationIS3_Lb1EN6thrust23THRUST_200600_302600_NS6detail15normal_iteratorINS9_10device_ptrIiEEEESE_PS5_SF_jNS0_19identity_decomposerENS1_16block_id_wrapperIjLb0EEEEE10hipError_tT1_PNSt15iterator_traitsISK_E10value_typeET2_T3_PNSL_ISQ_E10value_typeET4_T5_PSV_SW_PNS1_23onesweep_lookback_stateEbbT6_jjT7_P12ihipStream_tbENKUlT_T0_SK_SP_E_clISE_SE_SF_SF_EEDaS13_S14_SK_SP_EUlS13_E_NS1_11comp_targetILNS1_3genE10ELNS1_11target_archE1201ELNS1_3gpuE5ELNS1_3repE0EEENS1_47radix_sort_onesweep_sort_config_static_selectorELNS0_4arch9wavefront6targetE1EEEvSK_.has_indirect_call, 0
	.section	.AMDGPU.csdata,"",@progbits
; Kernel info:
; codeLenInByte = 0
; TotalNumSgprs: 6
; NumVgprs: 0
; NumAgprs: 0
; TotalNumVgprs: 0
; ScratchSize: 0
; MemoryBound: 0
; FloatMode: 240
; IeeeMode: 1
; LDSByteSize: 0 bytes/workgroup (compile time only)
; SGPRBlocks: 0
; VGPRBlocks: 0
; NumSGPRsForWavesPerEU: 6
; NumVGPRsForWavesPerEU: 1
; AccumOffset: 4
; Occupancy: 8
; WaveLimiterHint : 0
; COMPUTE_PGM_RSRC2:SCRATCH_EN: 0
; COMPUTE_PGM_RSRC2:USER_SGPR: 2
; COMPUTE_PGM_RSRC2:TRAP_HANDLER: 0
; COMPUTE_PGM_RSRC2:TGID_X_EN: 1
; COMPUTE_PGM_RSRC2:TGID_Y_EN: 0
; COMPUTE_PGM_RSRC2:TGID_Z_EN: 0
; COMPUTE_PGM_RSRC2:TIDIG_COMP_CNT: 0
; COMPUTE_PGM_RSRC3_GFX90A:ACCUM_OFFSET: 0
; COMPUTE_PGM_RSRC3_GFX90A:TG_SPLIT: 0
	.section	.text._ZN7rocprim17ROCPRIM_400000_NS6detail17trampoline_kernelINS0_14default_configENS1_35radix_sort_onesweep_config_selectorIiNS0_10empty_typeEEEZZNS1_29radix_sort_onesweep_iterationIS3_Lb1EN6thrust23THRUST_200600_302600_NS6detail15normal_iteratorINS9_10device_ptrIiEEEESE_PS5_SF_jNS0_19identity_decomposerENS1_16block_id_wrapperIjLb0EEEEE10hipError_tT1_PNSt15iterator_traitsISK_E10value_typeET2_T3_PNSL_ISQ_E10value_typeET4_T5_PSV_SW_PNS1_23onesweep_lookback_stateEbbT6_jjT7_P12ihipStream_tbENKUlT_T0_SK_SP_E_clISE_SE_SF_SF_EEDaS13_S14_SK_SP_EUlS13_E_NS1_11comp_targetILNS1_3genE9ELNS1_11target_archE1100ELNS1_3gpuE3ELNS1_3repE0EEENS1_47radix_sort_onesweep_sort_config_static_selectorELNS0_4arch9wavefront6targetE1EEEvSK_,"axG",@progbits,_ZN7rocprim17ROCPRIM_400000_NS6detail17trampoline_kernelINS0_14default_configENS1_35radix_sort_onesweep_config_selectorIiNS0_10empty_typeEEEZZNS1_29radix_sort_onesweep_iterationIS3_Lb1EN6thrust23THRUST_200600_302600_NS6detail15normal_iteratorINS9_10device_ptrIiEEEESE_PS5_SF_jNS0_19identity_decomposerENS1_16block_id_wrapperIjLb0EEEEE10hipError_tT1_PNSt15iterator_traitsISK_E10value_typeET2_T3_PNSL_ISQ_E10value_typeET4_T5_PSV_SW_PNS1_23onesweep_lookback_stateEbbT6_jjT7_P12ihipStream_tbENKUlT_T0_SK_SP_E_clISE_SE_SF_SF_EEDaS13_S14_SK_SP_EUlS13_E_NS1_11comp_targetILNS1_3genE9ELNS1_11target_archE1100ELNS1_3gpuE3ELNS1_3repE0EEENS1_47radix_sort_onesweep_sort_config_static_selectorELNS0_4arch9wavefront6targetE1EEEvSK_,comdat
	.protected	_ZN7rocprim17ROCPRIM_400000_NS6detail17trampoline_kernelINS0_14default_configENS1_35radix_sort_onesweep_config_selectorIiNS0_10empty_typeEEEZZNS1_29radix_sort_onesweep_iterationIS3_Lb1EN6thrust23THRUST_200600_302600_NS6detail15normal_iteratorINS9_10device_ptrIiEEEESE_PS5_SF_jNS0_19identity_decomposerENS1_16block_id_wrapperIjLb0EEEEE10hipError_tT1_PNSt15iterator_traitsISK_E10value_typeET2_T3_PNSL_ISQ_E10value_typeET4_T5_PSV_SW_PNS1_23onesweep_lookback_stateEbbT6_jjT7_P12ihipStream_tbENKUlT_T0_SK_SP_E_clISE_SE_SF_SF_EEDaS13_S14_SK_SP_EUlS13_E_NS1_11comp_targetILNS1_3genE9ELNS1_11target_archE1100ELNS1_3gpuE3ELNS1_3repE0EEENS1_47radix_sort_onesweep_sort_config_static_selectorELNS0_4arch9wavefront6targetE1EEEvSK_ ; -- Begin function _ZN7rocprim17ROCPRIM_400000_NS6detail17trampoline_kernelINS0_14default_configENS1_35radix_sort_onesweep_config_selectorIiNS0_10empty_typeEEEZZNS1_29radix_sort_onesweep_iterationIS3_Lb1EN6thrust23THRUST_200600_302600_NS6detail15normal_iteratorINS9_10device_ptrIiEEEESE_PS5_SF_jNS0_19identity_decomposerENS1_16block_id_wrapperIjLb0EEEEE10hipError_tT1_PNSt15iterator_traitsISK_E10value_typeET2_T3_PNSL_ISQ_E10value_typeET4_T5_PSV_SW_PNS1_23onesweep_lookback_stateEbbT6_jjT7_P12ihipStream_tbENKUlT_T0_SK_SP_E_clISE_SE_SF_SF_EEDaS13_S14_SK_SP_EUlS13_E_NS1_11comp_targetILNS1_3genE9ELNS1_11target_archE1100ELNS1_3gpuE3ELNS1_3repE0EEENS1_47radix_sort_onesweep_sort_config_static_selectorELNS0_4arch9wavefront6targetE1EEEvSK_
	.globl	_ZN7rocprim17ROCPRIM_400000_NS6detail17trampoline_kernelINS0_14default_configENS1_35radix_sort_onesweep_config_selectorIiNS0_10empty_typeEEEZZNS1_29radix_sort_onesweep_iterationIS3_Lb1EN6thrust23THRUST_200600_302600_NS6detail15normal_iteratorINS9_10device_ptrIiEEEESE_PS5_SF_jNS0_19identity_decomposerENS1_16block_id_wrapperIjLb0EEEEE10hipError_tT1_PNSt15iterator_traitsISK_E10value_typeET2_T3_PNSL_ISQ_E10value_typeET4_T5_PSV_SW_PNS1_23onesweep_lookback_stateEbbT6_jjT7_P12ihipStream_tbENKUlT_T0_SK_SP_E_clISE_SE_SF_SF_EEDaS13_S14_SK_SP_EUlS13_E_NS1_11comp_targetILNS1_3genE9ELNS1_11target_archE1100ELNS1_3gpuE3ELNS1_3repE0EEENS1_47radix_sort_onesweep_sort_config_static_selectorELNS0_4arch9wavefront6targetE1EEEvSK_
	.p2align	8
	.type	_ZN7rocprim17ROCPRIM_400000_NS6detail17trampoline_kernelINS0_14default_configENS1_35radix_sort_onesweep_config_selectorIiNS0_10empty_typeEEEZZNS1_29radix_sort_onesweep_iterationIS3_Lb1EN6thrust23THRUST_200600_302600_NS6detail15normal_iteratorINS9_10device_ptrIiEEEESE_PS5_SF_jNS0_19identity_decomposerENS1_16block_id_wrapperIjLb0EEEEE10hipError_tT1_PNSt15iterator_traitsISK_E10value_typeET2_T3_PNSL_ISQ_E10value_typeET4_T5_PSV_SW_PNS1_23onesweep_lookback_stateEbbT6_jjT7_P12ihipStream_tbENKUlT_T0_SK_SP_E_clISE_SE_SF_SF_EEDaS13_S14_SK_SP_EUlS13_E_NS1_11comp_targetILNS1_3genE9ELNS1_11target_archE1100ELNS1_3gpuE3ELNS1_3repE0EEENS1_47radix_sort_onesweep_sort_config_static_selectorELNS0_4arch9wavefront6targetE1EEEvSK_,@function
_ZN7rocprim17ROCPRIM_400000_NS6detail17trampoline_kernelINS0_14default_configENS1_35radix_sort_onesweep_config_selectorIiNS0_10empty_typeEEEZZNS1_29radix_sort_onesweep_iterationIS3_Lb1EN6thrust23THRUST_200600_302600_NS6detail15normal_iteratorINS9_10device_ptrIiEEEESE_PS5_SF_jNS0_19identity_decomposerENS1_16block_id_wrapperIjLb0EEEEE10hipError_tT1_PNSt15iterator_traitsISK_E10value_typeET2_T3_PNSL_ISQ_E10value_typeET4_T5_PSV_SW_PNS1_23onesweep_lookback_stateEbbT6_jjT7_P12ihipStream_tbENKUlT_T0_SK_SP_E_clISE_SE_SF_SF_EEDaS13_S14_SK_SP_EUlS13_E_NS1_11comp_targetILNS1_3genE9ELNS1_11target_archE1100ELNS1_3gpuE3ELNS1_3repE0EEENS1_47radix_sort_onesweep_sort_config_static_selectorELNS0_4arch9wavefront6targetE1EEEvSK_: ; @_ZN7rocprim17ROCPRIM_400000_NS6detail17trampoline_kernelINS0_14default_configENS1_35radix_sort_onesweep_config_selectorIiNS0_10empty_typeEEEZZNS1_29radix_sort_onesweep_iterationIS3_Lb1EN6thrust23THRUST_200600_302600_NS6detail15normal_iteratorINS9_10device_ptrIiEEEESE_PS5_SF_jNS0_19identity_decomposerENS1_16block_id_wrapperIjLb0EEEEE10hipError_tT1_PNSt15iterator_traitsISK_E10value_typeET2_T3_PNSL_ISQ_E10value_typeET4_T5_PSV_SW_PNS1_23onesweep_lookback_stateEbbT6_jjT7_P12ihipStream_tbENKUlT_T0_SK_SP_E_clISE_SE_SF_SF_EEDaS13_S14_SK_SP_EUlS13_E_NS1_11comp_targetILNS1_3genE9ELNS1_11target_archE1100ELNS1_3gpuE3ELNS1_3repE0EEENS1_47radix_sort_onesweep_sort_config_static_selectorELNS0_4arch9wavefront6targetE1EEEvSK_
; %bb.0:
	.section	.rodata,"a",@progbits
	.p2align	6, 0x0
	.amdhsa_kernel _ZN7rocprim17ROCPRIM_400000_NS6detail17trampoline_kernelINS0_14default_configENS1_35radix_sort_onesweep_config_selectorIiNS0_10empty_typeEEEZZNS1_29radix_sort_onesweep_iterationIS3_Lb1EN6thrust23THRUST_200600_302600_NS6detail15normal_iteratorINS9_10device_ptrIiEEEESE_PS5_SF_jNS0_19identity_decomposerENS1_16block_id_wrapperIjLb0EEEEE10hipError_tT1_PNSt15iterator_traitsISK_E10value_typeET2_T3_PNSL_ISQ_E10value_typeET4_T5_PSV_SW_PNS1_23onesweep_lookback_stateEbbT6_jjT7_P12ihipStream_tbENKUlT_T0_SK_SP_E_clISE_SE_SF_SF_EEDaS13_S14_SK_SP_EUlS13_E_NS1_11comp_targetILNS1_3genE9ELNS1_11target_archE1100ELNS1_3gpuE3ELNS1_3repE0EEENS1_47radix_sort_onesweep_sort_config_static_selectorELNS0_4arch9wavefront6targetE1EEEvSK_
		.amdhsa_group_segment_fixed_size 0
		.amdhsa_private_segment_fixed_size 0
		.amdhsa_kernarg_size 88
		.amdhsa_user_sgpr_count 2
		.amdhsa_user_sgpr_dispatch_ptr 0
		.amdhsa_user_sgpr_queue_ptr 0
		.amdhsa_user_sgpr_kernarg_segment_ptr 1
		.amdhsa_user_sgpr_dispatch_id 0
		.amdhsa_user_sgpr_kernarg_preload_length 0
		.amdhsa_user_sgpr_kernarg_preload_offset 0
		.amdhsa_user_sgpr_private_segment_size 0
		.amdhsa_uses_dynamic_stack 0
		.amdhsa_enable_private_segment 0
		.amdhsa_system_sgpr_workgroup_id_x 1
		.amdhsa_system_sgpr_workgroup_id_y 0
		.amdhsa_system_sgpr_workgroup_id_z 0
		.amdhsa_system_sgpr_workgroup_info 0
		.amdhsa_system_vgpr_workitem_id 0
		.amdhsa_next_free_vgpr 1
		.amdhsa_next_free_sgpr 0
		.amdhsa_accum_offset 4
		.amdhsa_reserve_vcc 0
		.amdhsa_float_round_mode_32 0
		.amdhsa_float_round_mode_16_64 0
		.amdhsa_float_denorm_mode_32 3
		.amdhsa_float_denorm_mode_16_64 3
		.amdhsa_dx10_clamp 1
		.amdhsa_ieee_mode 1
		.amdhsa_fp16_overflow 0
		.amdhsa_tg_split 0
		.amdhsa_exception_fp_ieee_invalid_op 0
		.amdhsa_exception_fp_denorm_src 0
		.amdhsa_exception_fp_ieee_div_zero 0
		.amdhsa_exception_fp_ieee_overflow 0
		.amdhsa_exception_fp_ieee_underflow 0
		.amdhsa_exception_fp_ieee_inexact 0
		.amdhsa_exception_int_div_zero 0
	.end_amdhsa_kernel
	.section	.text._ZN7rocprim17ROCPRIM_400000_NS6detail17trampoline_kernelINS0_14default_configENS1_35radix_sort_onesweep_config_selectorIiNS0_10empty_typeEEEZZNS1_29radix_sort_onesweep_iterationIS3_Lb1EN6thrust23THRUST_200600_302600_NS6detail15normal_iteratorINS9_10device_ptrIiEEEESE_PS5_SF_jNS0_19identity_decomposerENS1_16block_id_wrapperIjLb0EEEEE10hipError_tT1_PNSt15iterator_traitsISK_E10value_typeET2_T3_PNSL_ISQ_E10value_typeET4_T5_PSV_SW_PNS1_23onesweep_lookback_stateEbbT6_jjT7_P12ihipStream_tbENKUlT_T0_SK_SP_E_clISE_SE_SF_SF_EEDaS13_S14_SK_SP_EUlS13_E_NS1_11comp_targetILNS1_3genE9ELNS1_11target_archE1100ELNS1_3gpuE3ELNS1_3repE0EEENS1_47radix_sort_onesweep_sort_config_static_selectorELNS0_4arch9wavefront6targetE1EEEvSK_,"axG",@progbits,_ZN7rocprim17ROCPRIM_400000_NS6detail17trampoline_kernelINS0_14default_configENS1_35radix_sort_onesweep_config_selectorIiNS0_10empty_typeEEEZZNS1_29radix_sort_onesweep_iterationIS3_Lb1EN6thrust23THRUST_200600_302600_NS6detail15normal_iteratorINS9_10device_ptrIiEEEESE_PS5_SF_jNS0_19identity_decomposerENS1_16block_id_wrapperIjLb0EEEEE10hipError_tT1_PNSt15iterator_traitsISK_E10value_typeET2_T3_PNSL_ISQ_E10value_typeET4_T5_PSV_SW_PNS1_23onesweep_lookback_stateEbbT6_jjT7_P12ihipStream_tbENKUlT_T0_SK_SP_E_clISE_SE_SF_SF_EEDaS13_S14_SK_SP_EUlS13_E_NS1_11comp_targetILNS1_3genE9ELNS1_11target_archE1100ELNS1_3gpuE3ELNS1_3repE0EEENS1_47radix_sort_onesweep_sort_config_static_selectorELNS0_4arch9wavefront6targetE1EEEvSK_,comdat
.Lfunc_end370:
	.size	_ZN7rocprim17ROCPRIM_400000_NS6detail17trampoline_kernelINS0_14default_configENS1_35radix_sort_onesweep_config_selectorIiNS0_10empty_typeEEEZZNS1_29radix_sort_onesweep_iterationIS3_Lb1EN6thrust23THRUST_200600_302600_NS6detail15normal_iteratorINS9_10device_ptrIiEEEESE_PS5_SF_jNS0_19identity_decomposerENS1_16block_id_wrapperIjLb0EEEEE10hipError_tT1_PNSt15iterator_traitsISK_E10value_typeET2_T3_PNSL_ISQ_E10value_typeET4_T5_PSV_SW_PNS1_23onesweep_lookback_stateEbbT6_jjT7_P12ihipStream_tbENKUlT_T0_SK_SP_E_clISE_SE_SF_SF_EEDaS13_S14_SK_SP_EUlS13_E_NS1_11comp_targetILNS1_3genE9ELNS1_11target_archE1100ELNS1_3gpuE3ELNS1_3repE0EEENS1_47radix_sort_onesweep_sort_config_static_selectorELNS0_4arch9wavefront6targetE1EEEvSK_, .Lfunc_end370-_ZN7rocprim17ROCPRIM_400000_NS6detail17trampoline_kernelINS0_14default_configENS1_35radix_sort_onesweep_config_selectorIiNS0_10empty_typeEEEZZNS1_29radix_sort_onesweep_iterationIS3_Lb1EN6thrust23THRUST_200600_302600_NS6detail15normal_iteratorINS9_10device_ptrIiEEEESE_PS5_SF_jNS0_19identity_decomposerENS1_16block_id_wrapperIjLb0EEEEE10hipError_tT1_PNSt15iterator_traitsISK_E10value_typeET2_T3_PNSL_ISQ_E10value_typeET4_T5_PSV_SW_PNS1_23onesweep_lookback_stateEbbT6_jjT7_P12ihipStream_tbENKUlT_T0_SK_SP_E_clISE_SE_SF_SF_EEDaS13_S14_SK_SP_EUlS13_E_NS1_11comp_targetILNS1_3genE9ELNS1_11target_archE1100ELNS1_3gpuE3ELNS1_3repE0EEENS1_47radix_sort_onesweep_sort_config_static_selectorELNS0_4arch9wavefront6targetE1EEEvSK_
                                        ; -- End function
	.set _ZN7rocprim17ROCPRIM_400000_NS6detail17trampoline_kernelINS0_14default_configENS1_35radix_sort_onesweep_config_selectorIiNS0_10empty_typeEEEZZNS1_29radix_sort_onesweep_iterationIS3_Lb1EN6thrust23THRUST_200600_302600_NS6detail15normal_iteratorINS9_10device_ptrIiEEEESE_PS5_SF_jNS0_19identity_decomposerENS1_16block_id_wrapperIjLb0EEEEE10hipError_tT1_PNSt15iterator_traitsISK_E10value_typeET2_T3_PNSL_ISQ_E10value_typeET4_T5_PSV_SW_PNS1_23onesweep_lookback_stateEbbT6_jjT7_P12ihipStream_tbENKUlT_T0_SK_SP_E_clISE_SE_SF_SF_EEDaS13_S14_SK_SP_EUlS13_E_NS1_11comp_targetILNS1_3genE9ELNS1_11target_archE1100ELNS1_3gpuE3ELNS1_3repE0EEENS1_47radix_sort_onesweep_sort_config_static_selectorELNS0_4arch9wavefront6targetE1EEEvSK_.num_vgpr, 0
	.set _ZN7rocprim17ROCPRIM_400000_NS6detail17trampoline_kernelINS0_14default_configENS1_35radix_sort_onesweep_config_selectorIiNS0_10empty_typeEEEZZNS1_29radix_sort_onesweep_iterationIS3_Lb1EN6thrust23THRUST_200600_302600_NS6detail15normal_iteratorINS9_10device_ptrIiEEEESE_PS5_SF_jNS0_19identity_decomposerENS1_16block_id_wrapperIjLb0EEEEE10hipError_tT1_PNSt15iterator_traitsISK_E10value_typeET2_T3_PNSL_ISQ_E10value_typeET4_T5_PSV_SW_PNS1_23onesweep_lookback_stateEbbT6_jjT7_P12ihipStream_tbENKUlT_T0_SK_SP_E_clISE_SE_SF_SF_EEDaS13_S14_SK_SP_EUlS13_E_NS1_11comp_targetILNS1_3genE9ELNS1_11target_archE1100ELNS1_3gpuE3ELNS1_3repE0EEENS1_47radix_sort_onesweep_sort_config_static_selectorELNS0_4arch9wavefront6targetE1EEEvSK_.num_agpr, 0
	.set _ZN7rocprim17ROCPRIM_400000_NS6detail17trampoline_kernelINS0_14default_configENS1_35radix_sort_onesweep_config_selectorIiNS0_10empty_typeEEEZZNS1_29radix_sort_onesweep_iterationIS3_Lb1EN6thrust23THRUST_200600_302600_NS6detail15normal_iteratorINS9_10device_ptrIiEEEESE_PS5_SF_jNS0_19identity_decomposerENS1_16block_id_wrapperIjLb0EEEEE10hipError_tT1_PNSt15iterator_traitsISK_E10value_typeET2_T3_PNSL_ISQ_E10value_typeET4_T5_PSV_SW_PNS1_23onesweep_lookback_stateEbbT6_jjT7_P12ihipStream_tbENKUlT_T0_SK_SP_E_clISE_SE_SF_SF_EEDaS13_S14_SK_SP_EUlS13_E_NS1_11comp_targetILNS1_3genE9ELNS1_11target_archE1100ELNS1_3gpuE3ELNS1_3repE0EEENS1_47radix_sort_onesweep_sort_config_static_selectorELNS0_4arch9wavefront6targetE1EEEvSK_.numbered_sgpr, 0
	.set _ZN7rocprim17ROCPRIM_400000_NS6detail17trampoline_kernelINS0_14default_configENS1_35radix_sort_onesweep_config_selectorIiNS0_10empty_typeEEEZZNS1_29radix_sort_onesweep_iterationIS3_Lb1EN6thrust23THRUST_200600_302600_NS6detail15normal_iteratorINS9_10device_ptrIiEEEESE_PS5_SF_jNS0_19identity_decomposerENS1_16block_id_wrapperIjLb0EEEEE10hipError_tT1_PNSt15iterator_traitsISK_E10value_typeET2_T3_PNSL_ISQ_E10value_typeET4_T5_PSV_SW_PNS1_23onesweep_lookback_stateEbbT6_jjT7_P12ihipStream_tbENKUlT_T0_SK_SP_E_clISE_SE_SF_SF_EEDaS13_S14_SK_SP_EUlS13_E_NS1_11comp_targetILNS1_3genE9ELNS1_11target_archE1100ELNS1_3gpuE3ELNS1_3repE0EEENS1_47radix_sort_onesweep_sort_config_static_selectorELNS0_4arch9wavefront6targetE1EEEvSK_.num_named_barrier, 0
	.set _ZN7rocprim17ROCPRIM_400000_NS6detail17trampoline_kernelINS0_14default_configENS1_35radix_sort_onesweep_config_selectorIiNS0_10empty_typeEEEZZNS1_29radix_sort_onesweep_iterationIS3_Lb1EN6thrust23THRUST_200600_302600_NS6detail15normal_iteratorINS9_10device_ptrIiEEEESE_PS5_SF_jNS0_19identity_decomposerENS1_16block_id_wrapperIjLb0EEEEE10hipError_tT1_PNSt15iterator_traitsISK_E10value_typeET2_T3_PNSL_ISQ_E10value_typeET4_T5_PSV_SW_PNS1_23onesweep_lookback_stateEbbT6_jjT7_P12ihipStream_tbENKUlT_T0_SK_SP_E_clISE_SE_SF_SF_EEDaS13_S14_SK_SP_EUlS13_E_NS1_11comp_targetILNS1_3genE9ELNS1_11target_archE1100ELNS1_3gpuE3ELNS1_3repE0EEENS1_47radix_sort_onesweep_sort_config_static_selectorELNS0_4arch9wavefront6targetE1EEEvSK_.private_seg_size, 0
	.set _ZN7rocprim17ROCPRIM_400000_NS6detail17trampoline_kernelINS0_14default_configENS1_35radix_sort_onesweep_config_selectorIiNS0_10empty_typeEEEZZNS1_29radix_sort_onesweep_iterationIS3_Lb1EN6thrust23THRUST_200600_302600_NS6detail15normal_iteratorINS9_10device_ptrIiEEEESE_PS5_SF_jNS0_19identity_decomposerENS1_16block_id_wrapperIjLb0EEEEE10hipError_tT1_PNSt15iterator_traitsISK_E10value_typeET2_T3_PNSL_ISQ_E10value_typeET4_T5_PSV_SW_PNS1_23onesweep_lookback_stateEbbT6_jjT7_P12ihipStream_tbENKUlT_T0_SK_SP_E_clISE_SE_SF_SF_EEDaS13_S14_SK_SP_EUlS13_E_NS1_11comp_targetILNS1_3genE9ELNS1_11target_archE1100ELNS1_3gpuE3ELNS1_3repE0EEENS1_47radix_sort_onesweep_sort_config_static_selectorELNS0_4arch9wavefront6targetE1EEEvSK_.uses_vcc, 0
	.set _ZN7rocprim17ROCPRIM_400000_NS6detail17trampoline_kernelINS0_14default_configENS1_35radix_sort_onesweep_config_selectorIiNS0_10empty_typeEEEZZNS1_29radix_sort_onesweep_iterationIS3_Lb1EN6thrust23THRUST_200600_302600_NS6detail15normal_iteratorINS9_10device_ptrIiEEEESE_PS5_SF_jNS0_19identity_decomposerENS1_16block_id_wrapperIjLb0EEEEE10hipError_tT1_PNSt15iterator_traitsISK_E10value_typeET2_T3_PNSL_ISQ_E10value_typeET4_T5_PSV_SW_PNS1_23onesweep_lookback_stateEbbT6_jjT7_P12ihipStream_tbENKUlT_T0_SK_SP_E_clISE_SE_SF_SF_EEDaS13_S14_SK_SP_EUlS13_E_NS1_11comp_targetILNS1_3genE9ELNS1_11target_archE1100ELNS1_3gpuE3ELNS1_3repE0EEENS1_47radix_sort_onesweep_sort_config_static_selectorELNS0_4arch9wavefront6targetE1EEEvSK_.uses_flat_scratch, 0
	.set _ZN7rocprim17ROCPRIM_400000_NS6detail17trampoline_kernelINS0_14default_configENS1_35radix_sort_onesweep_config_selectorIiNS0_10empty_typeEEEZZNS1_29radix_sort_onesweep_iterationIS3_Lb1EN6thrust23THRUST_200600_302600_NS6detail15normal_iteratorINS9_10device_ptrIiEEEESE_PS5_SF_jNS0_19identity_decomposerENS1_16block_id_wrapperIjLb0EEEEE10hipError_tT1_PNSt15iterator_traitsISK_E10value_typeET2_T3_PNSL_ISQ_E10value_typeET4_T5_PSV_SW_PNS1_23onesweep_lookback_stateEbbT6_jjT7_P12ihipStream_tbENKUlT_T0_SK_SP_E_clISE_SE_SF_SF_EEDaS13_S14_SK_SP_EUlS13_E_NS1_11comp_targetILNS1_3genE9ELNS1_11target_archE1100ELNS1_3gpuE3ELNS1_3repE0EEENS1_47radix_sort_onesweep_sort_config_static_selectorELNS0_4arch9wavefront6targetE1EEEvSK_.has_dyn_sized_stack, 0
	.set _ZN7rocprim17ROCPRIM_400000_NS6detail17trampoline_kernelINS0_14default_configENS1_35radix_sort_onesweep_config_selectorIiNS0_10empty_typeEEEZZNS1_29radix_sort_onesweep_iterationIS3_Lb1EN6thrust23THRUST_200600_302600_NS6detail15normal_iteratorINS9_10device_ptrIiEEEESE_PS5_SF_jNS0_19identity_decomposerENS1_16block_id_wrapperIjLb0EEEEE10hipError_tT1_PNSt15iterator_traitsISK_E10value_typeET2_T3_PNSL_ISQ_E10value_typeET4_T5_PSV_SW_PNS1_23onesweep_lookback_stateEbbT6_jjT7_P12ihipStream_tbENKUlT_T0_SK_SP_E_clISE_SE_SF_SF_EEDaS13_S14_SK_SP_EUlS13_E_NS1_11comp_targetILNS1_3genE9ELNS1_11target_archE1100ELNS1_3gpuE3ELNS1_3repE0EEENS1_47radix_sort_onesweep_sort_config_static_selectorELNS0_4arch9wavefront6targetE1EEEvSK_.has_recursion, 0
	.set _ZN7rocprim17ROCPRIM_400000_NS6detail17trampoline_kernelINS0_14default_configENS1_35radix_sort_onesweep_config_selectorIiNS0_10empty_typeEEEZZNS1_29radix_sort_onesweep_iterationIS3_Lb1EN6thrust23THRUST_200600_302600_NS6detail15normal_iteratorINS9_10device_ptrIiEEEESE_PS5_SF_jNS0_19identity_decomposerENS1_16block_id_wrapperIjLb0EEEEE10hipError_tT1_PNSt15iterator_traitsISK_E10value_typeET2_T3_PNSL_ISQ_E10value_typeET4_T5_PSV_SW_PNS1_23onesweep_lookback_stateEbbT6_jjT7_P12ihipStream_tbENKUlT_T0_SK_SP_E_clISE_SE_SF_SF_EEDaS13_S14_SK_SP_EUlS13_E_NS1_11comp_targetILNS1_3genE9ELNS1_11target_archE1100ELNS1_3gpuE3ELNS1_3repE0EEENS1_47radix_sort_onesweep_sort_config_static_selectorELNS0_4arch9wavefront6targetE1EEEvSK_.has_indirect_call, 0
	.section	.AMDGPU.csdata,"",@progbits
; Kernel info:
; codeLenInByte = 0
; TotalNumSgprs: 6
; NumVgprs: 0
; NumAgprs: 0
; TotalNumVgprs: 0
; ScratchSize: 0
; MemoryBound: 0
; FloatMode: 240
; IeeeMode: 1
; LDSByteSize: 0 bytes/workgroup (compile time only)
; SGPRBlocks: 0
; VGPRBlocks: 0
; NumSGPRsForWavesPerEU: 6
; NumVGPRsForWavesPerEU: 1
; AccumOffset: 4
; Occupancy: 8
; WaveLimiterHint : 0
; COMPUTE_PGM_RSRC2:SCRATCH_EN: 0
; COMPUTE_PGM_RSRC2:USER_SGPR: 2
; COMPUTE_PGM_RSRC2:TRAP_HANDLER: 0
; COMPUTE_PGM_RSRC2:TGID_X_EN: 1
; COMPUTE_PGM_RSRC2:TGID_Y_EN: 0
; COMPUTE_PGM_RSRC2:TGID_Z_EN: 0
; COMPUTE_PGM_RSRC2:TIDIG_COMP_CNT: 0
; COMPUTE_PGM_RSRC3_GFX90A:ACCUM_OFFSET: 0
; COMPUTE_PGM_RSRC3_GFX90A:TG_SPLIT: 0
	.section	.text._ZN7rocprim17ROCPRIM_400000_NS6detail17trampoline_kernelINS0_14default_configENS1_35radix_sort_onesweep_config_selectorIiNS0_10empty_typeEEEZZNS1_29radix_sort_onesweep_iterationIS3_Lb1EN6thrust23THRUST_200600_302600_NS6detail15normal_iteratorINS9_10device_ptrIiEEEESE_PS5_SF_jNS0_19identity_decomposerENS1_16block_id_wrapperIjLb0EEEEE10hipError_tT1_PNSt15iterator_traitsISK_E10value_typeET2_T3_PNSL_ISQ_E10value_typeET4_T5_PSV_SW_PNS1_23onesweep_lookback_stateEbbT6_jjT7_P12ihipStream_tbENKUlT_T0_SK_SP_E_clISE_SE_SF_SF_EEDaS13_S14_SK_SP_EUlS13_E_NS1_11comp_targetILNS1_3genE8ELNS1_11target_archE1030ELNS1_3gpuE2ELNS1_3repE0EEENS1_47radix_sort_onesweep_sort_config_static_selectorELNS0_4arch9wavefront6targetE1EEEvSK_,"axG",@progbits,_ZN7rocprim17ROCPRIM_400000_NS6detail17trampoline_kernelINS0_14default_configENS1_35radix_sort_onesweep_config_selectorIiNS0_10empty_typeEEEZZNS1_29radix_sort_onesweep_iterationIS3_Lb1EN6thrust23THRUST_200600_302600_NS6detail15normal_iteratorINS9_10device_ptrIiEEEESE_PS5_SF_jNS0_19identity_decomposerENS1_16block_id_wrapperIjLb0EEEEE10hipError_tT1_PNSt15iterator_traitsISK_E10value_typeET2_T3_PNSL_ISQ_E10value_typeET4_T5_PSV_SW_PNS1_23onesweep_lookback_stateEbbT6_jjT7_P12ihipStream_tbENKUlT_T0_SK_SP_E_clISE_SE_SF_SF_EEDaS13_S14_SK_SP_EUlS13_E_NS1_11comp_targetILNS1_3genE8ELNS1_11target_archE1030ELNS1_3gpuE2ELNS1_3repE0EEENS1_47radix_sort_onesweep_sort_config_static_selectorELNS0_4arch9wavefront6targetE1EEEvSK_,comdat
	.protected	_ZN7rocprim17ROCPRIM_400000_NS6detail17trampoline_kernelINS0_14default_configENS1_35radix_sort_onesweep_config_selectorIiNS0_10empty_typeEEEZZNS1_29radix_sort_onesweep_iterationIS3_Lb1EN6thrust23THRUST_200600_302600_NS6detail15normal_iteratorINS9_10device_ptrIiEEEESE_PS5_SF_jNS0_19identity_decomposerENS1_16block_id_wrapperIjLb0EEEEE10hipError_tT1_PNSt15iterator_traitsISK_E10value_typeET2_T3_PNSL_ISQ_E10value_typeET4_T5_PSV_SW_PNS1_23onesweep_lookback_stateEbbT6_jjT7_P12ihipStream_tbENKUlT_T0_SK_SP_E_clISE_SE_SF_SF_EEDaS13_S14_SK_SP_EUlS13_E_NS1_11comp_targetILNS1_3genE8ELNS1_11target_archE1030ELNS1_3gpuE2ELNS1_3repE0EEENS1_47radix_sort_onesweep_sort_config_static_selectorELNS0_4arch9wavefront6targetE1EEEvSK_ ; -- Begin function _ZN7rocprim17ROCPRIM_400000_NS6detail17trampoline_kernelINS0_14default_configENS1_35radix_sort_onesweep_config_selectorIiNS0_10empty_typeEEEZZNS1_29radix_sort_onesweep_iterationIS3_Lb1EN6thrust23THRUST_200600_302600_NS6detail15normal_iteratorINS9_10device_ptrIiEEEESE_PS5_SF_jNS0_19identity_decomposerENS1_16block_id_wrapperIjLb0EEEEE10hipError_tT1_PNSt15iterator_traitsISK_E10value_typeET2_T3_PNSL_ISQ_E10value_typeET4_T5_PSV_SW_PNS1_23onesweep_lookback_stateEbbT6_jjT7_P12ihipStream_tbENKUlT_T0_SK_SP_E_clISE_SE_SF_SF_EEDaS13_S14_SK_SP_EUlS13_E_NS1_11comp_targetILNS1_3genE8ELNS1_11target_archE1030ELNS1_3gpuE2ELNS1_3repE0EEENS1_47radix_sort_onesweep_sort_config_static_selectorELNS0_4arch9wavefront6targetE1EEEvSK_
	.globl	_ZN7rocprim17ROCPRIM_400000_NS6detail17trampoline_kernelINS0_14default_configENS1_35radix_sort_onesweep_config_selectorIiNS0_10empty_typeEEEZZNS1_29radix_sort_onesweep_iterationIS3_Lb1EN6thrust23THRUST_200600_302600_NS6detail15normal_iteratorINS9_10device_ptrIiEEEESE_PS5_SF_jNS0_19identity_decomposerENS1_16block_id_wrapperIjLb0EEEEE10hipError_tT1_PNSt15iterator_traitsISK_E10value_typeET2_T3_PNSL_ISQ_E10value_typeET4_T5_PSV_SW_PNS1_23onesweep_lookback_stateEbbT6_jjT7_P12ihipStream_tbENKUlT_T0_SK_SP_E_clISE_SE_SF_SF_EEDaS13_S14_SK_SP_EUlS13_E_NS1_11comp_targetILNS1_3genE8ELNS1_11target_archE1030ELNS1_3gpuE2ELNS1_3repE0EEENS1_47radix_sort_onesweep_sort_config_static_selectorELNS0_4arch9wavefront6targetE1EEEvSK_
	.p2align	8
	.type	_ZN7rocprim17ROCPRIM_400000_NS6detail17trampoline_kernelINS0_14default_configENS1_35radix_sort_onesweep_config_selectorIiNS0_10empty_typeEEEZZNS1_29radix_sort_onesweep_iterationIS3_Lb1EN6thrust23THRUST_200600_302600_NS6detail15normal_iteratorINS9_10device_ptrIiEEEESE_PS5_SF_jNS0_19identity_decomposerENS1_16block_id_wrapperIjLb0EEEEE10hipError_tT1_PNSt15iterator_traitsISK_E10value_typeET2_T3_PNSL_ISQ_E10value_typeET4_T5_PSV_SW_PNS1_23onesweep_lookback_stateEbbT6_jjT7_P12ihipStream_tbENKUlT_T0_SK_SP_E_clISE_SE_SF_SF_EEDaS13_S14_SK_SP_EUlS13_E_NS1_11comp_targetILNS1_3genE8ELNS1_11target_archE1030ELNS1_3gpuE2ELNS1_3repE0EEENS1_47radix_sort_onesweep_sort_config_static_selectorELNS0_4arch9wavefront6targetE1EEEvSK_,@function
_ZN7rocprim17ROCPRIM_400000_NS6detail17trampoline_kernelINS0_14default_configENS1_35radix_sort_onesweep_config_selectorIiNS0_10empty_typeEEEZZNS1_29radix_sort_onesweep_iterationIS3_Lb1EN6thrust23THRUST_200600_302600_NS6detail15normal_iteratorINS9_10device_ptrIiEEEESE_PS5_SF_jNS0_19identity_decomposerENS1_16block_id_wrapperIjLb0EEEEE10hipError_tT1_PNSt15iterator_traitsISK_E10value_typeET2_T3_PNSL_ISQ_E10value_typeET4_T5_PSV_SW_PNS1_23onesweep_lookback_stateEbbT6_jjT7_P12ihipStream_tbENKUlT_T0_SK_SP_E_clISE_SE_SF_SF_EEDaS13_S14_SK_SP_EUlS13_E_NS1_11comp_targetILNS1_3genE8ELNS1_11target_archE1030ELNS1_3gpuE2ELNS1_3repE0EEENS1_47radix_sort_onesweep_sort_config_static_selectorELNS0_4arch9wavefront6targetE1EEEvSK_: ; @_ZN7rocprim17ROCPRIM_400000_NS6detail17trampoline_kernelINS0_14default_configENS1_35radix_sort_onesweep_config_selectorIiNS0_10empty_typeEEEZZNS1_29radix_sort_onesweep_iterationIS3_Lb1EN6thrust23THRUST_200600_302600_NS6detail15normal_iteratorINS9_10device_ptrIiEEEESE_PS5_SF_jNS0_19identity_decomposerENS1_16block_id_wrapperIjLb0EEEEE10hipError_tT1_PNSt15iterator_traitsISK_E10value_typeET2_T3_PNSL_ISQ_E10value_typeET4_T5_PSV_SW_PNS1_23onesweep_lookback_stateEbbT6_jjT7_P12ihipStream_tbENKUlT_T0_SK_SP_E_clISE_SE_SF_SF_EEDaS13_S14_SK_SP_EUlS13_E_NS1_11comp_targetILNS1_3genE8ELNS1_11target_archE1030ELNS1_3gpuE2ELNS1_3repE0EEENS1_47radix_sort_onesweep_sort_config_static_selectorELNS0_4arch9wavefront6targetE1EEEvSK_
; %bb.0:
	.section	.rodata,"a",@progbits
	.p2align	6, 0x0
	.amdhsa_kernel _ZN7rocprim17ROCPRIM_400000_NS6detail17trampoline_kernelINS0_14default_configENS1_35radix_sort_onesweep_config_selectorIiNS0_10empty_typeEEEZZNS1_29radix_sort_onesweep_iterationIS3_Lb1EN6thrust23THRUST_200600_302600_NS6detail15normal_iteratorINS9_10device_ptrIiEEEESE_PS5_SF_jNS0_19identity_decomposerENS1_16block_id_wrapperIjLb0EEEEE10hipError_tT1_PNSt15iterator_traitsISK_E10value_typeET2_T3_PNSL_ISQ_E10value_typeET4_T5_PSV_SW_PNS1_23onesweep_lookback_stateEbbT6_jjT7_P12ihipStream_tbENKUlT_T0_SK_SP_E_clISE_SE_SF_SF_EEDaS13_S14_SK_SP_EUlS13_E_NS1_11comp_targetILNS1_3genE8ELNS1_11target_archE1030ELNS1_3gpuE2ELNS1_3repE0EEENS1_47radix_sort_onesweep_sort_config_static_selectorELNS0_4arch9wavefront6targetE1EEEvSK_
		.amdhsa_group_segment_fixed_size 0
		.amdhsa_private_segment_fixed_size 0
		.amdhsa_kernarg_size 88
		.amdhsa_user_sgpr_count 2
		.amdhsa_user_sgpr_dispatch_ptr 0
		.amdhsa_user_sgpr_queue_ptr 0
		.amdhsa_user_sgpr_kernarg_segment_ptr 1
		.amdhsa_user_sgpr_dispatch_id 0
		.amdhsa_user_sgpr_kernarg_preload_length 0
		.amdhsa_user_sgpr_kernarg_preload_offset 0
		.amdhsa_user_sgpr_private_segment_size 0
		.amdhsa_uses_dynamic_stack 0
		.amdhsa_enable_private_segment 0
		.amdhsa_system_sgpr_workgroup_id_x 1
		.amdhsa_system_sgpr_workgroup_id_y 0
		.amdhsa_system_sgpr_workgroup_id_z 0
		.amdhsa_system_sgpr_workgroup_info 0
		.amdhsa_system_vgpr_workitem_id 0
		.amdhsa_next_free_vgpr 1
		.amdhsa_next_free_sgpr 0
		.amdhsa_accum_offset 4
		.amdhsa_reserve_vcc 0
		.amdhsa_float_round_mode_32 0
		.amdhsa_float_round_mode_16_64 0
		.amdhsa_float_denorm_mode_32 3
		.amdhsa_float_denorm_mode_16_64 3
		.amdhsa_dx10_clamp 1
		.amdhsa_ieee_mode 1
		.amdhsa_fp16_overflow 0
		.amdhsa_tg_split 0
		.amdhsa_exception_fp_ieee_invalid_op 0
		.amdhsa_exception_fp_denorm_src 0
		.amdhsa_exception_fp_ieee_div_zero 0
		.amdhsa_exception_fp_ieee_overflow 0
		.amdhsa_exception_fp_ieee_underflow 0
		.amdhsa_exception_fp_ieee_inexact 0
		.amdhsa_exception_int_div_zero 0
	.end_amdhsa_kernel
	.section	.text._ZN7rocprim17ROCPRIM_400000_NS6detail17trampoline_kernelINS0_14default_configENS1_35radix_sort_onesweep_config_selectorIiNS0_10empty_typeEEEZZNS1_29radix_sort_onesweep_iterationIS3_Lb1EN6thrust23THRUST_200600_302600_NS6detail15normal_iteratorINS9_10device_ptrIiEEEESE_PS5_SF_jNS0_19identity_decomposerENS1_16block_id_wrapperIjLb0EEEEE10hipError_tT1_PNSt15iterator_traitsISK_E10value_typeET2_T3_PNSL_ISQ_E10value_typeET4_T5_PSV_SW_PNS1_23onesweep_lookback_stateEbbT6_jjT7_P12ihipStream_tbENKUlT_T0_SK_SP_E_clISE_SE_SF_SF_EEDaS13_S14_SK_SP_EUlS13_E_NS1_11comp_targetILNS1_3genE8ELNS1_11target_archE1030ELNS1_3gpuE2ELNS1_3repE0EEENS1_47radix_sort_onesweep_sort_config_static_selectorELNS0_4arch9wavefront6targetE1EEEvSK_,"axG",@progbits,_ZN7rocprim17ROCPRIM_400000_NS6detail17trampoline_kernelINS0_14default_configENS1_35radix_sort_onesweep_config_selectorIiNS0_10empty_typeEEEZZNS1_29radix_sort_onesweep_iterationIS3_Lb1EN6thrust23THRUST_200600_302600_NS6detail15normal_iteratorINS9_10device_ptrIiEEEESE_PS5_SF_jNS0_19identity_decomposerENS1_16block_id_wrapperIjLb0EEEEE10hipError_tT1_PNSt15iterator_traitsISK_E10value_typeET2_T3_PNSL_ISQ_E10value_typeET4_T5_PSV_SW_PNS1_23onesweep_lookback_stateEbbT6_jjT7_P12ihipStream_tbENKUlT_T0_SK_SP_E_clISE_SE_SF_SF_EEDaS13_S14_SK_SP_EUlS13_E_NS1_11comp_targetILNS1_3genE8ELNS1_11target_archE1030ELNS1_3gpuE2ELNS1_3repE0EEENS1_47radix_sort_onesweep_sort_config_static_selectorELNS0_4arch9wavefront6targetE1EEEvSK_,comdat
.Lfunc_end371:
	.size	_ZN7rocprim17ROCPRIM_400000_NS6detail17trampoline_kernelINS0_14default_configENS1_35radix_sort_onesweep_config_selectorIiNS0_10empty_typeEEEZZNS1_29radix_sort_onesweep_iterationIS3_Lb1EN6thrust23THRUST_200600_302600_NS6detail15normal_iteratorINS9_10device_ptrIiEEEESE_PS5_SF_jNS0_19identity_decomposerENS1_16block_id_wrapperIjLb0EEEEE10hipError_tT1_PNSt15iterator_traitsISK_E10value_typeET2_T3_PNSL_ISQ_E10value_typeET4_T5_PSV_SW_PNS1_23onesweep_lookback_stateEbbT6_jjT7_P12ihipStream_tbENKUlT_T0_SK_SP_E_clISE_SE_SF_SF_EEDaS13_S14_SK_SP_EUlS13_E_NS1_11comp_targetILNS1_3genE8ELNS1_11target_archE1030ELNS1_3gpuE2ELNS1_3repE0EEENS1_47radix_sort_onesweep_sort_config_static_selectorELNS0_4arch9wavefront6targetE1EEEvSK_, .Lfunc_end371-_ZN7rocprim17ROCPRIM_400000_NS6detail17trampoline_kernelINS0_14default_configENS1_35radix_sort_onesweep_config_selectorIiNS0_10empty_typeEEEZZNS1_29radix_sort_onesweep_iterationIS3_Lb1EN6thrust23THRUST_200600_302600_NS6detail15normal_iteratorINS9_10device_ptrIiEEEESE_PS5_SF_jNS0_19identity_decomposerENS1_16block_id_wrapperIjLb0EEEEE10hipError_tT1_PNSt15iterator_traitsISK_E10value_typeET2_T3_PNSL_ISQ_E10value_typeET4_T5_PSV_SW_PNS1_23onesweep_lookback_stateEbbT6_jjT7_P12ihipStream_tbENKUlT_T0_SK_SP_E_clISE_SE_SF_SF_EEDaS13_S14_SK_SP_EUlS13_E_NS1_11comp_targetILNS1_3genE8ELNS1_11target_archE1030ELNS1_3gpuE2ELNS1_3repE0EEENS1_47radix_sort_onesweep_sort_config_static_selectorELNS0_4arch9wavefront6targetE1EEEvSK_
                                        ; -- End function
	.set _ZN7rocprim17ROCPRIM_400000_NS6detail17trampoline_kernelINS0_14default_configENS1_35radix_sort_onesweep_config_selectorIiNS0_10empty_typeEEEZZNS1_29radix_sort_onesweep_iterationIS3_Lb1EN6thrust23THRUST_200600_302600_NS6detail15normal_iteratorINS9_10device_ptrIiEEEESE_PS5_SF_jNS0_19identity_decomposerENS1_16block_id_wrapperIjLb0EEEEE10hipError_tT1_PNSt15iterator_traitsISK_E10value_typeET2_T3_PNSL_ISQ_E10value_typeET4_T5_PSV_SW_PNS1_23onesweep_lookback_stateEbbT6_jjT7_P12ihipStream_tbENKUlT_T0_SK_SP_E_clISE_SE_SF_SF_EEDaS13_S14_SK_SP_EUlS13_E_NS1_11comp_targetILNS1_3genE8ELNS1_11target_archE1030ELNS1_3gpuE2ELNS1_3repE0EEENS1_47radix_sort_onesweep_sort_config_static_selectorELNS0_4arch9wavefront6targetE1EEEvSK_.num_vgpr, 0
	.set _ZN7rocprim17ROCPRIM_400000_NS6detail17trampoline_kernelINS0_14default_configENS1_35radix_sort_onesweep_config_selectorIiNS0_10empty_typeEEEZZNS1_29radix_sort_onesweep_iterationIS3_Lb1EN6thrust23THRUST_200600_302600_NS6detail15normal_iteratorINS9_10device_ptrIiEEEESE_PS5_SF_jNS0_19identity_decomposerENS1_16block_id_wrapperIjLb0EEEEE10hipError_tT1_PNSt15iterator_traitsISK_E10value_typeET2_T3_PNSL_ISQ_E10value_typeET4_T5_PSV_SW_PNS1_23onesweep_lookback_stateEbbT6_jjT7_P12ihipStream_tbENKUlT_T0_SK_SP_E_clISE_SE_SF_SF_EEDaS13_S14_SK_SP_EUlS13_E_NS1_11comp_targetILNS1_3genE8ELNS1_11target_archE1030ELNS1_3gpuE2ELNS1_3repE0EEENS1_47radix_sort_onesweep_sort_config_static_selectorELNS0_4arch9wavefront6targetE1EEEvSK_.num_agpr, 0
	.set _ZN7rocprim17ROCPRIM_400000_NS6detail17trampoline_kernelINS0_14default_configENS1_35radix_sort_onesweep_config_selectorIiNS0_10empty_typeEEEZZNS1_29radix_sort_onesweep_iterationIS3_Lb1EN6thrust23THRUST_200600_302600_NS6detail15normal_iteratorINS9_10device_ptrIiEEEESE_PS5_SF_jNS0_19identity_decomposerENS1_16block_id_wrapperIjLb0EEEEE10hipError_tT1_PNSt15iterator_traitsISK_E10value_typeET2_T3_PNSL_ISQ_E10value_typeET4_T5_PSV_SW_PNS1_23onesweep_lookback_stateEbbT6_jjT7_P12ihipStream_tbENKUlT_T0_SK_SP_E_clISE_SE_SF_SF_EEDaS13_S14_SK_SP_EUlS13_E_NS1_11comp_targetILNS1_3genE8ELNS1_11target_archE1030ELNS1_3gpuE2ELNS1_3repE0EEENS1_47radix_sort_onesweep_sort_config_static_selectorELNS0_4arch9wavefront6targetE1EEEvSK_.numbered_sgpr, 0
	.set _ZN7rocprim17ROCPRIM_400000_NS6detail17trampoline_kernelINS0_14default_configENS1_35radix_sort_onesweep_config_selectorIiNS0_10empty_typeEEEZZNS1_29radix_sort_onesweep_iterationIS3_Lb1EN6thrust23THRUST_200600_302600_NS6detail15normal_iteratorINS9_10device_ptrIiEEEESE_PS5_SF_jNS0_19identity_decomposerENS1_16block_id_wrapperIjLb0EEEEE10hipError_tT1_PNSt15iterator_traitsISK_E10value_typeET2_T3_PNSL_ISQ_E10value_typeET4_T5_PSV_SW_PNS1_23onesweep_lookback_stateEbbT6_jjT7_P12ihipStream_tbENKUlT_T0_SK_SP_E_clISE_SE_SF_SF_EEDaS13_S14_SK_SP_EUlS13_E_NS1_11comp_targetILNS1_3genE8ELNS1_11target_archE1030ELNS1_3gpuE2ELNS1_3repE0EEENS1_47radix_sort_onesweep_sort_config_static_selectorELNS0_4arch9wavefront6targetE1EEEvSK_.num_named_barrier, 0
	.set _ZN7rocprim17ROCPRIM_400000_NS6detail17trampoline_kernelINS0_14default_configENS1_35radix_sort_onesweep_config_selectorIiNS0_10empty_typeEEEZZNS1_29radix_sort_onesweep_iterationIS3_Lb1EN6thrust23THRUST_200600_302600_NS6detail15normal_iteratorINS9_10device_ptrIiEEEESE_PS5_SF_jNS0_19identity_decomposerENS1_16block_id_wrapperIjLb0EEEEE10hipError_tT1_PNSt15iterator_traitsISK_E10value_typeET2_T3_PNSL_ISQ_E10value_typeET4_T5_PSV_SW_PNS1_23onesweep_lookback_stateEbbT6_jjT7_P12ihipStream_tbENKUlT_T0_SK_SP_E_clISE_SE_SF_SF_EEDaS13_S14_SK_SP_EUlS13_E_NS1_11comp_targetILNS1_3genE8ELNS1_11target_archE1030ELNS1_3gpuE2ELNS1_3repE0EEENS1_47radix_sort_onesweep_sort_config_static_selectorELNS0_4arch9wavefront6targetE1EEEvSK_.private_seg_size, 0
	.set _ZN7rocprim17ROCPRIM_400000_NS6detail17trampoline_kernelINS0_14default_configENS1_35radix_sort_onesweep_config_selectorIiNS0_10empty_typeEEEZZNS1_29radix_sort_onesweep_iterationIS3_Lb1EN6thrust23THRUST_200600_302600_NS6detail15normal_iteratorINS9_10device_ptrIiEEEESE_PS5_SF_jNS0_19identity_decomposerENS1_16block_id_wrapperIjLb0EEEEE10hipError_tT1_PNSt15iterator_traitsISK_E10value_typeET2_T3_PNSL_ISQ_E10value_typeET4_T5_PSV_SW_PNS1_23onesweep_lookback_stateEbbT6_jjT7_P12ihipStream_tbENKUlT_T0_SK_SP_E_clISE_SE_SF_SF_EEDaS13_S14_SK_SP_EUlS13_E_NS1_11comp_targetILNS1_3genE8ELNS1_11target_archE1030ELNS1_3gpuE2ELNS1_3repE0EEENS1_47radix_sort_onesweep_sort_config_static_selectorELNS0_4arch9wavefront6targetE1EEEvSK_.uses_vcc, 0
	.set _ZN7rocprim17ROCPRIM_400000_NS6detail17trampoline_kernelINS0_14default_configENS1_35radix_sort_onesweep_config_selectorIiNS0_10empty_typeEEEZZNS1_29radix_sort_onesweep_iterationIS3_Lb1EN6thrust23THRUST_200600_302600_NS6detail15normal_iteratorINS9_10device_ptrIiEEEESE_PS5_SF_jNS0_19identity_decomposerENS1_16block_id_wrapperIjLb0EEEEE10hipError_tT1_PNSt15iterator_traitsISK_E10value_typeET2_T3_PNSL_ISQ_E10value_typeET4_T5_PSV_SW_PNS1_23onesweep_lookback_stateEbbT6_jjT7_P12ihipStream_tbENKUlT_T0_SK_SP_E_clISE_SE_SF_SF_EEDaS13_S14_SK_SP_EUlS13_E_NS1_11comp_targetILNS1_3genE8ELNS1_11target_archE1030ELNS1_3gpuE2ELNS1_3repE0EEENS1_47radix_sort_onesweep_sort_config_static_selectorELNS0_4arch9wavefront6targetE1EEEvSK_.uses_flat_scratch, 0
	.set _ZN7rocprim17ROCPRIM_400000_NS6detail17trampoline_kernelINS0_14default_configENS1_35radix_sort_onesweep_config_selectorIiNS0_10empty_typeEEEZZNS1_29radix_sort_onesweep_iterationIS3_Lb1EN6thrust23THRUST_200600_302600_NS6detail15normal_iteratorINS9_10device_ptrIiEEEESE_PS5_SF_jNS0_19identity_decomposerENS1_16block_id_wrapperIjLb0EEEEE10hipError_tT1_PNSt15iterator_traitsISK_E10value_typeET2_T3_PNSL_ISQ_E10value_typeET4_T5_PSV_SW_PNS1_23onesweep_lookback_stateEbbT6_jjT7_P12ihipStream_tbENKUlT_T0_SK_SP_E_clISE_SE_SF_SF_EEDaS13_S14_SK_SP_EUlS13_E_NS1_11comp_targetILNS1_3genE8ELNS1_11target_archE1030ELNS1_3gpuE2ELNS1_3repE0EEENS1_47radix_sort_onesweep_sort_config_static_selectorELNS0_4arch9wavefront6targetE1EEEvSK_.has_dyn_sized_stack, 0
	.set _ZN7rocprim17ROCPRIM_400000_NS6detail17trampoline_kernelINS0_14default_configENS1_35radix_sort_onesweep_config_selectorIiNS0_10empty_typeEEEZZNS1_29radix_sort_onesweep_iterationIS3_Lb1EN6thrust23THRUST_200600_302600_NS6detail15normal_iteratorINS9_10device_ptrIiEEEESE_PS5_SF_jNS0_19identity_decomposerENS1_16block_id_wrapperIjLb0EEEEE10hipError_tT1_PNSt15iterator_traitsISK_E10value_typeET2_T3_PNSL_ISQ_E10value_typeET4_T5_PSV_SW_PNS1_23onesweep_lookback_stateEbbT6_jjT7_P12ihipStream_tbENKUlT_T0_SK_SP_E_clISE_SE_SF_SF_EEDaS13_S14_SK_SP_EUlS13_E_NS1_11comp_targetILNS1_3genE8ELNS1_11target_archE1030ELNS1_3gpuE2ELNS1_3repE0EEENS1_47radix_sort_onesweep_sort_config_static_selectorELNS0_4arch9wavefront6targetE1EEEvSK_.has_recursion, 0
	.set _ZN7rocprim17ROCPRIM_400000_NS6detail17trampoline_kernelINS0_14default_configENS1_35radix_sort_onesweep_config_selectorIiNS0_10empty_typeEEEZZNS1_29radix_sort_onesweep_iterationIS3_Lb1EN6thrust23THRUST_200600_302600_NS6detail15normal_iteratorINS9_10device_ptrIiEEEESE_PS5_SF_jNS0_19identity_decomposerENS1_16block_id_wrapperIjLb0EEEEE10hipError_tT1_PNSt15iterator_traitsISK_E10value_typeET2_T3_PNSL_ISQ_E10value_typeET4_T5_PSV_SW_PNS1_23onesweep_lookback_stateEbbT6_jjT7_P12ihipStream_tbENKUlT_T0_SK_SP_E_clISE_SE_SF_SF_EEDaS13_S14_SK_SP_EUlS13_E_NS1_11comp_targetILNS1_3genE8ELNS1_11target_archE1030ELNS1_3gpuE2ELNS1_3repE0EEENS1_47radix_sort_onesweep_sort_config_static_selectorELNS0_4arch9wavefront6targetE1EEEvSK_.has_indirect_call, 0
	.section	.AMDGPU.csdata,"",@progbits
; Kernel info:
; codeLenInByte = 0
; TotalNumSgprs: 6
; NumVgprs: 0
; NumAgprs: 0
; TotalNumVgprs: 0
; ScratchSize: 0
; MemoryBound: 0
; FloatMode: 240
; IeeeMode: 1
; LDSByteSize: 0 bytes/workgroup (compile time only)
; SGPRBlocks: 0
; VGPRBlocks: 0
; NumSGPRsForWavesPerEU: 6
; NumVGPRsForWavesPerEU: 1
; AccumOffset: 4
; Occupancy: 8
; WaveLimiterHint : 0
; COMPUTE_PGM_RSRC2:SCRATCH_EN: 0
; COMPUTE_PGM_RSRC2:USER_SGPR: 2
; COMPUTE_PGM_RSRC2:TRAP_HANDLER: 0
; COMPUTE_PGM_RSRC2:TGID_X_EN: 1
; COMPUTE_PGM_RSRC2:TGID_Y_EN: 0
; COMPUTE_PGM_RSRC2:TGID_Z_EN: 0
; COMPUTE_PGM_RSRC2:TIDIG_COMP_CNT: 0
; COMPUTE_PGM_RSRC3_GFX90A:ACCUM_OFFSET: 0
; COMPUTE_PGM_RSRC3_GFX90A:TG_SPLIT: 0
	.section	.text._ZN7rocprim17ROCPRIM_400000_NS6detail17trampoline_kernelINS0_14default_configENS1_35radix_sort_onesweep_config_selectorIiNS0_10empty_typeEEEZZNS1_29radix_sort_onesweep_iterationIS3_Lb1EN6thrust23THRUST_200600_302600_NS6detail15normal_iteratorINS9_10device_ptrIiEEEESE_PS5_SF_jNS0_19identity_decomposerENS1_16block_id_wrapperIjLb0EEEEE10hipError_tT1_PNSt15iterator_traitsISK_E10value_typeET2_T3_PNSL_ISQ_E10value_typeET4_T5_PSV_SW_PNS1_23onesweep_lookback_stateEbbT6_jjT7_P12ihipStream_tbENKUlT_T0_SK_SP_E_clISE_PiSF_SF_EEDaS13_S14_SK_SP_EUlS13_E_NS1_11comp_targetILNS1_3genE0ELNS1_11target_archE4294967295ELNS1_3gpuE0ELNS1_3repE0EEENS1_47radix_sort_onesweep_sort_config_static_selectorELNS0_4arch9wavefront6targetE1EEEvSK_,"axG",@progbits,_ZN7rocprim17ROCPRIM_400000_NS6detail17trampoline_kernelINS0_14default_configENS1_35radix_sort_onesweep_config_selectorIiNS0_10empty_typeEEEZZNS1_29radix_sort_onesweep_iterationIS3_Lb1EN6thrust23THRUST_200600_302600_NS6detail15normal_iteratorINS9_10device_ptrIiEEEESE_PS5_SF_jNS0_19identity_decomposerENS1_16block_id_wrapperIjLb0EEEEE10hipError_tT1_PNSt15iterator_traitsISK_E10value_typeET2_T3_PNSL_ISQ_E10value_typeET4_T5_PSV_SW_PNS1_23onesweep_lookback_stateEbbT6_jjT7_P12ihipStream_tbENKUlT_T0_SK_SP_E_clISE_PiSF_SF_EEDaS13_S14_SK_SP_EUlS13_E_NS1_11comp_targetILNS1_3genE0ELNS1_11target_archE4294967295ELNS1_3gpuE0ELNS1_3repE0EEENS1_47radix_sort_onesweep_sort_config_static_selectorELNS0_4arch9wavefront6targetE1EEEvSK_,comdat
	.protected	_ZN7rocprim17ROCPRIM_400000_NS6detail17trampoline_kernelINS0_14default_configENS1_35radix_sort_onesweep_config_selectorIiNS0_10empty_typeEEEZZNS1_29radix_sort_onesweep_iterationIS3_Lb1EN6thrust23THRUST_200600_302600_NS6detail15normal_iteratorINS9_10device_ptrIiEEEESE_PS5_SF_jNS0_19identity_decomposerENS1_16block_id_wrapperIjLb0EEEEE10hipError_tT1_PNSt15iterator_traitsISK_E10value_typeET2_T3_PNSL_ISQ_E10value_typeET4_T5_PSV_SW_PNS1_23onesweep_lookback_stateEbbT6_jjT7_P12ihipStream_tbENKUlT_T0_SK_SP_E_clISE_PiSF_SF_EEDaS13_S14_SK_SP_EUlS13_E_NS1_11comp_targetILNS1_3genE0ELNS1_11target_archE4294967295ELNS1_3gpuE0ELNS1_3repE0EEENS1_47radix_sort_onesweep_sort_config_static_selectorELNS0_4arch9wavefront6targetE1EEEvSK_ ; -- Begin function _ZN7rocprim17ROCPRIM_400000_NS6detail17trampoline_kernelINS0_14default_configENS1_35radix_sort_onesweep_config_selectorIiNS0_10empty_typeEEEZZNS1_29radix_sort_onesweep_iterationIS3_Lb1EN6thrust23THRUST_200600_302600_NS6detail15normal_iteratorINS9_10device_ptrIiEEEESE_PS5_SF_jNS0_19identity_decomposerENS1_16block_id_wrapperIjLb0EEEEE10hipError_tT1_PNSt15iterator_traitsISK_E10value_typeET2_T3_PNSL_ISQ_E10value_typeET4_T5_PSV_SW_PNS1_23onesweep_lookback_stateEbbT6_jjT7_P12ihipStream_tbENKUlT_T0_SK_SP_E_clISE_PiSF_SF_EEDaS13_S14_SK_SP_EUlS13_E_NS1_11comp_targetILNS1_3genE0ELNS1_11target_archE4294967295ELNS1_3gpuE0ELNS1_3repE0EEENS1_47radix_sort_onesweep_sort_config_static_selectorELNS0_4arch9wavefront6targetE1EEEvSK_
	.globl	_ZN7rocprim17ROCPRIM_400000_NS6detail17trampoline_kernelINS0_14default_configENS1_35radix_sort_onesweep_config_selectorIiNS0_10empty_typeEEEZZNS1_29radix_sort_onesweep_iterationIS3_Lb1EN6thrust23THRUST_200600_302600_NS6detail15normal_iteratorINS9_10device_ptrIiEEEESE_PS5_SF_jNS0_19identity_decomposerENS1_16block_id_wrapperIjLb0EEEEE10hipError_tT1_PNSt15iterator_traitsISK_E10value_typeET2_T3_PNSL_ISQ_E10value_typeET4_T5_PSV_SW_PNS1_23onesweep_lookback_stateEbbT6_jjT7_P12ihipStream_tbENKUlT_T0_SK_SP_E_clISE_PiSF_SF_EEDaS13_S14_SK_SP_EUlS13_E_NS1_11comp_targetILNS1_3genE0ELNS1_11target_archE4294967295ELNS1_3gpuE0ELNS1_3repE0EEENS1_47radix_sort_onesweep_sort_config_static_selectorELNS0_4arch9wavefront6targetE1EEEvSK_
	.p2align	8
	.type	_ZN7rocprim17ROCPRIM_400000_NS6detail17trampoline_kernelINS0_14default_configENS1_35radix_sort_onesweep_config_selectorIiNS0_10empty_typeEEEZZNS1_29radix_sort_onesweep_iterationIS3_Lb1EN6thrust23THRUST_200600_302600_NS6detail15normal_iteratorINS9_10device_ptrIiEEEESE_PS5_SF_jNS0_19identity_decomposerENS1_16block_id_wrapperIjLb0EEEEE10hipError_tT1_PNSt15iterator_traitsISK_E10value_typeET2_T3_PNSL_ISQ_E10value_typeET4_T5_PSV_SW_PNS1_23onesweep_lookback_stateEbbT6_jjT7_P12ihipStream_tbENKUlT_T0_SK_SP_E_clISE_PiSF_SF_EEDaS13_S14_SK_SP_EUlS13_E_NS1_11comp_targetILNS1_3genE0ELNS1_11target_archE4294967295ELNS1_3gpuE0ELNS1_3repE0EEENS1_47radix_sort_onesweep_sort_config_static_selectorELNS0_4arch9wavefront6targetE1EEEvSK_,@function
_ZN7rocprim17ROCPRIM_400000_NS6detail17trampoline_kernelINS0_14default_configENS1_35radix_sort_onesweep_config_selectorIiNS0_10empty_typeEEEZZNS1_29radix_sort_onesweep_iterationIS3_Lb1EN6thrust23THRUST_200600_302600_NS6detail15normal_iteratorINS9_10device_ptrIiEEEESE_PS5_SF_jNS0_19identity_decomposerENS1_16block_id_wrapperIjLb0EEEEE10hipError_tT1_PNSt15iterator_traitsISK_E10value_typeET2_T3_PNSL_ISQ_E10value_typeET4_T5_PSV_SW_PNS1_23onesweep_lookback_stateEbbT6_jjT7_P12ihipStream_tbENKUlT_T0_SK_SP_E_clISE_PiSF_SF_EEDaS13_S14_SK_SP_EUlS13_E_NS1_11comp_targetILNS1_3genE0ELNS1_11target_archE4294967295ELNS1_3gpuE0ELNS1_3repE0EEENS1_47radix_sort_onesweep_sort_config_static_selectorELNS0_4arch9wavefront6targetE1EEEvSK_: ; @_ZN7rocprim17ROCPRIM_400000_NS6detail17trampoline_kernelINS0_14default_configENS1_35radix_sort_onesweep_config_selectorIiNS0_10empty_typeEEEZZNS1_29radix_sort_onesweep_iterationIS3_Lb1EN6thrust23THRUST_200600_302600_NS6detail15normal_iteratorINS9_10device_ptrIiEEEESE_PS5_SF_jNS0_19identity_decomposerENS1_16block_id_wrapperIjLb0EEEEE10hipError_tT1_PNSt15iterator_traitsISK_E10value_typeET2_T3_PNSL_ISQ_E10value_typeET4_T5_PSV_SW_PNS1_23onesweep_lookback_stateEbbT6_jjT7_P12ihipStream_tbENKUlT_T0_SK_SP_E_clISE_PiSF_SF_EEDaS13_S14_SK_SP_EUlS13_E_NS1_11comp_targetILNS1_3genE0ELNS1_11target_archE4294967295ELNS1_3gpuE0ELNS1_3repE0EEENS1_47radix_sort_onesweep_sort_config_static_selectorELNS0_4arch9wavefront6targetE1EEEvSK_
; %bb.0:
	.section	.rodata,"a",@progbits
	.p2align	6, 0x0
	.amdhsa_kernel _ZN7rocprim17ROCPRIM_400000_NS6detail17trampoline_kernelINS0_14default_configENS1_35radix_sort_onesweep_config_selectorIiNS0_10empty_typeEEEZZNS1_29radix_sort_onesweep_iterationIS3_Lb1EN6thrust23THRUST_200600_302600_NS6detail15normal_iteratorINS9_10device_ptrIiEEEESE_PS5_SF_jNS0_19identity_decomposerENS1_16block_id_wrapperIjLb0EEEEE10hipError_tT1_PNSt15iterator_traitsISK_E10value_typeET2_T3_PNSL_ISQ_E10value_typeET4_T5_PSV_SW_PNS1_23onesweep_lookback_stateEbbT6_jjT7_P12ihipStream_tbENKUlT_T0_SK_SP_E_clISE_PiSF_SF_EEDaS13_S14_SK_SP_EUlS13_E_NS1_11comp_targetILNS1_3genE0ELNS1_11target_archE4294967295ELNS1_3gpuE0ELNS1_3repE0EEENS1_47radix_sort_onesweep_sort_config_static_selectorELNS0_4arch9wavefront6targetE1EEEvSK_
		.amdhsa_group_segment_fixed_size 0
		.amdhsa_private_segment_fixed_size 0
		.amdhsa_kernarg_size 88
		.amdhsa_user_sgpr_count 2
		.amdhsa_user_sgpr_dispatch_ptr 0
		.amdhsa_user_sgpr_queue_ptr 0
		.amdhsa_user_sgpr_kernarg_segment_ptr 1
		.amdhsa_user_sgpr_dispatch_id 0
		.amdhsa_user_sgpr_kernarg_preload_length 0
		.amdhsa_user_sgpr_kernarg_preload_offset 0
		.amdhsa_user_sgpr_private_segment_size 0
		.amdhsa_uses_dynamic_stack 0
		.amdhsa_enable_private_segment 0
		.amdhsa_system_sgpr_workgroup_id_x 1
		.amdhsa_system_sgpr_workgroup_id_y 0
		.amdhsa_system_sgpr_workgroup_id_z 0
		.amdhsa_system_sgpr_workgroup_info 0
		.amdhsa_system_vgpr_workitem_id 0
		.amdhsa_next_free_vgpr 1
		.amdhsa_next_free_sgpr 0
		.amdhsa_accum_offset 4
		.amdhsa_reserve_vcc 0
		.amdhsa_float_round_mode_32 0
		.amdhsa_float_round_mode_16_64 0
		.amdhsa_float_denorm_mode_32 3
		.amdhsa_float_denorm_mode_16_64 3
		.amdhsa_dx10_clamp 1
		.amdhsa_ieee_mode 1
		.amdhsa_fp16_overflow 0
		.amdhsa_tg_split 0
		.amdhsa_exception_fp_ieee_invalid_op 0
		.amdhsa_exception_fp_denorm_src 0
		.amdhsa_exception_fp_ieee_div_zero 0
		.amdhsa_exception_fp_ieee_overflow 0
		.amdhsa_exception_fp_ieee_underflow 0
		.amdhsa_exception_fp_ieee_inexact 0
		.amdhsa_exception_int_div_zero 0
	.end_amdhsa_kernel
	.section	.text._ZN7rocprim17ROCPRIM_400000_NS6detail17trampoline_kernelINS0_14default_configENS1_35radix_sort_onesweep_config_selectorIiNS0_10empty_typeEEEZZNS1_29radix_sort_onesweep_iterationIS3_Lb1EN6thrust23THRUST_200600_302600_NS6detail15normal_iteratorINS9_10device_ptrIiEEEESE_PS5_SF_jNS0_19identity_decomposerENS1_16block_id_wrapperIjLb0EEEEE10hipError_tT1_PNSt15iterator_traitsISK_E10value_typeET2_T3_PNSL_ISQ_E10value_typeET4_T5_PSV_SW_PNS1_23onesweep_lookback_stateEbbT6_jjT7_P12ihipStream_tbENKUlT_T0_SK_SP_E_clISE_PiSF_SF_EEDaS13_S14_SK_SP_EUlS13_E_NS1_11comp_targetILNS1_3genE0ELNS1_11target_archE4294967295ELNS1_3gpuE0ELNS1_3repE0EEENS1_47radix_sort_onesweep_sort_config_static_selectorELNS0_4arch9wavefront6targetE1EEEvSK_,"axG",@progbits,_ZN7rocprim17ROCPRIM_400000_NS6detail17trampoline_kernelINS0_14default_configENS1_35radix_sort_onesweep_config_selectorIiNS0_10empty_typeEEEZZNS1_29radix_sort_onesweep_iterationIS3_Lb1EN6thrust23THRUST_200600_302600_NS6detail15normal_iteratorINS9_10device_ptrIiEEEESE_PS5_SF_jNS0_19identity_decomposerENS1_16block_id_wrapperIjLb0EEEEE10hipError_tT1_PNSt15iterator_traitsISK_E10value_typeET2_T3_PNSL_ISQ_E10value_typeET4_T5_PSV_SW_PNS1_23onesweep_lookback_stateEbbT6_jjT7_P12ihipStream_tbENKUlT_T0_SK_SP_E_clISE_PiSF_SF_EEDaS13_S14_SK_SP_EUlS13_E_NS1_11comp_targetILNS1_3genE0ELNS1_11target_archE4294967295ELNS1_3gpuE0ELNS1_3repE0EEENS1_47radix_sort_onesweep_sort_config_static_selectorELNS0_4arch9wavefront6targetE1EEEvSK_,comdat
.Lfunc_end372:
	.size	_ZN7rocprim17ROCPRIM_400000_NS6detail17trampoline_kernelINS0_14default_configENS1_35radix_sort_onesweep_config_selectorIiNS0_10empty_typeEEEZZNS1_29radix_sort_onesweep_iterationIS3_Lb1EN6thrust23THRUST_200600_302600_NS6detail15normal_iteratorINS9_10device_ptrIiEEEESE_PS5_SF_jNS0_19identity_decomposerENS1_16block_id_wrapperIjLb0EEEEE10hipError_tT1_PNSt15iterator_traitsISK_E10value_typeET2_T3_PNSL_ISQ_E10value_typeET4_T5_PSV_SW_PNS1_23onesweep_lookback_stateEbbT6_jjT7_P12ihipStream_tbENKUlT_T0_SK_SP_E_clISE_PiSF_SF_EEDaS13_S14_SK_SP_EUlS13_E_NS1_11comp_targetILNS1_3genE0ELNS1_11target_archE4294967295ELNS1_3gpuE0ELNS1_3repE0EEENS1_47radix_sort_onesweep_sort_config_static_selectorELNS0_4arch9wavefront6targetE1EEEvSK_, .Lfunc_end372-_ZN7rocprim17ROCPRIM_400000_NS6detail17trampoline_kernelINS0_14default_configENS1_35radix_sort_onesweep_config_selectorIiNS0_10empty_typeEEEZZNS1_29radix_sort_onesweep_iterationIS3_Lb1EN6thrust23THRUST_200600_302600_NS6detail15normal_iteratorINS9_10device_ptrIiEEEESE_PS5_SF_jNS0_19identity_decomposerENS1_16block_id_wrapperIjLb0EEEEE10hipError_tT1_PNSt15iterator_traitsISK_E10value_typeET2_T3_PNSL_ISQ_E10value_typeET4_T5_PSV_SW_PNS1_23onesweep_lookback_stateEbbT6_jjT7_P12ihipStream_tbENKUlT_T0_SK_SP_E_clISE_PiSF_SF_EEDaS13_S14_SK_SP_EUlS13_E_NS1_11comp_targetILNS1_3genE0ELNS1_11target_archE4294967295ELNS1_3gpuE0ELNS1_3repE0EEENS1_47radix_sort_onesweep_sort_config_static_selectorELNS0_4arch9wavefront6targetE1EEEvSK_
                                        ; -- End function
	.set _ZN7rocprim17ROCPRIM_400000_NS6detail17trampoline_kernelINS0_14default_configENS1_35radix_sort_onesweep_config_selectorIiNS0_10empty_typeEEEZZNS1_29radix_sort_onesweep_iterationIS3_Lb1EN6thrust23THRUST_200600_302600_NS6detail15normal_iteratorINS9_10device_ptrIiEEEESE_PS5_SF_jNS0_19identity_decomposerENS1_16block_id_wrapperIjLb0EEEEE10hipError_tT1_PNSt15iterator_traitsISK_E10value_typeET2_T3_PNSL_ISQ_E10value_typeET4_T5_PSV_SW_PNS1_23onesweep_lookback_stateEbbT6_jjT7_P12ihipStream_tbENKUlT_T0_SK_SP_E_clISE_PiSF_SF_EEDaS13_S14_SK_SP_EUlS13_E_NS1_11comp_targetILNS1_3genE0ELNS1_11target_archE4294967295ELNS1_3gpuE0ELNS1_3repE0EEENS1_47radix_sort_onesweep_sort_config_static_selectorELNS0_4arch9wavefront6targetE1EEEvSK_.num_vgpr, 0
	.set _ZN7rocprim17ROCPRIM_400000_NS6detail17trampoline_kernelINS0_14default_configENS1_35radix_sort_onesweep_config_selectorIiNS0_10empty_typeEEEZZNS1_29radix_sort_onesweep_iterationIS3_Lb1EN6thrust23THRUST_200600_302600_NS6detail15normal_iteratorINS9_10device_ptrIiEEEESE_PS5_SF_jNS0_19identity_decomposerENS1_16block_id_wrapperIjLb0EEEEE10hipError_tT1_PNSt15iterator_traitsISK_E10value_typeET2_T3_PNSL_ISQ_E10value_typeET4_T5_PSV_SW_PNS1_23onesweep_lookback_stateEbbT6_jjT7_P12ihipStream_tbENKUlT_T0_SK_SP_E_clISE_PiSF_SF_EEDaS13_S14_SK_SP_EUlS13_E_NS1_11comp_targetILNS1_3genE0ELNS1_11target_archE4294967295ELNS1_3gpuE0ELNS1_3repE0EEENS1_47radix_sort_onesweep_sort_config_static_selectorELNS0_4arch9wavefront6targetE1EEEvSK_.num_agpr, 0
	.set _ZN7rocprim17ROCPRIM_400000_NS6detail17trampoline_kernelINS0_14default_configENS1_35radix_sort_onesweep_config_selectorIiNS0_10empty_typeEEEZZNS1_29radix_sort_onesweep_iterationIS3_Lb1EN6thrust23THRUST_200600_302600_NS6detail15normal_iteratorINS9_10device_ptrIiEEEESE_PS5_SF_jNS0_19identity_decomposerENS1_16block_id_wrapperIjLb0EEEEE10hipError_tT1_PNSt15iterator_traitsISK_E10value_typeET2_T3_PNSL_ISQ_E10value_typeET4_T5_PSV_SW_PNS1_23onesweep_lookback_stateEbbT6_jjT7_P12ihipStream_tbENKUlT_T0_SK_SP_E_clISE_PiSF_SF_EEDaS13_S14_SK_SP_EUlS13_E_NS1_11comp_targetILNS1_3genE0ELNS1_11target_archE4294967295ELNS1_3gpuE0ELNS1_3repE0EEENS1_47radix_sort_onesweep_sort_config_static_selectorELNS0_4arch9wavefront6targetE1EEEvSK_.numbered_sgpr, 0
	.set _ZN7rocprim17ROCPRIM_400000_NS6detail17trampoline_kernelINS0_14default_configENS1_35radix_sort_onesweep_config_selectorIiNS0_10empty_typeEEEZZNS1_29radix_sort_onesweep_iterationIS3_Lb1EN6thrust23THRUST_200600_302600_NS6detail15normal_iteratorINS9_10device_ptrIiEEEESE_PS5_SF_jNS0_19identity_decomposerENS1_16block_id_wrapperIjLb0EEEEE10hipError_tT1_PNSt15iterator_traitsISK_E10value_typeET2_T3_PNSL_ISQ_E10value_typeET4_T5_PSV_SW_PNS1_23onesweep_lookback_stateEbbT6_jjT7_P12ihipStream_tbENKUlT_T0_SK_SP_E_clISE_PiSF_SF_EEDaS13_S14_SK_SP_EUlS13_E_NS1_11comp_targetILNS1_3genE0ELNS1_11target_archE4294967295ELNS1_3gpuE0ELNS1_3repE0EEENS1_47radix_sort_onesweep_sort_config_static_selectorELNS0_4arch9wavefront6targetE1EEEvSK_.num_named_barrier, 0
	.set _ZN7rocprim17ROCPRIM_400000_NS6detail17trampoline_kernelINS0_14default_configENS1_35radix_sort_onesweep_config_selectorIiNS0_10empty_typeEEEZZNS1_29radix_sort_onesweep_iterationIS3_Lb1EN6thrust23THRUST_200600_302600_NS6detail15normal_iteratorINS9_10device_ptrIiEEEESE_PS5_SF_jNS0_19identity_decomposerENS1_16block_id_wrapperIjLb0EEEEE10hipError_tT1_PNSt15iterator_traitsISK_E10value_typeET2_T3_PNSL_ISQ_E10value_typeET4_T5_PSV_SW_PNS1_23onesweep_lookback_stateEbbT6_jjT7_P12ihipStream_tbENKUlT_T0_SK_SP_E_clISE_PiSF_SF_EEDaS13_S14_SK_SP_EUlS13_E_NS1_11comp_targetILNS1_3genE0ELNS1_11target_archE4294967295ELNS1_3gpuE0ELNS1_3repE0EEENS1_47radix_sort_onesweep_sort_config_static_selectorELNS0_4arch9wavefront6targetE1EEEvSK_.private_seg_size, 0
	.set _ZN7rocprim17ROCPRIM_400000_NS6detail17trampoline_kernelINS0_14default_configENS1_35radix_sort_onesweep_config_selectorIiNS0_10empty_typeEEEZZNS1_29radix_sort_onesweep_iterationIS3_Lb1EN6thrust23THRUST_200600_302600_NS6detail15normal_iteratorINS9_10device_ptrIiEEEESE_PS5_SF_jNS0_19identity_decomposerENS1_16block_id_wrapperIjLb0EEEEE10hipError_tT1_PNSt15iterator_traitsISK_E10value_typeET2_T3_PNSL_ISQ_E10value_typeET4_T5_PSV_SW_PNS1_23onesweep_lookback_stateEbbT6_jjT7_P12ihipStream_tbENKUlT_T0_SK_SP_E_clISE_PiSF_SF_EEDaS13_S14_SK_SP_EUlS13_E_NS1_11comp_targetILNS1_3genE0ELNS1_11target_archE4294967295ELNS1_3gpuE0ELNS1_3repE0EEENS1_47radix_sort_onesweep_sort_config_static_selectorELNS0_4arch9wavefront6targetE1EEEvSK_.uses_vcc, 0
	.set _ZN7rocprim17ROCPRIM_400000_NS6detail17trampoline_kernelINS0_14default_configENS1_35radix_sort_onesweep_config_selectorIiNS0_10empty_typeEEEZZNS1_29radix_sort_onesweep_iterationIS3_Lb1EN6thrust23THRUST_200600_302600_NS6detail15normal_iteratorINS9_10device_ptrIiEEEESE_PS5_SF_jNS0_19identity_decomposerENS1_16block_id_wrapperIjLb0EEEEE10hipError_tT1_PNSt15iterator_traitsISK_E10value_typeET2_T3_PNSL_ISQ_E10value_typeET4_T5_PSV_SW_PNS1_23onesweep_lookback_stateEbbT6_jjT7_P12ihipStream_tbENKUlT_T0_SK_SP_E_clISE_PiSF_SF_EEDaS13_S14_SK_SP_EUlS13_E_NS1_11comp_targetILNS1_3genE0ELNS1_11target_archE4294967295ELNS1_3gpuE0ELNS1_3repE0EEENS1_47radix_sort_onesweep_sort_config_static_selectorELNS0_4arch9wavefront6targetE1EEEvSK_.uses_flat_scratch, 0
	.set _ZN7rocprim17ROCPRIM_400000_NS6detail17trampoline_kernelINS0_14default_configENS1_35radix_sort_onesweep_config_selectorIiNS0_10empty_typeEEEZZNS1_29radix_sort_onesweep_iterationIS3_Lb1EN6thrust23THRUST_200600_302600_NS6detail15normal_iteratorINS9_10device_ptrIiEEEESE_PS5_SF_jNS0_19identity_decomposerENS1_16block_id_wrapperIjLb0EEEEE10hipError_tT1_PNSt15iterator_traitsISK_E10value_typeET2_T3_PNSL_ISQ_E10value_typeET4_T5_PSV_SW_PNS1_23onesweep_lookback_stateEbbT6_jjT7_P12ihipStream_tbENKUlT_T0_SK_SP_E_clISE_PiSF_SF_EEDaS13_S14_SK_SP_EUlS13_E_NS1_11comp_targetILNS1_3genE0ELNS1_11target_archE4294967295ELNS1_3gpuE0ELNS1_3repE0EEENS1_47radix_sort_onesweep_sort_config_static_selectorELNS0_4arch9wavefront6targetE1EEEvSK_.has_dyn_sized_stack, 0
	.set _ZN7rocprim17ROCPRIM_400000_NS6detail17trampoline_kernelINS0_14default_configENS1_35radix_sort_onesweep_config_selectorIiNS0_10empty_typeEEEZZNS1_29radix_sort_onesweep_iterationIS3_Lb1EN6thrust23THRUST_200600_302600_NS6detail15normal_iteratorINS9_10device_ptrIiEEEESE_PS5_SF_jNS0_19identity_decomposerENS1_16block_id_wrapperIjLb0EEEEE10hipError_tT1_PNSt15iterator_traitsISK_E10value_typeET2_T3_PNSL_ISQ_E10value_typeET4_T5_PSV_SW_PNS1_23onesweep_lookback_stateEbbT6_jjT7_P12ihipStream_tbENKUlT_T0_SK_SP_E_clISE_PiSF_SF_EEDaS13_S14_SK_SP_EUlS13_E_NS1_11comp_targetILNS1_3genE0ELNS1_11target_archE4294967295ELNS1_3gpuE0ELNS1_3repE0EEENS1_47radix_sort_onesweep_sort_config_static_selectorELNS0_4arch9wavefront6targetE1EEEvSK_.has_recursion, 0
	.set _ZN7rocprim17ROCPRIM_400000_NS6detail17trampoline_kernelINS0_14default_configENS1_35radix_sort_onesweep_config_selectorIiNS0_10empty_typeEEEZZNS1_29radix_sort_onesweep_iterationIS3_Lb1EN6thrust23THRUST_200600_302600_NS6detail15normal_iteratorINS9_10device_ptrIiEEEESE_PS5_SF_jNS0_19identity_decomposerENS1_16block_id_wrapperIjLb0EEEEE10hipError_tT1_PNSt15iterator_traitsISK_E10value_typeET2_T3_PNSL_ISQ_E10value_typeET4_T5_PSV_SW_PNS1_23onesweep_lookback_stateEbbT6_jjT7_P12ihipStream_tbENKUlT_T0_SK_SP_E_clISE_PiSF_SF_EEDaS13_S14_SK_SP_EUlS13_E_NS1_11comp_targetILNS1_3genE0ELNS1_11target_archE4294967295ELNS1_3gpuE0ELNS1_3repE0EEENS1_47radix_sort_onesweep_sort_config_static_selectorELNS0_4arch9wavefront6targetE1EEEvSK_.has_indirect_call, 0
	.section	.AMDGPU.csdata,"",@progbits
; Kernel info:
; codeLenInByte = 0
; TotalNumSgprs: 6
; NumVgprs: 0
; NumAgprs: 0
; TotalNumVgprs: 0
; ScratchSize: 0
; MemoryBound: 0
; FloatMode: 240
; IeeeMode: 1
; LDSByteSize: 0 bytes/workgroup (compile time only)
; SGPRBlocks: 0
; VGPRBlocks: 0
; NumSGPRsForWavesPerEU: 6
; NumVGPRsForWavesPerEU: 1
; AccumOffset: 4
; Occupancy: 8
; WaveLimiterHint : 0
; COMPUTE_PGM_RSRC2:SCRATCH_EN: 0
; COMPUTE_PGM_RSRC2:USER_SGPR: 2
; COMPUTE_PGM_RSRC2:TRAP_HANDLER: 0
; COMPUTE_PGM_RSRC2:TGID_X_EN: 1
; COMPUTE_PGM_RSRC2:TGID_Y_EN: 0
; COMPUTE_PGM_RSRC2:TGID_Z_EN: 0
; COMPUTE_PGM_RSRC2:TIDIG_COMP_CNT: 0
; COMPUTE_PGM_RSRC3_GFX90A:ACCUM_OFFSET: 0
; COMPUTE_PGM_RSRC3_GFX90A:TG_SPLIT: 0
	.section	.text._ZN7rocprim17ROCPRIM_400000_NS6detail17trampoline_kernelINS0_14default_configENS1_35radix_sort_onesweep_config_selectorIiNS0_10empty_typeEEEZZNS1_29radix_sort_onesweep_iterationIS3_Lb1EN6thrust23THRUST_200600_302600_NS6detail15normal_iteratorINS9_10device_ptrIiEEEESE_PS5_SF_jNS0_19identity_decomposerENS1_16block_id_wrapperIjLb0EEEEE10hipError_tT1_PNSt15iterator_traitsISK_E10value_typeET2_T3_PNSL_ISQ_E10value_typeET4_T5_PSV_SW_PNS1_23onesweep_lookback_stateEbbT6_jjT7_P12ihipStream_tbENKUlT_T0_SK_SP_E_clISE_PiSF_SF_EEDaS13_S14_SK_SP_EUlS13_E_NS1_11comp_targetILNS1_3genE6ELNS1_11target_archE950ELNS1_3gpuE13ELNS1_3repE0EEENS1_47radix_sort_onesweep_sort_config_static_selectorELNS0_4arch9wavefront6targetE1EEEvSK_,"axG",@progbits,_ZN7rocprim17ROCPRIM_400000_NS6detail17trampoline_kernelINS0_14default_configENS1_35radix_sort_onesweep_config_selectorIiNS0_10empty_typeEEEZZNS1_29radix_sort_onesweep_iterationIS3_Lb1EN6thrust23THRUST_200600_302600_NS6detail15normal_iteratorINS9_10device_ptrIiEEEESE_PS5_SF_jNS0_19identity_decomposerENS1_16block_id_wrapperIjLb0EEEEE10hipError_tT1_PNSt15iterator_traitsISK_E10value_typeET2_T3_PNSL_ISQ_E10value_typeET4_T5_PSV_SW_PNS1_23onesweep_lookback_stateEbbT6_jjT7_P12ihipStream_tbENKUlT_T0_SK_SP_E_clISE_PiSF_SF_EEDaS13_S14_SK_SP_EUlS13_E_NS1_11comp_targetILNS1_3genE6ELNS1_11target_archE950ELNS1_3gpuE13ELNS1_3repE0EEENS1_47radix_sort_onesweep_sort_config_static_selectorELNS0_4arch9wavefront6targetE1EEEvSK_,comdat
	.protected	_ZN7rocprim17ROCPRIM_400000_NS6detail17trampoline_kernelINS0_14default_configENS1_35radix_sort_onesweep_config_selectorIiNS0_10empty_typeEEEZZNS1_29radix_sort_onesweep_iterationIS3_Lb1EN6thrust23THRUST_200600_302600_NS6detail15normal_iteratorINS9_10device_ptrIiEEEESE_PS5_SF_jNS0_19identity_decomposerENS1_16block_id_wrapperIjLb0EEEEE10hipError_tT1_PNSt15iterator_traitsISK_E10value_typeET2_T3_PNSL_ISQ_E10value_typeET4_T5_PSV_SW_PNS1_23onesweep_lookback_stateEbbT6_jjT7_P12ihipStream_tbENKUlT_T0_SK_SP_E_clISE_PiSF_SF_EEDaS13_S14_SK_SP_EUlS13_E_NS1_11comp_targetILNS1_3genE6ELNS1_11target_archE950ELNS1_3gpuE13ELNS1_3repE0EEENS1_47radix_sort_onesweep_sort_config_static_selectorELNS0_4arch9wavefront6targetE1EEEvSK_ ; -- Begin function _ZN7rocprim17ROCPRIM_400000_NS6detail17trampoline_kernelINS0_14default_configENS1_35radix_sort_onesweep_config_selectorIiNS0_10empty_typeEEEZZNS1_29radix_sort_onesweep_iterationIS3_Lb1EN6thrust23THRUST_200600_302600_NS6detail15normal_iteratorINS9_10device_ptrIiEEEESE_PS5_SF_jNS0_19identity_decomposerENS1_16block_id_wrapperIjLb0EEEEE10hipError_tT1_PNSt15iterator_traitsISK_E10value_typeET2_T3_PNSL_ISQ_E10value_typeET4_T5_PSV_SW_PNS1_23onesweep_lookback_stateEbbT6_jjT7_P12ihipStream_tbENKUlT_T0_SK_SP_E_clISE_PiSF_SF_EEDaS13_S14_SK_SP_EUlS13_E_NS1_11comp_targetILNS1_3genE6ELNS1_11target_archE950ELNS1_3gpuE13ELNS1_3repE0EEENS1_47radix_sort_onesweep_sort_config_static_selectorELNS0_4arch9wavefront6targetE1EEEvSK_
	.globl	_ZN7rocprim17ROCPRIM_400000_NS6detail17trampoline_kernelINS0_14default_configENS1_35radix_sort_onesweep_config_selectorIiNS0_10empty_typeEEEZZNS1_29radix_sort_onesweep_iterationIS3_Lb1EN6thrust23THRUST_200600_302600_NS6detail15normal_iteratorINS9_10device_ptrIiEEEESE_PS5_SF_jNS0_19identity_decomposerENS1_16block_id_wrapperIjLb0EEEEE10hipError_tT1_PNSt15iterator_traitsISK_E10value_typeET2_T3_PNSL_ISQ_E10value_typeET4_T5_PSV_SW_PNS1_23onesweep_lookback_stateEbbT6_jjT7_P12ihipStream_tbENKUlT_T0_SK_SP_E_clISE_PiSF_SF_EEDaS13_S14_SK_SP_EUlS13_E_NS1_11comp_targetILNS1_3genE6ELNS1_11target_archE950ELNS1_3gpuE13ELNS1_3repE0EEENS1_47radix_sort_onesweep_sort_config_static_selectorELNS0_4arch9wavefront6targetE1EEEvSK_
	.p2align	8
	.type	_ZN7rocprim17ROCPRIM_400000_NS6detail17trampoline_kernelINS0_14default_configENS1_35radix_sort_onesweep_config_selectorIiNS0_10empty_typeEEEZZNS1_29radix_sort_onesweep_iterationIS3_Lb1EN6thrust23THRUST_200600_302600_NS6detail15normal_iteratorINS9_10device_ptrIiEEEESE_PS5_SF_jNS0_19identity_decomposerENS1_16block_id_wrapperIjLb0EEEEE10hipError_tT1_PNSt15iterator_traitsISK_E10value_typeET2_T3_PNSL_ISQ_E10value_typeET4_T5_PSV_SW_PNS1_23onesweep_lookback_stateEbbT6_jjT7_P12ihipStream_tbENKUlT_T0_SK_SP_E_clISE_PiSF_SF_EEDaS13_S14_SK_SP_EUlS13_E_NS1_11comp_targetILNS1_3genE6ELNS1_11target_archE950ELNS1_3gpuE13ELNS1_3repE0EEENS1_47radix_sort_onesweep_sort_config_static_selectorELNS0_4arch9wavefront6targetE1EEEvSK_,@function
_ZN7rocprim17ROCPRIM_400000_NS6detail17trampoline_kernelINS0_14default_configENS1_35radix_sort_onesweep_config_selectorIiNS0_10empty_typeEEEZZNS1_29radix_sort_onesweep_iterationIS3_Lb1EN6thrust23THRUST_200600_302600_NS6detail15normal_iteratorINS9_10device_ptrIiEEEESE_PS5_SF_jNS0_19identity_decomposerENS1_16block_id_wrapperIjLb0EEEEE10hipError_tT1_PNSt15iterator_traitsISK_E10value_typeET2_T3_PNSL_ISQ_E10value_typeET4_T5_PSV_SW_PNS1_23onesweep_lookback_stateEbbT6_jjT7_P12ihipStream_tbENKUlT_T0_SK_SP_E_clISE_PiSF_SF_EEDaS13_S14_SK_SP_EUlS13_E_NS1_11comp_targetILNS1_3genE6ELNS1_11target_archE950ELNS1_3gpuE13ELNS1_3repE0EEENS1_47radix_sort_onesweep_sort_config_static_selectorELNS0_4arch9wavefront6targetE1EEEvSK_: ; @_ZN7rocprim17ROCPRIM_400000_NS6detail17trampoline_kernelINS0_14default_configENS1_35radix_sort_onesweep_config_selectorIiNS0_10empty_typeEEEZZNS1_29radix_sort_onesweep_iterationIS3_Lb1EN6thrust23THRUST_200600_302600_NS6detail15normal_iteratorINS9_10device_ptrIiEEEESE_PS5_SF_jNS0_19identity_decomposerENS1_16block_id_wrapperIjLb0EEEEE10hipError_tT1_PNSt15iterator_traitsISK_E10value_typeET2_T3_PNSL_ISQ_E10value_typeET4_T5_PSV_SW_PNS1_23onesweep_lookback_stateEbbT6_jjT7_P12ihipStream_tbENKUlT_T0_SK_SP_E_clISE_PiSF_SF_EEDaS13_S14_SK_SP_EUlS13_E_NS1_11comp_targetILNS1_3genE6ELNS1_11target_archE950ELNS1_3gpuE13ELNS1_3repE0EEENS1_47radix_sort_onesweep_sort_config_static_selectorELNS0_4arch9wavefront6targetE1EEEvSK_
; %bb.0:
	s_load_dwordx2 s[28:29], s[0:1], 0x38
	s_load_dwordx4 s[20:23], s[0:1], 0x44
	s_load_dwordx4 s[24:27], s[0:1], 0x0
	;; [unrolled: 1-line block ×3, first 2 shown]
	s_mov_b64 s[4:5], -1
	v_mbcnt_lo_u32_b32 v1, -1, 0
	s_waitcnt lgkmcnt(0)
	s_cmp_ge_u32 s2, s22
	s_cbranch_scc0 .LBB373_82
; %bb.1:
	s_load_dword s3, s[0:1], 0x20
	s_lshl_b32 s6, s22, 13
	s_lshl_b32 s4, s2, 13
	s_mov_b32 s5, 0
	v_and_b32_e32 v10, 0x3ff, v0
	s_waitcnt lgkmcnt(0)
	s_sub_i32 s3, s3, s6
	s_lshl_b64 s[4:5], s[4:5], 2
	v_mbcnt_hi_u32_b32 v16, -1, v1
	s_add_u32 s4, s24, s4
	v_and_b32_e32 v6, 63, v16
	v_lshlrev_b32_e32 v2, 3, v10
	s_addc_u32 s5, s25, s5
	v_and_b32_e32 v7, 0x1e00, v2
	v_lshlrev_b32_e32 v2, 2, v6
	v_mov_b32_e32 v3, 0
	v_lshl_add_u64 v[4:5], s[4:5], 0, v[2:3]
	v_lshlrev_b32_e32 v2, 2, v7
	v_lshl_add_u64 v[12:13], v[4:5], 0, v[2:3]
	v_or_b32_e32 v11, v6, v7
	v_bfrev_b32_e32 v2, 1
	v_cmp_gt_u32_e32 vcc, s3, v11
	v_mov_b32_e32 v3, v2
	v_mov_b32_e32 v4, v2
	;; [unrolled: 1-line block ×7, first 2 shown]
	s_and_saveexec_b64 s[4:5], vcc
	s_cbranch_execz .LBB373_3
; %bb.2:
	global_load_dword v18, v[12:13], off
	v_mov_b32_e32 v19, v2
	v_mov_b32_e32 v20, v2
	;; [unrolled: 1-line block ×7, first 2 shown]
	s_waitcnt vmcnt(0)
	v_mov_b64_e32 v[2:3], v[18:19]
	v_mov_b64_e32 v[4:5], v[20:21]
	;; [unrolled: 1-line block ×4, first 2 shown]
.LBB373_3:
	s_or_b64 exec, exec, s[4:5]
	v_or_b32_e32 v14, 64, v11
	v_cmp_gt_u32_e32 vcc, s3, v14
	s_and_saveexec_b64 s[4:5], vcc
	s_cbranch_execz .LBB373_5
; %bb.4:
	global_load_dword v3, v[12:13], off offset:256
.LBB373_5:
	s_or_b64 exec, exec, s[4:5]
	v_or_b32_e32 v14, 0x80, v11
	v_cmp_gt_u32_e32 vcc, s3, v14
	s_and_saveexec_b64 s[4:5], vcc
	s_cbranch_execz .LBB373_7
; %bb.6:
	global_load_dword v4, v[12:13], off offset:512
.LBB373_7:
	;; [unrolled: 8-line block ×7, first 2 shown]
	s_or_b64 exec, exec, s[4:5]
	s_load_dword s4, s[0:1], 0x64
	s_load_dword s22, s[0:1], 0x58
	s_add_u32 s5, s0, 0x58
	s_addc_u32 s6, s1, 0
	v_mov_b32_e32 v13, 0
	s_waitcnt lgkmcnt(0)
	s_lshr_b32 s7, s4, 16
	s_cmp_lt_u32 s2, s22
	s_cselect_b32 s4, 12, 18
	s_add_u32 s4, s5, s4
	s_addc_u32 s5, s6, 0
	global_load_ushort v30, v13, s[4:5]
	v_xor_b32_e32 v11, 0x7fffffff, v2
	v_lshrrev_b32_e32 v15, s20, v11
	s_lshl_b32 s4, -1, s21
	v_bfe_u32 v2, v0, 10, 10
	v_bfe_u32 v12, v0, 20, 10
	v_bitop3_b32 v31, v15, s4, v15 bitop3:0x30
	v_mad_u32_u24 v2, v12, s7, v2
	v_and_b32_e32 v12, 1, v31
	v_lshlrev_b32_e32 v15, 30, v31
	v_mov_b32_e32 v14, v13
	v_mov_b32_e32 v20, v13
	v_lshlrev_b32_e32 v19, 29, v31
	v_lshlrev_b32_e32 v21, 28, v31
	v_lshl_add_u64 v[28:29], v[12:13], 0, -1
	v_cmp_ne_u32_e32 vcc, 0, v12
	v_not_b32_e32 v12, v15
	v_mov_b32_e32 v18, v13
	v_mov_b32_e32 v22, v13
	s_not_b32 s23, s4
	v_lshlrev_b32_e32 v23, 27, v31
	v_cmp_gt_i64_e64 s[4:5], 0, v[14:15]
	v_not_b32_e32 v14, v19
	v_cmp_gt_i64_e64 s[8:9], 0, v[20:21]
	v_not_b32_e32 v15, v21
	v_xor_b32_e32 v21, vcc_hi, v29
	v_ashrrev_i32_e32 v12, 31, v12
	v_mov_b32_e32 v24, v13
	v_lshlrev_b32_e32 v25, 26, v31
	v_cmp_gt_i64_e64 s[6:7], 0, v[18:19]
	v_cmp_gt_i64_e64 s[10:11], 0, v[22:23]
	v_not_b32_e32 v18, v23
	v_xor_b32_e32 v22, vcc_lo, v28
	v_ashrrev_i32_e32 v14, 31, v14
	v_and_b32_e32 v21, exec_hi, v21
	v_xor_b32_e32 v23, s5, v12
	v_cmp_gt_i64_e64 s[12:13], 0, v[24:25]
	v_ashrrev_i32_e32 v15, 31, v15
	v_and_b32_e32 v22, exec_lo, v22
	v_xor_b32_e32 v12, s4, v12
	v_xor_b32_e32 v24, s7, v14
	v_and_b32_e32 v21, v21, v23
	v_mov_b32_e32 v26, v13
	v_lshlrev_b32_e32 v27, 25, v31
	v_not_b32_e32 v19, v25
	v_ashrrev_i32_e32 v18, 31, v18
	v_xor_b32_e32 v14, s6, v14
	v_xor_b32_e32 v25, s9, v15
	v_and_b32_e32 v12, v22, v12
	v_and_b32_e32 v21, v21, v24
	v_cmp_gt_i64_e64 s[14:15], 0, v[26:27]
	v_not_b32_e32 v20, v27
	v_ashrrev_i32_e32 v19, 31, v19
	v_xor_b32_e32 v26, s11, v18
	v_and_b32_e32 v12, v12, v14
	v_and_b32_e32 v14, v21, v25
	v_ashrrev_i32_e32 v20, 31, v20
	v_xor_b32_e32 v15, s8, v15
	v_xor_b32_e32 v27, s13, v19
	v_and_b32_e32 v14, v14, v26
	v_xor_b32_e32 v18, s10, v18
	v_xor_b32_e32 v28, s15, v20
	v_and_b32_e32 v12, v12, v15
	v_and_b32_e32 v14, v14, v27
	;; [unrolled: 1-line block ×4, first 2 shown]
	v_xor_b32_e32 v19, s12, v19
	v_xor_b32_e32 v20, s14, v20
	v_and_b32_e32 v12, v12, v19
	v_and_b32_e32 v12, v12, v20
	s_movk_i32 s30, 0x44
	v_mul_lo_u32 v32, v31, s30
	v_mul_u32_u24_e32 v17, 20, v10
	ds_write2_b32 v17, v13, v13 offset0:16 offset1:17
	ds_write2_b32 v17, v13, v13 offset0:18 offset1:19
	ds_write_b32 v17, v13 offset:80
	s_waitcnt lgkmcnt(0)
	s_barrier
	s_waitcnt vmcnt(0)
	; wave barrier
	v_mad_u64_u32 v[14:15], s[4:5], v2, v30, v[10:11]
	v_lshrrev_b32_e32 v2, 4, v14
	v_lshlrev_b32_e32 v15, 24, v31
	v_and_b32_e32 v30, 0xffffffc, v2
	v_mov_b32_e32 v14, v13
	v_not_b32_e32 v2, v15
	v_cmp_gt_i64_e32 vcc, 0, v[14:15]
	v_ashrrev_i32_e32 v2, 31, v2
	v_add_u32_e32 v22, v30, v32
	v_xor_b32_e32 v14, vcc_hi, v2
	v_xor_b32_e32 v2, vcc_lo, v2
	v_and_b32_e32 v15, v18, v14
	v_and_b32_e32 v14, v12, v2
	v_mbcnt_lo_u32_b32 v2, v14, 0
	v_mbcnt_hi_u32_b32 v18, v15, v2
	v_cmp_eq_u32_e32 vcc, 0, v18
	v_cmp_ne_u64_e64 s[4:5], 0, v[14:15]
	s_and_b64 s[6:7], s[4:5], vcc
	s_and_saveexec_b64 s[4:5], s[6:7]
; %bb.18:
	v_bcnt_u32_b32 v2, v14, 0
	v_bcnt_u32_b32 v2, v15, v2
	ds_write_b32 v22, v2 offset:64
; %bb.19:
	s_or_b64 exec, exec, s[4:5]
	v_xor_b32_e32 v14, 0x7fffffff, v3
	v_lshrrev_b32_e32 v2, s20, v14
	v_and_b32_e32 v15, s23, v2
	v_mul_lo_u32 v2, v15, s30
	v_and_b32_e32 v12, 1, v15
	v_add_u32_e32 v23, v30, v2
	v_lshl_add_u64 v[2:3], v[12:13], 0, -1
	v_cmp_ne_u32_e32 vcc, 0, v12
	; wave barrier
	s_nop 1
	v_xor_b32_e32 v3, vcc_hi, v3
	v_xor_b32_e32 v2, vcc_lo, v2
	v_and_b32_e32 v12, exec_hi, v3
	v_and_b32_e32 v20, exec_lo, v2
	v_lshlrev_b32_e32 v3, 30, v15
	v_mov_b32_e32 v2, v13
	v_cmp_gt_i64_e32 vcc, 0, v[2:3]
	v_not_b32_e32 v2, v3
	v_ashrrev_i32_e32 v2, 31, v2
	v_xor_b32_e32 v3, vcc_hi, v2
	v_xor_b32_e32 v2, vcc_lo, v2
	v_and_b32_e32 v12, v12, v3
	v_and_b32_e32 v20, v20, v2
	v_lshlrev_b32_e32 v3, 29, v15
	v_mov_b32_e32 v2, v13
	v_cmp_gt_i64_e32 vcc, 0, v[2:3]
	v_not_b32_e32 v2, v3
	v_ashrrev_i32_e32 v2, 31, v2
	v_xor_b32_e32 v3, vcc_hi, v2
	v_xor_b32_e32 v2, vcc_lo, v2
	v_and_b32_e32 v12, v12, v3
	v_and_b32_e32 v20, v20, v2
	;; [unrolled: 9-line block ×6, first 2 shown]
	v_lshlrev_b32_e32 v3, 24, v15
	v_mov_b32_e32 v2, v13
	v_cmp_gt_i64_e32 vcc, 0, v[2:3]
	v_not_b32_e32 v2, v3
	v_ashrrev_i32_e32 v2, 31, v2
	v_xor_b32_e32 v3, vcc_hi, v2
	v_xor_b32_e32 v2, vcc_lo, v2
	ds_read_b32 v19, v23 offset:64
	v_and_b32_e32 v2, v20, v2
	v_and_b32_e32 v3, v12, v3
	v_mbcnt_lo_u32_b32 v12, v2, 0
	v_mbcnt_hi_u32_b32 v20, v3, v12
	v_cmp_eq_u32_e32 vcc, 0, v20
	v_cmp_ne_u64_e64 s[4:5], 0, v[2:3]
	s_and_b64 s[6:7], s[4:5], vcc
	; wave barrier
	s_and_saveexec_b64 s[4:5], s[6:7]
	s_cbranch_execz .LBB373_21
; %bb.20:
	v_bcnt_u32_b32 v2, v2, 0
	v_bcnt_u32_b32 v2, v3, v2
	s_waitcnt lgkmcnt(0)
	v_add_u32_e32 v2, v19, v2
	ds_write_b32 v23, v2 offset:64
.LBB373_21:
	s_or_b64 exec, exec, s[4:5]
	v_xor_b32_e32 v15, 0x7fffffff, v4
	v_lshrrev_b32_e32 v2, s20, v15
	v_and_b32_e32 v4, s23, v2
	s_movk_i32 s6, 0x44
	v_mul_lo_u32 v2, v4, s6
	v_add_u32_e32 v27, v30, v2
	v_and_b32_e32 v2, 1, v4
	v_mov_b32_e32 v3, 0
	v_lshl_add_u64 v[12:13], v[2:3], 0, -1
	v_cmp_ne_u32_e32 vcc, 0, v2
	; wave barrier
	s_nop 1
	v_xor_b32_e32 v12, vcc_lo, v12
	v_xor_b32_e32 v2, vcc_hi, v13
	v_and_b32_e32 v24, exec_lo, v12
	v_lshlrev_b32_e32 v13, 30, v4
	v_mov_b32_e32 v12, v3
	v_cmp_gt_i64_e32 vcc, 0, v[12:13]
	v_not_b32_e32 v12, v13
	v_ashrrev_i32_e32 v12, 31, v12
	v_and_b32_e32 v2, exec_hi, v2
	v_xor_b32_e32 v13, vcc_hi, v12
	v_xor_b32_e32 v12, vcc_lo, v12
	v_and_b32_e32 v2, v2, v13
	v_and_b32_e32 v24, v24, v12
	v_lshlrev_b32_e32 v13, 29, v4
	v_mov_b32_e32 v12, v3
	v_cmp_gt_i64_e32 vcc, 0, v[12:13]
	v_not_b32_e32 v12, v13
	v_ashrrev_i32_e32 v12, 31, v12
	v_xor_b32_e32 v13, vcc_hi, v12
	v_xor_b32_e32 v12, vcc_lo, v12
	v_and_b32_e32 v2, v2, v13
	v_and_b32_e32 v24, v24, v12
	v_lshlrev_b32_e32 v13, 28, v4
	v_mov_b32_e32 v12, v3
	v_cmp_gt_i64_e32 vcc, 0, v[12:13]
	v_not_b32_e32 v12, v13
	v_ashrrev_i32_e32 v12, 31, v12
	;; [unrolled: 9-line block ×5, first 2 shown]
	v_xor_b32_e32 v13, vcc_hi, v12
	v_xor_b32_e32 v12, vcc_lo, v12
	v_and_b32_e32 v2, v2, v13
	v_lshlrev_b32_e32 v13, 24, v4
	v_and_b32_e32 v24, v24, v12
	v_mov_b32_e32 v12, v3
	v_not_b32_e32 v4, v13
	v_cmp_gt_i64_e32 vcc, 0, v[12:13]
	v_ashrrev_i32_e32 v4, 31, v4
	ds_read_b32 v21, v27 offset:64
	v_xor_b32_e32 v12, vcc_hi, v4
	v_xor_b32_e32 v4, vcc_lo, v4
	v_and_b32_e32 v13, v2, v12
	v_and_b32_e32 v12, v24, v4
	v_mbcnt_lo_u32_b32 v2, v12, 0
	v_mbcnt_hi_u32_b32 v25, v13, v2
	v_cmp_eq_u32_e32 vcc, 0, v25
	v_cmp_ne_u64_e64 s[4:5], 0, v[12:13]
	s_and_b64 s[8:9], s[4:5], vcc
	; wave barrier
	s_and_saveexec_b64 s[4:5], s[8:9]
	s_cbranch_execz .LBB373_23
; %bb.22:
	v_bcnt_u32_b32 v2, v12, 0
	v_bcnt_u32_b32 v2, v13, v2
	s_waitcnt lgkmcnt(0)
	v_add_u32_e32 v2, v21, v2
	ds_write_b32 v27, v2 offset:64
.LBB373_23:
	s_or_b64 exec, exec, s[4:5]
	v_xor_b32_e32 v12, 0x7fffffff, v5
	v_lshrrev_b32_e32 v2, s20, v12
	v_and_b32_e32 v13, s23, v2
	v_mul_lo_u32 v2, v13, s6
	v_add_u32_e32 v31, v30, v2
	v_and_b32_e32 v2, 1, v13
	v_lshl_add_u64 v[4:5], v[2:3], 0, -1
	v_cmp_ne_u32_e32 vcc, 0, v2
	; wave barrier
	s_nop 1
	v_xor_b32_e32 v4, vcc_lo, v4
	v_xor_b32_e32 v2, vcc_hi, v5
	v_and_b32_e32 v24, exec_lo, v4
	v_lshlrev_b32_e32 v5, 30, v13
	v_mov_b32_e32 v4, v3
	v_cmp_gt_i64_e32 vcc, 0, v[4:5]
	v_not_b32_e32 v4, v5
	v_ashrrev_i32_e32 v4, 31, v4
	v_and_b32_e32 v2, exec_hi, v2
	v_xor_b32_e32 v5, vcc_hi, v4
	v_xor_b32_e32 v4, vcc_lo, v4
	v_and_b32_e32 v2, v2, v5
	v_and_b32_e32 v24, v24, v4
	v_lshlrev_b32_e32 v5, 29, v13
	v_mov_b32_e32 v4, v3
	v_cmp_gt_i64_e32 vcc, 0, v[4:5]
	v_not_b32_e32 v4, v5
	v_ashrrev_i32_e32 v4, 31, v4
	v_xor_b32_e32 v5, vcc_hi, v4
	v_xor_b32_e32 v4, vcc_lo, v4
	v_and_b32_e32 v2, v2, v5
	v_and_b32_e32 v24, v24, v4
	v_lshlrev_b32_e32 v5, 28, v13
	v_mov_b32_e32 v4, v3
	v_cmp_gt_i64_e32 vcc, 0, v[4:5]
	v_not_b32_e32 v4, v5
	v_ashrrev_i32_e32 v4, 31, v4
	;; [unrolled: 9-line block ×5, first 2 shown]
	v_xor_b32_e32 v5, vcc_hi, v4
	v_xor_b32_e32 v4, vcc_lo, v4
	v_and_b32_e32 v2, v2, v5
	v_lshlrev_b32_e32 v5, 24, v13
	v_and_b32_e32 v24, v24, v4
	v_mov_b32_e32 v4, v3
	v_not_b32_e32 v3, v5
	v_cmp_gt_i64_e32 vcc, 0, v[4:5]
	v_ashrrev_i32_e32 v3, 31, v3
	ds_read_b32 v26, v31 offset:64
	v_xor_b32_e32 v4, vcc_hi, v3
	v_xor_b32_e32 v5, vcc_lo, v3
	v_and_b32_e32 v3, v2, v4
	v_and_b32_e32 v2, v24, v5
	v_mbcnt_lo_u32_b32 v4, v2, 0
	v_mbcnt_hi_u32_b32 v28, v3, v4
	v_cmp_eq_u32_e32 vcc, 0, v28
	v_cmp_ne_u64_e64 s[4:5], 0, v[2:3]
	s_and_b64 s[6:7], s[4:5], vcc
	; wave barrier
	s_and_saveexec_b64 s[4:5], s[6:7]
	s_cbranch_execz .LBB373_25
; %bb.24:
	v_bcnt_u32_b32 v2, v2, 0
	v_bcnt_u32_b32 v2, v3, v2
	s_waitcnt lgkmcnt(0)
	v_add_u32_e32 v2, v26, v2
	ds_write_b32 v31, v2 offset:64
.LBB373_25:
	s_or_b64 exec, exec, s[4:5]
	v_xor_b32_e32 v13, 0x7fffffff, v6
	v_lshrrev_b32_e32 v2, s20, v13
	v_and_b32_e32 v24, s23, v2
	s_movk_i32 s6, 0x44
	v_mul_lo_u32 v2, v24, s6
	v_add_u32_e32 v6, v30, v2
	v_and_b32_e32 v2, 1, v24
	v_mov_b32_e32 v3, 0
	v_lshl_add_u64 v[4:5], v[2:3], 0, -1
	v_cmp_ne_u32_e32 vcc, 0, v2
	; wave barrier
	s_nop 1
	v_xor_b32_e32 v4, vcc_lo, v4
	v_xor_b32_e32 v2, vcc_hi, v5
	v_and_b32_e32 v32, exec_lo, v4
	v_lshlrev_b32_e32 v5, 30, v24
	v_mov_b32_e32 v4, v3
	v_cmp_gt_i64_e32 vcc, 0, v[4:5]
	v_not_b32_e32 v4, v5
	v_ashrrev_i32_e32 v4, 31, v4
	v_and_b32_e32 v2, exec_hi, v2
	v_xor_b32_e32 v5, vcc_hi, v4
	v_xor_b32_e32 v4, vcc_lo, v4
	v_and_b32_e32 v2, v2, v5
	v_and_b32_e32 v32, v32, v4
	v_lshlrev_b32_e32 v5, 29, v24
	v_mov_b32_e32 v4, v3
	v_cmp_gt_i64_e32 vcc, 0, v[4:5]
	v_not_b32_e32 v4, v5
	v_ashrrev_i32_e32 v4, 31, v4
	v_xor_b32_e32 v5, vcc_hi, v4
	v_xor_b32_e32 v4, vcc_lo, v4
	v_and_b32_e32 v2, v2, v5
	v_and_b32_e32 v32, v32, v4
	v_lshlrev_b32_e32 v5, 28, v24
	v_mov_b32_e32 v4, v3
	v_cmp_gt_i64_e32 vcc, 0, v[4:5]
	v_not_b32_e32 v4, v5
	v_ashrrev_i32_e32 v4, 31, v4
	;; [unrolled: 9-line block ×6, first 2 shown]
	v_xor_b32_e32 v5, vcc_hi, v4
	v_xor_b32_e32 v4, vcc_lo, v4
	ds_read_b32 v29, v6 offset:64
	v_and_b32_e32 v4, v32, v4
	v_and_b32_e32 v5, v2, v5
	v_mbcnt_lo_u32_b32 v2, v4, 0
	v_mbcnt_hi_u32_b32 v32, v5, v2
	v_cmp_eq_u32_e32 vcc, 0, v32
	v_cmp_ne_u64_e64 s[4:5], 0, v[4:5]
	s_and_b64 s[8:9], s[4:5], vcc
	; wave barrier
	s_and_saveexec_b64 s[4:5], s[8:9]
	s_cbranch_execz .LBB373_27
; %bb.26:
	v_bcnt_u32_b32 v2, v4, 0
	v_bcnt_u32_b32 v2, v5, v2
	s_waitcnt lgkmcnt(0)
	v_add_u32_e32 v2, v29, v2
	ds_write_b32 v6, v2 offset:64
.LBB373_27:
	s_or_b64 exec, exec, s[4:5]
	v_xor_b32_e32 v24, 0x7fffffff, v7
	v_lshrrev_b32_e32 v2, s20, v24
	v_and_b32_e32 v34, s23, v2
	v_mul_lo_u32 v2, v34, s6
	v_add_u32_e32 v7, v30, v2
	v_and_b32_e32 v2, 1, v34
	v_lshl_add_u64 v[4:5], v[2:3], 0, -1
	v_cmp_ne_u32_e32 vcc, 0, v2
	; wave barrier
	s_nop 1
	v_xor_b32_e32 v4, vcc_lo, v4
	v_xor_b32_e32 v2, vcc_hi, v5
	v_and_b32_e32 v35, exec_lo, v4
	v_lshlrev_b32_e32 v5, 30, v34
	v_mov_b32_e32 v4, v3
	v_cmp_gt_i64_e32 vcc, 0, v[4:5]
	v_not_b32_e32 v4, v5
	v_ashrrev_i32_e32 v4, 31, v4
	v_and_b32_e32 v2, exec_hi, v2
	v_xor_b32_e32 v5, vcc_hi, v4
	v_xor_b32_e32 v4, vcc_lo, v4
	v_and_b32_e32 v2, v2, v5
	v_and_b32_e32 v35, v35, v4
	v_lshlrev_b32_e32 v5, 29, v34
	v_mov_b32_e32 v4, v3
	v_cmp_gt_i64_e32 vcc, 0, v[4:5]
	v_not_b32_e32 v4, v5
	v_ashrrev_i32_e32 v4, 31, v4
	v_xor_b32_e32 v5, vcc_hi, v4
	v_xor_b32_e32 v4, vcc_lo, v4
	v_and_b32_e32 v2, v2, v5
	v_and_b32_e32 v35, v35, v4
	v_lshlrev_b32_e32 v5, 28, v34
	v_mov_b32_e32 v4, v3
	v_cmp_gt_i64_e32 vcc, 0, v[4:5]
	v_not_b32_e32 v4, v5
	v_ashrrev_i32_e32 v4, 31, v4
	;; [unrolled: 9-line block ×5, first 2 shown]
	v_xor_b32_e32 v5, vcc_hi, v4
	v_xor_b32_e32 v4, vcc_lo, v4
	v_and_b32_e32 v2, v2, v5
	v_lshlrev_b32_e32 v5, 24, v34
	v_and_b32_e32 v35, v35, v4
	v_mov_b32_e32 v4, v3
	v_not_b32_e32 v3, v5
	v_cmp_gt_i64_e32 vcc, 0, v[4:5]
	v_ashrrev_i32_e32 v3, 31, v3
	ds_read_b32 v33, v7 offset:64
	v_xor_b32_e32 v4, vcc_hi, v3
	v_xor_b32_e32 v5, vcc_lo, v3
	v_and_b32_e32 v3, v2, v4
	v_and_b32_e32 v2, v35, v5
	v_mbcnt_lo_u32_b32 v4, v2, 0
	v_mbcnt_hi_u32_b32 v34, v3, v4
	v_cmp_eq_u32_e32 vcc, 0, v34
	v_cmp_ne_u64_e64 s[4:5], 0, v[2:3]
	s_and_b64 s[6:7], s[4:5], vcc
	; wave barrier
	s_and_saveexec_b64 s[4:5], s[6:7]
	s_cbranch_execz .LBB373_29
; %bb.28:
	v_bcnt_u32_b32 v2, v2, 0
	v_bcnt_u32_b32 v2, v3, v2
	s_waitcnt lgkmcnt(0)
	v_add_u32_e32 v2, v33, v2
	ds_write_b32 v7, v2 offset:64
.LBB373_29:
	s_or_b64 exec, exec, s[4:5]
	v_xor_b32_e32 v8, 0x7fffffff, v8
	v_lshrrev_b32_e32 v2, s20, v8
	v_and_b32_e32 v36, s23, v2
	s_movk_i32 s6, 0x44
	v_mul_lo_u32 v2, v36, s6
	v_add_u32_e32 v38, v30, v2
	v_and_b32_e32 v2, 1, v36
	v_mov_b32_e32 v3, 0
	v_lshl_add_u64 v[4:5], v[2:3], 0, -1
	v_cmp_ne_u32_e32 vcc, 0, v2
	; wave barrier
	s_nop 1
	v_xor_b32_e32 v4, vcc_lo, v4
	v_xor_b32_e32 v2, vcc_hi, v5
	v_and_b32_e32 v37, exec_lo, v4
	v_lshlrev_b32_e32 v5, 30, v36
	v_mov_b32_e32 v4, v3
	v_cmp_gt_i64_e32 vcc, 0, v[4:5]
	v_not_b32_e32 v4, v5
	v_ashrrev_i32_e32 v4, 31, v4
	v_and_b32_e32 v2, exec_hi, v2
	v_xor_b32_e32 v5, vcc_hi, v4
	v_xor_b32_e32 v4, vcc_lo, v4
	v_and_b32_e32 v2, v2, v5
	v_and_b32_e32 v37, v37, v4
	v_lshlrev_b32_e32 v5, 29, v36
	v_mov_b32_e32 v4, v3
	v_cmp_gt_i64_e32 vcc, 0, v[4:5]
	v_not_b32_e32 v4, v5
	v_ashrrev_i32_e32 v4, 31, v4
	v_xor_b32_e32 v5, vcc_hi, v4
	v_xor_b32_e32 v4, vcc_lo, v4
	v_and_b32_e32 v2, v2, v5
	v_and_b32_e32 v37, v37, v4
	v_lshlrev_b32_e32 v5, 28, v36
	v_mov_b32_e32 v4, v3
	v_cmp_gt_i64_e32 vcc, 0, v[4:5]
	v_not_b32_e32 v4, v5
	v_ashrrev_i32_e32 v4, 31, v4
	;; [unrolled: 9-line block ×6, first 2 shown]
	v_xor_b32_e32 v5, vcc_hi, v4
	v_xor_b32_e32 v4, vcc_lo, v4
	ds_read_b32 v35, v38 offset:64
	v_and_b32_e32 v4, v37, v4
	v_and_b32_e32 v5, v2, v5
	v_mbcnt_lo_u32_b32 v2, v4, 0
	v_mbcnt_hi_u32_b32 v36, v5, v2
	v_cmp_eq_u32_e32 vcc, 0, v36
	v_cmp_ne_u64_e64 s[4:5], 0, v[4:5]
	s_and_b64 s[8:9], s[4:5], vcc
	; wave barrier
	s_and_saveexec_b64 s[4:5], s[8:9]
	s_cbranch_execz .LBB373_31
; %bb.30:
	v_bcnt_u32_b32 v2, v4, 0
	v_bcnt_u32_b32 v2, v5, v2
	s_waitcnt lgkmcnt(0)
	v_add_u32_e32 v2, v35, v2
	ds_write_b32 v38, v2 offset:64
.LBB373_31:
	s_or_b64 exec, exec, s[4:5]
	v_xor_b32_e32 v9, 0x7fffffff, v9
	v_lshrrev_b32_e32 v2, s20, v9
	v_and_b32_e32 v39, s23, v2
	v_mul_lo_u32 v2, v39, s6
	v_add_u32_e32 v40, v30, v2
	v_and_b32_e32 v2, 1, v39
	v_lshl_add_u64 v[4:5], v[2:3], 0, -1
	v_cmp_ne_u32_e32 vcc, 0, v2
	; wave barrier
	s_nop 1
	v_xor_b32_e32 v4, vcc_lo, v4
	v_xor_b32_e32 v2, vcc_hi, v5
	v_and_b32_e32 v30, exec_lo, v4
	v_lshlrev_b32_e32 v5, 30, v39
	v_mov_b32_e32 v4, v3
	v_cmp_gt_i64_e32 vcc, 0, v[4:5]
	v_not_b32_e32 v4, v5
	v_ashrrev_i32_e32 v4, 31, v4
	v_and_b32_e32 v2, exec_hi, v2
	v_xor_b32_e32 v5, vcc_hi, v4
	v_xor_b32_e32 v4, vcc_lo, v4
	v_and_b32_e32 v2, v2, v5
	v_and_b32_e32 v30, v30, v4
	v_lshlrev_b32_e32 v5, 29, v39
	v_mov_b32_e32 v4, v3
	v_cmp_gt_i64_e32 vcc, 0, v[4:5]
	v_not_b32_e32 v4, v5
	v_ashrrev_i32_e32 v4, 31, v4
	v_xor_b32_e32 v5, vcc_hi, v4
	v_xor_b32_e32 v4, vcc_lo, v4
	v_and_b32_e32 v2, v2, v5
	v_and_b32_e32 v30, v30, v4
	v_lshlrev_b32_e32 v5, 28, v39
	v_mov_b32_e32 v4, v3
	v_cmp_gt_i64_e32 vcc, 0, v[4:5]
	v_not_b32_e32 v4, v5
	v_ashrrev_i32_e32 v4, 31, v4
	v_xor_b32_e32 v5, vcc_hi, v4
	v_xor_b32_e32 v4, vcc_lo, v4
	v_and_b32_e32 v2, v2, v5
	v_and_b32_e32 v30, v30, v4
	v_lshlrev_b32_e32 v5, 27, v39
	v_mov_b32_e32 v4, v3
	v_cmp_gt_i64_e32 vcc, 0, v[4:5]
	v_not_b32_e32 v4, v5
	v_ashrrev_i32_e32 v4, 31, v4
	v_xor_b32_e32 v5, vcc_hi, v4
	v_xor_b32_e32 v4, vcc_lo, v4
	v_and_b32_e32 v2, v2, v5
	v_and_b32_e32 v30, v30, v4
	v_lshlrev_b32_e32 v5, 26, v39
	v_mov_b32_e32 v4, v3
	v_cmp_gt_i64_e32 vcc, 0, v[4:5]
	v_not_b32_e32 v4, v5
	v_ashrrev_i32_e32 v4, 31, v4
	v_xor_b32_e32 v5, vcc_hi, v4
	v_xor_b32_e32 v4, vcc_lo, v4
	v_and_b32_e32 v2, v2, v5
	v_and_b32_e32 v30, v30, v4
	v_lshlrev_b32_e32 v5, 25, v39
	v_mov_b32_e32 v4, v3
	v_cmp_gt_i64_e32 vcc, 0, v[4:5]
	v_not_b32_e32 v4, v5
	v_ashrrev_i32_e32 v4, 31, v4
	v_xor_b32_e32 v5, vcc_hi, v4
	v_xor_b32_e32 v4, vcc_lo, v4
	v_and_b32_e32 v2, v2, v5
	v_lshlrev_b32_e32 v5, 24, v39
	v_and_b32_e32 v30, v30, v4
	v_mov_b32_e32 v4, v3
	v_not_b32_e32 v3, v5
	v_cmp_gt_i64_e32 vcc, 0, v[4:5]
	v_ashrrev_i32_e32 v3, 31, v3
	ds_read_b32 v37, v40 offset:64
	v_xor_b32_e32 v4, vcc_hi, v3
	v_xor_b32_e32 v5, vcc_lo, v3
	v_and_b32_e32 v3, v2, v4
	v_and_b32_e32 v2, v30, v5
	v_mbcnt_lo_u32_b32 v4, v2, 0
	v_mbcnt_hi_u32_b32 v39, v3, v4
	v_cmp_eq_u32_e32 vcc, 0, v39
	v_cmp_ne_u64_e64 s[4:5], 0, v[2:3]
	s_and_b64 s[6:7], s[4:5], vcc
	; wave barrier
	s_and_saveexec_b64 s[4:5], s[6:7]
	s_cbranch_execz .LBB373_33
; %bb.32:
	v_bcnt_u32_b32 v2, v2, 0
	v_bcnt_u32_b32 v2, v3, v2
	s_waitcnt lgkmcnt(0)
	v_add_u32_e32 v2, v37, v2
	ds_write_b32 v40, v2 offset:64
.LBB373_33:
	s_or_b64 exec, exec, s[4:5]
	; wave barrier
	s_waitcnt lgkmcnt(0)
	s_barrier
	ds_read2_b32 v[4:5], v17 offset0:16 offset1:17
	ds_read2_b32 v[2:3], v17 offset0:18 offset1:19
	ds_read_b32 v30, v17 offset:80
	v_cmp_lt_u32_e64 s[10:11], 31, v16
	s_waitcnt lgkmcnt(1)
	v_add3_u32 v41, v5, v4, v2
	s_waitcnt lgkmcnt(0)
	v_add3_u32 v30, v41, v3, v30
	v_and_b32_e32 v41, 15, v16
	v_cmp_eq_u32_e32 vcc, 0, v41
	v_mov_b32_dpp v42, v30 row_shr:1 row_mask:0xf bank_mask:0xf
	v_cmp_lt_u32_e64 s[8:9], 1, v41
	v_cndmask_b32_e64 v42, v42, 0, vcc
	v_add_u32_e32 v30, v42, v30
	v_cmp_lt_u32_e64 s[4:5], 3, v41
	v_cmp_lt_u32_e64 s[6:7], 7, v41
	v_mov_b32_dpp v42, v30 row_shr:2 row_mask:0xf bank_mask:0xf
	v_cndmask_b32_e64 v42, 0, v42, s[8:9]
	v_add_u32_e32 v30, v30, v42
	s_nop 1
	v_mov_b32_dpp v42, v30 row_shr:4 row_mask:0xf bank_mask:0xf
	v_cndmask_b32_e64 v42, 0, v42, s[4:5]
	v_add_u32_e32 v30, v30, v42
	s_nop 1
	v_mov_b32_dpp v42, v30 row_shr:8 row_mask:0xf bank_mask:0xf
	v_cndmask_b32_e64 v41, 0, v42, s[6:7]
	v_add_u32_e32 v30, v30, v41
	v_bfe_i32 v42, v16, 4, 1
	s_nop 0
	v_mov_b32_dpp v41, v30 row_bcast:15 row_mask:0xf bank_mask:0xf
	v_and_b32_e32 v41, v42, v41
	v_add_u32_e32 v30, v30, v41
	v_lshrrev_b32_e32 v42, 6, v10
	s_nop 0
	v_mov_b32_dpp v41, v30 row_bcast:31 row_mask:0xf bank_mask:0xf
	v_cndmask_b32_e64 v41, 0, v41, s[10:11]
	v_add_u32_e32 v41, v30, v41
	v_and_b32_e32 v30, 63, v10
	v_cmp_eq_u32_e64 s[10:11], 63, v30
	s_and_saveexec_b64 s[12:13], s[10:11]
; %bb.34:
	v_lshlrev_b32_e32 v30, 2, v42
	ds_write_b32 v30, v41
; %bb.35:
	s_or_b64 exec, exec, s[12:13]
	v_cmp_gt_u32_e64 s[10:11], 16, v10
	v_lshlrev_b32_e32 v30, 2, v10
	s_waitcnt lgkmcnt(0)
	s_barrier
	s_and_saveexec_b64 s[12:13], s[10:11]
	s_cbranch_execz .LBB373_37
; %bb.36:
	ds_read_b32 v43, v30
	s_waitcnt lgkmcnt(0)
	s_nop 0
	v_mov_b32_dpp v44, v43 row_shr:1 row_mask:0xf bank_mask:0xf
	v_cndmask_b32_e64 v44, v44, 0, vcc
	v_add_u32_e32 v43, v44, v43
	s_nop 1
	v_mov_b32_dpp v44, v43 row_shr:2 row_mask:0xf bank_mask:0xf
	v_cndmask_b32_e64 v44, 0, v44, s[8:9]
	v_add_u32_e32 v43, v43, v44
	s_nop 1
	v_mov_b32_dpp v44, v43 row_shr:4 row_mask:0xf bank_mask:0xf
	v_cndmask_b32_e64 v44, 0, v44, s[4:5]
	;; [unrolled: 4-line block ×3, first 2 shown]
	v_add_u32_e32 v43, v43, v44
	ds_write_b32 v30, v43
.LBB373_37:
	s_or_b64 exec, exec, s[12:13]
	v_cmp_lt_u32_e32 vcc, 63, v10
	v_mov_b32_e32 v43, 0
	s_waitcnt lgkmcnt(0)
	s_barrier
	s_and_saveexec_b64 s[4:5], vcc
; %bb.38:
	v_lshl_add_u32 v42, v42, 2, -4
	ds_read_b32 v43, v42
; %bb.39:
	s_or_b64 exec, exec, s[4:5]
	v_subrev_co_u32_e32 v42, vcc, 1, v16
	v_and_b32_e32 v44, 64, v16
	v_cmp_lt_i32_e64 s[4:5], v42, v44
	s_waitcnt lgkmcnt(0)
	v_add_u32_e32 v41, v43, v41
	s_movk_i32 s6, 0x100
	v_cndmask_b32_e64 v16, v42, v16, s[4:5]
	v_lshlrev_b32_e32 v16, 2, v16
	ds_bpermute_b32 v16, v16, v41
	s_movk_i32 s4, 0xff
	v_cmp_lt_u32_e64 s[4:5], s4, v10
	s_waitcnt lgkmcnt(0)
	v_cndmask_b32_e32 v16, v16, v43, vcc
	v_cmp_ne_u32_e32 vcc, 0, v10
	s_nop 1
	v_cndmask_b32_e32 v16, 0, v16, vcc
	v_add_u32_e32 v4, v16, v4
	v_add_u32_e32 v5, v4, v5
	;; [unrolled: 1-line block ×4, first 2 shown]
	ds_write2_b32 v17, v16, v4 offset0:16 offset1:17
	ds_write2_b32 v17, v5, v2 offset0:18 offset1:19
	ds_write_b32 v17, v3 offset:80
	s_waitcnt lgkmcnt(0)
	s_barrier
	ds_read_b32 v22, v22 offset:64
	ds_read_b32 v23, v23 offset:64
	;; [unrolled: 1-line block ×8, first 2 shown]
	v_cmp_gt_u32_e32 vcc, s6, v10
                                        ; implicit-def: $vgpr16
                                        ; implicit-def: $vgpr17
	s_and_saveexec_b64 s[8:9], vcc
	s_cbranch_execz .LBB373_43
; %bb.40:
	v_mul_u32_u24_e32 v2, 0x44, v10
	ds_read_b32 v16, v2 offset:64
	v_add_u32_e32 v3, 1, v10
	v_cmp_ne_u32_e64 s[6:7], s6, v3
	v_mov_b32_e32 v2, 0x2000
	s_and_saveexec_b64 s[10:11], s[6:7]
; %bb.41:
	v_mul_u32_u24_e32 v2, 0x44, v3
	ds_read_b32 v2, v2 offset:64
; %bb.42:
	s_or_b64 exec, exec, s[10:11]
	s_waitcnt lgkmcnt(0)
	v_sub_u32_e32 v17, v2, v16
.LBB373_43:
	s_or_b64 exec, exec, s[8:9]
	v_mov_b32_e32 v3, 0
	s_waitcnt lgkmcnt(0)
	s_barrier
	s_and_saveexec_b64 s[6:7], vcc
	s_cbranch_execz .LBB373_53
; %bb.44:
	v_lshl_add_u32 v2, s2, 8, v10
	v_lshl_add_u64 v[4:5], v[2:3], 2, s[28:29]
	v_or_b32_e32 v2, 2.0, v17
	s_mov_b64 s[8:9], 0
	s_brev_b32 s14, -4
	s_mov_b32 s15, s2
	v_mov_b32_e32 v43, 0
	global_store_dword v[4:5], v2, off sc1
                                        ; implicit-def: $sgpr10_sgpr11
	s_branch .LBB373_47
.LBB373_45:                             ;   in Loop: Header=BB373_47 Depth=1
	s_or_b64 exec, exec, s[12:13]
.LBB373_46:                             ;   in Loop: Header=BB373_47 Depth=1
	s_or_b64 exec, exec, s[10:11]
	v_and_b32_e32 v6, 0x3fffffff, v2
	v_add_u32_e32 v43, v6, v43
	v_cmp_gt_i32_e64 s[10:11], -2.0, v2
	s_and_b64 s[12:13], exec, s[10:11]
	s_or_b64 s[8:9], s[12:13], s[8:9]
	s_andn2_b64 exec, exec, s[8:9]
	s_cbranch_execz .LBB373_52
.LBB373_47:                             ; =>This Loop Header: Depth=1
                                        ;     Child Loop BB373_50 Depth 2
	s_or_b64 s[10:11], s[10:11], exec
	s_cmp_eq_u32 s15, 0
	s_cbranch_scc1 .LBB373_51
; %bb.48:                               ;   in Loop: Header=BB373_47 Depth=1
	s_add_i32 s15, s15, -1
	v_lshl_or_b32 v2, s15, 8, v10
	v_lshl_add_u64 v[6:7], v[2:3], 2, s[28:29]
	global_load_dword v2, v[6:7], off sc1
	s_waitcnt vmcnt(0)
	v_cmp_gt_u32_e32 vcc, 2.0, v2
	s_and_saveexec_b64 s[10:11], vcc
	s_cbranch_execz .LBB373_46
; %bb.49:                               ;   in Loop: Header=BB373_47 Depth=1
	s_mov_b64 s[12:13], 0
.LBB373_50:                             ;   Parent Loop BB373_47 Depth=1
                                        ; =>  This Inner Loop Header: Depth=2
	global_load_dword v2, v[6:7], off sc1
	s_waitcnt vmcnt(0)
	v_cmp_lt_u32_e32 vcc, s14, v2
	s_or_b64 s[12:13], vcc, s[12:13]
	s_andn2_b64 exec, exec, s[12:13]
	s_cbranch_execnz .LBB373_50
	s_branch .LBB373_45
.LBB373_51:                             ;   in Loop: Header=BB373_47 Depth=1
                                        ; implicit-def: $sgpr15
	s_and_b64 s[12:13], exec, s[10:11]
	s_or_b64 s[8:9], s[12:13], s[8:9]
	s_andn2_b64 exec, exec, s[8:9]
	s_cbranch_execnz .LBB373_47
.LBB373_52:
	s_or_b64 exec, exec, s[8:9]
	v_add_u32_e32 v2, v43, v17
	v_or_b32_e32 v2, 0x80000000, v2
	global_store_dword v[4:5], v2, off sc1
	global_load_dword v2, v30, s[16:17]
	v_sub_u32_e32 v3, v43, v16
	s_waitcnt vmcnt(0)
	v_add_u32_e32 v2, v3, v2
	ds_write_b32 v30, v2
.LBB373_53:
	s_or_b64 exec, exec, s[6:7]
	v_add_u32_e32 v4, v22, v18
	v_add3_u32 v5, v20, v19, v23
	v_add3_u32 v6, v25, v21, v27
	;; [unrolled: 1-line block ×7, first 2 shown]
	v_lshlrev_b32_e32 v22, 2, v21
	v_lshlrev_b32_e32 v23, 2, v20
	;; [unrolled: 1-line block ×8, first 2 shown]
	s_mov_b64 s[6:7], -1
	s_mov_b32 s10, 0
	v_mov_b32_e32 v3, 0
	s_movk_i32 s11, 0x400
	s_movk_i32 s12, 0x800
	;; [unrolled: 1-line block ×3, first 2 shown]
	s_branch .LBB373_55
.LBB373_54:                             ;   in Loop: Header=BB373_55 Depth=1
	s_or_b64 exec, exec, s[8:9]
	s_xor_b64 s[8:9], s[6:7], -1
	s_addk_i32 s10, 0xc000
	v_add_u32_e32 v10, 0x1000, v10
	s_mov_b64 s[6:7], 0
	s_and_b64 vcc, exec, s[8:9]
	s_barrier
	s_cbranch_vccnz .LBB373_79
.LBB373_55:                             ; =>This Inner Loop Header: Depth=1
	v_subrev_co_u32_e32 v4, vcc, 0x1000, v4
	s_and_saveexec_b64 s[8:9], vcc
	s_cbranch_execz .LBB373_63
; %bb.56:                               ;   in Loop: Header=BB373_55 Depth=1
	v_add_u32_e32 v2, s10, v31
	ds_write_b32 v2, v11 offset:1024
	s_or_b64 exec, exec, s[8:9]
	v_subrev_co_u32_e32 v5, vcc, 0x1000, v5
	s_and_saveexec_b64 s[8:9], vcc
	s_cbranch_execnz .LBB373_64
.LBB373_57:                             ;   in Loop: Header=BB373_55 Depth=1
	s_or_b64 exec, exec, s[8:9]
	v_subrev_co_u32_e32 v6, vcc, 0x1000, v6
	s_and_saveexec_b64 s[8:9], vcc
	s_cbranch_execz .LBB373_65
.LBB373_58:                             ;   in Loop: Header=BB373_55 Depth=1
	v_add_u32_e32 v2, s10, v28
	ds_write_b32 v2, v15 offset:1024
	s_or_b64 exec, exec, s[8:9]
	v_subrev_co_u32_e32 v7, vcc, 0x1000, v7
	s_and_saveexec_b64 s[8:9], vcc
	s_cbranch_execnz .LBB373_66
.LBB373_59:                             ;   in Loop: Header=BB373_55 Depth=1
	s_or_b64 exec, exec, s[8:9]
	v_subrev_co_u32_e32 v18, vcc, 0x1000, v18
	s_and_saveexec_b64 s[8:9], vcc
	s_cbranch_execz .LBB373_67
.LBB373_60:                             ;   in Loop: Header=BB373_55 Depth=1
	v_add_u32_e32 v2, s10, v26
	ds_write_b32 v2, v13 offset:1024
	s_or_b64 exec, exec, s[8:9]
	v_subrev_co_u32_e32 v19, vcc, 0x1000, v19
	s_and_saveexec_b64 s[8:9], vcc
	s_cbranch_execnz .LBB373_68
.LBB373_61:                             ;   in Loop: Header=BB373_55 Depth=1
	s_or_b64 exec, exec, s[8:9]
	v_subrev_co_u32_e32 v20, vcc, 0x1000, v20
	s_and_saveexec_b64 s[8:9], vcc
	s_cbranch_execz .LBB373_69
.LBB373_62:                             ;   in Loop: Header=BB373_55 Depth=1
	v_add_u32_e32 v2, s10, v23
	ds_write_b32 v2, v8 offset:1024
	s_or_b64 exec, exec, s[8:9]
	v_subrev_co_u32_e32 v21, vcc, 0x1000, v21
	s_and_saveexec_b64 s[8:9], vcc
	s_cbranch_execnz .LBB373_70
	s_branch .LBB373_71
.LBB373_63:                             ;   in Loop: Header=BB373_55 Depth=1
	s_or_b64 exec, exec, s[8:9]
	v_subrev_co_u32_e32 v5, vcc, 0x1000, v5
	s_and_saveexec_b64 s[8:9], vcc
	s_cbranch_execz .LBB373_57
.LBB373_64:                             ;   in Loop: Header=BB373_55 Depth=1
	v_add_u32_e32 v2, s10, v29
	ds_write_b32 v2, v14 offset:1024
	s_or_b64 exec, exec, s[8:9]
	v_subrev_co_u32_e32 v6, vcc, 0x1000, v6
	s_and_saveexec_b64 s[8:9], vcc
	s_cbranch_execnz .LBB373_58
.LBB373_65:                             ;   in Loop: Header=BB373_55 Depth=1
	s_or_b64 exec, exec, s[8:9]
	v_subrev_co_u32_e32 v7, vcc, 0x1000, v7
	s_and_saveexec_b64 s[8:9], vcc
	s_cbranch_execz .LBB373_59
.LBB373_66:                             ;   in Loop: Header=BB373_55 Depth=1
	v_add_u32_e32 v2, s10, v27
	ds_write_b32 v2, v12 offset:1024
	s_or_b64 exec, exec, s[8:9]
	v_subrev_co_u32_e32 v18, vcc, 0x1000, v18
	s_and_saveexec_b64 s[8:9], vcc
	s_cbranch_execnz .LBB373_60
.LBB373_67:                             ;   in Loop: Header=BB373_55 Depth=1
	s_or_b64 exec, exec, s[8:9]
	v_subrev_co_u32_e32 v19, vcc, 0x1000, v19
	s_and_saveexec_b64 s[8:9], vcc
	s_cbranch_execz .LBB373_61
.LBB373_68:                             ;   in Loop: Header=BB373_55 Depth=1
	v_add_u32_e32 v2, s10, v25
	ds_write_b32 v2, v24 offset:1024
	s_or_b64 exec, exec, s[8:9]
	v_subrev_co_u32_e32 v20, vcc, 0x1000, v20
	s_and_saveexec_b64 s[8:9], vcc
	s_cbranch_execnz .LBB373_62
.LBB373_69:                             ;   in Loop: Header=BB373_55 Depth=1
	s_or_b64 exec, exec, s[8:9]
	v_subrev_co_u32_e32 v21, vcc, 0x1000, v21
	s_and_saveexec_b64 s[8:9], vcc
.LBB373_70:                             ;   in Loop: Header=BB373_55 Depth=1
	v_add_u32_e32 v2, s10, v22
	ds_write_b32 v2, v9 offset:1024
.LBB373_71:                             ;   in Loop: Header=BB373_55 Depth=1
	s_or_b64 exec, exec, s[8:9]
	v_cmp_gt_u32_e32 vcc, s3, v10
	s_waitcnt lgkmcnt(0)
	s_barrier
	s_and_saveexec_b64 s[8:9], vcc
	s_cbranch_execz .LBB373_73
; %bb.72:                               ;   in Loop: Header=BB373_55 Depth=1
	ds_read_b32 v2, v30 offset:1024
	s_waitcnt lgkmcnt(0)
	v_lshrrev_b32_e32 v32, s20, v2
	v_and_b32_e32 v32, s23, v32
	v_lshlrev_b32_e32 v32, 2, v32
	ds_read_b32 v32, v32
	v_xor_b32_e32 v34, 0x7fffffff, v2
	s_waitcnt lgkmcnt(0)
	v_add_u32_e32 v2, v10, v32
	v_lshl_add_u64 v[32:33], v[2:3], 2, s[26:27]
	global_store_dword v[32:33], v34, off
.LBB373_73:                             ;   in Loop: Header=BB373_55 Depth=1
	s_or_b64 exec, exec, s[8:9]
	v_add_u32_e32 v2, 0x400, v10
	v_cmp_gt_u32_e32 vcc, s3, v2
	s_and_saveexec_b64 s[8:9], vcc
	s_cbranch_execz .LBB373_75
; %bb.74:                               ;   in Loop: Header=BB373_55 Depth=1
	ds_read_b32 v2, v30 offset:5120
	s_waitcnt lgkmcnt(0)
	v_lshrrev_b32_e32 v32, s20, v2
	v_and_b32_e32 v32, s23, v32
	v_lshlrev_b32_e32 v32, 2, v32
	ds_read_b32 v32, v32
	v_xor_b32_e32 v34, 0x7fffffff, v2
	s_waitcnt lgkmcnt(0)
	v_add3_u32 v2, v10, v32, s11
	v_lshl_add_u64 v[32:33], v[2:3], 2, s[26:27]
	global_store_dword v[32:33], v34, off
.LBB373_75:                             ;   in Loop: Header=BB373_55 Depth=1
	s_or_b64 exec, exec, s[8:9]
	v_add_u32_e32 v2, 0x800, v10
	v_cmp_gt_u32_e32 vcc, s3, v2
	s_and_saveexec_b64 s[8:9], vcc
	s_cbranch_execz .LBB373_77
; %bb.76:                               ;   in Loop: Header=BB373_55 Depth=1
	ds_read_b32 v2, v30 offset:9216
	s_waitcnt lgkmcnt(0)
	v_lshrrev_b32_e32 v32, s20, v2
	v_and_b32_e32 v32, s23, v32
	v_lshlrev_b32_e32 v32, 2, v32
	ds_read_b32 v32, v32
	v_xor_b32_e32 v34, 0x7fffffff, v2
	s_waitcnt lgkmcnt(0)
	v_add3_u32 v2, v10, v32, s12
	v_lshl_add_u64 v[32:33], v[2:3], 2, s[26:27]
	global_store_dword v[32:33], v34, off
.LBB373_77:                             ;   in Loop: Header=BB373_55 Depth=1
	s_or_b64 exec, exec, s[8:9]
	v_add_u32_e32 v2, 0xc00, v10
	v_cmp_gt_u32_e32 vcc, s3, v2
	s_and_saveexec_b64 s[8:9], vcc
	s_cbranch_execz .LBB373_54
; %bb.78:                               ;   in Loop: Header=BB373_55 Depth=1
	ds_read_b32 v2, v30 offset:13312
	s_waitcnt lgkmcnt(0)
	v_lshrrev_b32_e32 v32, s20, v2
	v_and_b32_e32 v32, s23, v32
	v_lshlrev_b32_e32 v32, 2, v32
	ds_read_b32 v32, v32
	v_xor_b32_e32 v34, 0x7fffffff, v2
	s_waitcnt lgkmcnt(0)
	v_add3_u32 v2, v10, v32, s13
	v_lshl_add_u64 v[32:33], v[2:3], 2, s[26:27]
	global_store_dword v[32:33], v34, off
	s_branch .LBB373_54
.LBB373_79:
	s_add_i32 s22, s22, -1
	s_cmp_eq_u32 s2, s22
	s_cselect_b64 s[6:7], -1, 0
	s_xor_b64 s[4:5], s[4:5], -1
	s_and_b64 s[6:7], s[4:5], s[6:7]
	s_and_saveexec_b64 s[4:5], s[6:7]
	s_cbranch_execz .LBB373_81
; %bb.80:
	ds_read_b32 v2, v30
	s_waitcnt lgkmcnt(0)
	v_add3_u32 v2, v16, v17, v2
	global_store_dword v30, v2, s[18:19]
.LBB373_81:
	s_or_b64 exec, exec, s[4:5]
	s_mov_b64 s[4:5], 0
.LBB373_82:
	s_and_b64 vcc, exec, s[4:5]
	s_cbranch_vccz .LBB373_139
; %bb.83:
	s_lshl_b32 s4, s2, 13
	s_mov_b32 s5, 0
	s_lshl_b64 s[4:5], s[4:5], 2
	v_mbcnt_hi_u32_b32 v6, -1, v1
	v_and_b32_e32 v2, 0x3ff, v0
	s_add_u32 s4, s24, s4
	v_and_b32_e32 v1, 63, v6
	s_addc_u32 s5, s25, s5
	v_lshlrev_b32_e32 v4, 2, v1
	v_mov_b32_e32 v5, 0
	v_lshlrev_b32_e32 v1, 5, v2
	v_lshl_add_u64 v[8:9], s[4:5], 0, v[4:5]
	v_and_b32_e32 v4, 0x7800, v1
	v_lshl_add_u64 v[10:11], v[8:9], 0, v[4:5]
	global_load_dword v1, v[10:11], off
	s_load_dword s4, s[0:1], 0x64
	s_load_dword s3, s[0:1], 0x58
	s_add_u32 s0, s0, 0x58
	s_addc_u32 s1, s1, 0
	v_mul_u32_u24_e32 v7, 20, v2
	s_waitcnt lgkmcnt(0)
	s_lshr_b32 s4, s4, 16
	s_cmp_lt_u32 s2, s3
	s_cselect_b32 s5, 12, 18
	s_add_u32 s0, s0, s5
	s_addc_u32 s1, s1, 0
	global_load_ushort v13, v5, s[0:1]
	ds_write2_b32 v7, v5, v5 offset0:16 offset1:17
	ds_write2_b32 v7, v5, v5 offset0:18 offset1:19
	ds_write_b32 v7, v5 offset:80
	global_load_dword v8, v[10:11], off offset:256
	global_load_dword v9, v[10:11], off offset:512
	;; [unrolled: 1-line block ×7, first 2 shown]
	v_bfe_u32 v3, v0, 10, 10
	v_bfe_u32 v4, v0, 20, 10
	v_mad_u32_u24 v10, v4, s4, v3
	s_lshl_b32 s0, -1, s21
	v_mov_b32_e32 v0, v5
	s_not_b32 s12, s0
	v_mov_b32_e32 v16, v5
	v_mov_b32_e32 v18, v5
	;; [unrolled: 1-line block ×3, first 2 shown]
	s_movk_i32 s10, 0x44
	s_waitcnt lgkmcnt(0)
	s_barrier
	s_waitcnt vmcnt(8)
	; wave barrier
	v_xor_b32_e32 v3, 0x7fffffff, v1
	v_lshrrev_b32_e32 v1, s20, v3
	v_bitop3_b32 v14, v1, s0, v1 bitop3:0x30
	v_and_b32_e32 v4, 1, v14
	v_lshlrev_b32_e32 v1, 30, v14
	v_lshlrev_b32_e32 v17, 29, v14
	v_lshl_add_u64 v[28:29], v[4:5], 0, -1
	v_cmp_ne_u32_e32 vcc, 0, v4
	v_lshlrev_b32_e32 v19, 28, v14
	v_cmp_gt_i64_e64 s[4:5], 0, v[16:17]
	s_waitcnt vmcnt(7)
	v_mad_u64_u32 v[24:25], s[0:1], v10, v13, v[2:3]
	v_cmp_gt_i64_e64 s[0:1], 0, v[0:1]
	v_not_b32_e32 v0, v1
	v_not_b32_e32 v1, v17
	v_lshrrev_b32_e32 v13, 4, v24
	v_xor_b32_e32 v16, vcc_hi, v29
	v_xor_b32_e32 v17, vcc_lo, v28
	v_ashrrev_i32_e32 v0, 31, v0
	v_lshlrev_b32_e32 v23, 27, v14
	v_not_b32_e32 v4, v19
	v_ashrrev_i32_e32 v1, 31, v1
	v_and_b32_e32 v24, 0xffffffc, v13
	v_and_b32_e32 v13, exec_hi, v16
	v_and_b32_e32 v16, exec_lo, v17
	v_xor_b32_e32 v17, s1, v0
	v_xor_b32_e32 v0, s0, v0
	v_cmp_gt_i64_e64 s[6:7], 0, v[18:19]
	v_not_b32_e32 v10, v23
	v_ashrrev_i32_e32 v4, 31, v4
	v_xor_b32_e32 v18, s5, v1
	v_xor_b32_e32 v1, s4, v1
	v_and_b32_e32 v0, v16, v0
	v_cmp_gt_i64_e64 s[8:9], 0, v[22:23]
	v_ashrrev_i32_e32 v10, 31, v10
	v_xor_b32_e32 v19, s7, v4
	v_xor_b32_e32 v4, s6, v4
	v_and_b32_e32 v0, v0, v1
	v_lshlrev_b32_e32 v11, 26, v14
	v_xor_b32_e32 v22, s9, v10
	v_xor_b32_e32 v10, s8, v10
	v_and_b32_e32 v13, v13, v17
	v_and_b32_e32 v0, v0, v4
	;; [unrolled: 1-line block ×4, first 2 shown]
	v_mov_b32_e32 v10, v5
	v_not_b32_e32 v4, v11
	v_and_b32_e32 v1, v13, v19
	v_cmp_gt_i64_e32 vcc, 0, v[10:11]
	v_ashrrev_i32_e32 v4, 31, v4
	v_and_b32_e32 v1, v1, v22
	v_xor_b32_e32 v10, vcc_hi, v4
	v_xor_b32_e32 v4, vcc_lo, v4
	v_and_b32_e32 v10, v1, v10
	v_and_b32_e32 v4, v0, v4
	v_lshlrev_b32_e32 v1, 25, v14
	v_mov_b32_e32 v0, v5
	v_cmp_gt_i64_e32 vcc, 0, v[0:1]
	v_not_b32_e32 v0, v1
	v_ashrrev_i32_e32 v0, 31, v0
	v_xor_b32_e32 v1, vcc_hi, v0
	v_xor_b32_e32 v0, vcc_lo, v0
	v_and_b32_e32 v10, v10, v1
	v_and_b32_e32 v4, v4, v0
	v_lshlrev_b32_e32 v1, 24, v14
	v_mov_b32_e32 v0, v5
	v_cmp_gt_i64_e32 vcc, 0, v[0:1]
	v_not_b32_e32 v0, v1
	v_ashrrev_i32_e32 v0, 31, v0
	v_xor_b32_e32 v1, vcc_hi, v0
	v_xor_b32_e32 v0, vcc_lo, v0
	v_and_b32_e32 v0, v4, v0
	v_and_b32_e32 v1, v10, v1
	v_mbcnt_lo_u32_b32 v4, v0, 0
	v_mbcnt_hi_u32_b32 v10, v1, v4
	v_mul_lo_u32 v27, v14, s10
	v_cmp_eq_u32_e32 vcc, 0, v10
	v_cmp_ne_u64_e64 s[0:1], 0, v[0:1]
	s_and_b64 s[4:5], s[0:1], vcc
	v_add_u32_e32 v16, v24, v27
	s_and_saveexec_b64 s[0:1], s[4:5]
; %bb.84:
	v_bcnt_u32_b32 v0, v0, 0
	v_bcnt_u32_b32 v0, v1, v0
	ds_write_b32 v16, v0 offset:64
; %bb.85:
	s_or_b64 exec, exec, s[0:1]
	s_waitcnt vmcnt(6)
	v_xor_b32_e32 v8, 0x7fffffff, v8
	v_lshrrev_b32_e32 v0, s20, v8
	v_and_b32_e32 v13, s12, v0
	v_mul_lo_u32 v0, v13, s10
	v_and_b32_e32 v4, 1, v13
	v_add_u32_e32 v17, v24, v0
	v_lshl_add_u64 v[0:1], v[4:5], 0, -1
	v_cmp_ne_u32_e32 vcc, 0, v4
	; wave barrier
	s_nop 1
	v_xor_b32_e32 v1, vcc_hi, v1
	v_xor_b32_e32 v0, vcc_lo, v0
	v_and_b32_e32 v4, exec_hi, v1
	v_and_b32_e32 v14, exec_lo, v0
	v_lshlrev_b32_e32 v1, 30, v13
	v_mov_b32_e32 v0, v5
	v_cmp_gt_i64_e32 vcc, 0, v[0:1]
	v_not_b32_e32 v0, v1
	v_ashrrev_i32_e32 v0, 31, v0
	v_xor_b32_e32 v1, vcc_hi, v0
	v_xor_b32_e32 v0, vcc_lo, v0
	v_and_b32_e32 v4, v4, v1
	v_and_b32_e32 v14, v14, v0
	v_lshlrev_b32_e32 v1, 29, v13
	v_mov_b32_e32 v0, v5
	v_cmp_gt_i64_e32 vcc, 0, v[0:1]
	v_not_b32_e32 v0, v1
	v_ashrrev_i32_e32 v0, 31, v0
	v_xor_b32_e32 v1, vcc_hi, v0
	v_xor_b32_e32 v0, vcc_lo, v0
	v_and_b32_e32 v4, v4, v1
	v_and_b32_e32 v14, v14, v0
	;; [unrolled: 9-line block ×6, first 2 shown]
	v_lshlrev_b32_e32 v1, 24, v13
	v_mov_b32_e32 v0, v5
	v_cmp_gt_i64_e32 vcc, 0, v[0:1]
	v_not_b32_e32 v0, v1
	v_ashrrev_i32_e32 v0, 31, v0
	v_xor_b32_e32 v1, vcc_hi, v0
	v_xor_b32_e32 v0, vcc_lo, v0
	ds_read_b32 v11, v17 offset:64
	v_and_b32_e32 v0, v14, v0
	v_and_b32_e32 v1, v4, v1
	v_mbcnt_lo_u32_b32 v4, v0, 0
	v_mbcnt_hi_u32_b32 v13, v1, v4
	v_cmp_eq_u32_e32 vcc, 0, v13
	v_cmp_ne_u64_e64 s[0:1], 0, v[0:1]
	s_and_b64 s[4:5], s[0:1], vcc
	; wave barrier
	s_and_saveexec_b64 s[0:1], s[4:5]
	s_cbranch_execz .LBB373_87
; %bb.86:
	v_bcnt_u32_b32 v0, v0, 0
	v_bcnt_u32_b32 v0, v1, v0
	s_waitcnt lgkmcnt(0)
	v_add_u32_e32 v0, v11, v0
	ds_write_b32 v17, v0 offset:64
.LBB373_87:
	s_or_b64 exec, exec, s[0:1]
	s_waitcnt vmcnt(5)
	v_xor_b32_e32 v9, 0x7fffffff, v9
	v_lshrrev_b32_e32 v0, s20, v9
	v_and_b32_e32 v18, s12, v0
	s_movk_i32 s4, 0x44
	v_mul_lo_u32 v0, v18, s4
	v_add_u32_e32 v22, v24, v0
	v_and_b32_e32 v0, 1, v18
	v_mov_b32_e32 v1, 0
	v_lshl_add_u64 v[4:5], v[0:1], 0, -1
	v_cmp_ne_u32_e32 vcc, 0, v0
	; wave barrier
	s_nop 1
	v_xor_b32_e32 v4, vcc_lo, v4
	v_xor_b32_e32 v0, vcc_hi, v5
	v_and_b32_e32 v19, exec_lo, v4
	v_lshlrev_b32_e32 v5, 30, v18
	v_mov_b32_e32 v4, v1
	v_cmp_gt_i64_e32 vcc, 0, v[4:5]
	v_not_b32_e32 v4, v5
	v_ashrrev_i32_e32 v4, 31, v4
	v_and_b32_e32 v0, exec_hi, v0
	v_xor_b32_e32 v5, vcc_hi, v4
	v_xor_b32_e32 v4, vcc_lo, v4
	v_and_b32_e32 v0, v0, v5
	v_and_b32_e32 v19, v19, v4
	v_lshlrev_b32_e32 v5, 29, v18
	v_mov_b32_e32 v4, v1
	v_cmp_gt_i64_e32 vcc, 0, v[4:5]
	v_not_b32_e32 v4, v5
	v_ashrrev_i32_e32 v4, 31, v4
	v_xor_b32_e32 v5, vcc_hi, v4
	v_xor_b32_e32 v4, vcc_lo, v4
	v_and_b32_e32 v0, v0, v5
	v_and_b32_e32 v19, v19, v4
	v_lshlrev_b32_e32 v5, 28, v18
	v_mov_b32_e32 v4, v1
	v_cmp_gt_i64_e32 vcc, 0, v[4:5]
	v_not_b32_e32 v4, v5
	v_ashrrev_i32_e32 v4, 31, v4
	;; [unrolled: 9-line block ×6, first 2 shown]
	v_xor_b32_e32 v5, vcc_hi, v4
	v_xor_b32_e32 v4, vcc_lo, v4
	ds_read_b32 v14, v22 offset:64
	v_and_b32_e32 v4, v19, v4
	v_and_b32_e32 v5, v0, v5
	v_mbcnt_lo_u32_b32 v0, v4, 0
	v_mbcnt_hi_u32_b32 v18, v5, v0
	v_cmp_eq_u32_e32 vcc, 0, v18
	v_cmp_ne_u64_e64 s[0:1], 0, v[4:5]
	s_and_b64 s[6:7], s[0:1], vcc
	; wave barrier
	s_and_saveexec_b64 s[0:1], s[6:7]
	s_cbranch_execz .LBB373_89
; %bb.88:
	v_bcnt_u32_b32 v0, v4, 0
	v_bcnt_u32_b32 v0, v5, v0
	s_waitcnt lgkmcnt(0)
	v_add_u32_e32 v0, v14, v0
	ds_write_b32 v22, v0 offset:64
.LBB373_89:
	s_or_b64 exec, exec, s[0:1]
	s_waitcnt vmcnt(4)
	v_xor_b32_e32 v12, 0x7fffffff, v12
	v_lshrrev_b32_e32 v0, s20, v12
	v_and_b32_e32 v23, s12, v0
	v_mul_lo_u32 v0, v23, s4
	v_add_u32_e32 v27, v24, v0
	v_and_b32_e32 v0, 1, v23
	v_lshl_add_u64 v[4:5], v[0:1], 0, -1
	v_cmp_ne_u32_e32 vcc, 0, v0
	; wave barrier
	s_nop 1
	v_xor_b32_e32 v4, vcc_lo, v4
	v_xor_b32_e32 v0, vcc_hi, v5
	v_and_b32_e32 v25, exec_lo, v4
	v_lshlrev_b32_e32 v5, 30, v23
	v_mov_b32_e32 v4, v1
	v_cmp_gt_i64_e32 vcc, 0, v[4:5]
	v_not_b32_e32 v4, v5
	v_ashrrev_i32_e32 v4, 31, v4
	v_and_b32_e32 v0, exec_hi, v0
	v_xor_b32_e32 v5, vcc_hi, v4
	v_xor_b32_e32 v4, vcc_lo, v4
	v_and_b32_e32 v0, v0, v5
	v_and_b32_e32 v25, v25, v4
	v_lshlrev_b32_e32 v5, 29, v23
	v_mov_b32_e32 v4, v1
	v_cmp_gt_i64_e32 vcc, 0, v[4:5]
	v_not_b32_e32 v4, v5
	v_ashrrev_i32_e32 v4, 31, v4
	v_xor_b32_e32 v5, vcc_hi, v4
	v_xor_b32_e32 v4, vcc_lo, v4
	v_and_b32_e32 v0, v0, v5
	v_and_b32_e32 v25, v25, v4
	v_lshlrev_b32_e32 v5, 28, v23
	v_mov_b32_e32 v4, v1
	v_cmp_gt_i64_e32 vcc, 0, v[4:5]
	v_not_b32_e32 v4, v5
	v_ashrrev_i32_e32 v4, 31, v4
	;; [unrolled: 9-line block ×5, first 2 shown]
	v_xor_b32_e32 v5, vcc_hi, v4
	v_xor_b32_e32 v4, vcc_lo, v4
	v_and_b32_e32 v0, v0, v5
	v_lshlrev_b32_e32 v5, 24, v23
	v_and_b32_e32 v25, v25, v4
	v_mov_b32_e32 v4, v1
	v_not_b32_e32 v1, v5
	v_cmp_gt_i64_e32 vcc, 0, v[4:5]
	v_ashrrev_i32_e32 v1, 31, v1
	ds_read_b32 v19, v27 offset:64
	v_xor_b32_e32 v4, vcc_hi, v1
	v_xor_b32_e32 v5, vcc_lo, v1
	v_and_b32_e32 v1, v0, v4
	v_and_b32_e32 v0, v25, v5
	v_mbcnt_lo_u32_b32 v4, v0, 0
	v_mbcnt_hi_u32_b32 v23, v1, v4
	v_cmp_eq_u32_e32 vcc, 0, v23
	v_cmp_ne_u64_e64 s[0:1], 0, v[0:1]
	s_and_b64 s[4:5], s[0:1], vcc
	; wave barrier
	s_and_saveexec_b64 s[0:1], s[4:5]
	s_cbranch_execz .LBB373_91
; %bb.90:
	v_bcnt_u32_b32 v0, v0, 0
	v_bcnt_u32_b32 v0, v1, v0
	s_waitcnt lgkmcnt(0)
	v_add_u32_e32 v0, v19, v0
	ds_write_b32 v27, v0 offset:64
.LBB373_91:
	s_or_b64 exec, exec, s[0:1]
	s_waitcnt vmcnt(3)
	v_xor_b32_e32 v15, 0x7fffffff, v15
	v_lshrrev_b32_e32 v0, s20, v15
	v_and_b32_e32 v28, s12, v0
	s_movk_i32 s4, 0x44
	v_mul_lo_u32 v0, v28, s4
	v_add_u32_e32 v30, v24, v0
	v_and_b32_e32 v0, 1, v28
	v_mov_b32_e32 v1, 0
	v_lshl_add_u64 v[4:5], v[0:1], 0, -1
	v_cmp_ne_u32_e32 vcc, 0, v0
	; wave barrier
	s_nop 1
	v_xor_b32_e32 v4, vcc_lo, v4
	v_xor_b32_e32 v0, vcc_hi, v5
	v_and_b32_e32 v29, exec_lo, v4
	v_lshlrev_b32_e32 v5, 30, v28
	v_mov_b32_e32 v4, v1
	v_cmp_gt_i64_e32 vcc, 0, v[4:5]
	v_not_b32_e32 v4, v5
	v_ashrrev_i32_e32 v4, 31, v4
	v_and_b32_e32 v0, exec_hi, v0
	v_xor_b32_e32 v5, vcc_hi, v4
	v_xor_b32_e32 v4, vcc_lo, v4
	v_and_b32_e32 v0, v0, v5
	v_and_b32_e32 v29, v29, v4
	v_lshlrev_b32_e32 v5, 29, v28
	v_mov_b32_e32 v4, v1
	v_cmp_gt_i64_e32 vcc, 0, v[4:5]
	v_not_b32_e32 v4, v5
	v_ashrrev_i32_e32 v4, 31, v4
	v_xor_b32_e32 v5, vcc_hi, v4
	v_xor_b32_e32 v4, vcc_lo, v4
	v_and_b32_e32 v0, v0, v5
	v_and_b32_e32 v29, v29, v4
	v_lshlrev_b32_e32 v5, 28, v28
	v_mov_b32_e32 v4, v1
	v_cmp_gt_i64_e32 vcc, 0, v[4:5]
	v_not_b32_e32 v4, v5
	v_ashrrev_i32_e32 v4, 31, v4
	;; [unrolled: 9-line block ×6, first 2 shown]
	v_xor_b32_e32 v5, vcc_hi, v4
	v_xor_b32_e32 v4, vcc_lo, v4
	ds_read_b32 v25, v30 offset:64
	v_and_b32_e32 v4, v29, v4
	v_and_b32_e32 v5, v0, v5
	v_mbcnt_lo_u32_b32 v0, v4, 0
	v_mbcnt_hi_u32_b32 v28, v5, v0
	v_cmp_eq_u32_e32 vcc, 0, v28
	v_cmp_ne_u64_e64 s[0:1], 0, v[4:5]
	s_and_b64 s[6:7], s[0:1], vcc
	; wave barrier
	s_and_saveexec_b64 s[0:1], s[6:7]
	s_cbranch_execz .LBB373_93
; %bb.92:
	v_bcnt_u32_b32 v0, v4, 0
	v_bcnt_u32_b32 v0, v5, v0
	s_waitcnt lgkmcnt(0)
	v_add_u32_e32 v0, v25, v0
	ds_write_b32 v30, v0 offset:64
.LBB373_93:
	s_or_b64 exec, exec, s[0:1]
	s_waitcnt vmcnt(2)
	v_xor_b32_e32 v20, 0x7fffffff, v20
	v_lshrrev_b32_e32 v0, s20, v20
	v_and_b32_e32 v31, s12, v0
	v_mul_lo_u32 v0, v31, s4
	v_add_u32_e32 v33, v24, v0
	v_and_b32_e32 v0, 1, v31
	v_lshl_add_u64 v[4:5], v[0:1], 0, -1
	v_cmp_ne_u32_e32 vcc, 0, v0
	; wave barrier
	s_nop 1
	v_xor_b32_e32 v4, vcc_lo, v4
	v_xor_b32_e32 v0, vcc_hi, v5
	v_and_b32_e32 v32, exec_lo, v4
	v_lshlrev_b32_e32 v5, 30, v31
	v_mov_b32_e32 v4, v1
	v_cmp_gt_i64_e32 vcc, 0, v[4:5]
	v_not_b32_e32 v4, v5
	v_ashrrev_i32_e32 v4, 31, v4
	v_and_b32_e32 v0, exec_hi, v0
	v_xor_b32_e32 v5, vcc_hi, v4
	v_xor_b32_e32 v4, vcc_lo, v4
	v_and_b32_e32 v0, v0, v5
	v_and_b32_e32 v32, v32, v4
	v_lshlrev_b32_e32 v5, 29, v31
	v_mov_b32_e32 v4, v1
	v_cmp_gt_i64_e32 vcc, 0, v[4:5]
	v_not_b32_e32 v4, v5
	v_ashrrev_i32_e32 v4, 31, v4
	v_xor_b32_e32 v5, vcc_hi, v4
	v_xor_b32_e32 v4, vcc_lo, v4
	v_and_b32_e32 v0, v0, v5
	v_and_b32_e32 v32, v32, v4
	v_lshlrev_b32_e32 v5, 28, v31
	v_mov_b32_e32 v4, v1
	v_cmp_gt_i64_e32 vcc, 0, v[4:5]
	v_not_b32_e32 v4, v5
	v_ashrrev_i32_e32 v4, 31, v4
	;; [unrolled: 9-line block ×5, first 2 shown]
	v_xor_b32_e32 v5, vcc_hi, v4
	v_xor_b32_e32 v4, vcc_lo, v4
	v_and_b32_e32 v0, v0, v5
	v_lshlrev_b32_e32 v5, 24, v31
	v_and_b32_e32 v32, v32, v4
	v_mov_b32_e32 v4, v1
	v_not_b32_e32 v1, v5
	v_cmp_gt_i64_e32 vcc, 0, v[4:5]
	v_ashrrev_i32_e32 v1, 31, v1
	ds_read_b32 v29, v33 offset:64
	v_xor_b32_e32 v4, vcc_hi, v1
	v_xor_b32_e32 v5, vcc_lo, v1
	v_and_b32_e32 v1, v0, v4
	v_and_b32_e32 v0, v32, v5
	v_mbcnt_lo_u32_b32 v4, v0, 0
	v_mbcnt_hi_u32_b32 v31, v1, v4
	v_cmp_eq_u32_e32 vcc, 0, v31
	v_cmp_ne_u64_e64 s[0:1], 0, v[0:1]
	s_and_b64 s[4:5], s[0:1], vcc
	; wave barrier
	s_and_saveexec_b64 s[0:1], s[4:5]
	s_cbranch_execz .LBB373_95
; %bb.94:
	v_bcnt_u32_b32 v0, v0, 0
	v_bcnt_u32_b32 v0, v1, v0
	s_waitcnt lgkmcnt(0)
	v_add_u32_e32 v0, v29, v0
	ds_write_b32 v33, v0 offset:64
.LBB373_95:
	s_or_b64 exec, exec, s[0:1]
	s_waitcnt vmcnt(1)
	v_xor_b32_e32 v26, 0x7fffffff, v26
	v_lshrrev_b32_e32 v0, s20, v26
	v_and_b32_e32 v34, s12, v0
	s_movk_i32 s4, 0x44
	v_mul_lo_u32 v0, v34, s4
	v_add_u32_e32 v36, v24, v0
	v_and_b32_e32 v0, 1, v34
	v_mov_b32_e32 v1, 0
	v_lshl_add_u64 v[4:5], v[0:1], 0, -1
	v_cmp_ne_u32_e32 vcc, 0, v0
	; wave barrier
	s_nop 1
	v_xor_b32_e32 v4, vcc_lo, v4
	v_xor_b32_e32 v0, vcc_hi, v5
	v_and_b32_e32 v35, exec_lo, v4
	v_lshlrev_b32_e32 v5, 30, v34
	v_mov_b32_e32 v4, v1
	v_cmp_gt_i64_e32 vcc, 0, v[4:5]
	v_not_b32_e32 v4, v5
	v_ashrrev_i32_e32 v4, 31, v4
	v_and_b32_e32 v0, exec_hi, v0
	v_xor_b32_e32 v5, vcc_hi, v4
	v_xor_b32_e32 v4, vcc_lo, v4
	v_and_b32_e32 v0, v0, v5
	v_and_b32_e32 v35, v35, v4
	v_lshlrev_b32_e32 v5, 29, v34
	v_mov_b32_e32 v4, v1
	v_cmp_gt_i64_e32 vcc, 0, v[4:5]
	v_not_b32_e32 v4, v5
	v_ashrrev_i32_e32 v4, 31, v4
	v_xor_b32_e32 v5, vcc_hi, v4
	v_xor_b32_e32 v4, vcc_lo, v4
	v_and_b32_e32 v0, v0, v5
	v_and_b32_e32 v35, v35, v4
	v_lshlrev_b32_e32 v5, 28, v34
	v_mov_b32_e32 v4, v1
	v_cmp_gt_i64_e32 vcc, 0, v[4:5]
	v_not_b32_e32 v4, v5
	v_ashrrev_i32_e32 v4, 31, v4
	;; [unrolled: 9-line block ×6, first 2 shown]
	v_xor_b32_e32 v5, vcc_hi, v4
	v_xor_b32_e32 v4, vcc_lo, v4
	ds_read_b32 v32, v36 offset:64
	v_and_b32_e32 v4, v35, v4
	v_and_b32_e32 v5, v0, v5
	v_mbcnt_lo_u32_b32 v0, v4, 0
	v_mbcnt_hi_u32_b32 v34, v5, v0
	v_cmp_eq_u32_e32 vcc, 0, v34
	v_cmp_ne_u64_e64 s[0:1], 0, v[4:5]
	s_and_b64 s[6:7], s[0:1], vcc
	; wave barrier
	s_and_saveexec_b64 s[0:1], s[6:7]
	s_cbranch_execz .LBB373_97
; %bb.96:
	v_bcnt_u32_b32 v0, v4, 0
	v_bcnt_u32_b32 v0, v5, v0
	s_waitcnt lgkmcnt(0)
	v_add_u32_e32 v0, v32, v0
	ds_write_b32 v36, v0 offset:64
.LBB373_97:
	s_or_b64 exec, exec, s[0:1]
	s_waitcnt vmcnt(0)
	v_xor_b32_e32 v21, 0x7fffffff, v21
	v_lshrrev_b32_e32 v0, s20, v21
	v_and_b32_e32 v37, s12, v0
	v_mul_lo_u32 v0, v37, s4
	v_add_u32_e32 v38, v24, v0
	v_and_b32_e32 v0, 1, v37
	v_lshl_add_u64 v[4:5], v[0:1], 0, -1
	v_cmp_ne_u32_e32 vcc, 0, v0
	; wave barrier
	s_nop 1
	v_xor_b32_e32 v4, vcc_lo, v4
	v_xor_b32_e32 v0, vcc_hi, v5
	v_and_b32_e32 v24, exec_lo, v4
	v_lshlrev_b32_e32 v5, 30, v37
	v_mov_b32_e32 v4, v1
	v_cmp_gt_i64_e32 vcc, 0, v[4:5]
	v_not_b32_e32 v4, v5
	v_ashrrev_i32_e32 v4, 31, v4
	v_and_b32_e32 v0, exec_hi, v0
	v_xor_b32_e32 v5, vcc_hi, v4
	v_xor_b32_e32 v4, vcc_lo, v4
	v_and_b32_e32 v0, v0, v5
	v_and_b32_e32 v24, v24, v4
	v_lshlrev_b32_e32 v5, 29, v37
	v_mov_b32_e32 v4, v1
	v_cmp_gt_i64_e32 vcc, 0, v[4:5]
	v_not_b32_e32 v4, v5
	v_ashrrev_i32_e32 v4, 31, v4
	v_xor_b32_e32 v5, vcc_hi, v4
	v_xor_b32_e32 v4, vcc_lo, v4
	v_and_b32_e32 v0, v0, v5
	v_and_b32_e32 v24, v24, v4
	v_lshlrev_b32_e32 v5, 28, v37
	v_mov_b32_e32 v4, v1
	v_cmp_gt_i64_e32 vcc, 0, v[4:5]
	v_not_b32_e32 v4, v5
	v_ashrrev_i32_e32 v4, 31, v4
	;; [unrolled: 9-line block ×5, first 2 shown]
	v_xor_b32_e32 v5, vcc_hi, v4
	v_xor_b32_e32 v4, vcc_lo, v4
	v_and_b32_e32 v0, v0, v5
	v_lshlrev_b32_e32 v5, 24, v37
	v_and_b32_e32 v24, v24, v4
	v_mov_b32_e32 v4, v1
	v_not_b32_e32 v1, v5
	v_cmp_gt_i64_e32 vcc, 0, v[4:5]
	v_ashrrev_i32_e32 v1, 31, v1
	ds_read_b32 v35, v38 offset:64
	v_xor_b32_e32 v4, vcc_hi, v1
	v_xor_b32_e32 v5, vcc_lo, v1
	v_and_b32_e32 v1, v0, v4
	v_and_b32_e32 v0, v24, v5
	v_mbcnt_lo_u32_b32 v4, v0, 0
	v_mbcnt_hi_u32_b32 v37, v1, v4
	v_cmp_eq_u32_e32 vcc, 0, v37
	v_cmp_ne_u64_e64 s[0:1], 0, v[0:1]
	s_and_b64 s[4:5], s[0:1], vcc
	; wave barrier
	s_and_saveexec_b64 s[0:1], s[4:5]
	s_cbranch_execz .LBB373_99
; %bb.98:
	v_bcnt_u32_b32 v0, v0, 0
	v_bcnt_u32_b32 v0, v1, v0
	s_waitcnt lgkmcnt(0)
	v_add_u32_e32 v0, v35, v0
	ds_write_b32 v38, v0 offset:64
.LBB373_99:
	s_or_b64 exec, exec, s[0:1]
	; wave barrier
	s_waitcnt lgkmcnt(0)
	s_barrier
	ds_read2_b32 v[4:5], v7 offset0:16 offset1:17
	ds_read2_b32 v[0:1], v7 offset0:18 offset1:19
	ds_read_b32 v24, v7 offset:80
	v_cmp_lt_u32_e64 s[8:9], 31, v6
	s_waitcnt lgkmcnt(1)
	v_add3_u32 v39, v5, v4, v0
	s_waitcnt lgkmcnt(0)
	v_add3_u32 v24, v39, v1, v24
	v_and_b32_e32 v39, 15, v6
	v_cmp_eq_u32_e32 vcc, 0, v39
	v_mov_b32_dpp v40, v24 row_shr:1 row_mask:0xf bank_mask:0xf
	v_cmp_lt_u32_e64 s[0:1], 1, v39
	v_cndmask_b32_e64 v40, v40, 0, vcc
	v_add_u32_e32 v24, v40, v24
	v_cmp_lt_u32_e64 s[6:7], 3, v39
	v_cmp_lt_u32_e64 s[4:5], 7, v39
	v_mov_b32_dpp v40, v24 row_shr:2 row_mask:0xf bank_mask:0xf
	v_cndmask_b32_e64 v40, 0, v40, s[0:1]
	v_add_u32_e32 v24, v24, v40
	s_nop 1
	v_mov_b32_dpp v40, v24 row_shr:4 row_mask:0xf bank_mask:0xf
	v_cndmask_b32_e64 v40, 0, v40, s[6:7]
	v_add_u32_e32 v24, v24, v40
	s_nop 1
	v_mov_b32_dpp v40, v24 row_shr:8 row_mask:0xf bank_mask:0xf
	v_cndmask_b32_e64 v39, 0, v40, s[4:5]
	v_add_u32_e32 v24, v24, v39
	v_bfe_i32 v40, v6, 4, 1
	s_nop 0
	v_mov_b32_dpp v39, v24 row_bcast:15 row_mask:0xf bank_mask:0xf
	v_and_b32_e32 v39, v40, v39
	v_add_u32_e32 v24, v24, v39
	v_lshrrev_b32_e32 v40, 6, v2
	s_nop 0
	v_mov_b32_dpp v39, v24 row_bcast:31 row_mask:0xf bank_mask:0xf
	v_cndmask_b32_e64 v39, 0, v39, s[8:9]
	v_add_u32_e32 v39, v24, v39
	v_and_b32_e32 v24, 63, v2
	v_cmp_eq_u32_e64 s[8:9], 63, v24
	s_and_saveexec_b64 s[10:11], s[8:9]
; %bb.100:
	v_lshlrev_b32_e32 v24, 2, v40
	ds_write_b32 v24, v39
; %bb.101:
	s_or_b64 exec, exec, s[10:11]
	v_cmp_gt_u32_e64 s[8:9], 16, v2
	v_lshlrev_b32_e32 v24, 2, v2
	s_waitcnt lgkmcnt(0)
	s_barrier
	s_and_saveexec_b64 s[10:11], s[8:9]
	s_cbranch_execz .LBB373_103
; %bb.102:
	ds_read_b32 v41, v24
	s_waitcnt lgkmcnt(0)
	s_nop 0
	v_mov_b32_dpp v42, v41 row_shr:1 row_mask:0xf bank_mask:0xf
	v_cndmask_b32_e64 v42, v42, 0, vcc
	v_add_u32_e32 v41, v42, v41
	s_nop 1
	v_mov_b32_dpp v42, v41 row_shr:2 row_mask:0xf bank_mask:0xf
	v_cndmask_b32_e64 v42, 0, v42, s[0:1]
	v_add_u32_e32 v41, v41, v42
	s_nop 1
	v_mov_b32_dpp v42, v41 row_shr:4 row_mask:0xf bank_mask:0xf
	v_cndmask_b32_e64 v42, 0, v42, s[6:7]
	;; [unrolled: 4-line block ×3, first 2 shown]
	v_add_u32_e32 v41, v41, v42
	ds_write_b32 v24, v41
.LBB373_103:
	s_or_b64 exec, exec, s[10:11]
	v_cmp_lt_u32_e32 vcc, 63, v2
	v_mov_b32_e32 v41, 0
	s_waitcnt lgkmcnt(0)
	s_barrier
	s_and_saveexec_b64 s[0:1], vcc
; %bb.104:
	v_lshl_add_u32 v40, v40, 2, -4
	ds_read_b32 v41, v40
; %bb.105:
	s_or_b64 exec, exec, s[0:1]
	v_subrev_co_u32_e32 v40, vcc, 1, v6
	v_and_b32_e32 v42, 64, v6
	v_cmp_lt_i32_e64 s[0:1], v40, v42
	s_waitcnt lgkmcnt(0)
	v_add_u32_e32 v39, v41, v39
	s_movk_i32 s4, 0x100
	v_cndmask_b32_e64 v6, v40, v6, s[0:1]
	v_lshlrev_b32_e32 v6, 2, v6
	ds_bpermute_b32 v6, v6, v39
	s_movk_i32 s0, 0xff
	v_cmp_lt_u32_e64 s[0:1], s0, v2
	s_waitcnt lgkmcnt(0)
	v_cndmask_b32_e32 v6, v6, v41, vcc
	v_cmp_ne_u32_e32 vcc, 0, v2
	s_nop 1
	v_cndmask_b32_e32 v6, 0, v6, vcc
	v_add_u32_e32 v4, v6, v4
	v_add_u32_e32 v5, v4, v5
	;; [unrolled: 1-line block ×4, first 2 shown]
	ds_write2_b32 v7, v6, v4 offset0:16 offset1:17
	ds_write2_b32 v7, v5, v0 offset0:18 offset1:19
	ds_write_b32 v7, v1 offset:80
	s_waitcnt lgkmcnt(0)
	s_barrier
	ds_read_b32 v42, v16 offset:64
	ds_read_b32 v39, v17 offset:64
	;; [unrolled: 1-line block ×8, first 2 shown]
	v_cmp_gt_u32_e32 vcc, s4, v2
                                        ; implicit-def: $vgpr16
                                        ; implicit-def: $vgpr17
	s_and_saveexec_b64 s[6:7], vcc
	s_cbranch_execz .LBB373_109
; %bb.106:
	v_mul_u32_u24_e32 v0, 0x44, v2
	ds_read_b32 v16, v0 offset:64
	v_add_u32_e32 v1, 1, v2
	v_cmp_ne_u32_e64 s[4:5], s4, v1
	v_mov_b32_e32 v0, 0x2000
	s_and_saveexec_b64 s[8:9], s[4:5]
; %bb.107:
	v_mul_u32_u24_e32 v0, 0x44, v1
	ds_read_b32 v0, v0 offset:64
; %bb.108:
	s_or_b64 exec, exec, s[8:9]
	s_waitcnt lgkmcnt(0)
	v_sub_u32_e32 v17, v0, v16
.LBB373_109:
	s_or_b64 exec, exec, s[6:7]
	v_mov_b32_e32 v1, 0
	s_waitcnt lgkmcnt(0)
	s_barrier
	s_and_saveexec_b64 s[4:5], vcc
	s_cbranch_execz .LBB373_119
; %bb.110:
	v_lshl_add_u32 v0, s2, 8, v2
	v_lshl_add_u64 v[4:5], v[0:1], 2, s[28:29]
	v_or_b32_e32 v0, 2.0, v17
	s_mov_b64 s[6:7], 0
	s_brev_b32 s13, -4
	s_mov_b32 s14, s2
	v_mov_b32_e32 v36, 0
	global_store_dword v[4:5], v0, off sc1
                                        ; implicit-def: $sgpr8_sgpr9
	s_branch .LBB373_113
.LBB373_111:                            ;   in Loop: Header=BB373_113 Depth=1
	s_or_b64 exec, exec, s[10:11]
.LBB373_112:                            ;   in Loop: Header=BB373_113 Depth=1
	s_or_b64 exec, exec, s[8:9]
	v_and_b32_e32 v6, 0x3fffffff, v0
	v_add_u32_e32 v36, v6, v36
	v_cmp_gt_i32_e64 s[8:9], -2.0, v0
	s_and_b64 s[10:11], exec, s[8:9]
	s_or_b64 s[6:7], s[10:11], s[6:7]
	s_andn2_b64 exec, exec, s[6:7]
	s_cbranch_execz .LBB373_118
.LBB373_113:                            ; =>This Loop Header: Depth=1
                                        ;     Child Loop BB373_116 Depth 2
	s_or_b64 s[8:9], s[8:9], exec
	s_cmp_eq_u32 s14, 0
	s_cbranch_scc1 .LBB373_117
; %bb.114:                              ;   in Loop: Header=BB373_113 Depth=1
	s_add_i32 s14, s14, -1
	v_lshl_or_b32 v0, s14, 8, v2
	v_lshl_add_u64 v[6:7], v[0:1], 2, s[28:29]
	global_load_dword v0, v[6:7], off sc1
	s_waitcnt vmcnt(0)
	v_cmp_gt_u32_e32 vcc, 2.0, v0
	s_and_saveexec_b64 s[8:9], vcc
	s_cbranch_execz .LBB373_112
; %bb.115:                              ;   in Loop: Header=BB373_113 Depth=1
	s_mov_b64 s[10:11], 0
.LBB373_116:                            ;   Parent Loop BB373_113 Depth=1
                                        ; =>  This Inner Loop Header: Depth=2
	global_load_dword v0, v[6:7], off sc1
	s_waitcnt vmcnt(0)
	v_cmp_lt_u32_e32 vcc, s13, v0
	s_or_b64 s[10:11], vcc, s[10:11]
	s_andn2_b64 exec, exec, s[10:11]
	s_cbranch_execnz .LBB373_116
	s_branch .LBB373_111
.LBB373_117:                            ;   in Loop: Header=BB373_113 Depth=1
                                        ; implicit-def: $sgpr14
	s_and_b64 s[10:11], exec, s[8:9]
	s_or_b64 s[6:7], s[10:11], s[6:7]
	s_andn2_b64 exec, exec, s[6:7]
	s_cbranch_execnz .LBB373_113
.LBB373_118:
	s_or_b64 exec, exec, s[6:7]
	v_add_u32_e32 v0, v36, v17
	v_or_b32_e32 v0, 0x80000000, v0
	global_store_dword v[4:5], v0, off sc1
	global_load_dword v0, v24, s[16:17]
	v_sub_u32_e32 v1, v36, v16
	s_waitcnt vmcnt(0)
	v_add_u32_e32 v0, v1, v0
	ds_write_b32 v24, v0
.LBB373_119:
	s_or_b64 exec, exec, s[4:5]
	v_add_u32_e32 v0, v37, v35
	v_add_u32_e32 v1, v34, v32
	;; [unrolled: 1-line block ×8, first 2 shown]
	v_add_lshl_u32 v5, v0, v33, 2
	v_add3_u32 v6, v37, v33, v35
	v_add_lshl_u32 v7, v1, v22, 2
	v_add3_u32 v10, v34, v22, v32
	;; [unrolled: 2-line block ×7, first 2 shown]
	v_lshlrev_b32_e32 v13, 2, v4
	s_mov_b64 s[4:5], -1
	s_mov_b32 s8, 0
	s_movk_i32 s9, 0x1000
	v_mov_b32_e32 v1, 0
	s_movk_i32 s10, 0x400
	s_movk_i32 s11, 0x800
	;; [unrolled: 1-line block ×3, first 2 shown]
	s_mov_b32 s14, 0
	s_branch .LBB373_121
.LBB373_120:                            ;   in Loop: Header=BB373_121 Depth=1
	s_or_b64 exec, exec, s[6:7]
	s_waitcnt lgkmcnt(0)
	s_barrier
	ds_read2st64_b32 v[30:31], v24 offset0:4 offset1:20
	s_xor_b64 s[6:7], s[4:5], -1
	s_addk_i32 s14, 0xc000
	s_addk_i32 s8, 0xf000
	s_mov_b64 s[4:5], 0
	s_waitcnt lgkmcnt(0)
	v_lshrrev_b32_e32 v0, s20, v30
	v_and_b32_e32 v0, s12, v0
	v_lshlrev_b32_e32 v0, 2, v0
	ds_read2st64_b32 v[32:33], v24 offset0:36 offset1:52
	ds_read_b32 v0, v0
	v_lshrrev_b32_e32 v34, s20, v31
	v_and_b32_e32 v34, s12, v34
	v_lshlrev_b32_e32 v34, 2, v34
	s_waitcnt lgkmcnt(1)
	v_lshrrev_b32_e32 v36, s20, v33
	v_lshrrev_b32_e32 v35, s20, v32
	v_and_b32_e32 v36, s12, v36
	v_and_b32_e32 v35, s12, v35
	v_lshlrev_b32_e32 v36, 2, v36
	v_lshlrev_b32_e32 v35, 2, v35
	ds_read_b32 v37, v34
	ds_read_b32 v38, v35
	;; [unrolled: 1-line block ×3, first 2 shown]
	s_waitcnt lgkmcnt(3)
	v_add_u32_e32 v0, v2, v0
	v_xor_b32_e32 v30, 0x7fffffff, v30
	v_lshl_add_u64 v[34:35], v[0:1], 2, s[26:27]
	s_waitcnt lgkmcnt(2)
	v_add3_u32 v0, v2, v37, s10
	global_store_dword v[34:35], v30, off
	v_xor_b32_e32 v34, 0x7fffffff, v31
	v_lshl_add_u64 v[30:31], v[0:1], 2, s[26:27]
	s_waitcnt lgkmcnt(1)
	v_add3_u32 v0, v2, v38, s11
	global_store_dword v[30:31], v34, off
	;; [unrolled: 5-line block ×3, first 2 shown]
	v_xor_b32_e32 v32, 0x7fffffff, v33
	v_lshl_add_u64 v[30:31], v[0:1], 2, s[26:27]
	v_add_u32_e32 v2, 0x1000, v2
	s_and_b64 vcc, exec, s[6:7]
	global_store_dword v[30:31], v32, off
	s_barrier
	s_cbranch_vccnz .LBB373_137
.LBB373_121:                            ; =>This Inner Loop Header: Depth=1
	v_add_u32_e32 v0, s8, v4
	v_cmp_gt_u32_e32 vcc, s9, v0
	s_and_saveexec_b64 s[6:7], vcc
; %bb.122:                              ;   in Loop: Header=BB373_121 Depth=1
	v_add_u32_e32 v0, s14, v13
	ds_write_b32 v0, v3 offset:1024
; %bb.123:                              ;   in Loop: Header=BB373_121 Depth=1
	s_or_b64 exec, exec, s[6:7]
	v_add_u32_e32 v0, s8, v11
	v_cmp_gt_u32_e32 vcc, s9, v0
	s_and_saveexec_b64 s[6:7], vcc
; %bb.124:                              ;   in Loop: Header=BB373_121 Depth=1
	v_add_u32_e32 v0, s14, v18
	ds_write_b32 v0, v8 offset:1024
; %bb.125:                              ;   in Loop: Header=BB373_121 Depth=1
	s_or_b64 exec, exec, s[6:7]
	;; [unrolled: 8-line block ×7, first 2 shown]
	v_add_u32_e32 v0, s8, v6
	v_cmp_gt_u32_e32 vcc, s9, v0
	s_and_saveexec_b64 s[6:7], vcc
	s_cbranch_execz .LBB373_120
; %bb.136:                              ;   in Loop: Header=BB373_121 Depth=1
	v_add_u32_e32 v0, s14, v5
	ds_write_b32 v0, v21 offset:1024
	s_branch .LBB373_120
.LBB373_137:
	s_add_i32 s3, s3, -1
	s_cmp_eq_u32 s2, s3
	s_cselect_b64 s[2:3], -1, 0
	s_xor_b64 s[0:1], s[0:1], -1
	s_and_b64 s[0:1], s[0:1], s[2:3]
	s_and_saveexec_b64 s[2:3], s[0:1]
	s_cbranch_execz .LBB373_139
; %bb.138:
	ds_read_b32 v0, v24
	s_waitcnt lgkmcnt(0)
	v_add3_u32 v0, v16, v17, v0
	global_store_dword v24, v0, s[18:19]
.LBB373_139:
	s_endpgm
	.section	.rodata,"a",@progbits
	.p2align	6, 0x0
	.amdhsa_kernel _ZN7rocprim17ROCPRIM_400000_NS6detail17trampoline_kernelINS0_14default_configENS1_35radix_sort_onesweep_config_selectorIiNS0_10empty_typeEEEZZNS1_29radix_sort_onesweep_iterationIS3_Lb1EN6thrust23THRUST_200600_302600_NS6detail15normal_iteratorINS9_10device_ptrIiEEEESE_PS5_SF_jNS0_19identity_decomposerENS1_16block_id_wrapperIjLb0EEEEE10hipError_tT1_PNSt15iterator_traitsISK_E10value_typeET2_T3_PNSL_ISQ_E10value_typeET4_T5_PSV_SW_PNS1_23onesweep_lookback_stateEbbT6_jjT7_P12ihipStream_tbENKUlT_T0_SK_SP_E_clISE_PiSF_SF_EEDaS13_S14_SK_SP_EUlS13_E_NS1_11comp_targetILNS1_3genE6ELNS1_11target_archE950ELNS1_3gpuE13ELNS1_3repE0EEENS1_47radix_sort_onesweep_sort_config_static_selectorELNS0_4arch9wavefront6targetE1EEEvSK_
		.amdhsa_group_segment_fixed_size 20552
		.amdhsa_private_segment_fixed_size 0
		.amdhsa_kernarg_size 344
		.amdhsa_user_sgpr_count 2
		.amdhsa_user_sgpr_dispatch_ptr 0
		.amdhsa_user_sgpr_queue_ptr 0
		.amdhsa_user_sgpr_kernarg_segment_ptr 1
		.amdhsa_user_sgpr_dispatch_id 0
		.amdhsa_user_sgpr_kernarg_preload_length 0
		.amdhsa_user_sgpr_kernarg_preload_offset 0
		.amdhsa_user_sgpr_private_segment_size 0
		.amdhsa_uses_dynamic_stack 0
		.amdhsa_enable_private_segment 0
		.amdhsa_system_sgpr_workgroup_id_x 1
		.amdhsa_system_sgpr_workgroup_id_y 0
		.amdhsa_system_sgpr_workgroup_id_z 0
		.amdhsa_system_sgpr_workgroup_info 0
		.amdhsa_system_vgpr_workitem_id 2
		.amdhsa_next_free_vgpr 46
		.amdhsa_next_free_sgpr 31
		.amdhsa_accum_offset 48
		.amdhsa_reserve_vcc 1
		.amdhsa_float_round_mode_32 0
		.amdhsa_float_round_mode_16_64 0
		.amdhsa_float_denorm_mode_32 3
		.amdhsa_float_denorm_mode_16_64 3
		.amdhsa_dx10_clamp 1
		.amdhsa_ieee_mode 1
		.amdhsa_fp16_overflow 0
		.amdhsa_tg_split 0
		.amdhsa_exception_fp_ieee_invalid_op 0
		.amdhsa_exception_fp_denorm_src 0
		.amdhsa_exception_fp_ieee_div_zero 0
		.amdhsa_exception_fp_ieee_overflow 0
		.amdhsa_exception_fp_ieee_underflow 0
		.amdhsa_exception_fp_ieee_inexact 0
		.amdhsa_exception_int_div_zero 0
	.end_amdhsa_kernel
	.section	.text._ZN7rocprim17ROCPRIM_400000_NS6detail17trampoline_kernelINS0_14default_configENS1_35radix_sort_onesweep_config_selectorIiNS0_10empty_typeEEEZZNS1_29radix_sort_onesweep_iterationIS3_Lb1EN6thrust23THRUST_200600_302600_NS6detail15normal_iteratorINS9_10device_ptrIiEEEESE_PS5_SF_jNS0_19identity_decomposerENS1_16block_id_wrapperIjLb0EEEEE10hipError_tT1_PNSt15iterator_traitsISK_E10value_typeET2_T3_PNSL_ISQ_E10value_typeET4_T5_PSV_SW_PNS1_23onesweep_lookback_stateEbbT6_jjT7_P12ihipStream_tbENKUlT_T0_SK_SP_E_clISE_PiSF_SF_EEDaS13_S14_SK_SP_EUlS13_E_NS1_11comp_targetILNS1_3genE6ELNS1_11target_archE950ELNS1_3gpuE13ELNS1_3repE0EEENS1_47radix_sort_onesweep_sort_config_static_selectorELNS0_4arch9wavefront6targetE1EEEvSK_,"axG",@progbits,_ZN7rocprim17ROCPRIM_400000_NS6detail17trampoline_kernelINS0_14default_configENS1_35radix_sort_onesweep_config_selectorIiNS0_10empty_typeEEEZZNS1_29radix_sort_onesweep_iterationIS3_Lb1EN6thrust23THRUST_200600_302600_NS6detail15normal_iteratorINS9_10device_ptrIiEEEESE_PS5_SF_jNS0_19identity_decomposerENS1_16block_id_wrapperIjLb0EEEEE10hipError_tT1_PNSt15iterator_traitsISK_E10value_typeET2_T3_PNSL_ISQ_E10value_typeET4_T5_PSV_SW_PNS1_23onesweep_lookback_stateEbbT6_jjT7_P12ihipStream_tbENKUlT_T0_SK_SP_E_clISE_PiSF_SF_EEDaS13_S14_SK_SP_EUlS13_E_NS1_11comp_targetILNS1_3genE6ELNS1_11target_archE950ELNS1_3gpuE13ELNS1_3repE0EEENS1_47radix_sort_onesweep_sort_config_static_selectorELNS0_4arch9wavefront6targetE1EEEvSK_,comdat
.Lfunc_end373:
	.size	_ZN7rocprim17ROCPRIM_400000_NS6detail17trampoline_kernelINS0_14default_configENS1_35radix_sort_onesweep_config_selectorIiNS0_10empty_typeEEEZZNS1_29radix_sort_onesweep_iterationIS3_Lb1EN6thrust23THRUST_200600_302600_NS6detail15normal_iteratorINS9_10device_ptrIiEEEESE_PS5_SF_jNS0_19identity_decomposerENS1_16block_id_wrapperIjLb0EEEEE10hipError_tT1_PNSt15iterator_traitsISK_E10value_typeET2_T3_PNSL_ISQ_E10value_typeET4_T5_PSV_SW_PNS1_23onesweep_lookback_stateEbbT6_jjT7_P12ihipStream_tbENKUlT_T0_SK_SP_E_clISE_PiSF_SF_EEDaS13_S14_SK_SP_EUlS13_E_NS1_11comp_targetILNS1_3genE6ELNS1_11target_archE950ELNS1_3gpuE13ELNS1_3repE0EEENS1_47radix_sort_onesweep_sort_config_static_selectorELNS0_4arch9wavefront6targetE1EEEvSK_, .Lfunc_end373-_ZN7rocprim17ROCPRIM_400000_NS6detail17trampoline_kernelINS0_14default_configENS1_35radix_sort_onesweep_config_selectorIiNS0_10empty_typeEEEZZNS1_29radix_sort_onesweep_iterationIS3_Lb1EN6thrust23THRUST_200600_302600_NS6detail15normal_iteratorINS9_10device_ptrIiEEEESE_PS5_SF_jNS0_19identity_decomposerENS1_16block_id_wrapperIjLb0EEEEE10hipError_tT1_PNSt15iterator_traitsISK_E10value_typeET2_T3_PNSL_ISQ_E10value_typeET4_T5_PSV_SW_PNS1_23onesweep_lookback_stateEbbT6_jjT7_P12ihipStream_tbENKUlT_T0_SK_SP_E_clISE_PiSF_SF_EEDaS13_S14_SK_SP_EUlS13_E_NS1_11comp_targetILNS1_3genE6ELNS1_11target_archE950ELNS1_3gpuE13ELNS1_3repE0EEENS1_47radix_sort_onesweep_sort_config_static_selectorELNS0_4arch9wavefront6targetE1EEEvSK_
                                        ; -- End function
	.set _ZN7rocprim17ROCPRIM_400000_NS6detail17trampoline_kernelINS0_14default_configENS1_35radix_sort_onesweep_config_selectorIiNS0_10empty_typeEEEZZNS1_29radix_sort_onesweep_iterationIS3_Lb1EN6thrust23THRUST_200600_302600_NS6detail15normal_iteratorINS9_10device_ptrIiEEEESE_PS5_SF_jNS0_19identity_decomposerENS1_16block_id_wrapperIjLb0EEEEE10hipError_tT1_PNSt15iterator_traitsISK_E10value_typeET2_T3_PNSL_ISQ_E10value_typeET4_T5_PSV_SW_PNS1_23onesweep_lookback_stateEbbT6_jjT7_P12ihipStream_tbENKUlT_T0_SK_SP_E_clISE_PiSF_SF_EEDaS13_S14_SK_SP_EUlS13_E_NS1_11comp_targetILNS1_3genE6ELNS1_11target_archE950ELNS1_3gpuE13ELNS1_3repE0EEENS1_47radix_sort_onesweep_sort_config_static_selectorELNS0_4arch9wavefront6targetE1EEEvSK_.num_vgpr, 46
	.set _ZN7rocprim17ROCPRIM_400000_NS6detail17trampoline_kernelINS0_14default_configENS1_35radix_sort_onesweep_config_selectorIiNS0_10empty_typeEEEZZNS1_29radix_sort_onesweep_iterationIS3_Lb1EN6thrust23THRUST_200600_302600_NS6detail15normal_iteratorINS9_10device_ptrIiEEEESE_PS5_SF_jNS0_19identity_decomposerENS1_16block_id_wrapperIjLb0EEEEE10hipError_tT1_PNSt15iterator_traitsISK_E10value_typeET2_T3_PNSL_ISQ_E10value_typeET4_T5_PSV_SW_PNS1_23onesweep_lookback_stateEbbT6_jjT7_P12ihipStream_tbENKUlT_T0_SK_SP_E_clISE_PiSF_SF_EEDaS13_S14_SK_SP_EUlS13_E_NS1_11comp_targetILNS1_3genE6ELNS1_11target_archE950ELNS1_3gpuE13ELNS1_3repE0EEENS1_47radix_sort_onesweep_sort_config_static_selectorELNS0_4arch9wavefront6targetE1EEEvSK_.num_agpr, 0
	.set _ZN7rocprim17ROCPRIM_400000_NS6detail17trampoline_kernelINS0_14default_configENS1_35radix_sort_onesweep_config_selectorIiNS0_10empty_typeEEEZZNS1_29radix_sort_onesweep_iterationIS3_Lb1EN6thrust23THRUST_200600_302600_NS6detail15normal_iteratorINS9_10device_ptrIiEEEESE_PS5_SF_jNS0_19identity_decomposerENS1_16block_id_wrapperIjLb0EEEEE10hipError_tT1_PNSt15iterator_traitsISK_E10value_typeET2_T3_PNSL_ISQ_E10value_typeET4_T5_PSV_SW_PNS1_23onesweep_lookback_stateEbbT6_jjT7_P12ihipStream_tbENKUlT_T0_SK_SP_E_clISE_PiSF_SF_EEDaS13_S14_SK_SP_EUlS13_E_NS1_11comp_targetILNS1_3genE6ELNS1_11target_archE950ELNS1_3gpuE13ELNS1_3repE0EEENS1_47radix_sort_onesweep_sort_config_static_selectorELNS0_4arch9wavefront6targetE1EEEvSK_.numbered_sgpr, 31
	.set _ZN7rocprim17ROCPRIM_400000_NS6detail17trampoline_kernelINS0_14default_configENS1_35radix_sort_onesweep_config_selectorIiNS0_10empty_typeEEEZZNS1_29radix_sort_onesweep_iterationIS3_Lb1EN6thrust23THRUST_200600_302600_NS6detail15normal_iteratorINS9_10device_ptrIiEEEESE_PS5_SF_jNS0_19identity_decomposerENS1_16block_id_wrapperIjLb0EEEEE10hipError_tT1_PNSt15iterator_traitsISK_E10value_typeET2_T3_PNSL_ISQ_E10value_typeET4_T5_PSV_SW_PNS1_23onesweep_lookback_stateEbbT6_jjT7_P12ihipStream_tbENKUlT_T0_SK_SP_E_clISE_PiSF_SF_EEDaS13_S14_SK_SP_EUlS13_E_NS1_11comp_targetILNS1_3genE6ELNS1_11target_archE950ELNS1_3gpuE13ELNS1_3repE0EEENS1_47radix_sort_onesweep_sort_config_static_selectorELNS0_4arch9wavefront6targetE1EEEvSK_.num_named_barrier, 0
	.set _ZN7rocprim17ROCPRIM_400000_NS6detail17trampoline_kernelINS0_14default_configENS1_35radix_sort_onesweep_config_selectorIiNS0_10empty_typeEEEZZNS1_29radix_sort_onesweep_iterationIS3_Lb1EN6thrust23THRUST_200600_302600_NS6detail15normal_iteratorINS9_10device_ptrIiEEEESE_PS5_SF_jNS0_19identity_decomposerENS1_16block_id_wrapperIjLb0EEEEE10hipError_tT1_PNSt15iterator_traitsISK_E10value_typeET2_T3_PNSL_ISQ_E10value_typeET4_T5_PSV_SW_PNS1_23onesweep_lookback_stateEbbT6_jjT7_P12ihipStream_tbENKUlT_T0_SK_SP_E_clISE_PiSF_SF_EEDaS13_S14_SK_SP_EUlS13_E_NS1_11comp_targetILNS1_3genE6ELNS1_11target_archE950ELNS1_3gpuE13ELNS1_3repE0EEENS1_47radix_sort_onesweep_sort_config_static_selectorELNS0_4arch9wavefront6targetE1EEEvSK_.private_seg_size, 0
	.set _ZN7rocprim17ROCPRIM_400000_NS6detail17trampoline_kernelINS0_14default_configENS1_35radix_sort_onesweep_config_selectorIiNS0_10empty_typeEEEZZNS1_29radix_sort_onesweep_iterationIS3_Lb1EN6thrust23THRUST_200600_302600_NS6detail15normal_iteratorINS9_10device_ptrIiEEEESE_PS5_SF_jNS0_19identity_decomposerENS1_16block_id_wrapperIjLb0EEEEE10hipError_tT1_PNSt15iterator_traitsISK_E10value_typeET2_T3_PNSL_ISQ_E10value_typeET4_T5_PSV_SW_PNS1_23onesweep_lookback_stateEbbT6_jjT7_P12ihipStream_tbENKUlT_T0_SK_SP_E_clISE_PiSF_SF_EEDaS13_S14_SK_SP_EUlS13_E_NS1_11comp_targetILNS1_3genE6ELNS1_11target_archE950ELNS1_3gpuE13ELNS1_3repE0EEENS1_47radix_sort_onesweep_sort_config_static_selectorELNS0_4arch9wavefront6targetE1EEEvSK_.uses_vcc, 1
	.set _ZN7rocprim17ROCPRIM_400000_NS6detail17trampoline_kernelINS0_14default_configENS1_35radix_sort_onesweep_config_selectorIiNS0_10empty_typeEEEZZNS1_29radix_sort_onesweep_iterationIS3_Lb1EN6thrust23THRUST_200600_302600_NS6detail15normal_iteratorINS9_10device_ptrIiEEEESE_PS5_SF_jNS0_19identity_decomposerENS1_16block_id_wrapperIjLb0EEEEE10hipError_tT1_PNSt15iterator_traitsISK_E10value_typeET2_T3_PNSL_ISQ_E10value_typeET4_T5_PSV_SW_PNS1_23onesweep_lookback_stateEbbT6_jjT7_P12ihipStream_tbENKUlT_T0_SK_SP_E_clISE_PiSF_SF_EEDaS13_S14_SK_SP_EUlS13_E_NS1_11comp_targetILNS1_3genE6ELNS1_11target_archE950ELNS1_3gpuE13ELNS1_3repE0EEENS1_47radix_sort_onesweep_sort_config_static_selectorELNS0_4arch9wavefront6targetE1EEEvSK_.uses_flat_scratch, 0
	.set _ZN7rocprim17ROCPRIM_400000_NS6detail17trampoline_kernelINS0_14default_configENS1_35radix_sort_onesweep_config_selectorIiNS0_10empty_typeEEEZZNS1_29radix_sort_onesweep_iterationIS3_Lb1EN6thrust23THRUST_200600_302600_NS6detail15normal_iteratorINS9_10device_ptrIiEEEESE_PS5_SF_jNS0_19identity_decomposerENS1_16block_id_wrapperIjLb0EEEEE10hipError_tT1_PNSt15iterator_traitsISK_E10value_typeET2_T3_PNSL_ISQ_E10value_typeET4_T5_PSV_SW_PNS1_23onesweep_lookback_stateEbbT6_jjT7_P12ihipStream_tbENKUlT_T0_SK_SP_E_clISE_PiSF_SF_EEDaS13_S14_SK_SP_EUlS13_E_NS1_11comp_targetILNS1_3genE6ELNS1_11target_archE950ELNS1_3gpuE13ELNS1_3repE0EEENS1_47radix_sort_onesweep_sort_config_static_selectorELNS0_4arch9wavefront6targetE1EEEvSK_.has_dyn_sized_stack, 0
	.set _ZN7rocprim17ROCPRIM_400000_NS6detail17trampoline_kernelINS0_14default_configENS1_35radix_sort_onesweep_config_selectorIiNS0_10empty_typeEEEZZNS1_29radix_sort_onesweep_iterationIS3_Lb1EN6thrust23THRUST_200600_302600_NS6detail15normal_iteratorINS9_10device_ptrIiEEEESE_PS5_SF_jNS0_19identity_decomposerENS1_16block_id_wrapperIjLb0EEEEE10hipError_tT1_PNSt15iterator_traitsISK_E10value_typeET2_T3_PNSL_ISQ_E10value_typeET4_T5_PSV_SW_PNS1_23onesweep_lookback_stateEbbT6_jjT7_P12ihipStream_tbENKUlT_T0_SK_SP_E_clISE_PiSF_SF_EEDaS13_S14_SK_SP_EUlS13_E_NS1_11comp_targetILNS1_3genE6ELNS1_11target_archE950ELNS1_3gpuE13ELNS1_3repE0EEENS1_47radix_sort_onesweep_sort_config_static_selectorELNS0_4arch9wavefront6targetE1EEEvSK_.has_recursion, 0
	.set _ZN7rocprim17ROCPRIM_400000_NS6detail17trampoline_kernelINS0_14default_configENS1_35radix_sort_onesweep_config_selectorIiNS0_10empty_typeEEEZZNS1_29radix_sort_onesweep_iterationIS3_Lb1EN6thrust23THRUST_200600_302600_NS6detail15normal_iteratorINS9_10device_ptrIiEEEESE_PS5_SF_jNS0_19identity_decomposerENS1_16block_id_wrapperIjLb0EEEEE10hipError_tT1_PNSt15iterator_traitsISK_E10value_typeET2_T3_PNSL_ISQ_E10value_typeET4_T5_PSV_SW_PNS1_23onesweep_lookback_stateEbbT6_jjT7_P12ihipStream_tbENKUlT_T0_SK_SP_E_clISE_PiSF_SF_EEDaS13_S14_SK_SP_EUlS13_E_NS1_11comp_targetILNS1_3genE6ELNS1_11target_archE950ELNS1_3gpuE13ELNS1_3repE0EEENS1_47radix_sort_onesweep_sort_config_static_selectorELNS0_4arch9wavefront6targetE1EEEvSK_.has_indirect_call, 0
	.section	.AMDGPU.csdata,"",@progbits
; Kernel info:
; codeLenInByte = 11196
; TotalNumSgprs: 37
; NumVgprs: 46
; NumAgprs: 0
; TotalNumVgprs: 46
; ScratchSize: 0
; MemoryBound: 0
; FloatMode: 240
; IeeeMode: 1
; LDSByteSize: 20552 bytes/workgroup (compile time only)
; SGPRBlocks: 4
; VGPRBlocks: 5
; NumSGPRsForWavesPerEU: 37
; NumVGPRsForWavesPerEU: 46
; AccumOffset: 48
; Occupancy: 8
; WaveLimiterHint : 1
; COMPUTE_PGM_RSRC2:SCRATCH_EN: 0
; COMPUTE_PGM_RSRC2:USER_SGPR: 2
; COMPUTE_PGM_RSRC2:TRAP_HANDLER: 0
; COMPUTE_PGM_RSRC2:TGID_X_EN: 1
; COMPUTE_PGM_RSRC2:TGID_Y_EN: 0
; COMPUTE_PGM_RSRC2:TGID_Z_EN: 0
; COMPUTE_PGM_RSRC2:TIDIG_COMP_CNT: 2
; COMPUTE_PGM_RSRC3_GFX90A:ACCUM_OFFSET: 11
; COMPUTE_PGM_RSRC3_GFX90A:TG_SPLIT: 0
	.section	.text._ZN7rocprim17ROCPRIM_400000_NS6detail17trampoline_kernelINS0_14default_configENS1_35radix_sort_onesweep_config_selectorIiNS0_10empty_typeEEEZZNS1_29radix_sort_onesweep_iterationIS3_Lb1EN6thrust23THRUST_200600_302600_NS6detail15normal_iteratorINS9_10device_ptrIiEEEESE_PS5_SF_jNS0_19identity_decomposerENS1_16block_id_wrapperIjLb0EEEEE10hipError_tT1_PNSt15iterator_traitsISK_E10value_typeET2_T3_PNSL_ISQ_E10value_typeET4_T5_PSV_SW_PNS1_23onesweep_lookback_stateEbbT6_jjT7_P12ihipStream_tbENKUlT_T0_SK_SP_E_clISE_PiSF_SF_EEDaS13_S14_SK_SP_EUlS13_E_NS1_11comp_targetILNS1_3genE5ELNS1_11target_archE942ELNS1_3gpuE9ELNS1_3repE0EEENS1_47radix_sort_onesweep_sort_config_static_selectorELNS0_4arch9wavefront6targetE1EEEvSK_,"axG",@progbits,_ZN7rocprim17ROCPRIM_400000_NS6detail17trampoline_kernelINS0_14default_configENS1_35radix_sort_onesweep_config_selectorIiNS0_10empty_typeEEEZZNS1_29radix_sort_onesweep_iterationIS3_Lb1EN6thrust23THRUST_200600_302600_NS6detail15normal_iteratorINS9_10device_ptrIiEEEESE_PS5_SF_jNS0_19identity_decomposerENS1_16block_id_wrapperIjLb0EEEEE10hipError_tT1_PNSt15iterator_traitsISK_E10value_typeET2_T3_PNSL_ISQ_E10value_typeET4_T5_PSV_SW_PNS1_23onesweep_lookback_stateEbbT6_jjT7_P12ihipStream_tbENKUlT_T0_SK_SP_E_clISE_PiSF_SF_EEDaS13_S14_SK_SP_EUlS13_E_NS1_11comp_targetILNS1_3genE5ELNS1_11target_archE942ELNS1_3gpuE9ELNS1_3repE0EEENS1_47radix_sort_onesweep_sort_config_static_selectorELNS0_4arch9wavefront6targetE1EEEvSK_,comdat
	.protected	_ZN7rocprim17ROCPRIM_400000_NS6detail17trampoline_kernelINS0_14default_configENS1_35radix_sort_onesweep_config_selectorIiNS0_10empty_typeEEEZZNS1_29radix_sort_onesweep_iterationIS3_Lb1EN6thrust23THRUST_200600_302600_NS6detail15normal_iteratorINS9_10device_ptrIiEEEESE_PS5_SF_jNS0_19identity_decomposerENS1_16block_id_wrapperIjLb0EEEEE10hipError_tT1_PNSt15iterator_traitsISK_E10value_typeET2_T3_PNSL_ISQ_E10value_typeET4_T5_PSV_SW_PNS1_23onesweep_lookback_stateEbbT6_jjT7_P12ihipStream_tbENKUlT_T0_SK_SP_E_clISE_PiSF_SF_EEDaS13_S14_SK_SP_EUlS13_E_NS1_11comp_targetILNS1_3genE5ELNS1_11target_archE942ELNS1_3gpuE9ELNS1_3repE0EEENS1_47radix_sort_onesweep_sort_config_static_selectorELNS0_4arch9wavefront6targetE1EEEvSK_ ; -- Begin function _ZN7rocprim17ROCPRIM_400000_NS6detail17trampoline_kernelINS0_14default_configENS1_35radix_sort_onesweep_config_selectorIiNS0_10empty_typeEEEZZNS1_29radix_sort_onesweep_iterationIS3_Lb1EN6thrust23THRUST_200600_302600_NS6detail15normal_iteratorINS9_10device_ptrIiEEEESE_PS5_SF_jNS0_19identity_decomposerENS1_16block_id_wrapperIjLb0EEEEE10hipError_tT1_PNSt15iterator_traitsISK_E10value_typeET2_T3_PNSL_ISQ_E10value_typeET4_T5_PSV_SW_PNS1_23onesweep_lookback_stateEbbT6_jjT7_P12ihipStream_tbENKUlT_T0_SK_SP_E_clISE_PiSF_SF_EEDaS13_S14_SK_SP_EUlS13_E_NS1_11comp_targetILNS1_3genE5ELNS1_11target_archE942ELNS1_3gpuE9ELNS1_3repE0EEENS1_47radix_sort_onesweep_sort_config_static_selectorELNS0_4arch9wavefront6targetE1EEEvSK_
	.globl	_ZN7rocprim17ROCPRIM_400000_NS6detail17trampoline_kernelINS0_14default_configENS1_35radix_sort_onesweep_config_selectorIiNS0_10empty_typeEEEZZNS1_29radix_sort_onesweep_iterationIS3_Lb1EN6thrust23THRUST_200600_302600_NS6detail15normal_iteratorINS9_10device_ptrIiEEEESE_PS5_SF_jNS0_19identity_decomposerENS1_16block_id_wrapperIjLb0EEEEE10hipError_tT1_PNSt15iterator_traitsISK_E10value_typeET2_T3_PNSL_ISQ_E10value_typeET4_T5_PSV_SW_PNS1_23onesweep_lookback_stateEbbT6_jjT7_P12ihipStream_tbENKUlT_T0_SK_SP_E_clISE_PiSF_SF_EEDaS13_S14_SK_SP_EUlS13_E_NS1_11comp_targetILNS1_3genE5ELNS1_11target_archE942ELNS1_3gpuE9ELNS1_3repE0EEENS1_47radix_sort_onesweep_sort_config_static_selectorELNS0_4arch9wavefront6targetE1EEEvSK_
	.p2align	8
	.type	_ZN7rocprim17ROCPRIM_400000_NS6detail17trampoline_kernelINS0_14default_configENS1_35radix_sort_onesweep_config_selectorIiNS0_10empty_typeEEEZZNS1_29radix_sort_onesweep_iterationIS3_Lb1EN6thrust23THRUST_200600_302600_NS6detail15normal_iteratorINS9_10device_ptrIiEEEESE_PS5_SF_jNS0_19identity_decomposerENS1_16block_id_wrapperIjLb0EEEEE10hipError_tT1_PNSt15iterator_traitsISK_E10value_typeET2_T3_PNSL_ISQ_E10value_typeET4_T5_PSV_SW_PNS1_23onesweep_lookback_stateEbbT6_jjT7_P12ihipStream_tbENKUlT_T0_SK_SP_E_clISE_PiSF_SF_EEDaS13_S14_SK_SP_EUlS13_E_NS1_11comp_targetILNS1_3genE5ELNS1_11target_archE942ELNS1_3gpuE9ELNS1_3repE0EEENS1_47radix_sort_onesweep_sort_config_static_selectorELNS0_4arch9wavefront6targetE1EEEvSK_,@function
_ZN7rocprim17ROCPRIM_400000_NS6detail17trampoline_kernelINS0_14default_configENS1_35radix_sort_onesweep_config_selectorIiNS0_10empty_typeEEEZZNS1_29radix_sort_onesweep_iterationIS3_Lb1EN6thrust23THRUST_200600_302600_NS6detail15normal_iteratorINS9_10device_ptrIiEEEESE_PS5_SF_jNS0_19identity_decomposerENS1_16block_id_wrapperIjLb0EEEEE10hipError_tT1_PNSt15iterator_traitsISK_E10value_typeET2_T3_PNSL_ISQ_E10value_typeET4_T5_PSV_SW_PNS1_23onesweep_lookback_stateEbbT6_jjT7_P12ihipStream_tbENKUlT_T0_SK_SP_E_clISE_PiSF_SF_EEDaS13_S14_SK_SP_EUlS13_E_NS1_11comp_targetILNS1_3genE5ELNS1_11target_archE942ELNS1_3gpuE9ELNS1_3repE0EEENS1_47radix_sort_onesweep_sort_config_static_selectorELNS0_4arch9wavefront6targetE1EEEvSK_: ; @_ZN7rocprim17ROCPRIM_400000_NS6detail17trampoline_kernelINS0_14default_configENS1_35radix_sort_onesweep_config_selectorIiNS0_10empty_typeEEEZZNS1_29radix_sort_onesweep_iterationIS3_Lb1EN6thrust23THRUST_200600_302600_NS6detail15normal_iteratorINS9_10device_ptrIiEEEESE_PS5_SF_jNS0_19identity_decomposerENS1_16block_id_wrapperIjLb0EEEEE10hipError_tT1_PNSt15iterator_traitsISK_E10value_typeET2_T3_PNSL_ISQ_E10value_typeET4_T5_PSV_SW_PNS1_23onesweep_lookback_stateEbbT6_jjT7_P12ihipStream_tbENKUlT_T0_SK_SP_E_clISE_PiSF_SF_EEDaS13_S14_SK_SP_EUlS13_E_NS1_11comp_targetILNS1_3genE5ELNS1_11target_archE942ELNS1_3gpuE9ELNS1_3repE0EEENS1_47radix_sort_onesweep_sort_config_static_selectorELNS0_4arch9wavefront6targetE1EEEvSK_
; %bb.0:
	.section	.rodata,"a",@progbits
	.p2align	6, 0x0
	.amdhsa_kernel _ZN7rocprim17ROCPRIM_400000_NS6detail17trampoline_kernelINS0_14default_configENS1_35radix_sort_onesweep_config_selectorIiNS0_10empty_typeEEEZZNS1_29radix_sort_onesweep_iterationIS3_Lb1EN6thrust23THRUST_200600_302600_NS6detail15normal_iteratorINS9_10device_ptrIiEEEESE_PS5_SF_jNS0_19identity_decomposerENS1_16block_id_wrapperIjLb0EEEEE10hipError_tT1_PNSt15iterator_traitsISK_E10value_typeET2_T3_PNSL_ISQ_E10value_typeET4_T5_PSV_SW_PNS1_23onesweep_lookback_stateEbbT6_jjT7_P12ihipStream_tbENKUlT_T0_SK_SP_E_clISE_PiSF_SF_EEDaS13_S14_SK_SP_EUlS13_E_NS1_11comp_targetILNS1_3genE5ELNS1_11target_archE942ELNS1_3gpuE9ELNS1_3repE0EEENS1_47radix_sort_onesweep_sort_config_static_selectorELNS0_4arch9wavefront6targetE1EEEvSK_
		.amdhsa_group_segment_fixed_size 0
		.amdhsa_private_segment_fixed_size 0
		.amdhsa_kernarg_size 88
		.amdhsa_user_sgpr_count 2
		.amdhsa_user_sgpr_dispatch_ptr 0
		.amdhsa_user_sgpr_queue_ptr 0
		.amdhsa_user_sgpr_kernarg_segment_ptr 1
		.amdhsa_user_sgpr_dispatch_id 0
		.amdhsa_user_sgpr_kernarg_preload_length 0
		.amdhsa_user_sgpr_kernarg_preload_offset 0
		.amdhsa_user_sgpr_private_segment_size 0
		.amdhsa_uses_dynamic_stack 0
		.amdhsa_enable_private_segment 0
		.amdhsa_system_sgpr_workgroup_id_x 1
		.amdhsa_system_sgpr_workgroup_id_y 0
		.amdhsa_system_sgpr_workgroup_id_z 0
		.amdhsa_system_sgpr_workgroup_info 0
		.amdhsa_system_vgpr_workitem_id 0
		.amdhsa_next_free_vgpr 1
		.amdhsa_next_free_sgpr 0
		.amdhsa_accum_offset 4
		.amdhsa_reserve_vcc 0
		.amdhsa_float_round_mode_32 0
		.amdhsa_float_round_mode_16_64 0
		.amdhsa_float_denorm_mode_32 3
		.amdhsa_float_denorm_mode_16_64 3
		.amdhsa_dx10_clamp 1
		.amdhsa_ieee_mode 1
		.amdhsa_fp16_overflow 0
		.amdhsa_tg_split 0
		.amdhsa_exception_fp_ieee_invalid_op 0
		.amdhsa_exception_fp_denorm_src 0
		.amdhsa_exception_fp_ieee_div_zero 0
		.amdhsa_exception_fp_ieee_overflow 0
		.amdhsa_exception_fp_ieee_underflow 0
		.amdhsa_exception_fp_ieee_inexact 0
		.amdhsa_exception_int_div_zero 0
	.end_amdhsa_kernel
	.section	.text._ZN7rocprim17ROCPRIM_400000_NS6detail17trampoline_kernelINS0_14default_configENS1_35radix_sort_onesweep_config_selectorIiNS0_10empty_typeEEEZZNS1_29radix_sort_onesweep_iterationIS3_Lb1EN6thrust23THRUST_200600_302600_NS6detail15normal_iteratorINS9_10device_ptrIiEEEESE_PS5_SF_jNS0_19identity_decomposerENS1_16block_id_wrapperIjLb0EEEEE10hipError_tT1_PNSt15iterator_traitsISK_E10value_typeET2_T3_PNSL_ISQ_E10value_typeET4_T5_PSV_SW_PNS1_23onesweep_lookback_stateEbbT6_jjT7_P12ihipStream_tbENKUlT_T0_SK_SP_E_clISE_PiSF_SF_EEDaS13_S14_SK_SP_EUlS13_E_NS1_11comp_targetILNS1_3genE5ELNS1_11target_archE942ELNS1_3gpuE9ELNS1_3repE0EEENS1_47radix_sort_onesweep_sort_config_static_selectorELNS0_4arch9wavefront6targetE1EEEvSK_,"axG",@progbits,_ZN7rocprim17ROCPRIM_400000_NS6detail17trampoline_kernelINS0_14default_configENS1_35radix_sort_onesweep_config_selectorIiNS0_10empty_typeEEEZZNS1_29radix_sort_onesweep_iterationIS3_Lb1EN6thrust23THRUST_200600_302600_NS6detail15normal_iteratorINS9_10device_ptrIiEEEESE_PS5_SF_jNS0_19identity_decomposerENS1_16block_id_wrapperIjLb0EEEEE10hipError_tT1_PNSt15iterator_traitsISK_E10value_typeET2_T3_PNSL_ISQ_E10value_typeET4_T5_PSV_SW_PNS1_23onesweep_lookback_stateEbbT6_jjT7_P12ihipStream_tbENKUlT_T0_SK_SP_E_clISE_PiSF_SF_EEDaS13_S14_SK_SP_EUlS13_E_NS1_11comp_targetILNS1_3genE5ELNS1_11target_archE942ELNS1_3gpuE9ELNS1_3repE0EEENS1_47radix_sort_onesweep_sort_config_static_selectorELNS0_4arch9wavefront6targetE1EEEvSK_,comdat
.Lfunc_end374:
	.size	_ZN7rocprim17ROCPRIM_400000_NS6detail17trampoline_kernelINS0_14default_configENS1_35radix_sort_onesweep_config_selectorIiNS0_10empty_typeEEEZZNS1_29radix_sort_onesweep_iterationIS3_Lb1EN6thrust23THRUST_200600_302600_NS6detail15normal_iteratorINS9_10device_ptrIiEEEESE_PS5_SF_jNS0_19identity_decomposerENS1_16block_id_wrapperIjLb0EEEEE10hipError_tT1_PNSt15iterator_traitsISK_E10value_typeET2_T3_PNSL_ISQ_E10value_typeET4_T5_PSV_SW_PNS1_23onesweep_lookback_stateEbbT6_jjT7_P12ihipStream_tbENKUlT_T0_SK_SP_E_clISE_PiSF_SF_EEDaS13_S14_SK_SP_EUlS13_E_NS1_11comp_targetILNS1_3genE5ELNS1_11target_archE942ELNS1_3gpuE9ELNS1_3repE0EEENS1_47radix_sort_onesweep_sort_config_static_selectorELNS0_4arch9wavefront6targetE1EEEvSK_, .Lfunc_end374-_ZN7rocprim17ROCPRIM_400000_NS6detail17trampoline_kernelINS0_14default_configENS1_35radix_sort_onesweep_config_selectorIiNS0_10empty_typeEEEZZNS1_29radix_sort_onesweep_iterationIS3_Lb1EN6thrust23THRUST_200600_302600_NS6detail15normal_iteratorINS9_10device_ptrIiEEEESE_PS5_SF_jNS0_19identity_decomposerENS1_16block_id_wrapperIjLb0EEEEE10hipError_tT1_PNSt15iterator_traitsISK_E10value_typeET2_T3_PNSL_ISQ_E10value_typeET4_T5_PSV_SW_PNS1_23onesweep_lookback_stateEbbT6_jjT7_P12ihipStream_tbENKUlT_T0_SK_SP_E_clISE_PiSF_SF_EEDaS13_S14_SK_SP_EUlS13_E_NS1_11comp_targetILNS1_3genE5ELNS1_11target_archE942ELNS1_3gpuE9ELNS1_3repE0EEENS1_47radix_sort_onesweep_sort_config_static_selectorELNS0_4arch9wavefront6targetE1EEEvSK_
                                        ; -- End function
	.set _ZN7rocprim17ROCPRIM_400000_NS6detail17trampoline_kernelINS0_14default_configENS1_35radix_sort_onesweep_config_selectorIiNS0_10empty_typeEEEZZNS1_29radix_sort_onesweep_iterationIS3_Lb1EN6thrust23THRUST_200600_302600_NS6detail15normal_iteratorINS9_10device_ptrIiEEEESE_PS5_SF_jNS0_19identity_decomposerENS1_16block_id_wrapperIjLb0EEEEE10hipError_tT1_PNSt15iterator_traitsISK_E10value_typeET2_T3_PNSL_ISQ_E10value_typeET4_T5_PSV_SW_PNS1_23onesweep_lookback_stateEbbT6_jjT7_P12ihipStream_tbENKUlT_T0_SK_SP_E_clISE_PiSF_SF_EEDaS13_S14_SK_SP_EUlS13_E_NS1_11comp_targetILNS1_3genE5ELNS1_11target_archE942ELNS1_3gpuE9ELNS1_3repE0EEENS1_47radix_sort_onesweep_sort_config_static_selectorELNS0_4arch9wavefront6targetE1EEEvSK_.num_vgpr, 0
	.set _ZN7rocprim17ROCPRIM_400000_NS6detail17trampoline_kernelINS0_14default_configENS1_35radix_sort_onesweep_config_selectorIiNS0_10empty_typeEEEZZNS1_29radix_sort_onesweep_iterationIS3_Lb1EN6thrust23THRUST_200600_302600_NS6detail15normal_iteratorINS9_10device_ptrIiEEEESE_PS5_SF_jNS0_19identity_decomposerENS1_16block_id_wrapperIjLb0EEEEE10hipError_tT1_PNSt15iterator_traitsISK_E10value_typeET2_T3_PNSL_ISQ_E10value_typeET4_T5_PSV_SW_PNS1_23onesweep_lookback_stateEbbT6_jjT7_P12ihipStream_tbENKUlT_T0_SK_SP_E_clISE_PiSF_SF_EEDaS13_S14_SK_SP_EUlS13_E_NS1_11comp_targetILNS1_3genE5ELNS1_11target_archE942ELNS1_3gpuE9ELNS1_3repE0EEENS1_47radix_sort_onesweep_sort_config_static_selectorELNS0_4arch9wavefront6targetE1EEEvSK_.num_agpr, 0
	.set _ZN7rocprim17ROCPRIM_400000_NS6detail17trampoline_kernelINS0_14default_configENS1_35radix_sort_onesweep_config_selectorIiNS0_10empty_typeEEEZZNS1_29radix_sort_onesweep_iterationIS3_Lb1EN6thrust23THRUST_200600_302600_NS6detail15normal_iteratorINS9_10device_ptrIiEEEESE_PS5_SF_jNS0_19identity_decomposerENS1_16block_id_wrapperIjLb0EEEEE10hipError_tT1_PNSt15iterator_traitsISK_E10value_typeET2_T3_PNSL_ISQ_E10value_typeET4_T5_PSV_SW_PNS1_23onesweep_lookback_stateEbbT6_jjT7_P12ihipStream_tbENKUlT_T0_SK_SP_E_clISE_PiSF_SF_EEDaS13_S14_SK_SP_EUlS13_E_NS1_11comp_targetILNS1_3genE5ELNS1_11target_archE942ELNS1_3gpuE9ELNS1_3repE0EEENS1_47radix_sort_onesweep_sort_config_static_selectorELNS0_4arch9wavefront6targetE1EEEvSK_.numbered_sgpr, 0
	.set _ZN7rocprim17ROCPRIM_400000_NS6detail17trampoline_kernelINS0_14default_configENS1_35radix_sort_onesweep_config_selectorIiNS0_10empty_typeEEEZZNS1_29radix_sort_onesweep_iterationIS3_Lb1EN6thrust23THRUST_200600_302600_NS6detail15normal_iteratorINS9_10device_ptrIiEEEESE_PS5_SF_jNS0_19identity_decomposerENS1_16block_id_wrapperIjLb0EEEEE10hipError_tT1_PNSt15iterator_traitsISK_E10value_typeET2_T3_PNSL_ISQ_E10value_typeET4_T5_PSV_SW_PNS1_23onesweep_lookback_stateEbbT6_jjT7_P12ihipStream_tbENKUlT_T0_SK_SP_E_clISE_PiSF_SF_EEDaS13_S14_SK_SP_EUlS13_E_NS1_11comp_targetILNS1_3genE5ELNS1_11target_archE942ELNS1_3gpuE9ELNS1_3repE0EEENS1_47radix_sort_onesweep_sort_config_static_selectorELNS0_4arch9wavefront6targetE1EEEvSK_.num_named_barrier, 0
	.set _ZN7rocprim17ROCPRIM_400000_NS6detail17trampoline_kernelINS0_14default_configENS1_35radix_sort_onesweep_config_selectorIiNS0_10empty_typeEEEZZNS1_29radix_sort_onesweep_iterationIS3_Lb1EN6thrust23THRUST_200600_302600_NS6detail15normal_iteratorINS9_10device_ptrIiEEEESE_PS5_SF_jNS0_19identity_decomposerENS1_16block_id_wrapperIjLb0EEEEE10hipError_tT1_PNSt15iterator_traitsISK_E10value_typeET2_T3_PNSL_ISQ_E10value_typeET4_T5_PSV_SW_PNS1_23onesweep_lookback_stateEbbT6_jjT7_P12ihipStream_tbENKUlT_T0_SK_SP_E_clISE_PiSF_SF_EEDaS13_S14_SK_SP_EUlS13_E_NS1_11comp_targetILNS1_3genE5ELNS1_11target_archE942ELNS1_3gpuE9ELNS1_3repE0EEENS1_47radix_sort_onesweep_sort_config_static_selectorELNS0_4arch9wavefront6targetE1EEEvSK_.private_seg_size, 0
	.set _ZN7rocprim17ROCPRIM_400000_NS6detail17trampoline_kernelINS0_14default_configENS1_35radix_sort_onesweep_config_selectorIiNS0_10empty_typeEEEZZNS1_29radix_sort_onesweep_iterationIS3_Lb1EN6thrust23THRUST_200600_302600_NS6detail15normal_iteratorINS9_10device_ptrIiEEEESE_PS5_SF_jNS0_19identity_decomposerENS1_16block_id_wrapperIjLb0EEEEE10hipError_tT1_PNSt15iterator_traitsISK_E10value_typeET2_T3_PNSL_ISQ_E10value_typeET4_T5_PSV_SW_PNS1_23onesweep_lookback_stateEbbT6_jjT7_P12ihipStream_tbENKUlT_T0_SK_SP_E_clISE_PiSF_SF_EEDaS13_S14_SK_SP_EUlS13_E_NS1_11comp_targetILNS1_3genE5ELNS1_11target_archE942ELNS1_3gpuE9ELNS1_3repE0EEENS1_47radix_sort_onesweep_sort_config_static_selectorELNS0_4arch9wavefront6targetE1EEEvSK_.uses_vcc, 0
	.set _ZN7rocprim17ROCPRIM_400000_NS6detail17trampoline_kernelINS0_14default_configENS1_35radix_sort_onesweep_config_selectorIiNS0_10empty_typeEEEZZNS1_29radix_sort_onesweep_iterationIS3_Lb1EN6thrust23THRUST_200600_302600_NS6detail15normal_iteratorINS9_10device_ptrIiEEEESE_PS5_SF_jNS0_19identity_decomposerENS1_16block_id_wrapperIjLb0EEEEE10hipError_tT1_PNSt15iterator_traitsISK_E10value_typeET2_T3_PNSL_ISQ_E10value_typeET4_T5_PSV_SW_PNS1_23onesweep_lookback_stateEbbT6_jjT7_P12ihipStream_tbENKUlT_T0_SK_SP_E_clISE_PiSF_SF_EEDaS13_S14_SK_SP_EUlS13_E_NS1_11comp_targetILNS1_3genE5ELNS1_11target_archE942ELNS1_3gpuE9ELNS1_3repE0EEENS1_47radix_sort_onesweep_sort_config_static_selectorELNS0_4arch9wavefront6targetE1EEEvSK_.uses_flat_scratch, 0
	.set _ZN7rocprim17ROCPRIM_400000_NS6detail17trampoline_kernelINS0_14default_configENS1_35radix_sort_onesweep_config_selectorIiNS0_10empty_typeEEEZZNS1_29radix_sort_onesweep_iterationIS3_Lb1EN6thrust23THRUST_200600_302600_NS6detail15normal_iteratorINS9_10device_ptrIiEEEESE_PS5_SF_jNS0_19identity_decomposerENS1_16block_id_wrapperIjLb0EEEEE10hipError_tT1_PNSt15iterator_traitsISK_E10value_typeET2_T3_PNSL_ISQ_E10value_typeET4_T5_PSV_SW_PNS1_23onesweep_lookback_stateEbbT6_jjT7_P12ihipStream_tbENKUlT_T0_SK_SP_E_clISE_PiSF_SF_EEDaS13_S14_SK_SP_EUlS13_E_NS1_11comp_targetILNS1_3genE5ELNS1_11target_archE942ELNS1_3gpuE9ELNS1_3repE0EEENS1_47radix_sort_onesweep_sort_config_static_selectorELNS0_4arch9wavefront6targetE1EEEvSK_.has_dyn_sized_stack, 0
	.set _ZN7rocprim17ROCPRIM_400000_NS6detail17trampoline_kernelINS0_14default_configENS1_35radix_sort_onesweep_config_selectorIiNS0_10empty_typeEEEZZNS1_29radix_sort_onesweep_iterationIS3_Lb1EN6thrust23THRUST_200600_302600_NS6detail15normal_iteratorINS9_10device_ptrIiEEEESE_PS5_SF_jNS0_19identity_decomposerENS1_16block_id_wrapperIjLb0EEEEE10hipError_tT1_PNSt15iterator_traitsISK_E10value_typeET2_T3_PNSL_ISQ_E10value_typeET4_T5_PSV_SW_PNS1_23onesweep_lookback_stateEbbT6_jjT7_P12ihipStream_tbENKUlT_T0_SK_SP_E_clISE_PiSF_SF_EEDaS13_S14_SK_SP_EUlS13_E_NS1_11comp_targetILNS1_3genE5ELNS1_11target_archE942ELNS1_3gpuE9ELNS1_3repE0EEENS1_47radix_sort_onesweep_sort_config_static_selectorELNS0_4arch9wavefront6targetE1EEEvSK_.has_recursion, 0
	.set _ZN7rocprim17ROCPRIM_400000_NS6detail17trampoline_kernelINS0_14default_configENS1_35radix_sort_onesweep_config_selectorIiNS0_10empty_typeEEEZZNS1_29radix_sort_onesweep_iterationIS3_Lb1EN6thrust23THRUST_200600_302600_NS6detail15normal_iteratorINS9_10device_ptrIiEEEESE_PS5_SF_jNS0_19identity_decomposerENS1_16block_id_wrapperIjLb0EEEEE10hipError_tT1_PNSt15iterator_traitsISK_E10value_typeET2_T3_PNSL_ISQ_E10value_typeET4_T5_PSV_SW_PNS1_23onesweep_lookback_stateEbbT6_jjT7_P12ihipStream_tbENKUlT_T0_SK_SP_E_clISE_PiSF_SF_EEDaS13_S14_SK_SP_EUlS13_E_NS1_11comp_targetILNS1_3genE5ELNS1_11target_archE942ELNS1_3gpuE9ELNS1_3repE0EEENS1_47radix_sort_onesweep_sort_config_static_selectorELNS0_4arch9wavefront6targetE1EEEvSK_.has_indirect_call, 0
	.section	.AMDGPU.csdata,"",@progbits
; Kernel info:
; codeLenInByte = 0
; TotalNumSgprs: 6
; NumVgprs: 0
; NumAgprs: 0
; TotalNumVgprs: 0
; ScratchSize: 0
; MemoryBound: 0
; FloatMode: 240
; IeeeMode: 1
; LDSByteSize: 0 bytes/workgroup (compile time only)
; SGPRBlocks: 0
; VGPRBlocks: 0
; NumSGPRsForWavesPerEU: 6
; NumVGPRsForWavesPerEU: 1
; AccumOffset: 4
; Occupancy: 8
; WaveLimiterHint : 0
; COMPUTE_PGM_RSRC2:SCRATCH_EN: 0
; COMPUTE_PGM_RSRC2:USER_SGPR: 2
; COMPUTE_PGM_RSRC2:TRAP_HANDLER: 0
; COMPUTE_PGM_RSRC2:TGID_X_EN: 1
; COMPUTE_PGM_RSRC2:TGID_Y_EN: 0
; COMPUTE_PGM_RSRC2:TGID_Z_EN: 0
; COMPUTE_PGM_RSRC2:TIDIG_COMP_CNT: 0
; COMPUTE_PGM_RSRC3_GFX90A:ACCUM_OFFSET: 0
; COMPUTE_PGM_RSRC3_GFX90A:TG_SPLIT: 0
	.section	.text._ZN7rocprim17ROCPRIM_400000_NS6detail17trampoline_kernelINS0_14default_configENS1_35radix_sort_onesweep_config_selectorIiNS0_10empty_typeEEEZZNS1_29radix_sort_onesweep_iterationIS3_Lb1EN6thrust23THRUST_200600_302600_NS6detail15normal_iteratorINS9_10device_ptrIiEEEESE_PS5_SF_jNS0_19identity_decomposerENS1_16block_id_wrapperIjLb0EEEEE10hipError_tT1_PNSt15iterator_traitsISK_E10value_typeET2_T3_PNSL_ISQ_E10value_typeET4_T5_PSV_SW_PNS1_23onesweep_lookback_stateEbbT6_jjT7_P12ihipStream_tbENKUlT_T0_SK_SP_E_clISE_PiSF_SF_EEDaS13_S14_SK_SP_EUlS13_E_NS1_11comp_targetILNS1_3genE2ELNS1_11target_archE906ELNS1_3gpuE6ELNS1_3repE0EEENS1_47radix_sort_onesweep_sort_config_static_selectorELNS0_4arch9wavefront6targetE1EEEvSK_,"axG",@progbits,_ZN7rocprim17ROCPRIM_400000_NS6detail17trampoline_kernelINS0_14default_configENS1_35radix_sort_onesweep_config_selectorIiNS0_10empty_typeEEEZZNS1_29radix_sort_onesweep_iterationIS3_Lb1EN6thrust23THRUST_200600_302600_NS6detail15normal_iteratorINS9_10device_ptrIiEEEESE_PS5_SF_jNS0_19identity_decomposerENS1_16block_id_wrapperIjLb0EEEEE10hipError_tT1_PNSt15iterator_traitsISK_E10value_typeET2_T3_PNSL_ISQ_E10value_typeET4_T5_PSV_SW_PNS1_23onesweep_lookback_stateEbbT6_jjT7_P12ihipStream_tbENKUlT_T0_SK_SP_E_clISE_PiSF_SF_EEDaS13_S14_SK_SP_EUlS13_E_NS1_11comp_targetILNS1_3genE2ELNS1_11target_archE906ELNS1_3gpuE6ELNS1_3repE0EEENS1_47radix_sort_onesweep_sort_config_static_selectorELNS0_4arch9wavefront6targetE1EEEvSK_,comdat
	.protected	_ZN7rocprim17ROCPRIM_400000_NS6detail17trampoline_kernelINS0_14default_configENS1_35radix_sort_onesweep_config_selectorIiNS0_10empty_typeEEEZZNS1_29radix_sort_onesweep_iterationIS3_Lb1EN6thrust23THRUST_200600_302600_NS6detail15normal_iteratorINS9_10device_ptrIiEEEESE_PS5_SF_jNS0_19identity_decomposerENS1_16block_id_wrapperIjLb0EEEEE10hipError_tT1_PNSt15iterator_traitsISK_E10value_typeET2_T3_PNSL_ISQ_E10value_typeET4_T5_PSV_SW_PNS1_23onesweep_lookback_stateEbbT6_jjT7_P12ihipStream_tbENKUlT_T0_SK_SP_E_clISE_PiSF_SF_EEDaS13_S14_SK_SP_EUlS13_E_NS1_11comp_targetILNS1_3genE2ELNS1_11target_archE906ELNS1_3gpuE6ELNS1_3repE0EEENS1_47radix_sort_onesweep_sort_config_static_selectorELNS0_4arch9wavefront6targetE1EEEvSK_ ; -- Begin function _ZN7rocprim17ROCPRIM_400000_NS6detail17trampoline_kernelINS0_14default_configENS1_35radix_sort_onesweep_config_selectorIiNS0_10empty_typeEEEZZNS1_29radix_sort_onesweep_iterationIS3_Lb1EN6thrust23THRUST_200600_302600_NS6detail15normal_iteratorINS9_10device_ptrIiEEEESE_PS5_SF_jNS0_19identity_decomposerENS1_16block_id_wrapperIjLb0EEEEE10hipError_tT1_PNSt15iterator_traitsISK_E10value_typeET2_T3_PNSL_ISQ_E10value_typeET4_T5_PSV_SW_PNS1_23onesweep_lookback_stateEbbT6_jjT7_P12ihipStream_tbENKUlT_T0_SK_SP_E_clISE_PiSF_SF_EEDaS13_S14_SK_SP_EUlS13_E_NS1_11comp_targetILNS1_3genE2ELNS1_11target_archE906ELNS1_3gpuE6ELNS1_3repE0EEENS1_47radix_sort_onesweep_sort_config_static_selectorELNS0_4arch9wavefront6targetE1EEEvSK_
	.globl	_ZN7rocprim17ROCPRIM_400000_NS6detail17trampoline_kernelINS0_14default_configENS1_35radix_sort_onesweep_config_selectorIiNS0_10empty_typeEEEZZNS1_29radix_sort_onesweep_iterationIS3_Lb1EN6thrust23THRUST_200600_302600_NS6detail15normal_iteratorINS9_10device_ptrIiEEEESE_PS5_SF_jNS0_19identity_decomposerENS1_16block_id_wrapperIjLb0EEEEE10hipError_tT1_PNSt15iterator_traitsISK_E10value_typeET2_T3_PNSL_ISQ_E10value_typeET4_T5_PSV_SW_PNS1_23onesweep_lookback_stateEbbT6_jjT7_P12ihipStream_tbENKUlT_T0_SK_SP_E_clISE_PiSF_SF_EEDaS13_S14_SK_SP_EUlS13_E_NS1_11comp_targetILNS1_3genE2ELNS1_11target_archE906ELNS1_3gpuE6ELNS1_3repE0EEENS1_47radix_sort_onesweep_sort_config_static_selectorELNS0_4arch9wavefront6targetE1EEEvSK_
	.p2align	8
	.type	_ZN7rocprim17ROCPRIM_400000_NS6detail17trampoline_kernelINS0_14default_configENS1_35radix_sort_onesweep_config_selectorIiNS0_10empty_typeEEEZZNS1_29radix_sort_onesweep_iterationIS3_Lb1EN6thrust23THRUST_200600_302600_NS6detail15normal_iteratorINS9_10device_ptrIiEEEESE_PS5_SF_jNS0_19identity_decomposerENS1_16block_id_wrapperIjLb0EEEEE10hipError_tT1_PNSt15iterator_traitsISK_E10value_typeET2_T3_PNSL_ISQ_E10value_typeET4_T5_PSV_SW_PNS1_23onesweep_lookback_stateEbbT6_jjT7_P12ihipStream_tbENKUlT_T0_SK_SP_E_clISE_PiSF_SF_EEDaS13_S14_SK_SP_EUlS13_E_NS1_11comp_targetILNS1_3genE2ELNS1_11target_archE906ELNS1_3gpuE6ELNS1_3repE0EEENS1_47radix_sort_onesweep_sort_config_static_selectorELNS0_4arch9wavefront6targetE1EEEvSK_,@function
_ZN7rocprim17ROCPRIM_400000_NS6detail17trampoline_kernelINS0_14default_configENS1_35radix_sort_onesweep_config_selectorIiNS0_10empty_typeEEEZZNS1_29radix_sort_onesweep_iterationIS3_Lb1EN6thrust23THRUST_200600_302600_NS6detail15normal_iteratorINS9_10device_ptrIiEEEESE_PS5_SF_jNS0_19identity_decomposerENS1_16block_id_wrapperIjLb0EEEEE10hipError_tT1_PNSt15iterator_traitsISK_E10value_typeET2_T3_PNSL_ISQ_E10value_typeET4_T5_PSV_SW_PNS1_23onesweep_lookback_stateEbbT6_jjT7_P12ihipStream_tbENKUlT_T0_SK_SP_E_clISE_PiSF_SF_EEDaS13_S14_SK_SP_EUlS13_E_NS1_11comp_targetILNS1_3genE2ELNS1_11target_archE906ELNS1_3gpuE6ELNS1_3repE0EEENS1_47radix_sort_onesweep_sort_config_static_selectorELNS0_4arch9wavefront6targetE1EEEvSK_: ; @_ZN7rocprim17ROCPRIM_400000_NS6detail17trampoline_kernelINS0_14default_configENS1_35radix_sort_onesweep_config_selectorIiNS0_10empty_typeEEEZZNS1_29radix_sort_onesweep_iterationIS3_Lb1EN6thrust23THRUST_200600_302600_NS6detail15normal_iteratorINS9_10device_ptrIiEEEESE_PS5_SF_jNS0_19identity_decomposerENS1_16block_id_wrapperIjLb0EEEEE10hipError_tT1_PNSt15iterator_traitsISK_E10value_typeET2_T3_PNSL_ISQ_E10value_typeET4_T5_PSV_SW_PNS1_23onesweep_lookback_stateEbbT6_jjT7_P12ihipStream_tbENKUlT_T0_SK_SP_E_clISE_PiSF_SF_EEDaS13_S14_SK_SP_EUlS13_E_NS1_11comp_targetILNS1_3genE2ELNS1_11target_archE906ELNS1_3gpuE6ELNS1_3repE0EEENS1_47radix_sort_onesweep_sort_config_static_selectorELNS0_4arch9wavefront6targetE1EEEvSK_
; %bb.0:
	.section	.rodata,"a",@progbits
	.p2align	6, 0x0
	.amdhsa_kernel _ZN7rocprim17ROCPRIM_400000_NS6detail17trampoline_kernelINS0_14default_configENS1_35radix_sort_onesweep_config_selectorIiNS0_10empty_typeEEEZZNS1_29radix_sort_onesweep_iterationIS3_Lb1EN6thrust23THRUST_200600_302600_NS6detail15normal_iteratorINS9_10device_ptrIiEEEESE_PS5_SF_jNS0_19identity_decomposerENS1_16block_id_wrapperIjLb0EEEEE10hipError_tT1_PNSt15iterator_traitsISK_E10value_typeET2_T3_PNSL_ISQ_E10value_typeET4_T5_PSV_SW_PNS1_23onesweep_lookback_stateEbbT6_jjT7_P12ihipStream_tbENKUlT_T0_SK_SP_E_clISE_PiSF_SF_EEDaS13_S14_SK_SP_EUlS13_E_NS1_11comp_targetILNS1_3genE2ELNS1_11target_archE906ELNS1_3gpuE6ELNS1_3repE0EEENS1_47radix_sort_onesweep_sort_config_static_selectorELNS0_4arch9wavefront6targetE1EEEvSK_
		.amdhsa_group_segment_fixed_size 0
		.amdhsa_private_segment_fixed_size 0
		.amdhsa_kernarg_size 88
		.amdhsa_user_sgpr_count 2
		.amdhsa_user_sgpr_dispatch_ptr 0
		.amdhsa_user_sgpr_queue_ptr 0
		.amdhsa_user_sgpr_kernarg_segment_ptr 1
		.amdhsa_user_sgpr_dispatch_id 0
		.amdhsa_user_sgpr_kernarg_preload_length 0
		.amdhsa_user_sgpr_kernarg_preload_offset 0
		.amdhsa_user_sgpr_private_segment_size 0
		.amdhsa_uses_dynamic_stack 0
		.amdhsa_enable_private_segment 0
		.amdhsa_system_sgpr_workgroup_id_x 1
		.amdhsa_system_sgpr_workgroup_id_y 0
		.amdhsa_system_sgpr_workgroup_id_z 0
		.amdhsa_system_sgpr_workgroup_info 0
		.amdhsa_system_vgpr_workitem_id 0
		.amdhsa_next_free_vgpr 1
		.amdhsa_next_free_sgpr 0
		.amdhsa_accum_offset 4
		.amdhsa_reserve_vcc 0
		.amdhsa_float_round_mode_32 0
		.amdhsa_float_round_mode_16_64 0
		.amdhsa_float_denorm_mode_32 3
		.amdhsa_float_denorm_mode_16_64 3
		.amdhsa_dx10_clamp 1
		.amdhsa_ieee_mode 1
		.amdhsa_fp16_overflow 0
		.amdhsa_tg_split 0
		.amdhsa_exception_fp_ieee_invalid_op 0
		.amdhsa_exception_fp_denorm_src 0
		.amdhsa_exception_fp_ieee_div_zero 0
		.amdhsa_exception_fp_ieee_overflow 0
		.amdhsa_exception_fp_ieee_underflow 0
		.amdhsa_exception_fp_ieee_inexact 0
		.amdhsa_exception_int_div_zero 0
	.end_amdhsa_kernel
	.section	.text._ZN7rocprim17ROCPRIM_400000_NS6detail17trampoline_kernelINS0_14default_configENS1_35radix_sort_onesweep_config_selectorIiNS0_10empty_typeEEEZZNS1_29radix_sort_onesweep_iterationIS3_Lb1EN6thrust23THRUST_200600_302600_NS6detail15normal_iteratorINS9_10device_ptrIiEEEESE_PS5_SF_jNS0_19identity_decomposerENS1_16block_id_wrapperIjLb0EEEEE10hipError_tT1_PNSt15iterator_traitsISK_E10value_typeET2_T3_PNSL_ISQ_E10value_typeET4_T5_PSV_SW_PNS1_23onesweep_lookback_stateEbbT6_jjT7_P12ihipStream_tbENKUlT_T0_SK_SP_E_clISE_PiSF_SF_EEDaS13_S14_SK_SP_EUlS13_E_NS1_11comp_targetILNS1_3genE2ELNS1_11target_archE906ELNS1_3gpuE6ELNS1_3repE0EEENS1_47radix_sort_onesweep_sort_config_static_selectorELNS0_4arch9wavefront6targetE1EEEvSK_,"axG",@progbits,_ZN7rocprim17ROCPRIM_400000_NS6detail17trampoline_kernelINS0_14default_configENS1_35radix_sort_onesweep_config_selectorIiNS0_10empty_typeEEEZZNS1_29radix_sort_onesweep_iterationIS3_Lb1EN6thrust23THRUST_200600_302600_NS6detail15normal_iteratorINS9_10device_ptrIiEEEESE_PS5_SF_jNS0_19identity_decomposerENS1_16block_id_wrapperIjLb0EEEEE10hipError_tT1_PNSt15iterator_traitsISK_E10value_typeET2_T3_PNSL_ISQ_E10value_typeET4_T5_PSV_SW_PNS1_23onesweep_lookback_stateEbbT6_jjT7_P12ihipStream_tbENKUlT_T0_SK_SP_E_clISE_PiSF_SF_EEDaS13_S14_SK_SP_EUlS13_E_NS1_11comp_targetILNS1_3genE2ELNS1_11target_archE906ELNS1_3gpuE6ELNS1_3repE0EEENS1_47radix_sort_onesweep_sort_config_static_selectorELNS0_4arch9wavefront6targetE1EEEvSK_,comdat
.Lfunc_end375:
	.size	_ZN7rocprim17ROCPRIM_400000_NS6detail17trampoline_kernelINS0_14default_configENS1_35radix_sort_onesweep_config_selectorIiNS0_10empty_typeEEEZZNS1_29radix_sort_onesweep_iterationIS3_Lb1EN6thrust23THRUST_200600_302600_NS6detail15normal_iteratorINS9_10device_ptrIiEEEESE_PS5_SF_jNS0_19identity_decomposerENS1_16block_id_wrapperIjLb0EEEEE10hipError_tT1_PNSt15iterator_traitsISK_E10value_typeET2_T3_PNSL_ISQ_E10value_typeET4_T5_PSV_SW_PNS1_23onesweep_lookback_stateEbbT6_jjT7_P12ihipStream_tbENKUlT_T0_SK_SP_E_clISE_PiSF_SF_EEDaS13_S14_SK_SP_EUlS13_E_NS1_11comp_targetILNS1_3genE2ELNS1_11target_archE906ELNS1_3gpuE6ELNS1_3repE0EEENS1_47radix_sort_onesweep_sort_config_static_selectorELNS0_4arch9wavefront6targetE1EEEvSK_, .Lfunc_end375-_ZN7rocprim17ROCPRIM_400000_NS6detail17trampoline_kernelINS0_14default_configENS1_35radix_sort_onesweep_config_selectorIiNS0_10empty_typeEEEZZNS1_29radix_sort_onesweep_iterationIS3_Lb1EN6thrust23THRUST_200600_302600_NS6detail15normal_iteratorINS9_10device_ptrIiEEEESE_PS5_SF_jNS0_19identity_decomposerENS1_16block_id_wrapperIjLb0EEEEE10hipError_tT1_PNSt15iterator_traitsISK_E10value_typeET2_T3_PNSL_ISQ_E10value_typeET4_T5_PSV_SW_PNS1_23onesweep_lookback_stateEbbT6_jjT7_P12ihipStream_tbENKUlT_T0_SK_SP_E_clISE_PiSF_SF_EEDaS13_S14_SK_SP_EUlS13_E_NS1_11comp_targetILNS1_3genE2ELNS1_11target_archE906ELNS1_3gpuE6ELNS1_3repE0EEENS1_47radix_sort_onesweep_sort_config_static_selectorELNS0_4arch9wavefront6targetE1EEEvSK_
                                        ; -- End function
	.set _ZN7rocprim17ROCPRIM_400000_NS6detail17trampoline_kernelINS0_14default_configENS1_35radix_sort_onesweep_config_selectorIiNS0_10empty_typeEEEZZNS1_29radix_sort_onesweep_iterationIS3_Lb1EN6thrust23THRUST_200600_302600_NS6detail15normal_iteratorINS9_10device_ptrIiEEEESE_PS5_SF_jNS0_19identity_decomposerENS1_16block_id_wrapperIjLb0EEEEE10hipError_tT1_PNSt15iterator_traitsISK_E10value_typeET2_T3_PNSL_ISQ_E10value_typeET4_T5_PSV_SW_PNS1_23onesweep_lookback_stateEbbT6_jjT7_P12ihipStream_tbENKUlT_T0_SK_SP_E_clISE_PiSF_SF_EEDaS13_S14_SK_SP_EUlS13_E_NS1_11comp_targetILNS1_3genE2ELNS1_11target_archE906ELNS1_3gpuE6ELNS1_3repE0EEENS1_47radix_sort_onesweep_sort_config_static_selectorELNS0_4arch9wavefront6targetE1EEEvSK_.num_vgpr, 0
	.set _ZN7rocprim17ROCPRIM_400000_NS6detail17trampoline_kernelINS0_14default_configENS1_35radix_sort_onesweep_config_selectorIiNS0_10empty_typeEEEZZNS1_29radix_sort_onesweep_iterationIS3_Lb1EN6thrust23THRUST_200600_302600_NS6detail15normal_iteratorINS9_10device_ptrIiEEEESE_PS5_SF_jNS0_19identity_decomposerENS1_16block_id_wrapperIjLb0EEEEE10hipError_tT1_PNSt15iterator_traitsISK_E10value_typeET2_T3_PNSL_ISQ_E10value_typeET4_T5_PSV_SW_PNS1_23onesweep_lookback_stateEbbT6_jjT7_P12ihipStream_tbENKUlT_T0_SK_SP_E_clISE_PiSF_SF_EEDaS13_S14_SK_SP_EUlS13_E_NS1_11comp_targetILNS1_3genE2ELNS1_11target_archE906ELNS1_3gpuE6ELNS1_3repE0EEENS1_47radix_sort_onesweep_sort_config_static_selectorELNS0_4arch9wavefront6targetE1EEEvSK_.num_agpr, 0
	.set _ZN7rocprim17ROCPRIM_400000_NS6detail17trampoline_kernelINS0_14default_configENS1_35radix_sort_onesweep_config_selectorIiNS0_10empty_typeEEEZZNS1_29radix_sort_onesweep_iterationIS3_Lb1EN6thrust23THRUST_200600_302600_NS6detail15normal_iteratorINS9_10device_ptrIiEEEESE_PS5_SF_jNS0_19identity_decomposerENS1_16block_id_wrapperIjLb0EEEEE10hipError_tT1_PNSt15iterator_traitsISK_E10value_typeET2_T3_PNSL_ISQ_E10value_typeET4_T5_PSV_SW_PNS1_23onesweep_lookback_stateEbbT6_jjT7_P12ihipStream_tbENKUlT_T0_SK_SP_E_clISE_PiSF_SF_EEDaS13_S14_SK_SP_EUlS13_E_NS1_11comp_targetILNS1_3genE2ELNS1_11target_archE906ELNS1_3gpuE6ELNS1_3repE0EEENS1_47radix_sort_onesweep_sort_config_static_selectorELNS0_4arch9wavefront6targetE1EEEvSK_.numbered_sgpr, 0
	.set _ZN7rocprim17ROCPRIM_400000_NS6detail17trampoline_kernelINS0_14default_configENS1_35radix_sort_onesweep_config_selectorIiNS0_10empty_typeEEEZZNS1_29radix_sort_onesweep_iterationIS3_Lb1EN6thrust23THRUST_200600_302600_NS6detail15normal_iteratorINS9_10device_ptrIiEEEESE_PS5_SF_jNS0_19identity_decomposerENS1_16block_id_wrapperIjLb0EEEEE10hipError_tT1_PNSt15iterator_traitsISK_E10value_typeET2_T3_PNSL_ISQ_E10value_typeET4_T5_PSV_SW_PNS1_23onesweep_lookback_stateEbbT6_jjT7_P12ihipStream_tbENKUlT_T0_SK_SP_E_clISE_PiSF_SF_EEDaS13_S14_SK_SP_EUlS13_E_NS1_11comp_targetILNS1_3genE2ELNS1_11target_archE906ELNS1_3gpuE6ELNS1_3repE0EEENS1_47radix_sort_onesweep_sort_config_static_selectorELNS0_4arch9wavefront6targetE1EEEvSK_.num_named_barrier, 0
	.set _ZN7rocprim17ROCPRIM_400000_NS6detail17trampoline_kernelINS0_14default_configENS1_35radix_sort_onesweep_config_selectorIiNS0_10empty_typeEEEZZNS1_29radix_sort_onesweep_iterationIS3_Lb1EN6thrust23THRUST_200600_302600_NS6detail15normal_iteratorINS9_10device_ptrIiEEEESE_PS5_SF_jNS0_19identity_decomposerENS1_16block_id_wrapperIjLb0EEEEE10hipError_tT1_PNSt15iterator_traitsISK_E10value_typeET2_T3_PNSL_ISQ_E10value_typeET4_T5_PSV_SW_PNS1_23onesweep_lookback_stateEbbT6_jjT7_P12ihipStream_tbENKUlT_T0_SK_SP_E_clISE_PiSF_SF_EEDaS13_S14_SK_SP_EUlS13_E_NS1_11comp_targetILNS1_3genE2ELNS1_11target_archE906ELNS1_3gpuE6ELNS1_3repE0EEENS1_47radix_sort_onesweep_sort_config_static_selectorELNS0_4arch9wavefront6targetE1EEEvSK_.private_seg_size, 0
	.set _ZN7rocprim17ROCPRIM_400000_NS6detail17trampoline_kernelINS0_14default_configENS1_35radix_sort_onesweep_config_selectorIiNS0_10empty_typeEEEZZNS1_29radix_sort_onesweep_iterationIS3_Lb1EN6thrust23THRUST_200600_302600_NS6detail15normal_iteratorINS9_10device_ptrIiEEEESE_PS5_SF_jNS0_19identity_decomposerENS1_16block_id_wrapperIjLb0EEEEE10hipError_tT1_PNSt15iterator_traitsISK_E10value_typeET2_T3_PNSL_ISQ_E10value_typeET4_T5_PSV_SW_PNS1_23onesweep_lookback_stateEbbT6_jjT7_P12ihipStream_tbENKUlT_T0_SK_SP_E_clISE_PiSF_SF_EEDaS13_S14_SK_SP_EUlS13_E_NS1_11comp_targetILNS1_3genE2ELNS1_11target_archE906ELNS1_3gpuE6ELNS1_3repE0EEENS1_47radix_sort_onesweep_sort_config_static_selectorELNS0_4arch9wavefront6targetE1EEEvSK_.uses_vcc, 0
	.set _ZN7rocprim17ROCPRIM_400000_NS6detail17trampoline_kernelINS0_14default_configENS1_35radix_sort_onesweep_config_selectorIiNS0_10empty_typeEEEZZNS1_29radix_sort_onesweep_iterationIS3_Lb1EN6thrust23THRUST_200600_302600_NS6detail15normal_iteratorINS9_10device_ptrIiEEEESE_PS5_SF_jNS0_19identity_decomposerENS1_16block_id_wrapperIjLb0EEEEE10hipError_tT1_PNSt15iterator_traitsISK_E10value_typeET2_T3_PNSL_ISQ_E10value_typeET4_T5_PSV_SW_PNS1_23onesweep_lookback_stateEbbT6_jjT7_P12ihipStream_tbENKUlT_T0_SK_SP_E_clISE_PiSF_SF_EEDaS13_S14_SK_SP_EUlS13_E_NS1_11comp_targetILNS1_3genE2ELNS1_11target_archE906ELNS1_3gpuE6ELNS1_3repE0EEENS1_47radix_sort_onesweep_sort_config_static_selectorELNS0_4arch9wavefront6targetE1EEEvSK_.uses_flat_scratch, 0
	.set _ZN7rocprim17ROCPRIM_400000_NS6detail17trampoline_kernelINS0_14default_configENS1_35radix_sort_onesweep_config_selectorIiNS0_10empty_typeEEEZZNS1_29radix_sort_onesweep_iterationIS3_Lb1EN6thrust23THRUST_200600_302600_NS6detail15normal_iteratorINS9_10device_ptrIiEEEESE_PS5_SF_jNS0_19identity_decomposerENS1_16block_id_wrapperIjLb0EEEEE10hipError_tT1_PNSt15iterator_traitsISK_E10value_typeET2_T3_PNSL_ISQ_E10value_typeET4_T5_PSV_SW_PNS1_23onesweep_lookback_stateEbbT6_jjT7_P12ihipStream_tbENKUlT_T0_SK_SP_E_clISE_PiSF_SF_EEDaS13_S14_SK_SP_EUlS13_E_NS1_11comp_targetILNS1_3genE2ELNS1_11target_archE906ELNS1_3gpuE6ELNS1_3repE0EEENS1_47radix_sort_onesweep_sort_config_static_selectorELNS0_4arch9wavefront6targetE1EEEvSK_.has_dyn_sized_stack, 0
	.set _ZN7rocprim17ROCPRIM_400000_NS6detail17trampoline_kernelINS0_14default_configENS1_35radix_sort_onesweep_config_selectorIiNS0_10empty_typeEEEZZNS1_29radix_sort_onesweep_iterationIS3_Lb1EN6thrust23THRUST_200600_302600_NS6detail15normal_iteratorINS9_10device_ptrIiEEEESE_PS5_SF_jNS0_19identity_decomposerENS1_16block_id_wrapperIjLb0EEEEE10hipError_tT1_PNSt15iterator_traitsISK_E10value_typeET2_T3_PNSL_ISQ_E10value_typeET4_T5_PSV_SW_PNS1_23onesweep_lookback_stateEbbT6_jjT7_P12ihipStream_tbENKUlT_T0_SK_SP_E_clISE_PiSF_SF_EEDaS13_S14_SK_SP_EUlS13_E_NS1_11comp_targetILNS1_3genE2ELNS1_11target_archE906ELNS1_3gpuE6ELNS1_3repE0EEENS1_47radix_sort_onesweep_sort_config_static_selectorELNS0_4arch9wavefront6targetE1EEEvSK_.has_recursion, 0
	.set _ZN7rocprim17ROCPRIM_400000_NS6detail17trampoline_kernelINS0_14default_configENS1_35radix_sort_onesweep_config_selectorIiNS0_10empty_typeEEEZZNS1_29radix_sort_onesweep_iterationIS3_Lb1EN6thrust23THRUST_200600_302600_NS6detail15normal_iteratorINS9_10device_ptrIiEEEESE_PS5_SF_jNS0_19identity_decomposerENS1_16block_id_wrapperIjLb0EEEEE10hipError_tT1_PNSt15iterator_traitsISK_E10value_typeET2_T3_PNSL_ISQ_E10value_typeET4_T5_PSV_SW_PNS1_23onesweep_lookback_stateEbbT6_jjT7_P12ihipStream_tbENKUlT_T0_SK_SP_E_clISE_PiSF_SF_EEDaS13_S14_SK_SP_EUlS13_E_NS1_11comp_targetILNS1_3genE2ELNS1_11target_archE906ELNS1_3gpuE6ELNS1_3repE0EEENS1_47radix_sort_onesweep_sort_config_static_selectorELNS0_4arch9wavefront6targetE1EEEvSK_.has_indirect_call, 0
	.section	.AMDGPU.csdata,"",@progbits
; Kernel info:
; codeLenInByte = 0
; TotalNumSgprs: 6
; NumVgprs: 0
; NumAgprs: 0
; TotalNumVgprs: 0
; ScratchSize: 0
; MemoryBound: 0
; FloatMode: 240
; IeeeMode: 1
; LDSByteSize: 0 bytes/workgroup (compile time only)
; SGPRBlocks: 0
; VGPRBlocks: 0
; NumSGPRsForWavesPerEU: 6
; NumVGPRsForWavesPerEU: 1
; AccumOffset: 4
; Occupancy: 8
; WaveLimiterHint : 0
; COMPUTE_PGM_RSRC2:SCRATCH_EN: 0
; COMPUTE_PGM_RSRC2:USER_SGPR: 2
; COMPUTE_PGM_RSRC2:TRAP_HANDLER: 0
; COMPUTE_PGM_RSRC2:TGID_X_EN: 1
; COMPUTE_PGM_RSRC2:TGID_Y_EN: 0
; COMPUTE_PGM_RSRC2:TGID_Z_EN: 0
; COMPUTE_PGM_RSRC2:TIDIG_COMP_CNT: 0
; COMPUTE_PGM_RSRC3_GFX90A:ACCUM_OFFSET: 0
; COMPUTE_PGM_RSRC3_GFX90A:TG_SPLIT: 0
	.section	.text._ZN7rocprim17ROCPRIM_400000_NS6detail17trampoline_kernelINS0_14default_configENS1_35radix_sort_onesweep_config_selectorIiNS0_10empty_typeEEEZZNS1_29radix_sort_onesweep_iterationIS3_Lb1EN6thrust23THRUST_200600_302600_NS6detail15normal_iteratorINS9_10device_ptrIiEEEESE_PS5_SF_jNS0_19identity_decomposerENS1_16block_id_wrapperIjLb0EEEEE10hipError_tT1_PNSt15iterator_traitsISK_E10value_typeET2_T3_PNSL_ISQ_E10value_typeET4_T5_PSV_SW_PNS1_23onesweep_lookback_stateEbbT6_jjT7_P12ihipStream_tbENKUlT_T0_SK_SP_E_clISE_PiSF_SF_EEDaS13_S14_SK_SP_EUlS13_E_NS1_11comp_targetILNS1_3genE4ELNS1_11target_archE910ELNS1_3gpuE8ELNS1_3repE0EEENS1_47radix_sort_onesweep_sort_config_static_selectorELNS0_4arch9wavefront6targetE1EEEvSK_,"axG",@progbits,_ZN7rocprim17ROCPRIM_400000_NS6detail17trampoline_kernelINS0_14default_configENS1_35radix_sort_onesweep_config_selectorIiNS0_10empty_typeEEEZZNS1_29radix_sort_onesweep_iterationIS3_Lb1EN6thrust23THRUST_200600_302600_NS6detail15normal_iteratorINS9_10device_ptrIiEEEESE_PS5_SF_jNS0_19identity_decomposerENS1_16block_id_wrapperIjLb0EEEEE10hipError_tT1_PNSt15iterator_traitsISK_E10value_typeET2_T3_PNSL_ISQ_E10value_typeET4_T5_PSV_SW_PNS1_23onesweep_lookback_stateEbbT6_jjT7_P12ihipStream_tbENKUlT_T0_SK_SP_E_clISE_PiSF_SF_EEDaS13_S14_SK_SP_EUlS13_E_NS1_11comp_targetILNS1_3genE4ELNS1_11target_archE910ELNS1_3gpuE8ELNS1_3repE0EEENS1_47radix_sort_onesweep_sort_config_static_selectorELNS0_4arch9wavefront6targetE1EEEvSK_,comdat
	.protected	_ZN7rocprim17ROCPRIM_400000_NS6detail17trampoline_kernelINS0_14default_configENS1_35radix_sort_onesweep_config_selectorIiNS0_10empty_typeEEEZZNS1_29radix_sort_onesweep_iterationIS3_Lb1EN6thrust23THRUST_200600_302600_NS6detail15normal_iteratorINS9_10device_ptrIiEEEESE_PS5_SF_jNS0_19identity_decomposerENS1_16block_id_wrapperIjLb0EEEEE10hipError_tT1_PNSt15iterator_traitsISK_E10value_typeET2_T3_PNSL_ISQ_E10value_typeET4_T5_PSV_SW_PNS1_23onesweep_lookback_stateEbbT6_jjT7_P12ihipStream_tbENKUlT_T0_SK_SP_E_clISE_PiSF_SF_EEDaS13_S14_SK_SP_EUlS13_E_NS1_11comp_targetILNS1_3genE4ELNS1_11target_archE910ELNS1_3gpuE8ELNS1_3repE0EEENS1_47radix_sort_onesweep_sort_config_static_selectorELNS0_4arch9wavefront6targetE1EEEvSK_ ; -- Begin function _ZN7rocprim17ROCPRIM_400000_NS6detail17trampoline_kernelINS0_14default_configENS1_35radix_sort_onesweep_config_selectorIiNS0_10empty_typeEEEZZNS1_29radix_sort_onesweep_iterationIS3_Lb1EN6thrust23THRUST_200600_302600_NS6detail15normal_iteratorINS9_10device_ptrIiEEEESE_PS5_SF_jNS0_19identity_decomposerENS1_16block_id_wrapperIjLb0EEEEE10hipError_tT1_PNSt15iterator_traitsISK_E10value_typeET2_T3_PNSL_ISQ_E10value_typeET4_T5_PSV_SW_PNS1_23onesweep_lookback_stateEbbT6_jjT7_P12ihipStream_tbENKUlT_T0_SK_SP_E_clISE_PiSF_SF_EEDaS13_S14_SK_SP_EUlS13_E_NS1_11comp_targetILNS1_3genE4ELNS1_11target_archE910ELNS1_3gpuE8ELNS1_3repE0EEENS1_47radix_sort_onesweep_sort_config_static_selectorELNS0_4arch9wavefront6targetE1EEEvSK_
	.globl	_ZN7rocprim17ROCPRIM_400000_NS6detail17trampoline_kernelINS0_14default_configENS1_35radix_sort_onesweep_config_selectorIiNS0_10empty_typeEEEZZNS1_29radix_sort_onesweep_iterationIS3_Lb1EN6thrust23THRUST_200600_302600_NS6detail15normal_iteratorINS9_10device_ptrIiEEEESE_PS5_SF_jNS0_19identity_decomposerENS1_16block_id_wrapperIjLb0EEEEE10hipError_tT1_PNSt15iterator_traitsISK_E10value_typeET2_T3_PNSL_ISQ_E10value_typeET4_T5_PSV_SW_PNS1_23onesweep_lookback_stateEbbT6_jjT7_P12ihipStream_tbENKUlT_T0_SK_SP_E_clISE_PiSF_SF_EEDaS13_S14_SK_SP_EUlS13_E_NS1_11comp_targetILNS1_3genE4ELNS1_11target_archE910ELNS1_3gpuE8ELNS1_3repE0EEENS1_47radix_sort_onesweep_sort_config_static_selectorELNS0_4arch9wavefront6targetE1EEEvSK_
	.p2align	8
	.type	_ZN7rocprim17ROCPRIM_400000_NS6detail17trampoline_kernelINS0_14default_configENS1_35radix_sort_onesweep_config_selectorIiNS0_10empty_typeEEEZZNS1_29radix_sort_onesweep_iterationIS3_Lb1EN6thrust23THRUST_200600_302600_NS6detail15normal_iteratorINS9_10device_ptrIiEEEESE_PS5_SF_jNS0_19identity_decomposerENS1_16block_id_wrapperIjLb0EEEEE10hipError_tT1_PNSt15iterator_traitsISK_E10value_typeET2_T3_PNSL_ISQ_E10value_typeET4_T5_PSV_SW_PNS1_23onesweep_lookback_stateEbbT6_jjT7_P12ihipStream_tbENKUlT_T0_SK_SP_E_clISE_PiSF_SF_EEDaS13_S14_SK_SP_EUlS13_E_NS1_11comp_targetILNS1_3genE4ELNS1_11target_archE910ELNS1_3gpuE8ELNS1_3repE0EEENS1_47radix_sort_onesweep_sort_config_static_selectorELNS0_4arch9wavefront6targetE1EEEvSK_,@function
_ZN7rocprim17ROCPRIM_400000_NS6detail17trampoline_kernelINS0_14default_configENS1_35radix_sort_onesweep_config_selectorIiNS0_10empty_typeEEEZZNS1_29radix_sort_onesweep_iterationIS3_Lb1EN6thrust23THRUST_200600_302600_NS6detail15normal_iteratorINS9_10device_ptrIiEEEESE_PS5_SF_jNS0_19identity_decomposerENS1_16block_id_wrapperIjLb0EEEEE10hipError_tT1_PNSt15iterator_traitsISK_E10value_typeET2_T3_PNSL_ISQ_E10value_typeET4_T5_PSV_SW_PNS1_23onesweep_lookback_stateEbbT6_jjT7_P12ihipStream_tbENKUlT_T0_SK_SP_E_clISE_PiSF_SF_EEDaS13_S14_SK_SP_EUlS13_E_NS1_11comp_targetILNS1_3genE4ELNS1_11target_archE910ELNS1_3gpuE8ELNS1_3repE0EEENS1_47radix_sort_onesweep_sort_config_static_selectorELNS0_4arch9wavefront6targetE1EEEvSK_: ; @_ZN7rocprim17ROCPRIM_400000_NS6detail17trampoline_kernelINS0_14default_configENS1_35radix_sort_onesweep_config_selectorIiNS0_10empty_typeEEEZZNS1_29radix_sort_onesweep_iterationIS3_Lb1EN6thrust23THRUST_200600_302600_NS6detail15normal_iteratorINS9_10device_ptrIiEEEESE_PS5_SF_jNS0_19identity_decomposerENS1_16block_id_wrapperIjLb0EEEEE10hipError_tT1_PNSt15iterator_traitsISK_E10value_typeET2_T3_PNSL_ISQ_E10value_typeET4_T5_PSV_SW_PNS1_23onesweep_lookback_stateEbbT6_jjT7_P12ihipStream_tbENKUlT_T0_SK_SP_E_clISE_PiSF_SF_EEDaS13_S14_SK_SP_EUlS13_E_NS1_11comp_targetILNS1_3genE4ELNS1_11target_archE910ELNS1_3gpuE8ELNS1_3repE0EEENS1_47radix_sort_onesweep_sort_config_static_selectorELNS0_4arch9wavefront6targetE1EEEvSK_
; %bb.0:
	.section	.rodata,"a",@progbits
	.p2align	6, 0x0
	.amdhsa_kernel _ZN7rocprim17ROCPRIM_400000_NS6detail17trampoline_kernelINS0_14default_configENS1_35radix_sort_onesweep_config_selectorIiNS0_10empty_typeEEEZZNS1_29radix_sort_onesweep_iterationIS3_Lb1EN6thrust23THRUST_200600_302600_NS6detail15normal_iteratorINS9_10device_ptrIiEEEESE_PS5_SF_jNS0_19identity_decomposerENS1_16block_id_wrapperIjLb0EEEEE10hipError_tT1_PNSt15iterator_traitsISK_E10value_typeET2_T3_PNSL_ISQ_E10value_typeET4_T5_PSV_SW_PNS1_23onesweep_lookback_stateEbbT6_jjT7_P12ihipStream_tbENKUlT_T0_SK_SP_E_clISE_PiSF_SF_EEDaS13_S14_SK_SP_EUlS13_E_NS1_11comp_targetILNS1_3genE4ELNS1_11target_archE910ELNS1_3gpuE8ELNS1_3repE0EEENS1_47radix_sort_onesweep_sort_config_static_selectorELNS0_4arch9wavefront6targetE1EEEvSK_
		.amdhsa_group_segment_fixed_size 0
		.amdhsa_private_segment_fixed_size 0
		.amdhsa_kernarg_size 88
		.amdhsa_user_sgpr_count 2
		.amdhsa_user_sgpr_dispatch_ptr 0
		.amdhsa_user_sgpr_queue_ptr 0
		.amdhsa_user_sgpr_kernarg_segment_ptr 1
		.amdhsa_user_sgpr_dispatch_id 0
		.amdhsa_user_sgpr_kernarg_preload_length 0
		.amdhsa_user_sgpr_kernarg_preload_offset 0
		.amdhsa_user_sgpr_private_segment_size 0
		.amdhsa_uses_dynamic_stack 0
		.amdhsa_enable_private_segment 0
		.amdhsa_system_sgpr_workgroup_id_x 1
		.amdhsa_system_sgpr_workgroup_id_y 0
		.amdhsa_system_sgpr_workgroup_id_z 0
		.amdhsa_system_sgpr_workgroup_info 0
		.amdhsa_system_vgpr_workitem_id 0
		.amdhsa_next_free_vgpr 1
		.amdhsa_next_free_sgpr 0
		.amdhsa_accum_offset 4
		.amdhsa_reserve_vcc 0
		.amdhsa_float_round_mode_32 0
		.amdhsa_float_round_mode_16_64 0
		.amdhsa_float_denorm_mode_32 3
		.amdhsa_float_denorm_mode_16_64 3
		.amdhsa_dx10_clamp 1
		.amdhsa_ieee_mode 1
		.amdhsa_fp16_overflow 0
		.amdhsa_tg_split 0
		.amdhsa_exception_fp_ieee_invalid_op 0
		.amdhsa_exception_fp_denorm_src 0
		.amdhsa_exception_fp_ieee_div_zero 0
		.amdhsa_exception_fp_ieee_overflow 0
		.amdhsa_exception_fp_ieee_underflow 0
		.amdhsa_exception_fp_ieee_inexact 0
		.amdhsa_exception_int_div_zero 0
	.end_amdhsa_kernel
	.section	.text._ZN7rocprim17ROCPRIM_400000_NS6detail17trampoline_kernelINS0_14default_configENS1_35radix_sort_onesweep_config_selectorIiNS0_10empty_typeEEEZZNS1_29radix_sort_onesweep_iterationIS3_Lb1EN6thrust23THRUST_200600_302600_NS6detail15normal_iteratorINS9_10device_ptrIiEEEESE_PS5_SF_jNS0_19identity_decomposerENS1_16block_id_wrapperIjLb0EEEEE10hipError_tT1_PNSt15iterator_traitsISK_E10value_typeET2_T3_PNSL_ISQ_E10value_typeET4_T5_PSV_SW_PNS1_23onesweep_lookback_stateEbbT6_jjT7_P12ihipStream_tbENKUlT_T0_SK_SP_E_clISE_PiSF_SF_EEDaS13_S14_SK_SP_EUlS13_E_NS1_11comp_targetILNS1_3genE4ELNS1_11target_archE910ELNS1_3gpuE8ELNS1_3repE0EEENS1_47radix_sort_onesweep_sort_config_static_selectorELNS0_4arch9wavefront6targetE1EEEvSK_,"axG",@progbits,_ZN7rocprim17ROCPRIM_400000_NS6detail17trampoline_kernelINS0_14default_configENS1_35radix_sort_onesweep_config_selectorIiNS0_10empty_typeEEEZZNS1_29radix_sort_onesweep_iterationIS3_Lb1EN6thrust23THRUST_200600_302600_NS6detail15normal_iteratorINS9_10device_ptrIiEEEESE_PS5_SF_jNS0_19identity_decomposerENS1_16block_id_wrapperIjLb0EEEEE10hipError_tT1_PNSt15iterator_traitsISK_E10value_typeET2_T3_PNSL_ISQ_E10value_typeET4_T5_PSV_SW_PNS1_23onesweep_lookback_stateEbbT6_jjT7_P12ihipStream_tbENKUlT_T0_SK_SP_E_clISE_PiSF_SF_EEDaS13_S14_SK_SP_EUlS13_E_NS1_11comp_targetILNS1_3genE4ELNS1_11target_archE910ELNS1_3gpuE8ELNS1_3repE0EEENS1_47radix_sort_onesweep_sort_config_static_selectorELNS0_4arch9wavefront6targetE1EEEvSK_,comdat
.Lfunc_end376:
	.size	_ZN7rocprim17ROCPRIM_400000_NS6detail17trampoline_kernelINS0_14default_configENS1_35radix_sort_onesweep_config_selectorIiNS0_10empty_typeEEEZZNS1_29radix_sort_onesweep_iterationIS3_Lb1EN6thrust23THRUST_200600_302600_NS6detail15normal_iteratorINS9_10device_ptrIiEEEESE_PS5_SF_jNS0_19identity_decomposerENS1_16block_id_wrapperIjLb0EEEEE10hipError_tT1_PNSt15iterator_traitsISK_E10value_typeET2_T3_PNSL_ISQ_E10value_typeET4_T5_PSV_SW_PNS1_23onesweep_lookback_stateEbbT6_jjT7_P12ihipStream_tbENKUlT_T0_SK_SP_E_clISE_PiSF_SF_EEDaS13_S14_SK_SP_EUlS13_E_NS1_11comp_targetILNS1_3genE4ELNS1_11target_archE910ELNS1_3gpuE8ELNS1_3repE0EEENS1_47radix_sort_onesweep_sort_config_static_selectorELNS0_4arch9wavefront6targetE1EEEvSK_, .Lfunc_end376-_ZN7rocprim17ROCPRIM_400000_NS6detail17trampoline_kernelINS0_14default_configENS1_35radix_sort_onesweep_config_selectorIiNS0_10empty_typeEEEZZNS1_29radix_sort_onesweep_iterationIS3_Lb1EN6thrust23THRUST_200600_302600_NS6detail15normal_iteratorINS9_10device_ptrIiEEEESE_PS5_SF_jNS0_19identity_decomposerENS1_16block_id_wrapperIjLb0EEEEE10hipError_tT1_PNSt15iterator_traitsISK_E10value_typeET2_T3_PNSL_ISQ_E10value_typeET4_T5_PSV_SW_PNS1_23onesweep_lookback_stateEbbT6_jjT7_P12ihipStream_tbENKUlT_T0_SK_SP_E_clISE_PiSF_SF_EEDaS13_S14_SK_SP_EUlS13_E_NS1_11comp_targetILNS1_3genE4ELNS1_11target_archE910ELNS1_3gpuE8ELNS1_3repE0EEENS1_47radix_sort_onesweep_sort_config_static_selectorELNS0_4arch9wavefront6targetE1EEEvSK_
                                        ; -- End function
	.set _ZN7rocprim17ROCPRIM_400000_NS6detail17trampoline_kernelINS0_14default_configENS1_35radix_sort_onesweep_config_selectorIiNS0_10empty_typeEEEZZNS1_29radix_sort_onesweep_iterationIS3_Lb1EN6thrust23THRUST_200600_302600_NS6detail15normal_iteratorINS9_10device_ptrIiEEEESE_PS5_SF_jNS0_19identity_decomposerENS1_16block_id_wrapperIjLb0EEEEE10hipError_tT1_PNSt15iterator_traitsISK_E10value_typeET2_T3_PNSL_ISQ_E10value_typeET4_T5_PSV_SW_PNS1_23onesweep_lookback_stateEbbT6_jjT7_P12ihipStream_tbENKUlT_T0_SK_SP_E_clISE_PiSF_SF_EEDaS13_S14_SK_SP_EUlS13_E_NS1_11comp_targetILNS1_3genE4ELNS1_11target_archE910ELNS1_3gpuE8ELNS1_3repE0EEENS1_47radix_sort_onesweep_sort_config_static_selectorELNS0_4arch9wavefront6targetE1EEEvSK_.num_vgpr, 0
	.set _ZN7rocprim17ROCPRIM_400000_NS6detail17trampoline_kernelINS0_14default_configENS1_35radix_sort_onesweep_config_selectorIiNS0_10empty_typeEEEZZNS1_29radix_sort_onesweep_iterationIS3_Lb1EN6thrust23THRUST_200600_302600_NS6detail15normal_iteratorINS9_10device_ptrIiEEEESE_PS5_SF_jNS0_19identity_decomposerENS1_16block_id_wrapperIjLb0EEEEE10hipError_tT1_PNSt15iterator_traitsISK_E10value_typeET2_T3_PNSL_ISQ_E10value_typeET4_T5_PSV_SW_PNS1_23onesweep_lookback_stateEbbT6_jjT7_P12ihipStream_tbENKUlT_T0_SK_SP_E_clISE_PiSF_SF_EEDaS13_S14_SK_SP_EUlS13_E_NS1_11comp_targetILNS1_3genE4ELNS1_11target_archE910ELNS1_3gpuE8ELNS1_3repE0EEENS1_47radix_sort_onesweep_sort_config_static_selectorELNS0_4arch9wavefront6targetE1EEEvSK_.num_agpr, 0
	.set _ZN7rocprim17ROCPRIM_400000_NS6detail17trampoline_kernelINS0_14default_configENS1_35radix_sort_onesweep_config_selectorIiNS0_10empty_typeEEEZZNS1_29radix_sort_onesweep_iterationIS3_Lb1EN6thrust23THRUST_200600_302600_NS6detail15normal_iteratorINS9_10device_ptrIiEEEESE_PS5_SF_jNS0_19identity_decomposerENS1_16block_id_wrapperIjLb0EEEEE10hipError_tT1_PNSt15iterator_traitsISK_E10value_typeET2_T3_PNSL_ISQ_E10value_typeET4_T5_PSV_SW_PNS1_23onesweep_lookback_stateEbbT6_jjT7_P12ihipStream_tbENKUlT_T0_SK_SP_E_clISE_PiSF_SF_EEDaS13_S14_SK_SP_EUlS13_E_NS1_11comp_targetILNS1_3genE4ELNS1_11target_archE910ELNS1_3gpuE8ELNS1_3repE0EEENS1_47radix_sort_onesweep_sort_config_static_selectorELNS0_4arch9wavefront6targetE1EEEvSK_.numbered_sgpr, 0
	.set _ZN7rocprim17ROCPRIM_400000_NS6detail17trampoline_kernelINS0_14default_configENS1_35radix_sort_onesweep_config_selectorIiNS0_10empty_typeEEEZZNS1_29radix_sort_onesweep_iterationIS3_Lb1EN6thrust23THRUST_200600_302600_NS6detail15normal_iteratorINS9_10device_ptrIiEEEESE_PS5_SF_jNS0_19identity_decomposerENS1_16block_id_wrapperIjLb0EEEEE10hipError_tT1_PNSt15iterator_traitsISK_E10value_typeET2_T3_PNSL_ISQ_E10value_typeET4_T5_PSV_SW_PNS1_23onesweep_lookback_stateEbbT6_jjT7_P12ihipStream_tbENKUlT_T0_SK_SP_E_clISE_PiSF_SF_EEDaS13_S14_SK_SP_EUlS13_E_NS1_11comp_targetILNS1_3genE4ELNS1_11target_archE910ELNS1_3gpuE8ELNS1_3repE0EEENS1_47radix_sort_onesweep_sort_config_static_selectorELNS0_4arch9wavefront6targetE1EEEvSK_.num_named_barrier, 0
	.set _ZN7rocprim17ROCPRIM_400000_NS6detail17trampoline_kernelINS0_14default_configENS1_35radix_sort_onesweep_config_selectorIiNS0_10empty_typeEEEZZNS1_29radix_sort_onesweep_iterationIS3_Lb1EN6thrust23THRUST_200600_302600_NS6detail15normal_iteratorINS9_10device_ptrIiEEEESE_PS5_SF_jNS0_19identity_decomposerENS1_16block_id_wrapperIjLb0EEEEE10hipError_tT1_PNSt15iterator_traitsISK_E10value_typeET2_T3_PNSL_ISQ_E10value_typeET4_T5_PSV_SW_PNS1_23onesweep_lookback_stateEbbT6_jjT7_P12ihipStream_tbENKUlT_T0_SK_SP_E_clISE_PiSF_SF_EEDaS13_S14_SK_SP_EUlS13_E_NS1_11comp_targetILNS1_3genE4ELNS1_11target_archE910ELNS1_3gpuE8ELNS1_3repE0EEENS1_47radix_sort_onesweep_sort_config_static_selectorELNS0_4arch9wavefront6targetE1EEEvSK_.private_seg_size, 0
	.set _ZN7rocprim17ROCPRIM_400000_NS6detail17trampoline_kernelINS0_14default_configENS1_35radix_sort_onesweep_config_selectorIiNS0_10empty_typeEEEZZNS1_29radix_sort_onesweep_iterationIS3_Lb1EN6thrust23THRUST_200600_302600_NS6detail15normal_iteratorINS9_10device_ptrIiEEEESE_PS5_SF_jNS0_19identity_decomposerENS1_16block_id_wrapperIjLb0EEEEE10hipError_tT1_PNSt15iterator_traitsISK_E10value_typeET2_T3_PNSL_ISQ_E10value_typeET4_T5_PSV_SW_PNS1_23onesweep_lookback_stateEbbT6_jjT7_P12ihipStream_tbENKUlT_T0_SK_SP_E_clISE_PiSF_SF_EEDaS13_S14_SK_SP_EUlS13_E_NS1_11comp_targetILNS1_3genE4ELNS1_11target_archE910ELNS1_3gpuE8ELNS1_3repE0EEENS1_47radix_sort_onesweep_sort_config_static_selectorELNS0_4arch9wavefront6targetE1EEEvSK_.uses_vcc, 0
	.set _ZN7rocprim17ROCPRIM_400000_NS6detail17trampoline_kernelINS0_14default_configENS1_35radix_sort_onesweep_config_selectorIiNS0_10empty_typeEEEZZNS1_29radix_sort_onesweep_iterationIS3_Lb1EN6thrust23THRUST_200600_302600_NS6detail15normal_iteratorINS9_10device_ptrIiEEEESE_PS5_SF_jNS0_19identity_decomposerENS1_16block_id_wrapperIjLb0EEEEE10hipError_tT1_PNSt15iterator_traitsISK_E10value_typeET2_T3_PNSL_ISQ_E10value_typeET4_T5_PSV_SW_PNS1_23onesweep_lookback_stateEbbT6_jjT7_P12ihipStream_tbENKUlT_T0_SK_SP_E_clISE_PiSF_SF_EEDaS13_S14_SK_SP_EUlS13_E_NS1_11comp_targetILNS1_3genE4ELNS1_11target_archE910ELNS1_3gpuE8ELNS1_3repE0EEENS1_47radix_sort_onesweep_sort_config_static_selectorELNS0_4arch9wavefront6targetE1EEEvSK_.uses_flat_scratch, 0
	.set _ZN7rocprim17ROCPRIM_400000_NS6detail17trampoline_kernelINS0_14default_configENS1_35radix_sort_onesweep_config_selectorIiNS0_10empty_typeEEEZZNS1_29radix_sort_onesweep_iterationIS3_Lb1EN6thrust23THRUST_200600_302600_NS6detail15normal_iteratorINS9_10device_ptrIiEEEESE_PS5_SF_jNS0_19identity_decomposerENS1_16block_id_wrapperIjLb0EEEEE10hipError_tT1_PNSt15iterator_traitsISK_E10value_typeET2_T3_PNSL_ISQ_E10value_typeET4_T5_PSV_SW_PNS1_23onesweep_lookback_stateEbbT6_jjT7_P12ihipStream_tbENKUlT_T0_SK_SP_E_clISE_PiSF_SF_EEDaS13_S14_SK_SP_EUlS13_E_NS1_11comp_targetILNS1_3genE4ELNS1_11target_archE910ELNS1_3gpuE8ELNS1_3repE0EEENS1_47radix_sort_onesweep_sort_config_static_selectorELNS0_4arch9wavefront6targetE1EEEvSK_.has_dyn_sized_stack, 0
	.set _ZN7rocprim17ROCPRIM_400000_NS6detail17trampoline_kernelINS0_14default_configENS1_35radix_sort_onesweep_config_selectorIiNS0_10empty_typeEEEZZNS1_29radix_sort_onesweep_iterationIS3_Lb1EN6thrust23THRUST_200600_302600_NS6detail15normal_iteratorINS9_10device_ptrIiEEEESE_PS5_SF_jNS0_19identity_decomposerENS1_16block_id_wrapperIjLb0EEEEE10hipError_tT1_PNSt15iterator_traitsISK_E10value_typeET2_T3_PNSL_ISQ_E10value_typeET4_T5_PSV_SW_PNS1_23onesweep_lookback_stateEbbT6_jjT7_P12ihipStream_tbENKUlT_T0_SK_SP_E_clISE_PiSF_SF_EEDaS13_S14_SK_SP_EUlS13_E_NS1_11comp_targetILNS1_3genE4ELNS1_11target_archE910ELNS1_3gpuE8ELNS1_3repE0EEENS1_47radix_sort_onesweep_sort_config_static_selectorELNS0_4arch9wavefront6targetE1EEEvSK_.has_recursion, 0
	.set _ZN7rocprim17ROCPRIM_400000_NS6detail17trampoline_kernelINS0_14default_configENS1_35radix_sort_onesweep_config_selectorIiNS0_10empty_typeEEEZZNS1_29radix_sort_onesweep_iterationIS3_Lb1EN6thrust23THRUST_200600_302600_NS6detail15normal_iteratorINS9_10device_ptrIiEEEESE_PS5_SF_jNS0_19identity_decomposerENS1_16block_id_wrapperIjLb0EEEEE10hipError_tT1_PNSt15iterator_traitsISK_E10value_typeET2_T3_PNSL_ISQ_E10value_typeET4_T5_PSV_SW_PNS1_23onesweep_lookback_stateEbbT6_jjT7_P12ihipStream_tbENKUlT_T0_SK_SP_E_clISE_PiSF_SF_EEDaS13_S14_SK_SP_EUlS13_E_NS1_11comp_targetILNS1_3genE4ELNS1_11target_archE910ELNS1_3gpuE8ELNS1_3repE0EEENS1_47radix_sort_onesweep_sort_config_static_selectorELNS0_4arch9wavefront6targetE1EEEvSK_.has_indirect_call, 0
	.section	.AMDGPU.csdata,"",@progbits
; Kernel info:
; codeLenInByte = 0
; TotalNumSgprs: 6
; NumVgprs: 0
; NumAgprs: 0
; TotalNumVgprs: 0
; ScratchSize: 0
; MemoryBound: 0
; FloatMode: 240
; IeeeMode: 1
; LDSByteSize: 0 bytes/workgroup (compile time only)
; SGPRBlocks: 0
; VGPRBlocks: 0
; NumSGPRsForWavesPerEU: 6
; NumVGPRsForWavesPerEU: 1
; AccumOffset: 4
; Occupancy: 8
; WaveLimiterHint : 0
; COMPUTE_PGM_RSRC2:SCRATCH_EN: 0
; COMPUTE_PGM_RSRC2:USER_SGPR: 2
; COMPUTE_PGM_RSRC2:TRAP_HANDLER: 0
; COMPUTE_PGM_RSRC2:TGID_X_EN: 1
; COMPUTE_PGM_RSRC2:TGID_Y_EN: 0
; COMPUTE_PGM_RSRC2:TGID_Z_EN: 0
; COMPUTE_PGM_RSRC2:TIDIG_COMP_CNT: 0
; COMPUTE_PGM_RSRC3_GFX90A:ACCUM_OFFSET: 0
; COMPUTE_PGM_RSRC3_GFX90A:TG_SPLIT: 0
	.section	.text._ZN7rocprim17ROCPRIM_400000_NS6detail17trampoline_kernelINS0_14default_configENS1_35radix_sort_onesweep_config_selectorIiNS0_10empty_typeEEEZZNS1_29radix_sort_onesweep_iterationIS3_Lb1EN6thrust23THRUST_200600_302600_NS6detail15normal_iteratorINS9_10device_ptrIiEEEESE_PS5_SF_jNS0_19identity_decomposerENS1_16block_id_wrapperIjLb0EEEEE10hipError_tT1_PNSt15iterator_traitsISK_E10value_typeET2_T3_PNSL_ISQ_E10value_typeET4_T5_PSV_SW_PNS1_23onesweep_lookback_stateEbbT6_jjT7_P12ihipStream_tbENKUlT_T0_SK_SP_E_clISE_PiSF_SF_EEDaS13_S14_SK_SP_EUlS13_E_NS1_11comp_targetILNS1_3genE3ELNS1_11target_archE908ELNS1_3gpuE7ELNS1_3repE0EEENS1_47radix_sort_onesweep_sort_config_static_selectorELNS0_4arch9wavefront6targetE1EEEvSK_,"axG",@progbits,_ZN7rocprim17ROCPRIM_400000_NS6detail17trampoline_kernelINS0_14default_configENS1_35radix_sort_onesweep_config_selectorIiNS0_10empty_typeEEEZZNS1_29radix_sort_onesweep_iterationIS3_Lb1EN6thrust23THRUST_200600_302600_NS6detail15normal_iteratorINS9_10device_ptrIiEEEESE_PS5_SF_jNS0_19identity_decomposerENS1_16block_id_wrapperIjLb0EEEEE10hipError_tT1_PNSt15iterator_traitsISK_E10value_typeET2_T3_PNSL_ISQ_E10value_typeET4_T5_PSV_SW_PNS1_23onesweep_lookback_stateEbbT6_jjT7_P12ihipStream_tbENKUlT_T0_SK_SP_E_clISE_PiSF_SF_EEDaS13_S14_SK_SP_EUlS13_E_NS1_11comp_targetILNS1_3genE3ELNS1_11target_archE908ELNS1_3gpuE7ELNS1_3repE0EEENS1_47radix_sort_onesweep_sort_config_static_selectorELNS0_4arch9wavefront6targetE1EEEvSK_,comdat
	.protected	_ZN7rocprim17ROCPRIM_400000_NS6detail17trampoline_kernelINS0_14default_configENS1_35radix_sort_onesweep_config_selectorIiNS0_10empty_typeEEEZZNS1_29radix_sort_onesweep_iterationIS3_Lb1EN6thrust23THRUST_200600_302600_NS6detail15normal_iteratorINS9_10device_ptrIiEEEESE_PS5_SF_jNS0_19identity_decomposerENS1_16block_id_wrapperIjLb0EEEEE10hipError_tT1_PNSt15iterator_traitsISK_E10value_typeET2_T3_PNSL_ISQ_E10value_typeET4_T5_PSV_SW_PNS1_23onesweep_lookback_stateEbbT6_jjT7_P12ihipStream_tbENKUlT_T0_SK_SP_E_clISE_PiSF_SF_EEDaS13_S14_SK_SP_EUlS13_E_NS1_11comp_targetILNS1_3genE3ELNS1_11target_archE908ELNS1_3gpuE7ELNS1_3repE0EEENS1_47radix_sort_onesweep_sort_config_static_selectorELNS0_4arch9wavefront6targetE1EEEvSK_ ; -- Begin function _ZN7rocprim17ROCPRIM_400000_NS6detail17trampoline_kernelINS0_14default_configENS1_35radix_sort_onesweep_config_selectorIiNS0_10empty_typeEEEZZNS1_29radix_sort_onesweep_iterationIS3_Lb1EN6thrust23THRUST_200600_302600_NS6detail15normal_iteratorINS9_10device_ptrIiEEEESE_PS5_SF_jNS0_19identity_decomposerENS1_16block_id_wrapperIjLb0EEEEE10hipError_tT1_PNSt15iterator_traitsISK_E10value_typeET2_T3_PNSL_ISQ_E10value_typeET4_T5_PSV_SW_PNS1_23onesweep_lookback_stateEbbT6_jjT7_P12ihipStream_tbENKUlT_T0_SK_SP_E_clISE_PiSF_SF_EEDaS13_S14_SK_SP_EUlS13_E_NS1_11comp_targetILNS1_3genE3ELNS1_11target_archE908ELNS1_3gpuE7ELNS1_3repE0EEENS1_47radix_sort_onesweep_sort_config_static_selectorELNS0_4arch9wavefront6targetE1EEEvSK_
	.globl	_ZN7rocprim17ROCPRIM_400000_NS6detail17trampoline_kernelINS0_14default_configENS1_35radix_sort_onesweep_config_selectorIiNS0_10empty_typeEEEZZNS1_29radix_sort_onesweep_iterationIS3_Lb1EN6thrust23THRUST_200600_302600_NS6detail15normal_iteratorINS9_10device_ptrIiEEEESE_PS5_SF_jNS0_19identity_decomposerENS1_16block_id_wrapperIjLb0EEEEE10hipError_tT1_PNSt15iterator_traitsISK_E10value_typeET2_T3_PNSL_ISQ_E10value_typeET4_T5_PSV_SW_PNS1_23onesweep_lookback_stateEbbT6_jjT7_P12ihipStream_tbENKUlT_T0_SK_SP_E_clISE_PiSF_SF_EEDaS13_S14_SK_SP_EUlS13_E_NS1_11comp_targetILNS1_3genE3ELNS1_11target_archE908ELNS1_3gpuE7ELNS1_3repE0EEENS1_47radix_sort_onesweep_sort_config_static_selectorELNS0_4arch9wavefront6targetE1EEEvSK_
	.p2align	8
	.type	_ZN7rocprim17ROCPRIM_400000_NS6detail17trampoline_kernelINS0_14default_configENS1_35radix_sort_onesweep_config_selectorIiNS0_10empty_typeEEEZZNS1_29radix_sort_onesweep_iterationIS3_Lb1EN6thrust23THRUST_200600_302600_NS6detail15normal_iteratorINS9_10device_ptrIiEEEESE_PS5_SF_jNS0_19identity_decomposerENS1_16block_id_wrapperIjLb0EEEEE10hipError_tT1_PNSt15iterator_traitsISK_E10value_typeET2_T3_PNSL_ISQ_E10value_typeET4_T5_PSV_SW_PNS1_23onesweep_lookback_stateEbbT6_jjT7_P12ihipStream_tbENKUlT_T0_SK_SP_E_clISE_PiSF_SF_EEDaS13_S14_SK_SP_EUlS13_E_NS1_11comp_targetILNS1_3genE3ELNS1_11target_archE908ELNS1_3gpuE7ELNS1_3repE0EEENS1_47radix_sort_onesweep_sort_config_static_selectorELNS0_4arch9wavefront6targetE1EEEvSK_,@function
_ZN7rocprim17ROCPRIM_400000_NS6detail17trampoline_kernelINS0_14default_configENS1_35radix_sort_onesweep_config_selectorIiNS0_10empty_typeEEEZZNS1_29radix_sort_onesweep_iterationIS3_Lb1EN6thrust23THRUST_200600_302600_NS6detail15normal_iteratorINS9_10device_ptrIiEEEESE_PS5_SF_jNS0_19identity_decomposerENS1_16block_id_wrapperIjLb0EEEEE10hipError_tT1_PNSt15iterator_traitsISK_E10value_typeET2_T3_PNSL_ISQ_E10value_typeET4_T5_PSV_SW_PNS1_23onesweep_lookback_stateEbbT6_jjT7_P12ihipStream_tbENKUlT_T0_SK_SP_E_clISE_PiSF_SF_EEDaS13_S14_SK_SP_EUlS13_E_NS1_11comp_targetILNS1_3genE3ELNS1_11target_archE908ELNS1_3gpuE7ELNS1_3repE0EEENS1_47radix_sort_onesweep_sort_config_static_selectorELNS0_4arch9wavefront6targetE1EEEvSK_: ; @_ZN7rocprim17ROCPRIM_400000_NS6detail17trampoline_kernelINS0_14default_configENS1_35radix_sort_onesweep_config_selectorIiNS0_10empty_typeEEEZZNS1_29radix_sort_onesweep_iterationIS3_Lb1EN6thrust23THRUST_200600_302600_NS6detail15normal_iteratorINS9_10device_ptrIiEEEESE_PS5_SF_jNS0_19identity_decomposerENS1_16block_id_wrapperIjLb0EEEEE10hipError_tT1_PNSt15iterator_traitsISK_E10value_typeET2_T3_PNSL_ISQ_E10value_typeET4_T5_PSV_SW_PNS1_23onesweep_lookback_stateEbbT6_jjT7_P12ihipStream_tbENKUlT_T0_SK_SP_E_clISE_PiSF_SF_EEDaS13_S14_SK_SP_EUlS13_E_NS1_11comp_targetILNS1_3genE3ELNS1_11target_archE908ELNS1_3gpuE7ELNS1_3repE0EEENS1_47radix_sort_onesweep_sort_config_static_selectorELNS0_4arch9wavefront6targetE1EEEvSK_
; %bb.0:
	.section	.rodata,"a",@progbits
	.p2align	6, 0x0
	.amdhsa_kernel _ZN7rocprim17ROCPRIM_400000_NS6detail17trampoline_kernelINS0_14default_configENS1_35radix_sort_onesweep_config_selectorIiNS0_10empty_typeEEEZZNS1_29radix_sort_onesweep_iterationIS3_Lb1EN6thrust23THRUST_200600_302600_NS6detail15normal_iteratorINS9_10device_ptrIiEEEESE_PS5_SF_jNS0_19identity_decomposerENS1_16block_id_wrapperIjLb0EEEEE10hipError_tT1_PNSt15iterator_traitsISK_E10value_typeET2_T3_PNSL_ISQ_E10value_typeET4_T5_PSV_SW_PNS1_23onesweep_lookback_stateEbbT6_jjT7_P12ihipStream_tbENKUlT_T0_SK_SP_E_clISE_PiSF_SF_EEDaS13_S14_SK_SP_EUlS13_E_NS1_11comp_targetILNS1_3genE3ELNS1_11target_archE908ELNS1_3gpuE7ELNS1_3repE0EEENS1_47radix_sort_onesweep_sort_config_static_selectorELNS0_4arch9wavefront6targetE1EEEvSK_
		.amdhsa_group_segment_fixed_size 0
		.amdhsa_private_segment_fixed_size 0
		.amdhsa_kernarg_size 88
		.amdhsa_user_sgpr_count 2
		.amdhsa_user_sgpr_dispatch_ptr 0
		.amdhsa_user_sgpr_queue_ptr 0
		.amdhsa_user_sgpr_kernarg_segment_ptr 1
		.amdhsa_user_sgpr_dispatch_id 0
		.amdhsa_user_sgpr_kernarg_preload_length 0
		.amdhsa_user_sgpr_kernarg_preload_offset 0
		.amdhsa_user_sgpr_private_segment_size 0
		.amdhsa_uses_dynamic_stack 0
		.amdhsa_enable_private_segment 0
		.amdhsa_system_sgpr_workgroup_id_x 1
		.amdhsa_system_sgpr_workgroup_id_y 0
		.amdhsa_system_sgpr_workgroup_id_z 0
		.amdhsa_system_sgpr_workgroup_info 0
		.amdhsa_system_vgpr_workitem_id 0
		.amdhsa_next_free_vgpr 1
		.amdhsa_next_free_sgpr 0
		.amdhsa_accum_offset 4
		.amdhsa_reserve_vcc 0
		.amdhsa_float_round_mode_32 0
		.amdhsa_float_round_mode_16_64 0
		.amdhsa_float_denorm_mode_32 3
		.amdhsa_float_denorm_mode_16_64 3
		.amdhsa_dx10_clamp 1
		.amdhsa_ieee_mode 1
		.amdhsa_fp16_overflow 0
		.amdhsa_tg_split 0
		.amdhsa_exception_fp_ieee_invalid_op 0
		.amdhsa_exception_fp_denorm_src 0
		.amdhsa_exception_fp_ieee_div_zero 0
		.amdhsa_exception_fp_ieee_overflow 0
		.amdhsa_exception_fp_ieee_underflow 0
		.amdhsa_exception_fp_ieee_inexact 0
		.amdhsa_exception_int_div_zero 0
	.end_amdhsa_kernel
	.section	.text._ZN7rocprim17ROCPRIM_400000_NS6detail17trampoline_kernelINS0_14default_configENS1_35radix_sort_onesweep_config_selectorIiNS0_10empty_typeEEEZZNS1_29radix_sort_onesweep_iterationIS3_Lb1EN6thrust23THRUST_200600_302600_NS6detail15normal_iteratorINS9_10device_ptrIiEEEESE_PS5_SF_jNS0_19identity_decomposerENS1_16block_id_wrapperIjLb0EEEEE10hipError_tT1_PNSt15iterator_traitsISK_E10value_typeET2_T3_PNSL_ISQ_E10value_typeET4_T5_PSV_SW_PNS1_23onesweep_lookback_stateEbbT6_jjT7_P12ihipStream_tbENKUlT_T0_SK_SP_E_clISE_PiSF_SF_EEDaS13_S14_SK_SP_EUlS13_E_NS1_11comp_targetILNS1_3genE3ELNS1_11target_archE908ELNS1_3gpuE7ELNS1_3repE0EEENS1_47radix_sort_onesweep_sort_config_static_selectorELNS0_4arch9wavefront6targetE1EEEvSK_,"axG",@progbits,_ZN7rocprim17ROCPRIM_400000_NS6detail17trampoline_kernelINS0_14default_configENS1_35radix_sort_onesweep_config_selectorIiNS0_10empty_typeEEEZZNS1_29radix_sort_onesweep_iterationIS3_Lb1EN6thrust23THRUST_200600_302600_NS6detail15normal_iteratorINS9_10device_ptrIiEEEESE_PS5_SF_jNS0_19identity_decomposerENS1_16block_id_wrapperIjLb0EEEEE10hipError_tT1_PNSt15iterator_traitsISK_E10value_typeET2_T3_PNSL_ISQ_E10value_typeET4_T5_PSV_SW_PNS1_23onesweep_lookback_stateEbbT6_jjT7_P12ihipStream_tbENKUlT_T0_SK_SP_E_clISE_PiSF_SF_EEDaS13_S14_SK_SP_EUlS13_E_NS1_11comp_targetILNS1_3genE3ELNS1_11target_archE908ELNS1_3gpuE7ELNS1_3repE0EEENS1_47radix_sort_onesweep_sort_config_static_selectorELNS0_4arch9wavefront6targetE1EEEvSK_,comdat
.Lfunc_end377:
	.size	_ZN7rocprim17ROCPRIM_400000_NS6detail17trampoline_kernelINS0_14default_configENS1_35radix_sort_onesweep_config_selectorIiNS0_10empty_typeEEEZZNS1_29radix_sort_onesweep_iterationIS3_Lb1EN6thrust23THRUST_200600_302600_NS6detail15normal_iteratorINS9_10device_ptrIiEEEESE_PS5_SF_jNS0_19identity_decomposerENS1_16block_id_wrapperIjLb0EEEEE10hipError_tT1_PNSt15iterator_traitsISK_E10value_typeET2_T3_PNSL_ISQ_E10value_typeET4_T5_PSV_SW_PNS1_23onesweep_lookback_stateEbbT6_jjT7_P12ihipStream_tbENKUlT_T0_SK_SP_E_clISE_PiSF_SF_EEDaS13_S14_SK_SP_EUlS13_E_NS1_11comp_targetILNS1_3genE3ELNS1_11target_archE908ELNS1_3gpuE7ELNS1_3repE0EEENS1_47radix_sort_onesweep_sort_config_static_selectorELNS0_4arch9wavefront6targetE1EEEvSK_, .Lfunc_end377-_ZN7rocprim17ROCPRIM_400000_NS6detail17trampoline_kernelINS0_14default_configENS1_35radix_sort_onesweep_config_selectorIiNS0_10empty_typeEEEZZNS1_29radix_sort_onesweep_iterationIS3_Lb1EN6thrust23THRUST_200600_302600_NS6detail15normal_iteratorINS9_10device_ptrIiEEEESE_PS5_SF_jNS0_19identity_decomposerENS1_16block_id_wrapperIjLb0EEEEE10hipError_tT1_PNSt15iterator_traitsISK_E10value_typeET2_T3_PNSL_ISQ_E10value_typeET4_T5_PSV_SW_PNS1_23onesweep_lookback_stateEbbT6_jjT7_P12ihipStream_tbENKUlT_T0_SK_SP_E_clISE_PiSF_SF_EEDaS13_S14_SK_SP_EUlS13_E_NS1_11comp_targetILNS1_3genE3ELNS1_11target_archE908ELNS1_3gpuE7ELNS1_3repE0EEENS1_47radix_sort_onesweep_sort_config_static_selectorELNS0_4arch9wavefront6targetE1EEEvSK_
                                        ; -- End function
	.set _ZN7rocprim17ROCPRIM_400000_NS6detail17trampoline_kernelINS0_14default_configENS1_35radix_sort_onesweep_config_selectorIiNS0_10empty_typeEEEZZNS1_29radix_sort_onesweep_iterationIS3_Lb1EN6thrust23THRUST_200600_302600_NS6detail15normal_iteratorINS9_10device_ptrIiEEEESE_PS5_SF_jNS0_19identity_decomposerENS1_16block_id_wrapperIjLb0EEEEE10hipError_tT1_PNSt15iterator_traitsISK_E10value_typeET2_T3_PNSL_ISQ_E10value_typeET4_T5_PSV_SW_PNS1_23onesweep_lookback_stateEbbT6_jjT7_P12ihipStream_tbENKUlT_T0_SK_SP_E_clISE_PiSF_SF_EEDaS13_S14_SK_SP_EUlS13_E_NS1_11comp_targetILNS1_3genE3ELNS1_11target_archE908ELNS1_3gpuE7ELNS1_3repE0EEENS1_47radix_sort_onesweep_sort_config_static_selectorELNS0_4arch9wavefront6targetE1EEEvSK_.num_vgpr, 0
	.set _ZN7rocprim17ROCPRIM_400000_NS6detail17trampoline_kernelINS0_14default_configENS1_35radix_sort_onesweep_config_selectorIiNS0_10empty_typeEEEZZNS1_29radix_sort_onesweep_iterationIS3_Lb1EN6thrust23THRUST_200600_302600_NS6detail15normal_iteratorINS9_10device_ptrIiEEEESE_PS5_SF_jNS0_19identity_decomposerENS1_16block_id_wrapperIjLb0EEEEE10hipError_tT1_PNSt15iterator_traitsISK_E10value_typeET2_T3_PNSL_ISQ_E10value_typeET4_T5_PSV_SW_PNS1_23onesweep_lookback_stateEbbT6_jjT7_P12ihipStream_tbENKUlT_T0_SK_SP_E_clISE_PiSF_SF_EEDaS13_S14_SK_SP_EUlS13_E_NS1_11comp_targetILNS1_3genE3ELNS1_11target_archE908ELNS1_3gpuE7ELNS1_3repE0EEENS1_47radix_sort_onesweep_sort_config_static_selectorELNS0_4arch9wavefront6targetE1EEEvSK_.num_agpr, 0
	.set _ZN7rocprim17ROCPRIM_400000_NS6detail17trampoline_kernelINS0_14default_configENS1_35radix_sort_onesweep_config_selectorIiNS0_10empty_typeEEEZZNS1_29radix_sort_onesweep_iterationIS3_Lb1EN6thrust23THRUST_200600_302600_NS6detail15normal_iteratorINS9_10device_ptrIiEEEESE_PS5_SF_jNS0_19identity_decomposerENS1_16block_id_wrapperIjLb0EEEEE10hipError_tT1_PNSt15iterator_traitsISK_E10value_typeET2_T3_PNSL_ISQ_E10value_typeET4_T5_PSV_SW_PNS1_23onesweep_lookback_stateEbbT6_jjT7_P12ihipStream_tbENKUlT_T0_SK_SP_E_clISE_PiSF_SF_EEDaS13_S14_SK_SP_EUlS13_E_NS1_11comp_targetILNS1_3genE3ELNS1_11target_archE908ELNS1_3gpuE7ELNS1_3repE0EEENS1_47radix_sort_onesweep_sort_config_static_selectorELNS0_4arch9wavefront6targetE1EEEvSK_.numbered_sgpr, 0
	.set _ZN7rocprim17ROCPRIM_400000_NS6detail17trampoline_kernelINS0_14default_configENS1_35radix_sort_onesweep_config_selectorIiNS0_10empty_typeEEEZZNS1_29radix_sort_onesweep_iterationIS3_Lb1EN6thrust23THRUST_200600_302600_NS6detail15normal_iteratorINS9_10device_ptrIiEEEESE_PS5_SF_jNS0_19identity_decomposerENS1_16block_id_wrapperIjLb0EEEEE10hipError_tT1_PNSt15iterator_traitsISK_E10value_typeET2_T3_PNSL_ISQ_E10value_typeET4_T5_PSV_SW_PNS1_23onesweep_lookback_stateEbbT6_jjT7_P12ihipStream_tbENKUlT_T0_SK_SP_E_clISE_PiSF_SF_EEDaS13_S14_SK_SP_EUlS13_E_NS1_11comp_targetILNS1_3genE3ELNS1_11target_archE908ELNS1_3gpuE7ELNS1_3repE0EEENS1_47radix_sort_onesweep_sort_config_static_selectorELNS0_4arch9wavefront6targetE1EEEvSK_.num_named_barrier, 0
	.set _ZN7rocprim17ROCPRIM_400000_NS6detail17trampoline_kernelINS0_14default_configENS1_35radix_sort_onesweep_config_selectorIiNS0_10empty_typeEEEZZNS1_29radix_sort_onesweep_iterationIS3_Lb1EN6thrust23THRUST_200600_302600_NS6detail15normal_iteratorINS9_10device_ptrIiEEEESE_PS5_SF_jNS0_19identity_decomposerENS1_16block_id_wrapperIjLb0EEEEE10hipError_tT1_PNSt15iterator_traitsISK_E10value_typeET2_T3_PNSL_ISQ_E10value_typeET4_T5_PSV_SW_PNS1_23onesweep_lookback_stateEbbT6_jjT7_P12ihipStream_tbENKUlT_T0_SK_SP_E_clISE_PiSF_SF_EEDaS13_S14_SK_SP_EUlS13_E_NS1_11comp_targetILNS1_3genE3ELNS1_11target_archE908ELNS1_3gpuE7ELNS1_3repE0EEENS1_47radix_sort_onesweep_sort_config_static_selectorELNS0_4arch9wavefront6targetE1EEEvSK_.private_seg_size, 0
	.set _ZN7rocprim17ROCPRIM_400000_NS6detail17trampoline_kernelINS0_14default_configENS1_35radix_sort_onesweep_config_selectorIiNS0_10empty_typeEEEZZNS1_29radix_sort_onesweep_iterationIS3_Lb1EN6thrust23THRUST_200600_302600_NS6detail15normal_iteratorINS9_10device_ptrIiEEEESE_PS5_SF_jNS0_19identity_decomposerENS1_16block_id_wrapperIjLb0EEEEE10hipError_tT1_PNSt15iterator_traitsISK_E10value_typeET2_T3_PNSL_ISQ_E10value_typeET4_T5_PSV_SW_PNS1_23onesweep_lookback_stateEbbT6_jjT7_P12ihipStream_tbENKUlT_T0_SK_SP_E_clISE_PiSF_SF_EEDaS13_S14_SK_SP_EUlS13_E_NS1_11comp_targetILNS1_3genE3ELNS1_11target_archE908ELNS1_3gpuE7ELNS1_3repE0EEENS1_47radix_sort_onesweep_sort_config_static_selectorELNS0_4arch9wavefront6targetE1EEEvSK_.uses_vcc, 0
	.set _ZN7rocprim17ROCPRIM_400000_NS6detail17trampoline_kernelINS0_14default_configENS1_35radix_sort_onesweep_config_selectorIiNS0_10empty_typeEEEZZNS1_29radix_sort_onesweep_iterationIS3_Lb1EN6thrust23THRUST_200600_302600_NS6detail15normal_iteratorINS9_10device_ptrIiEEEESE_PS5_SF_jNS0_19identity_decomposerENS1_16block_id_wrapperIjLb0EEEEE10hipError_tT1_PNSt15iterator_traitsISK_E10value_typeET2_T3_PNSL_ISQ_E10value_typeET4_T5_PSV_SW_PNS1_23onesweep_lookback_stateEbbT6_jjT7_P12ihipStream_tbENKUlT_T0_SK_SP_E_clISE_PiSF_SF_EEDaS13_S14_SK_SP_EUlS13_E_NS1_11comp_targetILNS1_3genE3ELNS1_11target_archE908ELNS1_3gpuE7ELNS1_3repE0EEENS1_47radix_sort_onesweep_sort_config_static_selectorELNS0_4arch9wavefront6targetE1EEEvSK_.uses_flat_scratch, 0
	.set _ZN7rocprim17ROCPRIM_400000_NS6detail17trampoline_kernelINS0_14default_configENS1_35radix_sort_onesweep_config_selectorIiNS0_10empty_typeEEEZZNS1_29radix_sort_onesweep_iterationIS3_Lb1EN6thrust23THRUST_200600_302600_NS6detail15normal_iteratorINS9_10device_ptrIiEEEESE_PS5_SF_jNS0_19identity_decomposerENS1_16block_id_wrapperIjLb0EEEEE10hipError_tT1_PNSt15iterator_traitsISK_E10value_typeET2_T3_PNSL_ISQ_E10value_typeET4_T5_PSV_SW_PNS1_23onesweep_lookback_stateEbbT6_jjT7_P12ihipStream_tbENKUlT_T0_SK_SP_E_clISE_PiSF_SF_EEDaS13_S14_SK_SP_EUlS13_E_NS1_11comp_targetILNS1_3genE3ELNS1_11target_archE908ELNS1_3gpuE7ELNS1_3repE0EEENS1_47radix_sort_onesweep_sort_config_static_selectorELNS0_4arch9wavefront6targetE1EEEvSK_.has_dyn_sized_stack, 0
	.set _ZN7rocprim17ROCPRIM_400000_NS6detail17trampoline_kernelINS0_14default_configENS1_35radix_sort_onesweep_config_selectorIiNS0_10empty_typeEEEZZNS1_29radix_sort_onesweep_iterationIS3_Lb1EN6thrust23THRUST_200600_302600_NS6detail15normal_iteratorINS9_10device_ptrIiEEEESE_PS5_SF_jNS0_19identity_decomposerENS1_16block_id_wrapperIjLb0EEEEE10hipError_tT1_PNSt15iterator_traitsISK_E10value_typeET2_T3_PNSL_ISQ_E10value_typeET4_T5_PSV_SW_PNS1_23onesweep_lookback_stateEbbT6_jjT7_P12ihipStream_tbENKUlT_T0_SK_SP_E_clISE_PiSF_SF_EEDaS13_S14_SK_SP_EUlS13_E_NS1_11comp_targetILNS1_3genE3ELNS1_11target_archE908ELNS1_3gpuE7ELNS1_3repE0EEENS1_47radix_sort_onesweep_sort_config_static_selectorELNS0_4arch9wavefront6targetE1EEEvSK_.has_recursion, 0
	.set _ZN7rocprim17ROCPRIM_400000_NS6detail17trampoline_kernelINS0_14default_configENS1_35radix_sort_onesweep_config_selectorIiNS0_10empty_typeEEEZZNS1_29radix_sort_onesweep_iterationIS3_Lb1EN6thrust23THRUST_200600_302600_NS6detail15normal_iteratorINS9_10device_ptrIiEEEESE_PS5_SF_jNS0_19identity_decomposerENS1_16block_id_wrapperIjLb0EEEEE10hipError_tT1_PNSt15iterator_traitsISK_E10value_typeET2_T3_PNSL_ISQ_E10value_typeET4_T5_PSV_SW_PNS1_23onesweep_lookback_stateEbbT6_jjT7_P12ihipStream_tbENKUlT_T0_SK_SP_E_clISE_PiSF_SF_EEDaS13_S14_SK_SP_EUlS13_E_NS1_11comp_targetILNS1_3genE3ELNS1_11target_archE908ELNS1_3gpuE7ELNS1_3repE0EEENS1_47radix_sort_onesweep_sort_config_static_selectorELNS0_4arch9wavefront6targetE1EEEvSK_.has_indirect_call, 0
	.section	.AMDGPU.csdata,"",@progbits
; Kernel info:
; codeLenInByte = 0
; TotalNumSgprs: 6
; NumVgprs: 0
; NumAgprs: 0
; TotalNumVgprs: 0
; ScratchSize: 0
; MemoryBound: 0
; FloatMode: 240
; IeeeMode: 1
; LDSByteSize: 0 bytes/workgroup (compile time only)
; SGPRBlocks: 0
; VGPRBlocks: 0
; NumSGPRsForWavesPerEU: 6
; NumVGPRsForWavesPerEU: 1
; AccumOffset: 4
; Occupancy: 8
; WaveLimiterHint : 0
; COMPUTE_PGM_RSRC2:SCRATCH_EN: 0
; COMPUTE_PGM_RSRC2:USER_SGPR: 2
; COMPUTE_PGM_RSRC2:TRAP_HANDLER: 0
; COMPUTE_PGM_RSRC2:TGID_X_EN: 1
; COMPUTE_PGM_RSRC2:TGID_Y_EN: 0
; COMPUTE_PGM_RSRC2:TGID_Z_EN: 0
; COMPUTE_PGM_RSRC2:TIDIG_COMP_CNT: 0
; COMPUTE_PGM_RSRC3_GFX90A:ACCUM_OFFSET: 0
; COMPUTE_PGM_RSRC3_GFX90A:TG_SPLIT: 0
	.section	.text._ZN7rocprim17ROCPRIM_400000_NS6detail17trampoline_kernelINS0_14default_configENS1_35radix_sort_onesweep_config_selectorIiNS0_10empty_typeEEEZZNS1_29radix_sort_onesweep_iterationIS3_Lb1EN6thrust23THRUST_200600_302600_NS6detail15normal_iteratorINS9_10device_ptrIiEEEESE_PS5_SF_jNS0_19identity_decomposerENS1_16block_id_wrapperIjLb0EEEEE10hipError_tT1_PNSt15iterator_traitsISK_E10value_typeET2_T3_PNSL_ISQ_E10value_typeET4_T5_PSV_SW_PNS1_23onesweep_lookback_stateEbbT6_jjT7_P12ihipStream_tbENKUlT_T0_SK_SP_E_clISE_PiSF_SF_EEDaS13_S14_SK_SP_EUlS13_E_NS1_11comp_targetILNS1_3genE10ELNS1_11target_archE1201ELNS1_3gpuE5ELNS1_3repE0EEENS1_47radix_sort_onesweep_sort_config_static_selectorELNS0_4arch9wavefront6targetE1EEEvSK_,"axG",@progbits,_ZN7rocprim17ROCPRIM_400000_NS6detail17trampoline_kernelINS0_14default_configENS1_35radix_sort_onesweep_config_selectorIiNS0_10empty_typeEEEZZNS1_29radix_sort_onesweep_iterationIS3_Lb1EN6thrust23THRUST_200600_302600_NS6detail15normal_iteratorINS9_10device_ptrIiEEEESE_PS5_SF_jNS0_19identity_decomposerENS1_16block_id_wrapperIjLb0EEEEE10hipError_tT1_PNSt15iterator_traitsISK_E10value_typeET2_T3_PNSL_ISQ_E10value_typeET4_T5_PSV_SW_PNS1_23onesweep_lookback_stateEbbT6_jjT7_P12ihipStream_tbENKUlT_T0_SK_SP_E_clISE_PiSF_SF_EEDaS13_S14_SK_SP_EUlS13_E_NS1_11comp_targetILNS1_3genE10ELNS1_11target_archE1201ELNS1_3gpuE5ELNS1_3repE0EEENS1_47radix_sort_onesweep_sort_config_static_selectorELNS0_4arch9wavefront6targetE1EEEvSK_,comdat
	.protected	_ZN7rocprim17ROCPRIM_400000_NS6detail17trampoline_kernelINS0_14default_configENS1_35radix_sort_onesweep_config_selectorIiNS0_10empty_typeEEEZZNS1_29radix_sort_onesweep_iterationIS3_Lb1EN6thrust23THRUST_200600_302600_NS6detail15normal_iteratorINS9_10device_ptrIiEEEESE_PS5_SF_jNS0_19identity_decomposerENS1_16block_id_wrapperIjLb0EEEEE10hipError_tT1_PNSt15iterator_traitsISK_E10value_typeET2_T3_PNSL_ISQ_E10value_typeET4_T5_PSV_SW_PNS1_23onesweep_lookback_stateEbbT6_jjT7_P12ihipStream_tbENKUlT_T0_SK_SP_E_clISE_PiSF_SF_EEDaS13_S14_SK_SP_EUlS13_E_NS1_11comp_targetILNS1_3genE10ELNS1_11target_archE1201ELNS1_3gpuE5ELNS1_3repE0EEENS1_47radix_sort_onesweep_sort_config_static_selectorELNS0_4arch9wavefront6targetE1EEEvSK_ ; -- Begin function _ZN7rocprim17ROCPRIM_400000_NS6detail17trampoline_kernelINS0_14default_configENS1_35radix_sort_onesweep_config_selectorIiNS0_10empty_typeEEEZZNS1_29radix_sort_onesweep_iterationIS3_Lb1EN6thrust23THRUST_200600_302600_NS6detail15normal_iteratorINS9_10device_ptrIiEEEESE_PS5_SF_jNS0_19identity_decomposerENS1_16block_id_wrapperIjLb0EEEEE10hipError_tT1_PNSt15iterator_traitsISK_E10value_typeET2_T3_PNSL_ISQ_E10value_typeET4_T5_PSV_SW_PNS1_23onesweep_lookback_stateEbbT6_jjT7_P12ihipStream_tbENKUlT_T0_SK_SP_E_clISE_PiSF_SF_EEDaS13_S14_SK_SP_EUlS13_E_NS1_11comp_targetILNS1_3genE10ELNS1_11target_archE1201ELNS1_3gpuE5ELNS1_3repE0EEENS1_47radix_sort_onesweep_sort_config_static_selectorELNS0_4arch9wavefront6targetE1EEEvSK_
	.globl	_ZN7rocprim17ROCPRIM_400000_NS6detail17trampoline_kernelINS0_14default_configENS1_35radix_sort_onesweep_config_selectorIiNS0_10empty_typeEEEZZNS1_29radix_sort_onesweep_iterationIS3_Lb1EN6thrust23THRUST_200600_302600_NS6detail15normal_iteratorINS9_10device_ptrIiEEEESE_PS5_SF_jNS0_19identity_decomposerENS1_16block_id_wrapperIjLb0EEEEE10hipError_tT1_PNSt15iterator_traitsISK_E10value_typeET2_T3_PNSL_ISQ_E10value_typeET4_T5_PSV_SW_PNS1_23onesweep_lookback_stateEbbT6_jjT7_P12ihipStream_tbENKUlT_T0_SK_SP_E_clISE_PiSF_SF_EEDaS13_S14_SK_SP_EUlS13_E_NS1_11comp_targetILNS1_3genE10ELNS1_11target_archE1201ELNS1_3gpuE5ELNS1_3repE0EEENS1_47radix_sort_onesweep_sort_config_static_selectorELNS0_4arch9wavefront6targetE1EEEvSK_
	.p2align	8
	.type	_ZN7rocprim17ROCPRIM_400000_NS6detail17trampoline_kernelINS0_14default_configENS1_35radix_sort_onesweep_config_selectorIiNS0_10empty_typeEEEZZNS1_29radix_sort_onesweep_iterationIS3_Lb1EN6thrust23THRUST_200600_302600_NS6detail15normal_iteratorINS9_10device_ptrIiEEEESE_PS5_SF_jNS0_19identity_decomposerENS1_16block_id_wrapperIjLb0EEEEE10hipError_tT1_PNSt15iterator_traitsISK_E10value_typeET2_T3_PNSL_ISQ_E10value_typeET4_T5_PSV_SW_PNS1_23onesweep_lookback_stateEbbT6_jjT7_P12ihipStream_tbENKUlT_T0_SK_SP_E_clISE_PiSF_SF_EEDaS13_S14_SK_SP_EUlS13_E_NS1_11comp_targetILNS1_3genE10ELNS1_11target_archE1201ELNS1_3gpuE5ELNS1_3repE0EEENS1_47radix_sort_onesweep_sort_config_static_selectorELNS0_4arch9wavefront6targetE1EEEvSK_,@function
_ZN7rocprim17ROCPRIM_400000_NS6detail17trampoline_kernelINS0_14default_configENS1_35radix_sort_onesweep_config_selectorIiNS0_10empty_typeEEEZZNS1_29radix_sort_onesweep_iterationIS3_Lb1EN6thrust23THRUST_200600_302600_NS6detail15normal_iteratorINS9_10device_ptrIiEEEESE_PS5_SF_jNS0_19identity_decomposerENS1_16block_id_wrapperIjLb0EEEEE10hipError_tT1_PNSt15iterator_traitsISK_E10value_typeET2_T3_PNSL_ISQ_E10value_typeET4_T5_PSV_SW_PNS1_23onesweep_lookback_stateEbbT6_jjT7_P12ihipStream_tbENKUlT_T0_SK_SP_E_clISE_PiSF_SF_EEDaS13_S14_SK_SP_EUlS13_E_NS1_11comp_targetILNS1_3genE10ELNS1_11target_archE1201ELNS1_3gpuE5ELNS1_3repE0EEENS1_47radix_sort_onesweep_sort_config_static_selectorELNS0_4arch9wavefront6targetE1EEEvSK_: ; @_ZN7rocprim17ROCPRIM_400000_NS6detail17trampoline_kernelINS0_14default_configENS1_35radix_sort_onesweep_config_selectorIiNS0_10empty_typeEEEZZNS1_29radix_sort_onesweep_iterationIS3_Lb1EN6thrust23THRUST_200600_302600_NS6detail15normal_iteratorINS9_10device_ptrIiEEEESE_PS5_SF_jNS0_19identity_decomposerENS1_16block_id_wrapperIjLb0EEEEE10hipError_tT1_PNSt15iterator_traitsISK_E10value_typeET2_T3_PNSL_ISQ_E10value_typeET4_T5_PSV_SW_PNS1_23onesweep_lookback_stateEbbT6_jjT7_P12ihipStream_tbENKUlT_T0_SK_SP_E_clISE_PiSF_SF_EEDaS13_S14_SK_SP_EUlS13_E_NS1_11comp_targetILNS1_3genE10ELNS1_11target_archE1201ELNS1_3gpuE5ELNS1_3repE0EEENS1_47radix_sort_onesweep_sort_config_static_selectorELNS0_4arch9wavefront6targetE1EEEvSK_
; %bb.0:
	.section	.rodata,"a",@progbits
	.p2align	6, 0x0
	.amdhsa_kernel _ZN7rocprim17ROCPRIM_400000_NS6detail17trampoline_kernelINS0_14default_configENS1_35radix_sort_onesweep_config_selectorIiNS0_10empty_typeEEEZZNS1_29radix_sort_onesweep_iterationIS3_Lb1EN6thrust23THRUST_200600_302600_NS6detail15normal_iteratorINS9_10device_ptrIiEEEESE_PS5_SF_jNS0_19identity_decomposerENS1_16block_id_wrapperIjLb0EEEEE10hipError_tT1_PNSt15iterator_traitsISK_E10value_typeET2_T3_PNSL_ISQ_E10value_typeET4_T5_PSV_SW_PNS1_23onesweep_lookback_stateEbbT6_jjT7_P12ihipStream_tbENKUlT_T0_SK_SP_E_clISE_PiSF_SF_EEDaS13_S14_SK_SP_EUlS13_E_NS1_11comp_targetILNS1_3genE10ELNS1_11target_archE1201ELNS1_3gpuE5ELNS1_3repE0EEENS1_47radix_sort_onesweep_sort_config_static_selectorELNS0_4arch9wavefront6targetE1EEEvSK_
		.amdhsa_group_segment_fixed_size 0
		.amdhsa_private_segment_fixed_size 0
		.amdhsa_kernarg_size 88
		.amdhsa_user_sgpr_count 2
		.amdhsa_user_sgpr_dispatch_ptr 0
		.amdhsa_user_sgpr_queue_ptr 0
		.amdhsa_user_sgpr_kernarg_segment_ptr 1
		.amdhsa_user_sgpr_dispatch_id 0
		.amdhsa_user_sgpr_kernarg_preload_length 0
		.amdhsa_user_sgpr_kernarg_preload_offset 0
		.amdhsa_user_sgpr_private_segment_size 0
		.amdhsa_uses_dynamic_stack 0
		.amdhsa_enable_private_segment 0
		.amdhsa_system_sgpr_workgroup_id_x 1
		.amdhsa_system_sgpr_workgroup_id_y 0
		.amdhsa_system_sgpr_workgroup_id_z 0
		.amdhsa_system_sgpr_workgroup_info 0
		.amdhsa_system_vgpr_workitem_id 0
		.amdhsa_next_free_vgpr 1
		.amdhsa_next_free_sgpr 0
		.amdhsa_accum_offset 4
		.amdhsa_reserve_vcc 0
		.amdhsa_float_round_mode_32 0
		.amdhsa_float_round_mode_16_64 0
		.amdhsa_float_denorm_mode_32 3
		.amdhsa_float_denorm_mode_16_64 3
		.amdhsa_dx10_clamp 1
		.amdhsa_ieee_mode 1
		.amdhsa_fp16_overflow 0
		.amdhsa_tg_split 0
		.amdhsa_exception_fp_ieee_invalid_op 0
		.amdhsa_exception_fp_denorm_src 0
		.amdhsa_exception_fp_ieee_div_zero 0
		.amdhsa_exception_fp_ieee_overflow 0
		.amdhsa_exception_fp_ieee_underflow 0
		.amdhsa_exception_fp_ieee_inexact 0
		.amdhsa_exception_int_div_zero 0
	.end_amdhsa_kernel
	.section	.text._ZN7rocprim17ROCPRIM_400000_NS6detail17trampoline_kernelINS0_14default_configENS1_35radix_sort_onesweep_config_selectorIiNS0_10empty_typeEEEZZNS1_29radix_sort_onesweep_iterationIS3_Lb1EN6thrust23THRUST_200600_302600_NS6detail15normal_iteratorINS9_10device_ptrIiEEEESE_PS5_SF_jNS0_19identity_decomposerENS1_16block_id_wrapperIjLb0EEEEE10hipError_tT1_PNSt15iterator_traitsISK_E10value_typeET2_T3_PNSL_ISQ_E10value_typeET4_T5_PSV_SW_PNS1_23onesweep_lookback_stateEbbT6_jjT7_P12ihipStream_tbENKUlT_T0_SK_SP_E_clISE_PiSF_SF_EEDaS13_S14_SK_SP_EUlS13_E_NS1_11comp_targetILNS1_3genE10ELNS1_11target_archE1201ELNS1_3gpuE5ELNS1_3repE0EEENS1_47radix_sort_onesweep_sort_config_static_selectorELNS0_4arch9wavefront6targetE1EEEvSK_,"axG",@progbits,_ZN7rocprim17ROCPRIM_400000_NS6detail17trampoline_kernelINS0_14default_configENS1_35radix_sort_onesweep_config_selectorIiNS0_10empty_typeEEEZZNS1_29radix_sort_onesweep_iterationIS3_Lb1EN6thrust23THRUST_200600_302600_NS6detail15normal_iteratorINS9_10device_ptrIiEEEESE_PS5_SF_jNS0_19identity_decomposerENS1_16block_id_wrapperIjLb0EEEEE10hipError_tT1_PNSt15iterator_traitsISK_E10value_typeET2_T3_PNSL_ISQ_E10value_typeET4_T5_PSV_SW_PNS1_23onesweep_lookback_stateEbbT6_jjT7_P12ihipStream_tbENKUlT_T0_SK_SP_E_clISE_PiSF_SF_EEDaS13_S14_SK_SP_EUlS13_E_NS1_11comp_targetILNS1_3genE10ELNS1_11target_archE1201ELNS1_3gpuE5ELNS1_3repE0EEENS1_47radix_sort_onesweep_sort_config_static_selectorELNS0_4arch9wavefront6targetE1EEEvSK_,comdat
.Lfunc_end378:
	.size	_ZN7rocprim17ROCPRIM_400000_NS6detail17trampoline_kernelINS0_14default_configENS1_35radix_sort_onesweep_config_selectorIiNS0_10empty_typeEEEZZNS1_29radix_sort_onesweep_iterationIS3_Lb1EN6thrust23THRUST_200600_302600_NS6detail15normal_iteratorINS9_10device_ptrIiEEEESE_PS5_SF_jNS0_19identity_decomposerENS1_16block_id_wrapperIjLb0EEEEE10hipError_tT1_PNSt15iterator_traitsISK_E10value_typeET2_T3_PNSL_ISQ_E10value_typeET4_T5_PSV_SW_PNS1_23onesweep_lookback_stateEbbT6_jjT7_P12ihipStream_tbENKUlT_T0_SK_SP_E_clISE_PiSF_SF_EEDaS13_S14_SK_SP_EUlS13_E_NS1_11comp_targetILNS1_3genE10ELNS1_11target_archE1201ELNS1_3gpuE5ELNS1_3repE0EEENS1_47radix_sort_onesweep_sort_config_static_selectorELNS0_4arch9wavefront6targetE1EEEvSK_, .Lfunc_end378-_ZN7rocprim17ROCPRIM_400000_NS6detail17trampoline_kernelINS0_14default_configENS1_35radix_sort_onesweep_config_selectorIiNS0_10empty_typeEEEZZNS1_29radix_sort_onesweep_iterationIS3_Lb1EN6thrust23THRUST_200600_302600_NS6detail15normal_iteratorINS9_10device_ptrIiEEEESE_PS5_SF_jNS0_19identity_decomposerENS1_16block_id_wrapperIjLb0EEEEE10hipError_tT1_PNSt15iterator_traitsISK_E10value_typeET2_T3_PNSL_ISQ_E10value_typeET4_T5_PSV_SW_PNS1_23onesweep_lookback_stateEbbT6_jjT7_P12ihipStream_tbENKUlT_T0_SK_SP_E_clISE_PiSF_SF_EEDaS13_S14_SK_SP_EUlS13_E_NS1_11comp_targetILNS1_3genE10ELNS1_11target_archE1201ELNS1_3gpuE5ELNS1_3repE0EEENS1_47radix_sort_onesweep_sort_config_static_selectorELNS0_4arch9wavefront6targetE1EEEvSK_
                                        ; -- End function
	.set _ZN7rocprim17ROCPRIM_400000_NS6detail17trampoline_kernelINS0_14default_configENS1_35radix_sort_onesweep_config_selectorIiNS0_10empty_typeEEEZZNS1_29radix_sort_onesweep_iterationIS3_Lb1EN6thrust23THRUST_200600_302600_NS6detail15normal_iteratorINS9_10device_ptrIiEEEESE_PS5_SF_jNS0_19identity_decomposerENS1_16block_id_wrapperIjLb0EEEEE10hipError_tT1_PNSt15iterator_traitsISK_E10value_typeET2_T3_PNSL_ISQ_E10value_typeET4_T5_PSV_SW_PNS1_23onesweep_lookback_stateEbbT6_jjT7_P12ihipStream_tbENKUlT_T0_SK_SP_E_clISE_PiSF_SF_EEDaS13_S14_SK_SP_EUlS13_E_NS1_11comp_targetILNS1_3genE10ELNS1_11target_archE1201ELNS1_3gpuE5ELNS1_3repE0EEENS1_47radix_sort_onesweep_sort_config_static_selectorELNS0_4arch9wavefront6targetE1EEEvSK_.num_vgpr, 0
	.set _ZN7rocprim17ROCPRIM_400000_NS6detail17trampoline_kernelINS0_14default_configENS1_35radix_sort_onesweep_config_selectorIiNS0_10empty_typeEEEZZNS1_29radix_sort_onesweep_iterationIS3_Lb1EN6thrust23THRUST_200600_302600_NS6detail15normal_iteratorINS9_10device_ptrIiEEEESE_PS5_SF_jNS0_19identity_decomposerENS1_16block_id_wrapperIjLb0EEEEE10hipError_tT1_PNSt15iterator_traitsISK_E10value_typeET2_T3_PNSL_ISQ_E10value_typeET4_T5_PSV_SW_PNS1_23onesweep_lookback_stateEbbT6_jjT7_P12ihipStream_tbENKUlT_T0_SK_SP_E_clISE_PiSF_SF_EEDaS13_S14_SK_SP_EUlS13_E_NS1_11comp_targetILNS1_3genE10ELNS1_11target_archE1201ELNS1_3gpuE5ELNS1_3repE0EEENS1_47radix_sort_onesweep_sort_config_static_selectorELNS0_4arch9wavefront6targetE1EEEvSK_.num_agpr, 0
	.set _ZN7rocprim17ROCPRIM_400000_NS6detail17trampoline_kernelINS0_14default_configENS1_35radix_sort_onesweep_config_selectorIiNS0_10empty_typeEEEZZNS1_29radix_sort_onesweep_iterationIS3_Lb1EN6thrust23THRUST_200600_302600_NS6detail15normal_iteratorINS9_10device_ptrIiEEEESE_PS5_SF_jNS0_19identity_decomposerENS1_16block_id_wrapperIjLb0EEEEE10hipError_tT1_PNSt15iterator_traitsISK_E10value_typeET2_T3_PNSL_ISQ_E10value_typeET4_T5_PSV_SW_PNS1_23onesweep_lookback_stateEbbT6_jjT7_P12ihipStream_tbENKUlT_T0_SK_SP_E_clISE_PiSF_SF_EEDaS13_S14_SK_SP_EUlS13_E_NS1_11comp_targetILNS1_3genE10ELNS1_11target_archE1201ELNS1_3gpuE5ELNS1_3repE0EEENS1_47radix_sort_onesweep_sort_config_static_selectorELNS0_4arch9wavefront6targetE1EEEvSK_.numbered_sgpr, 0
	.set _ZN7rocprim17ROCPRIM_400000_NS6detail17trampoline_kernelINS0_14default_configENS1_35radix_sort_onesweep_config_selectorIiNS0_10empty_typeEEEZZNS1_29radix_sort_onesweep_iterationIS3_Lb1EN6thrust23THRUST_200600_302600_NS6detail15normal_iteratorINS9_10device_ptrIiEEEESE_PS5_SF_jNS0_19identity_decomposerENS1_16block_id_wrapperIjLb0EEEEE10hipError_tT1_PNSt15iterator_traitsISK_E10value_typeET2_T3_PNSL_ISQ_E10value_typeET4_T5_PSV_SW_PNS1_23onesweep_lookback_stateEbbT6_jjT7_P12ihipStream_tbENKUlT_T0_SK_SP_E_clISE_PiSF_SF_EEDaS13_S14_SK_SP_EUlS13_E_NS1_11comp_targetILNS1_3genE10ELNS1_11target_archE1201ELNS1_3gpuE5ELNS1_3repE0EEENS1_47radix_sort_onesweep_sort_config_static_selectorELNS0_4arch9wavefront6targetE1EEEvSK_.num_named_barrier, 0
	.set _ZN7rocprim17ROCPRIM_400000_NS6detail17trampoline_kernelINS0_14default_configENS1_35radix_sort_onesweep_config_selectorIiNS0_10empty_typeEEEZZNS1_29radix_sort_onesweep_iterationIS3_Lb1EN6thrust23THRUST_200600_302600_NS6detail15normal_iteratorINS9_10device_ptrIiEEEESE_PS5_SF_jNS0_19identity_decomposerENS1_16block_id_wrapperIjLb0EEEEE10hipError_tT1_PNSt15iterator_traitsISK_E10value_typeET2_T3_PNSL_ISQ_E10value_typeET4_T5_PSV_SW_PNS1_23onesweep_lookback_stateEbbT6_jjT7_P12ihipStream_tbENKUlT_T0_SK_SP_E_clISE_PiSF_SF_EEDaS13_S14_SK_SP_EUlS13_E_NS1_11comp_targetILNS1_3genE10ELNS1_11target_archE1201ELNS1_3gpuE5ELNS1_3repE0EEENS1_47radix_sort_onesweep_sort_config_static_selectorELNS0_4arch9wavefront6targetE1EEEvSK_.private_seg_size, 0
	.set _ZN7rocprim17ROCPRIM_400000_NS6detail17trampoline_kernelINS0_14default_configENS1_35radix_sort_onesweep_config_selectorIiNS0_10empty_typeEEEZZNS1_29radix_sort_onesweep_iterationIS3_Lb1EN6thrust23THRUST_200600_302600_NS6detail15normal_iteratorINS9_10device_ptrIiEEEESE_PS5_SF_jNS0_19identity_decomposerENS1_16block_id_wrapperIjLb0EEEEE10hipError_tT1_PNSt15iterator_traitsISK_E10value_typeET2_T3_PNSL_ISQ_E10value_typeET4_T5_PSV_SW_PNS1_23onesweep_lookback_stateEbbT6_jjT7_P12ihipStream_tbENKUlT_T0_SK_SP_E_clISE_PiSF_SF_EEDaS13_S14_SK_SP_EUlS13_E_NS1_11comp_targetILNS1_3genE10ELNS1_11target_archE1201ELNS1_3gpuE5ELNS1_3repE0EEENS1_47radix_sort_onesweep_sort_config_static_selectorELNS0_4arch9wavefront6targetE1EEEvSK_.uses_vcc, 0
	.set _ZN7rocprim17ROCPRIM_400000_NS6detail17trampoline_kernelINS0_14default_configENS1_35radix_sort_onesweep_config_selectorIiNS0_10empty_typeEEEZZNS1_29radix_sort_onesweep_iterationIS3_Lb1EN6thrust23THRUST_200600_302600_NS6detail15normal_iteratorINS9_10device_ptrIiEEEESE_PS5_SF_jNS0_19identity_decomposerENS1_16block_id_wrapperIjLb0EEEEE10hipError_tT1_PNSt15iterator_traitsISK_E10value_typeET2_T3_PNSL_ISQ_E10value_typeET4_T5_PSV_SW_PNS1_23onesweep_lookback_stateEbbT6_jjT7_P12ihipStream_tbENKUlT_T0_SK_SP_E_clISE_PiSF_SF_EEDaS13_S14_SK_SP_EUlS13_E_NS1_11comp_targetILNS1_3genE10ELNS1_11target_archE1201ELNS1_3gpuE5ELNS1_3repE0EEENS1_47radix_sort_onesweep_sort_config_static_selectorELNS0_4arch9wavefront6targetE1EEEvSK_.uses_flat_scratch, 0
	.set _ZN7rocprim17ROCPRIM_400000_NS6detail17trampoline_kernelINS0_14default_configENS1_35radix_sort_onesweep_config_selectorIiNS0_10empty_typeEEEZZNS1_29radix_sort_onesweep_iterationIS3_Lb1EN6thrust23THRUST_200600_302600_NS6detail15normal_iteratorINS9_10device_ptrIiEEEESE_PS5_SF_jNS0_19identity_decomposerENS1_16block_id_wrapperIjLb0EEEEE10hipError_tT1_PNSt15iterator_traitsISK_E10value_typeET2_T3_PNSL_ISQ_E10value_typeET4_T5_PSV_SW_PNS1_23onesweep_lookback_stateEbbT6_jjT7_P12ihipStream_tbENKUlT_T0_SK_SP_E_clISE_PiSF_SF_EEDaS13_S14_SK_SP_EUlS13_E_NS1_11comp_targetILNS1_3genE10ELNS1_11target_archE1201ELNS1_3gpuE5ELNS1_3repE0EEENS1_47radix_sort_onesweep_sort_config_static_selectorELNS0_4arch9wavefront6targetE1EEEvSK_.has_dyn_sized_stack, 0
	.set _ZN7rocprim17ROCPRIM_400000_NS6detail17trampoline_kernelINS0_14default_configENS1_35radix_sort_onesweep_config_selectorIiNS0_10empty_typeEEEZZNS1_29radix_sort_onesweep_iterationIS3_Lb1EN6thrust23THRUST_200600_302600_NS6detail15normal_iteratorINS9_10device_ptrIiEEEESE_PS5_SF_jNS0_19identity_decomposerENS1_16block_id_wrapperIjLb0EEEEE10hipError_tT1_PNSt15iterator_traitsISK_E10value_typeET2_T3_PNSL_ISQ_E10value_typeET4_T5_PSV_SW_PNS1_23onesweep_lookback_stateEbbT6_jjT7_P12ihipStream_tbENKUlT_T0_SK_SP_E_clISE_PiSF_SF_EEDaS13_S14_SK_SP_EUlS13_E_NS1_11comp_targetILNS1_3genE10ELNS1_11target_archE1201ELNS1_3gpuE5ELNS1_3repE0EEENS1_47radix_sort_onesweep_sort_config_static_selectorELNS0_4arch9wavefront6targetE1EEEvSK_.has_recursion, 0
	.set _ZN7rocprim17ROCPRIM_400000_NS6detail17trampoline_kernelINS0_14default_configENS1_35radix_sort_onesweep_config_selectorIiNS0_10empty_typeEEEZZNS1_29radix_sort_onesweep_iterationIS3_Lb1EN6thrust23THRUST_200600_302600_NS6detail15normal_iteratorINS9_10device_ptrIiEEEESE_PS5_SF_jNS0_19identity_decomposerENS1_16block_id_wrapperIjLb0EEEEE10hipError_tT1_PNSt15iterator_traitsISK_E10value_typeET2_T3_PNSL_ISQ_E10value_typeET4_T5_PSV_SW_PNS1_23onesweep_lookback_stateEbbT6_jjT7_P12ihipStream_tbENKUlT_T0_SK_SP_E_clISE_PiSF_SF_EEDaS13_S14_SK_SP_EUlS13_E_NS1_11comp_targetILNS1_3genE10ELNS1_11target_archE1201ELNS1_3gpuE5ELNS1_3repE0EEENS1_47radix_sort_onesweep_sort_config_static_selectorELNS0_4arch9wavefront6targetE1EEEvSK_.has_indirect_call, 0
	.section	.AMDGPU.csdata,"",@progbits
; Kernel info:
; codeLenInByte = 0
; TotalNumSgprs: 6
; NumVgprs: 0
; NumAgprs: 0
; TotalNumVgprs: 0
; ScratchSize: 0
; MemoryBound: 0
; FloatMode: 240
; IeeeMode: 1
; LDSByteSize: 0 bytes/workgroup (compile time only)
; SGPRBlocks: 0
; VGPRBlocks: 0
; NumSGPRsForWavesPerEU: 6
; NumVGPRsForWavesPerEU: 1
; AccumOffset: 4
; Occupancy: 8
; WaveLimiterHint : 0
; COMPUTE_PGM_RSRC2:SCRATCH_EN: 0
; COMPUTE_PGM_RSRC2:USER_SGPR: 2
; COMPUTE_PGM_RSRC2:TRAP_HANDLER: 0
; COMPUTE_PGM_RSRC2:TGID_X_EN: 1
; COMPUTE_PGM_RSRC2:TGID_Y_EN: 0
; COMPUTE_PGM_RSRC2:TGID_Z_EN: 0
; COMPUTE_PGM_RSRC2:TIDIG_COMP_CNT: 0
; COMPUTE_PGM_RSRC3_GFX90A:ACCUM_OFFSET: 0
; COMPUTE_PGM_RSRC3_GFX90A:TG_SPLIT: 0
	.section	.text._ZN7rocprim17ROCPRIM_400000_NS6detail17trampoline_kernelINS0_14default_configENS1_35radix_sort_onesweep_config_selectorIiNS0_10empty_typeEEEZZNS1_29radix_sort_onesweep_iterationIS3_Lb1EN6thrust23THRUST_200600_302600_NS6detail15normal_iteratorINS9_10device_ptrIiEEEESE_PS5_SF_jNS0_19identity_decomposerENS1_16block_id_wrapperIjLb0EEEEE10hipError_tT1_PNSt15iterator_traitsISK_E10value_typeET2_T3_PNSL_ISQ_E10value_typeET4_T5_PSV_SW_PNS1_23onesweep_lookback_stateEbbT6_jjT7_P12ihipStream_tbENKUlT_T0_SK_SP_E_clISE_PiSF_SF_EEDaS13_S14_SK_SP_EUlS13_E_NS1_11comp_targetILNS1_3genE9ELNS1_11target_archE1100ELNS1_3gpuE3ELNS1_3repE0EEENS1_47radix_sort_onesweep_sort_config_static_selectorELNS0_4arch9wavefront6targetE1EEEvSK_,"axG",@progbits,_ZN7rocprim17ROCPRIM_400000_NS6detail17trampoline_kernelINS0_14default_configENS1_35radix_sort_onesweep_config_selectorIiNS0_10empty_typeEEEZZNS1_29radix_sort_onesweep_iterationIS3_Lb1EN6thrust23THRUST_200600_302600_NS6detail15normal_iteratorINS9_10device_ptrIiEEEESE_PS5_SF_jNS0_19identity_decomposerENS1_16block_id_wrapperIjLb0EEEEE10hipError_tT1_PNSt15iterator_traitsISK_E10value_typeET2_T3_PNSL_ISQ_E10value_typeET4_T5_PSV_SW_PNS1_23onesweep_lookback_stateEbbT6_jjT7_P12ihipStream_tbENKUlT_T0_SK_SP_E_clISE_PiSF_SF_EEDaS13_S14_SK_SP_EUlS13_E_NS1_11comp_targetILNS1_3genE9ELNS1_11target_archE1100ELNS1_3gpuE3ELNS1_3repE0EEENS1_47radix_sort_onesweep_sort_config_static_selectorELNS0_4arch9wavefront6targetE1EEEvSK_,comdat
	.protected	_ZN7rocprim17ROCPRIM_400000_NS6detail17trampoline_kernelINS0_14default_configENS1_35radix_sort_onesweep_config_selectorIiNS0_10empty_typeEEEZZNS1_29radix_sort_onesweep_iterationIS3_Lb1EN6thrust23THRUST_200600_302600_NS6detail15normal_iteratorINS9_10device_ptrIiEEEESE_PS5_SF_jNS0_19identity_decomposerENS1_16block_id_wrapperIjLb0EEEEE10hipError_tT1_PNSt15iterator_traitsISK_E10value_typeET2_T3_PNSL_ISQ_E10value_typeET4_T5_PSV_SW_PNS1_23onesweep_lookback_stateEbbT6_jjT7_P12ihipStream_tbENKUlT_T0_SK_SP_E_clISE_PiSF_SF_EEDaS13_S14_SK_SP_EUlS13_E_NS1_11comp_targetILNS1_3genE9ELNS1_11target_archE1100ELNS1_3gpuE3ELNS1_3repE0EEENS1_47radix_sort_onesweep_sort_config_static_selectorELNS0_4arch9wavefront6targetE1EEEvSK_ ; -- Begin function _ZN7rocprim17ROCPRIM_400000_NS6detail17trampoline_kernelINS0_14default_configENS1_35radix_sort_onesweep_config_selectorIiNS0_10empty_typeEEEZZNS1_29radix_sort_onesweep_iterationIS3_Lb1EN6thrust23THRUST_200600_302600_NS6detail15normal_iteratorINS9_10device_ptrIiEEEESE_PS5_SF_jNS0_19identity_decomposerENS1_16block_id_wrapperIjLb0EEEEE10hipError_tT1_PNSt15iterator_traitsISK_E10value_typeET2_T3_PNSL_ISQ_E10value_typeET4_T5_PSV_SW_PNS1_23onesweep_lookback_stateEbbT6_jjT7_P12ihipStream_tbENKUlT_T0_SK_SP_E_clISE_PiSF_SF_EEDaS13_S14_SK_SP_EUlS13_E_NS1_11comp_targetILNS1_3genE9ELNS1_11target_archE1100ELNS1_3gpuE3ELNS1_3repE0EEENS1_47radix_sort_onesweep_sort_config_static_selectorELNS0_4arch9wavefront6targetE1EEEvSK_
	.globl	_ZN7rocprim17ROCPRIM_400000_NS6detail17trampoline_kernelINS0_14default_configENS1_35radix_sort_onesweep_config_selectorIiNS0_10empty_typeEEEZZNS1_29radix_sort_onesweep_iterationIS3_Lb1EN6thrust23THRUST_200600_302600_NS6detail15normal_iteratorINS9_10device_ptrIiEEEESE_PS5_SF_jNS0_19identity_decomposerENS1_16block_id_wrapperIjLb0EEEEE10hipError_tT1_PNSt15iterator_traitsISK_E10value_typeET2_T3_PNSL_ISQ_E10value_typeET4_T5_PSV_SW_PNS1_23onesweep_lookback_stateEbbT6_jjT7_P12ihipStream_tbENKUlT_T0_SK_SP_E_clISE_PiSF_SF_EEDaS13_S14_SK_SP_EUlS13_E_NS1_11comp_targetILNS1_3genE9ELNS1_11target_archE1100ELNS1_3gpuE3ELNS1_3repE0EEENS1_47radix_sort_onesweep_sort_config_static_selectorELNS0_4arch9wavefront6targetE1EEEvSK_
	.p2align	8
	.type	_ZN7rocprim17ROCPRIM_400000_NS6detail17trampoline_kernelINS0_14default_configENS1_35radix_sort_onesweep_config_selectorIiNS0_10empty_typeEEEZZNS1_29radix_sort_onesweep_iterationIS3_Lb1EN6thrust23THRUST_200600_302600_NS6detail15normal_iteratorINS9_10device_ptrIiEEEESE_PS5_SF_jNS0_19identity_decomposerENS1_16block_id_wrapperIjLb0EEEEE10hipError_tT1_PNSt15iterator_traitsISK_E10value_typeET2_T3_PNSL_ISQ_E10value_typeET4_T5_PSV_SW_PNS1_23onesweep_lookback_stateEbbT6_jjT7_P12ihipStream_tbENKUlT_T0_SK_SP_E_clISE_PiSF_SF_EEDaS13_S14_SK_SP_EUlS13_E_NS1_11comp_targetILNS1_3genE9ELNS1_11target_archE1100ELNS1_3gpuE3ELNS1_3repE0EEENS1_47radix_sort_onesweep_sort_config_static_selectorELNS0_4arch9wavefront6targetE1EEEvSK_,@function
_ZN7rocprim17ROCPRIM_400000_NS6detail17trampoline_kernelINS0_14default_configENS1_35radix_sort_onesweep_config_selectorIiNS0_10empty_typeEEEZZNS1_29radix_sort_onesweep_iterationIS3_Lb1EN6thrust23THRUST_200600_302600_NS6detail15normal_iteratorINS9_10device_ptrIiEEEESE_PS5_SF_jNS0_19identity_decomposerENS1_16block_id_wrapperIjLb0EEEEE10hipError_tT1_PNSt15iterator_traitsISK_E10value_typeET2_T3_PNSL_ISQ_E10value_typeET4_T5_PSV_SW_PNS1_23onesweep_lookback_stateEbbT6_jjT7_P12ihipStream_tbENKUlT_T0_SK_SP_E_clISE_PiSF_SF_EEDaS13_S14_SK_SP_EUlS13_E_NS1_11comp_targetILNS1_3genE9ELNS1_11target_archE1100ELNS1_3gpuE3ELNS1_3repE0EEENS1_47radix_sort_onesweep_sort_config_static_selectorELNS0_4arch9wavefront6targetE1EEEvSK_: ; @_ZN7rocprim17ROCPRIM_400000_NS6detail17trampoline_kernelINS0_14default_configENS1_35radix_sort_onesweep_config_selectorIiNS0_10empty_typeEEEZZNS1_29radix_sort_onesweep_iterationIS3_Lb1EN6thrust23THRUST_200600_302600_NS6detail15normal_iteratorINS9_10device_ptrIiEEEESE_PS5_SF_jNS0_19identity_decomposerENS1_16block_id_wrapperIjLb0EEEEE10hipError_tT1_PNSt15iterator_traitsISK_E10value_typeET2_T3_PNSL_ISQ_E10value_typeET4_T5_PSV_SW_PNS1_23onesweep_lookback_stateEbbT6_jjT7_P12ihipStream_tbENKUlT_T0_SK_SP_E_clISE_PiSF_SF_EEDaS13_S14_SK_SP_EUlS13_E_NS1_11comp_targetILNS1_3genE9ELNS1_11target_archE1100ELNS1_3gpuE3ELNS1_3repE0EEENS1_47radix_sort_onesweep_sort_config_static_selectorELNS0_4arch9wavefront6targetE1EEEvSK_
; %bb.0:
	.section	.rodata,"a",@progbits
	.p2align	6, 0x0
	.amdhsa_kernel _ZN7rocprim17ROCPRIM_400000_NS6detail17trampoline_kernelINS0_14default_configENS1_35radix_sort_onesweep_config_selectorIiNS0_10empty_typeEEEZZNS1_29radix_sort_onesweep_iterationIS3_Lb1EN6thrust23THRUST_200600_302600_NS6detail15normal_iteratorINS9_10device_ptrIiEEEESE_PS5_SF_jNS0_19identity_decomposerENS1_16block_id_wrapperIjLb0EEEEE10hipError_tT1_PNSt15iterator_traitsISK_E10value_typeET2_T3_PNSL_ISQ_E10value_typeET4_T5_PSV_SW_PNS1_23onesweep_lookback_stateEbbT6_jjT7_P12ihipStream_tbENKUlT_T0_SK_SP_E_clISE_PiSF_SF_EEDaS13_S14_SK_SP_EUlS13_E_NS1_11comp_targetILNS1_3genE9ELNS1_11target_archE1100ELNS1_3gpuE3ELNS1_3repE0EEENS1_47radix_sort_onesweep_sort_config_static_selectorELNS0_4arch9wavefront6targetE1EEEvSK_
		.amdhsa_group_segment_fixed_size 0
		.amdhsa_private_segment_fixed_size 0
		.amdhsa_kernarg_size 88
		.amdhsa_user_sgpr_count 2
		.amdhsa_user_sgpr_dispatch_ptr 0
		.amdhsa_user_sgpr_queue_ptr 0
		.amdhsa_user_sgpr_kernarg_segment_ptr 1
		.amdhsa_user_sgpr_dispatch_id 0
		.amdhsa_user_sgpr_kernarg_preload_length 0
		.amdhsa_user_sgpr_kernarg_preload_offset 0
		.amdhsa_user_sgpr_private_segment_size 0
		.amdhsa_uses_dynamic_stack 0
		.amdhsa_enable_private_segment 0
		.amdhsa_system_sgpr_workgroup_id_x 1
		.amdhsa_system_sgpr_workgroup_id_y 0
		.amdhsa_system_sgpr_workgroup_id_z 0
		.amdhsa_system_sgpr_workgroup_info 0
		.amdhsa_system_vgpr_workitem_id 0
		.amdhsa_next_free_vgpr 1
		.amdhsa_next_free_sgpr 0
		.amdhsa_accum_offset 4
		.amdhsa_reserve_vcc 0
		.amdhsa_float_round_mode_32 0
		.amdhsa_float_round_mode_16_64 0
		.amdhsa_float_denorm_mode_32 3
		.amdhsa_float_denorm_mode_16_64 3
		.amdhsa_dx10_clamp 1
		.amdhsa_ieee_mode 1
		.amdhsa_fp16_overflow 0
		.amdhsa_tg_split 0
		.amdhsa_exception_fp_ieee_invalid_op 0
		.amdhsa_exception_fp_denorm_src 0
		.amdhsa_exception_fp_ieee_div_zero 0
		.amdhsa_exception_fp_ieee_overflow 0
		.amdhsa_exception_fp_ieee_underflow 0
		.amdhsa_exception_fp_ieee_inexact 0
		.amdhsa_exception_int_div_zero 0
	.end_amdhsa_kernel
	.section	.text._ZN7rocprim17ROCPRIM_400000_NS6detail17trampoline_kernelINS0_14default_configENS1_35radix_sort_onesweep_config_selectorIiNS0_10empty_typeEEEZZNS1_29radix_sort_onesweep_iterationIS3_Lb1EN6thrust23THRUST_200600_302600_NS6detail15normal_iteratorINS9_10device_ptrIiEEEESE_PS5_SF_jNS0_19identity_decomposerENS1_16block_id_wrapperIjLb0EEEEE10hipError_tT1_PNSt15iterator_traitsISK_E10value_typeET2_T3_PNSL_ISQ_E10value_typeET4_T5_PSV_SW_PNS1_23onesweep_lookback_stateEbbT6_jjT7_P12ihipStream_tbENKUlT_T0_SK_SP_E_clISE_PiSF_SF_EEDaS13_S14_SK_SP_EUlS13_E_NS1_11comp_targetILNS1_3genE9ELNS1_11target_archE1100ELNS1_3gpuE3ELNS1_3repE0EEENS1_47radix_sort_onesweep_sort_config_static_selectorELNS0_4arch9wavefront6targetE1EEEvSK_,"axG",@progbits,_ZN7rocprim17ROCPRIM_400000_NS6detail17trampoline_kernelINS0_14default_configENS1_35radix_sort_onesweep_config_selectorIiNS0_10empty_typeEEEZZNS1_29radix_sort_onesweep_iterationIS3_Lb1EN6thrust23THRUST_200600_302600_NS6detail15normal_iteratorINS9_10device_ptrIiEEEESE_PS5_SF_jNS0_19identity_decomposerENS1_16block_id_wrapperIjLb0EEEEE10hipError_tT1_PNSt15iterator_traitsISK_E10value_typeET2_T3_PNSL_ISQ_E10value_typeET4_T5_PSV_SW_PNS1_23onesweep_lookback_stateEbbT6_jjT7_P12ihipStream_tbENKUlT_T0_SK_SP_E_clISE_PiSF_SF_EEDaS13_S14_SK_SP_EUlS13_E_NS1_11comp_targetILNS1_3genE9ELNS1_11target_archE1100ELNS1_3gpuE3ELNS1_3repE0EEENS1_47radix_sort_onesweep_sort_config_static_selectorELNS0_4arch9wavefront6targetE1EEEvSK_,comdat
.Lfunc_end379:
	.size	_ZN7rocprim17ROCPRIM_400000_NS6detail17trampoline_kernelINS0_14default_configENS1_35radix_sort_onesweep_config_selectorIiNS0_10empty_typeEEEZZNS1_29radix_sort_onesweep_iterationIS3_Lb1EN6thrust23THRUST_200600_302600_NS6detail15normal_iteratorINS9_10device_ptrIiEEEESE_PS5_SF_jNS0_19identity_decomposerENS1_16block_id_wrapperIjLb0EEEEE10hipError_tT1_PNSt15iterator_traitsISK_E10value_typeET2_T3_PNSL_ISQ_E10value_typeET4_T5_PSV_SW_PNS1_23onesweep_lookback_stateEbbT6_jjT7_P12ihipStream_tbENKUlT_T0_SK_SP_E_clISE_PiSF_SF_EEDaS13_S14_SK_SP_EUlS13_E_NS1_11comp_targetILNS1_3genE9ELNS1_11target_archE1100ELNS1_3gpuE3ELNS1_3repE0EEENS1_47radix_sort_onesweep_sort_config_static_selectorELNS0_4arch9wavefront6targetE1EEEvSK_, .Lfunc_end379-_ZN7rocprim17ROCPRIM_400000_NS6detail17trampoline_kernelINS0_14default_configENS1_35radix_sort_onesweep_config_selectorIiNS0_10empty_typeEEEZZNS1_29radix_sort_onesweep_iterationIS3_Lb1EN6thrust23THRUST_200600_302600_NS6detail15normal_iteratorINS9_10device_ptrIiEEEESE_PS5_SF_jNS0_19identity_decomposerENS1_16block_id_wrapperIjLb0EEEEE10hipError_tT1_PNSt15iterator_traitsISK_E10value_typeET2_T3_PNSL_ISQ_E10value_typeET4_T5_PSV_SW_PNS1_23onesweep_lookback_stateEbbT6_jjT7_P12ihipStream_tbENKUlT_T0_SK_SP_E_clISE_PiSF_SF_EEDaS13_S14_SK_SP_EUlS13_E_NS1_11comp_targetILNS1_3genE9ELNS1_11target_archE1100ELNS1_3gpuE3ELNS1_3repE0EEENS1_47radix_sort_onesweep_sort_config_static_selectorELNS0_4arch9wavefront6targetE1EEEvSK_
                                        ; -- End function
	.set _ZN7rocprim17ROCPRIM_400000_NS6detail17trampoline_kernelINS0_14default_configENS1_35radix_sort_onesweep_config_selectorIiNS0_10empty_typeEEEZZNS1_29radix_sort_onesweep_iterationIS3_Lb1EN6thrust23THRUST_200600_302600_NS6detail15normal_iteratorINS9_10device_ptrIiEEEESE_PS5_SF_jNS0_19identity_decomposerENS1_16block_id_wrapperIjLb0EEEEE10hipError_tT1_PNSt15iterator_traitsISK_E10value_typeET2_T3_PNSL_ISQ_E10value_typeET4_T5_PSV_SW_PNS1_23onesweep_lookback_stateEbbT6_jjT7_P12ihipStream_tbENKUlT_T0_SK_SP_E_clISE_PiSF_SF_EEDaS13_S14_SK_SP_EUlS13_E_NS1_11comp_targetILNS1_3genE9ELNS1_11target_archE1100ELNS1_3gpuE3ELNS1_3repE0EEENS1_47radix_sort_onesweep_sort_config_static_selectorELNS0_4arch9wavefront6targetE1EEEvSK_.num_vgpr, 0
	.set _ZN7rocprim17ROCPRIM_400000_NS6detail17trampoline_kernelINS0_14default_configENS1_35radix_sort_onesweep_config_selectorIiNS0_10empty_typeEEEZZNS1_29radix_sort_onesweep_iterationIS3_Lb1EN6thrust23THRUST_200600_302600_NS6detail15normal_iteratorINS9_10device_ptrIiEEEESE_PS5_SF_jNS0_19identity_decomposerENS1_16block_id_wrapperIjLb0EEEEE10hipError_tT1_PNSt15iterator_traitsISK_E10value_typeET2_T3_PNSL_ISQ_E10value_typeET4_T5_PSV_SW_PNS1_23onesweep_lookback_stateEbbT6_jjT7_P12ihipStream_tbENKUlT_T0_SK_SP_E_clISE_PiSF_SF_EEDaS13_S14_SK_SP_EUlS13_E_NS1_11comp_targetILNS1_3genE9ELNS1_11target_archE1100ELNS1_3gpuE3ELNS1_3repE0EEENS1_47radix_sort_onesweep_sort_config_static_selectorELNS0_4arch9wavefront6targetE1EEEvSK_.num_agpr, 0
	.set _ZN7rocprim17ROCPRIM_400000_NS6detail17trampoline_kernelINS0_14default_configENS1_35radix_sort_onesweep_config_selectorIiNS0_10empty_typeEEEZZNS1_29radix_sort_onesweep_iterationIS3_Lb1EN6thrust23THRUST_200600_302600_NS6detail15normal_iteratorINS9_10device_ptrIiEEEESE_PS5_SF_jNS0_19identity_decomposerENS1_16block_id_wrapperIjLb0EEEEE10hipError_tT1_PNSt15iterator_traitsISK_E10value_typeET2_T3_PNSL_ISQ_E10value_typeET4_T5_PSV_SW_PNS1_23onesweep_lookback_stateEbbT6_jjT7_P12ihipStream_tbENKUlT_T0_SK_SP_E_clISE_PiSF_SF_EEDaS13_S14_SK_SP_EUlS13_E_NS1_11comp_targetILNS1_3genE9ELNS1_11target_archE1100ELNS1_3gpuE3ELNS1_3repE0EEENS1_47radix_sort_onesweep_sort_config_static_selectorELNS0_4arch9wavefront6targetE1EEEvSK_.numbered_sgpr, 0
	.set _ZN7rocprim17ROCPRIM_400000_NS6detail17trampoline_kernelINS0_14default_configENS1_35radix_sort_onesweep_config_selectorIiNS0_10empty_typeEEEZZNS1_29radix_sort_onesweep_iterationIS3_Lb1EN6thrust23THRUST_200600_302600_NS6detail15normal_iteratorINS9_10device_ptrIiEEEESE_PS5_SF_jNS0_19identity_decomposerENS1_16block_id_wrapperIjLb0EEEEE10hipError_tT1_PNSt15iterator_traitsISK_E10value_typeET2_T3_PNSL_ISQ_E10value_typeET4_T5_PSV_SW_PNS1_23onesweep_lookback_stateEbbT6_jjT7_P12ihipStream_tbENKUlT_T0_SK_SP_E_clISE_PiSF_SF_EEDaS13_S14_SK_SP_EUlS13_E_NS1_11comp_targetILNS1_3genE9ELNS1_11target_archE1100ELNS1_3gpuE3ELNS1_3repE0EEENS1_47radix_sort_onesweep_sort_config_static_selectorELNS0_4arch9wavefront6targetE1EEEvSK_.num_named_barrier, 0
	.set _ZN7rocprim17ROCPRIM_400000_NS6detail17trampoline_kernelINS0_14default_configENS1_35radix_sort_onesweep_config_selectorIiNS0_10empty_typeEEEZZNS1_29radix_sort_onesweep_iterationIS3_Lb1EN6thrust23THRUST_200600_302600_NS6detail15normal_iteratorINS9_10device_ptrIiEEEESE_PS5_SF_jNS0_19identity_decomposerENS1_16block_id_wrapperIjLb0EEEEE10hipError_tT1_PNSt15iterator_traitsISK_E10value_typeET2_T3_PNSL_ISQ_E10value_typeET4_T5_PSV_SW_PNS1_23onesweep_lookback_stateEbbT6_jjT7_P12ihipStream_tbENKUlT_T0_SK_SP_E_clISE_PiSF_SF_EEDaS13_S14_SK_SP_EUlS13_E_NS1_11comp_targetILNS1_3genE9ELNS1_11target_archE1100ELNS1_3gpuE3ELNS1_3repE0EEENS1_47radix_sort_onesweep_sort_config_static_selectorELNS0_4arch9wavefront6targetE1EEEvSK_.private_seg_size, 0
	.set _ZN7rocprim17ROCPRIM_400000_NS6detail17trampoline_kernelINS0_14default_configENS1_35radix_sort_onesweep_config_selectorIiNS0_10empty_typeEEEZZNS1_29radix_sort_onesweep_iterationIS3_Lb1EN6thrust23THRUST_200600_302600_NS6detail15normal_iteratorINS9_10device_ptrIiEEEESE_PS5_SF_jNS0_19identity_decomposerENS1_16block_id_wrapperIjLb0EEEEE10hipError_tT1_PNSt15iterator_traitsISK_E10value_typeET2_T3_PNSL_ISQ_E10value_typeET4_T5_PSV_SW_PNS1_23onesweep_lookback_stateEbbT6_jjT7_P12ihipStream_tbENKUlT_T0_SK_SP_E_clISE_PiSF_SF_EEDaS13_S14_SK_SP_EUlS13_E_NS1_11comp_targetILNS1_3genE9ELNS1_11target_archE1100ELNS1_3gpuE3ELNS1_3repE0EEENS1_47radix_sort_onesweep_sort_config_static_selectorELNS0_4arch9wavefront6targetE1EEEvSK_.uses_vcc, 0
	.set _ZN7rocprim17ROCPRIM_400000_NS6detail17trampoline_kernelINS0_14default_configENS1_35radix_sort_onesweep_config_selectorIiNS0_10empty_typeEEEZZNS1_29radix_sort_onesweep_iterationIS3_Lb1EN6thrust23THRUST_200600_302600_NS6detail15normal_iteratorINS9_10device_ptrIiEEEESE_PS5_SF_jNS0_19identity_decomposerENS1_16block_id_wrapperIjLb0EEEEE10hipError_tT1_PNSt15iterator_traitsISK_E10value_typeET2_T3_PNSL_ISQ_E10value_typeET4_T5_PSV_SW_PNS1_23onesweep_lookback_stateEbbT6_jjT7_P12ihipStream_tbENKUlT_T0_SK_SP_E_clISE_PiSF_SF_EEDaS13_S14_SK_SP_EUlS13_E_NS1_11comp_targetILNS1_3genE9ELNS1_11target_archE1100ELNS1_3gpuE3ELNS1_3repE0EEENS1_47radix_sort_onesweep_sort_config_static_selectorELNS0_4arch9wavefront6targetE1EEEvSK_.uses_flat_scratch, 0
	.set _ZN7rocprim17ROCPRIM_400000_NS6detail17trampoline_kernelINS0_14default_configENS1_35radix_sort_onesweep_config_selectorIiNS0_10empty_typeEEEZZNS1_29radix_sort_onesweep_iterationIS3_Lb1EN6thrust23THRUST_200600_302600_NS6detail15normal_iteratorINS9_10device_ptrIiEEEESE_PS5_SF_jNS0_19identity_decomposerENS1_16block_id_wrapperIjLb0EEEEE10hipError_tT1_PNSt15iterator_traitsISK_E10value_typeET2_T3_PNSL_ISQ_E10value_typeET4_T5_PSV_SW_PNS1_23onesweep_lookback_stateEbbT6_jjT7_P12ihipStream_tbENKUlT_T0_SK_SP_E_clISE_PiSF_SF_EEDaS13_S14_SK_SP_EUlS13_E_NS1_11comp_targetILNS1_3genE9ELNS1_11target_archE1100ELNS1_3gpuE3ELNS1_3repE0EEENS1_47radix_sort_onesweep_sort_config_static_selectorELNS0_4arch9wavefront6targetE1EEEvSK_.has_dyn_sized_stack, 0
	.set _ZN7rocprim17ROCPRIM_400000_NS6detail17trampoline_kernelINS0_14default_configENS1_35radix_sort_onesweep_config_selectorIiNS0_10empty_typeEEEZZNS1_29radix_sort_onesweep_iterationIS3_Lb1EN6thrust23THRUST_200600_302600_NS6detail15normal_iteratorINS9_10device_ptrIiEEEESE_PS5_SF_jNS0_19identity_decomposerENS1_16block_id_wrapperIjLb0EEEEE10hipError_tT1_PNSt15iterator_traitsISK_E10value_typeET2_T3_PNSL_ISQ_E10value_typeET4_T5_PSV_SW_PNS1_23onesweep_lookback_stateEbbT6_jjT7_P12ihipStream_tbENKUlT_T0_SK_SP_E_clISE_PiSF_SF_EEDaS13_S14_SK_SP_EUlS13_E_NS1_11comp_targetILNS1_3genE9ELNS1_11target_archE1100ELNS1_3gpuE3ELNS1_3repE0EEENS1_47radix_sort_onesweep_sort_config_static_selectorELNS0_4arch9wavefront6targetE1EEEvSK_.has_recursion, 0
	.set _ZN7rocprim17ROCPRIM_400000_NS6detail17trampoline_kernelINS0_14default_configENS1_35radix_sort_onesweep_config_selectorIiNS0_10empty_typeEEEZZNS1_29radix_sort_onesweep_iterationIS3_Lb1EN6thrust23THRUST_200600_302600_NS6detail15normal_iteratorINS9_10device_ptrIiEEEESE_PS5_SF_jNS0_19identity_decomposerENS1_16block_id_wrapperIjLb0EEEEE10hipError_tT1_PNSt15iterator_traitsISK_E10value_typeET2_T3_PNSL_ISQ_E10value_typeET4_T5_PSV_SW_PNS1_23onesweep_lookback_stateEbbT6_jjT7_P12ihipStream_tbENKUlT_T0_SK_SP_E_clISE_PiSF_SF_EEDaS13_S14_SK_SP_EUlS13_E_NS1_11comp_targetILNS1_3genE9ELNS1_11target_archE1100ELNS1_3gpuE3ELNS1_3repE0EEENS1_47radix_sort_onesweep_sort_config_static_selectorELNS0_4arch9wavefront6targetE1EEEvSK_.has_indirect_call, 0
	.section	.AMDGPU.csdata,"",@progbits
; Kernel info:
; codeLenInByte = 0
; TotalNumSgprs: 6
; NumVgprs: 0
; NumAgprs: 0
; TotalNumVgprs: 0
; ScratchSize: 0
; MemoryBound: 0
; FloatMode: 240
; IeeeMode: 1
; LDSByteSize: 0 bytes/workgroup (compile time only)
; SGPRBlocks: 0
; VGPRBlocks: 0
; NumSGPRsForWavesPerEU: 6
; NumVGPRsForWavesPerEU: 1
; AccumOffset: 4
; Occupancy: 8
; WaveLimiterHint : 0
; COMPUTE_PGM_RSRC2:SCRATCH_EN: 0
; COMPUTE_PGM_RSRC2:USER_SGPR: 2
; COMPUTE_PGM_RSRC2:TRAP_HANDLER: 0
; COMPUTE_PGM_RSRC2:TGID_X_EN: 1
; COMPUTE_PGM_RSRC2:TGID_Y_EN: 0
; COMPUTE_PGM_RSRC2:TGID_Z_EN: 0
; COMPUTE_PGM_RSRC2:TIDIG_COMP_CNT: 0
; COMPUTE_PGM_RSRC3_GFX90A:ACCUM_OFFSET: 0
; COMPUTE_PGM_RSRC3_GFX90A:TG_SPLIT: 0
	.section	.text._ZN7rocprim17ROCPRIM_400000_NS6detail17trampoline_kernelINS0_14default_configENS1_35radix_sort_onesweep_config_selectorIiNS0_10empty_typeEEEZZNS1_29radix_sort_onesweep_iterationIS3_Lb1EN6thrust23THRUST_200600_302600_NS6detail15normal_iteratorINS9_10device_ptrIiEEEESE_PS5_SF_jNS0_19identity_decomposerENS1_16block_id_wrapperIjLb0EEEEE10hipError_tT1_PNSt15iterator_traitsISK_E10value_typeET2_T3_PNSL_ISQ_E10value_typeET4_T5_PSV_SW_PNS1_23onesweep_lookback_stateEbbT6_jjT7_P12ihipStream_tbENKUlT_T0_SK_SP_E_clISE_PiSF_SF_EEDaS13_S14_SK_SP_EUlS13_E_NS1_11comp_targetILNS1_3genE8ELNS1_11target_archE1030ELNS1_3gpuE2ELNS1_3repE0EEENS1_47radix_sort_onesweep_sort_config_static_selectorELNS0_4arch9wavefront6targetE1EEEvSK_,"axG",@progbits,_ZN7rocprim17ROCPRIM_400000_NS6detail17trampoline_kernelINS0_14default_configENS1_35radix_sort_onesweep_config_selectorIiNS0_10empty_typeEEEZZNS1_29radix_sort_onesweep_iterationIS3_Lb1EN6thrust23THRUST_200600_302600_NS6detail15normal_iteratorINS9_10device_ptrIiEEEESE_PS5_SF_jNS0_19identity_decomposerENS1_16block_id_wrapperIjLb0EEEEE10hipError_tT1_PNSt15iterator_traitsISK_E10value_typeET2_T3_PNSL_ISQ_E10value_typeET4_T5_PSV_SW_PNS1_23onesweep_lookback_stateEbbT6_jjT7_P12ihipStream_tbENKUlT_T0_SK_SP_E_clISE_PiSF_SF_EEDaS13_S14_SK_SP_EUlS13_E_NS1_11comp_targetILNS1_3genE8ELNS1_11target_archE1030ELNS1_3gpuE2ELNS1_3repE0EEENS1_47radix_sort_onesweep_sort_config_static_selectorELNS0_4arch9wavefront6targetE1EEEvSK_,comdat
	.protected	_ZN7rocprim17ROCPRIM_400000_NS6detail17trampoline_kernelINS0_14default_configENS1_35radix_sort_onesweep_config_selectorIiNS0_10empty_typeEEEZZNS1_29radix_sort_onesweep_iterationIS3_Lb1EN6thrust23THRUST_200600_302600_NS6detail15normal_iteratorINS9_10device_ptrIiEEEESE_PS5_SF_jNS0_19identity_decomposerENS1_16block_id_wrapperIjLb0EEEEE10hipError_tT1_PNSt15iterator_traitsISK_E10value_typeET2_T3_PNSL_ISQ_E10value_typeET4_T5_PSV_SW_PNS1_23onesweep_lookback_stateEbbT6_jjT7_P12ihipStream_tbENKUlT_T0_SK_SP_E_clISE_PiSF_SF_EEDaS13_S14_SK_SP_EUlS13_E_NS1_11comp_targetILNS1_3genE8ELNS1_11target_archE1030ELNS1_3gpuE2ELNS1_3repE0EEENS1_47radix_sort_onesweep_sort_config_static_selectorELNS0_4arch9wavefront6targetE1EEEvSK_ ; -- Begin function _ZN7rocprim17ROCPRIM_400000_NS6detail17trampoline_kernelINS0_14default_configENS1_35radix_sort_onesweep_config_selectorIiNS0_10empty_typeEEEZZNS1_29radix_sort_onesweep_iterationIS3_Lb1EN6thrust23THRUST_200600_302600_NS6detail15normal_iteratorINS9_10device_ptrIiEEEESE_PS5_SF_jNS0_19identity_decomposerENS1_16block_id_wrapperIjLb0EEEEE10hipError_tT1_PNSt15iterator_traitsISK_E10value_typeET2_T3_PNSL_ISQ_E10value_typeET4_T5_PSV_SW_PNS1_23onesweep_lookback_stateEbbT6_jjT7_P12ihipStream_tbENKUlT_T0_SK_SP_E_clISE_PiSF_SF_EEDaS13_S14_SK_SP_EUlS13_E_NS1_11comp_targetILNS1_3genE8ELNS1_11target_archE1030ELNS1_3gpuE2ELNS1_3repE0EEENS1_47radix_sort_onesweep_sort_config_static_selectorELNS0_4arch9wavefront6targetE1EEEvSK_
	.globl	_ZN7rocprim17ROCPRIM_400000_NS6detail17trampoline_kernelINS0_14default_configENS1_35radix_sort_onesweep_config_selectorIiNS0_10empty_typeEEEZZNS1_29radix_sort_onesweep_iterationIS3_Lb1EN6thrust23THRUST_200600_302600_NS6detail15normal_iteratorINS9_10device_ptrIiEEEESE_PS5_SF_jNS0_19identity_decomposerENS1_16block_id_wrapperIjLb0EEEEE10hipError_tT1_PNSt15iterator_traitsISK_E10value_typeET2_T3_PNSL_ISQ_E10value_typeET4_T5_PSV_SW_PNS1_23onesweep_lookback_stateEbbT6_jjT7_P12ihipStream_tbENKUlT_T0_SK_SP_E_clISE_PiSF_SF_EEDaS13_S14_SK_SP_EUlS13_E_NS1_11comp_targetILNS1_3genE8ELNS1_11target_archE1030ELNS1_3gpuE2ELNS1_3repE0EEENS1_47radix_sort_onesweep_sort_config_static_selectorELNS0_4arch9wavefront6targetE1EEEvSK_
	.p2align	8
	.type	_ZN7rocprim17ROCPRIM_400000_NS6detail17trampoline_kernelINS0_14default_configENS1_35radix_sort_onesweep_config_selectorIiNS0_10empty_typeEEEZZNS1_29radix_sort_onesweep_iterationIS3_Lb1EN6thrust23THRUST_200600_302600_NS6detail15normal_iteratorINS9_10device_ptrIiEEEESE_PS5_SF_jNS0_19identity_decomposerENS1_16block_id_wrapperIjLb0EEEEE10hipError_tT1_PNSt15iterator_traitsISK_E10value_typeET2_T3_PNSL_ISQ_E10value_typeET4_T5_PSV_SW_PNS1_23onesweep_lookback_stateEbbT6_jjT7_P12ihipStream_tbENKUlT_T0_SK_SP_E_clISE_PiSF_SF_EEDaS13_S14_SK_SP_EUlS13_E_NS1_11comp_targetILNS1_3genE8ELNS1_11target_archE1030ELNS1_3gpuE2ELNS1_3repE0EEENS1_47radix_sort_onesweep_sort_config_static_selectorELNS0_4arch9wavefront6targetE1EEEvSK_,@function
_ZN7rocprim17ROCPRIM_400000_NS6detail17trampoline_kernelINS0_14default_configENS1_35radix_sort_onesweep_config_selectorIiNS0_10empty_typeEEEZZNS1_29radix_sort_onesweep_iterationIS3_Lb1EN6thrust23THRUST_200600_302600_NS6detail15normal_iteratorINS9_10device_ptrIiEEEESE_PS5_SF_jNS0_19identity_decomposerENS1_16block_id_wrapperIjLb0EEEEE10hipError_tT1_PNSt15iterator_traitsISK_E10value_typeET2_T3_PNSL_ISQ_E10value_typeET4_T5_PSV_SW_PNS1_23onesweep_lookback_stateEbbT6_jjT7_P12ihipStream_tbENKUlT_T0_SK_SP_E_clISE_PiSF_SF_EEDaS13_S14_SK_SP_EUlS13_E_NS1_11comp_targetILNS1_3genE8ELNS1_11target_archE1030ELNS1_3gpuE2ELNS1_3repE0EEENS1_47radix_sort_onesweep_sort_config_static_selectorELNS0_4arch9wavefront6targetE1EEEvSK_: ; @_ZN7rocprim17ROCPRIM_400000_NS6detail17trampoline_kernelINS0_14default_configENS1_35radix_sort_onesweep_config_selectorIiNS0_10empty_typeEEEZZNS1_29radix_sort_onesweep_iterationIS3_Lb1EN6thrust23THRUST_200600_302600_NS6detail15normal_iteratorINS9_10device_ptrIiEEEESE_PS5_SF_jNS0_19identity_decomposerENS1_16block_id_wrapperIjLb0EEEEE10hipError_tT1_PNSt15iterator_traitsISK_E10value_typeET2_T3_PNSL_ISQ_E10value_typeET4_T5_PSV_SW_PNS1_23onesweep_lookback_stateEbbT6_jjT7_P12ihipStream_tbENKUlT_T0_SK_SP_E_clISE_PiSF_SF_EEDaS13_S14_SK_SP_EUlS13_E_NS1_11comp_targetILNS1_3genE8ELNS1_11target_archE1030ELNS1_3gpuE2ELNS1_3repE0EEENS1_47radix_sort_onesweep_sort_config_static_selectorELNS0_4arch9wavefront6targetE1EEEvSK_
; %bb.0:
	.section	.rodata,"a",@progbits
	.p2align	6, 0x0
	.amdhsa_kernel _ZN7rocprim17ROCPRIM_400000_NS6detail17trampoline_kernelINS0_14default_configENS1_35radix_sort_onesweep_config_selectorIiNS0_10empty_typeEEEZZNS1_29radix_sort_onesweep_iterationIS3_Lb1EN6thrust23THRUST_200600_302600_NS6detail15normal_iteratorINS9_10device_ptrIiEEEESE_PS5_SF_jNS0_19identity_decomposerENS1_16block_id_wrapperIjLb0EEEEE10hipError_tT1_PNSt15iterator_traitsISK_E10value_typeET2_T3_PNSL_ISQ_E10value_typeET4_T5_PSV_SW_PNS1_23onesweep_lookback_stateEbbT6_jjT7_P12ihipStream_tbENKUlT_T0_SK_SP_E_clISE_PiSF_SF_EEDaS13_S14_SK_SP_EUlS13_E_NS1_11comp_targetILNS1_3genE8ELNS1_11target_archE1030ELNS1_3gpuE2ELNS1_3repE0EEENS1_47radix_sort_onesweep_sort_config_static_selectorELNS0_4arch9wavefront6targetE1EEEvSK_
		.amdhsa_group_segment_fixed_size 0
		.amdhsa_private_segment_fixed_size 0
		.amdhsa_kernarg_size 88
		.amdhsa_user_sgpr_count 2
		.amdhsa_user_sgpr_dispatch_ptr 0
		.amdhsa_user_sgpr_queue_ptr 0
		.amdhsa_user_sgpr_kernarg_segment_ptr 1
		.amdhsa_user_sgpr_dispatch_id 0
		.amdhsa_user_sgpr_kernarg_preload_length 0
		.amdhsa_user_sgpr_kernarg_preload_offset 0
		.amdhsa_user_sgpr_private_segment_size 0
		.amdhsa_uses_dynamic_stack 0
		.amdhsa_enable_private_segment 0
		.amdhsa_system_sgpr_workgroup_id_x 1
		.amdhsa_system_sgpr_workgroup_id_y 0
		.amdhsa_system_sgpr_workgroup_id_z 0
		.amdhsa_system_sgpr_workgroup_info 0
		.amdhsa_system_vgpr_workitem_id 0
		.amdhsa_next_free_vgpr 1
		.amdhsa_next_free_sgpr 0
		.amdhsa_accum_offset 4
		.amdhsa_reserve_vcc 0
		.amdhsa_float_round_mode_32 0
		.amdhsa_float_round_mode_16_64 0
		.amdhsa_float_denorm_mode_32 3
		.amdhsa_float_denorm_mode_16_64 3
		.amdhsa_dx10_clamp 1
		.amdhsa_ieee_mode 1
		.amdhsa_fp16_overflow 0
		.amdhsa_tg_split 0
		.amdhsa_exception_fp_ieee_invalid_op 0
		.amdhsa_exception_fp_denorm_src 0
		.amdhsa_exception_fp_ieee_div_zero 0
		.amdhsa_exception_fp_ieee_overflow 0
		.amdhsa_exception_fp_ieee_underflow 0
		.amdhsa_exception_fp_ieee_inexact 0
		.amdhsa_exception_int_div_zero 0
	.end_amdhsa_kernel
	.section	.text._ZN7rocprim17ROCPRIM_400000_NS6detail17trampoline_kernelINS0_14default_configENS1_35radix_sort_onesweep_config_selectorIiNS0_10empty_typeEEEZZNS1_29radix_sort_onesweep_iterationIS3_Lb1EN6thrust23THRUST_200600_302600_NS6detail15normal_iteratorINS9_10device_ptrIiEEEESE_PS5_SF_jNS0_19identity_decomposerENS1_16block_id_wrapperIjLb0EEEEE10hipError_tT1_PNSt15iterator_traitsISK_E10value_typeET2_T3_PNSL_ISQ_E10value_typeET4_T5_PSV_SW_PNS1_23onesweep_lookback_stateEbbT6_jjT7_P12ihipStream_tbENKUlT_T0_SK_SP_E_clISE_PiSF_SF_EEDaS13_S14_SK_SP_EUlS13_E_NS1_11comp_targetILNS1_3genE8ELNS1_11target_archE1030ELNS1_3gpuE2ELNS1_3repE0EEENS1_47radix_sort_onesweep_sort_config_static_selectorELNS0_4arch9wavefront6targetE1EEEvSK_,"axG",@progbits,_ZN7rocprim17ROCPRIM_400000_NS6detail17trampoline_kernelINS0_14default_configENS1_35radix_sort_onesweep_config_selectorIiNS0_10empty_typeEEEZZNS1_29radix_sort_onesweep_iterationIS3_Lb1EN6thrust23THRUST_200600_302600_NS6detail15normal_iteratorINS9_10device_ptrIiEEEESE_PS5_SF_jNS0_19identity_decomposerENS1_16block_id_wrapperIjLb0EEEEE10hipError_tT1_PNSt15iterator_traitsISK_E10value_typeET2_T3_PNSL_ISQ_E10value_typeET4_T5_PSV_SW_PNS1_23onesweep_lookback_stateEbbT6_jjT7_P12ihipStream_tbENKUlT_T0_SK_SP_E_clISE_PiSF_SF_EEDaS13_S14_SK_SP_EUlS13_E_NS1_11comp_targetILNS1_3genE8ELNS1_11target_archE1030ELNS1_3gpuE2ELNS1_3repE0EEENS1_47radix_sort_onesweep_sort_config_static_selectorELNS0_4arch9wavefront6targetE1EEEvSK_,comdat
.Lfunc_end380:
	.size	_ZN7rocprim17ROCPRIM_400000_NS6detail17trampoline_kernelINS0_14default_configENS1_35radix_sort_onesweep_config_selectorIiNS0_10empty_typeEEEZZNS1_29radix_sort_onesweep_iterationIS3_Lb1EN6thrust23THRUST_200600_302600_NS6detail15normal_iteratorINS9_10device_ptrIiEEEESE_PS5_SF_jNS0_19identity_decomposerENS1_16block_id_wrapperIjLb0EEEEE10hipError_tT1_PNSt15iterator_traitsISK_E10value_typeET2_T3_PNSL_ISQ_E10value_typeET4_T5_PSV_SW_PNS1_23onesweep_lookback_stateEbbT6_jjT7_P12ihipStream_tbENKUlT_T0_SK_SP_E_clISE_PiSF_SF_EEDaS13_S14_SK_SP_EUlS13_E_NS1_11comp_targetILNS1_3genE8ELNS1_11target_archE1030ELNS1_3gpuE2ELNS1_3repE0EEENS1_47radix_sort_onesweep_sort_config_static_selectorELNS0_4arch9wavefront6targetE1EEEvSK_, .Lfunc_end380-_ZN7rocprim17ROCPRIM_400000_NS6detail17trampoline_kernelINS0_14default_configENS1_35radix_sort_onesweep_config_selectorIiNS0_10empty_typeEEEZZNS1_29radix_sort_onesweep_iterationIS3_Lb1EN6thrust23THRUST_200600_302600_NS6detail15normal_iteratorINS9_10device_ptrIiEEEESE_PS5_SF_jNS0_19identity_decomposerENS1_16block_id_wrapperIjLb0EEEEE10hipError_tT1_PNSt15iterator_traitsISK_E10value_typeET2_T3_PNSL_ISQ_E10value_typeET4_T5_PSV_SW_PNS1_23onesweep_lookback_stateEbbT6_jjT7_P12ihipStream_tbENKUlT_T0_SK_SP_E_clISE_PiSF_SF_EEDaS13_S14_SK_SP_EUlS13_E_NS1_11comp_targetILNS1_3genE8ELNS1_11target_archE1030ELNS1_3gpuE2ELNS1_3repE0EEENS1_47radix_sort_onesweep_sort_config_static_selectorELNS0_4arch9wavefront6targetE1EEEvSK_
                                        ; -- End function
	.set _ZN7rocprim17ROCPRIM_400000_NS6detail17trampoline_kernelINS0_14default_configENS1_35radix_sort_onesweep_config_selectorIiNS0_10empty_typeEEEZZNS1_29radix_sort_onesweep_iterationIS3_Lb1EN6thrust23THRUST_200600_302600_NS6detail15normal_iteratorINS9_10device_ptrIiEEEESE_PS5_SF_jNS0_19identity_decomposerENS1_16block_id_wrapperIjLb0EEEEE10hipError_tT1_PNSt15iterator_traitsISK_E10value_typeET2_T3_PNSL_ISQ_E10value_typeET4_T5_PSV_SW_PNS1_23onesweep_lookback_stateEbbT6_jjT7_P12ihipStream_tbENKUlT_T0_SK_SP_E_clISE_PiSF_SF_EEDaS13_S14_SK_SP_EUlS13_E_NS1_11comp_targetILNS1_3genE8ELNS1_11target_archE1030ELNS1_3gpuE2ELNS1_3repE0EEENS1_47radix_sort_onesweep_sort_config_static_selectorELNS0_4arch9wavefront6targetE1EEEvSK_.num_vgpr, 0
	.set _ZN7rocprim17ROCPRIM_400000_NS6detail17trampoline_kernelINS0_14default_configENS1_35radix_sort_onesweep_config_selectorIiNS0_10empty_typeEEEZZNS1_29radix_sort_onesweep_iterationIS3_Lb1EN6thrust23THRUST_200600_302600_NS6detail15normal_iteratorINS9_10device_ptrIiEEEESE_PS5_SF_jNS0_19identity_decomposerENS1_16block_id_wrapperIjLb0EEEEE10hipError_tT1_PNSt15iterator_traitsISK_E10value_typeET2_T3_PNSL_ISQ_E10value_typeET4_T5_PSV_SW_PNS1_23onesweep_lookback_stateEbbT6_jjT7_P12ihipStream_tbENKUlT_T0_SK_SP_E_clISE_PiSF_SF_EEDaS13_S14_SK_SP_EUlS13_E_NS1_11comp_targetILNS1_3genE8ELNS1_11target_archE1030ELNS1_3gpuE2ELNS1_3repE0EEENS1_47radix_sort_onesweep_sort_config_static_selectorELNS0_4arch9wavefront6targetE1EEEvSK_.num_agpr, 0
	.set _ZN7rocprim17ROCPRIM_400000_NS6detail17trampoline_kernelINS0_14default_configENS1_35radix_sort_onesweep_config_selectorIiNS0_10empty_typeEEEZZNS1_29radix_sort_onesweep_iterationIS3_Lb1EN6thrust23THRUST_200600_302600_NS6detail15normal_iteratorINS9_10device_ptrIiEEEESE_PS5_SF_jNS0_19identity_decomposerENS1_16block_id_wrapperIjLb0EEEEE10hipError_tT1_PNSt15iterator_traitsISK_E10value_typeET2_T3_PNSL_ISQ_E10value_typeET4_T5_PSV_SW_PNS1_23onesweep_lookback_stateEbbT6_jjT7_P12ihipStream_tbENKUlT_T0_SK_SP_E_clISE_PiSF_SF_EEDaS13_S14_SK_SP_EUlS13_E_NS1_11comp_targetILNS1_3genE8ELNS1_11target_archE1030ELNS1_3gpuE2ELNS1_3repE0EEENS1_47radix_sort_onesweep_sort_config_static_selectorELNS0_4arch9wavefront6targetE1EEEvSK_.numbered_sgpr, 0
	.set _ZN7rocprim17ROCPRIM_400000_NS6detail17trampoline_kernelINS0_14default_configENS1_35radix_sort_onesweep_config_selectorIiNS0_10empty_typeEEEZZNS1_29radix_sort_onesweep_iterationIS3_Lb1EN6thrust23THRUST_200600_302600_NS6detail15normal_iteratorINS9_10device_ptrIiEEEESE_PS5_SF_jNS0_19identity_decomposerENS1_16block_id_wrapperIjLb0EEEEE10hipError_tT1_PNSt15iterator_traitsISK_E10value_typeET2_T3_PNSL_ISQ_E10value_typeET4_T5_PSV_SW_PNS1_23onesweep_lookback_stateEbbT6_jjT7_P12ihipStream_tbENKUlT_T0_SK_SP_E_clISE_PiSF_SF_EEDaS13_S14_SK_SP_EUlS13_E_NS1_11comp_targetILNS1_3genE8ELNS1_11target_archE1030ELNS1_3gpuE2ELNS1_3repE0EEENS1_47radix_sort_onesweep_sort_config_static_selectorELNS0_4arch9wavefront6targetE1EEEvSK_.num_named_barrier, 0
	.set _ZN7rocprim17ROCPRIM_400000_NS6detail17trampoline_kernelINS0_14default_configENS1_35radix_sort_onesweep_config_selectorIiNS0_10empty_typeEEEZZNS1_29radix_sort_onesweep_iterationIS3_Lb1EN6thrust23THRUST_200600_302600_NS6detail15normal_iteratorINS9_10device_ptrIiEEEESE_PS5_SF_jNS0_19identity_decomposerENS1_16block_id_wrapperIjLb0EEEEE10hipError_tT1_PNSt15iterator_traitsISK_E10value_typeET2_T3_PNSL_ISQ_E10value_typeET4_T5_PSV_SW_PNS1_23onesweep_lookback_stateEbbT6_jjT7_P12ihipStream_tbENKUlT_T0_SK_SP_E_clISE_PiSF_SF_EEDaS13_S14_SK_SP_EUlS13_E_NS1_11comp_targetILNS1_3genE8ELNS1_11target_archE1030ELNS1_3gpuE2ELNS1_3repE0EEENS1_47radix_sort_onesweep_sort_config_static_selectorELNS0_4arch9wavefront6targetE1EEEvSK_.private_seg_size, 0
	.set _ZN7rocprim17ROCPRIM_400000_NS6detail17trampoline_kernelINS0_14default_configENS1_35radix_sort_onesweep_config_selectorIiNS0_10empty_typeEEEZZNS1_29radix_sort_onesweep_iterationIS3_Lb1EN6thrust23THRUST_200600_302600_NS6detail15normal_iteratorINS9_10device_ptrIiEEEESE_PS5_SF_jNS0_19identity_decomposerENS1_16block_id_wrapperIjLb0EEEEE10hipError_tT1_PNSt15iterator_traitsISK_E10value_typeET2_T3_PNSL_ISQ_E10value_typeET4_T5_PSV_SW_PNS1_23onesweep_lookback_stateEbbT6_jjT7_P12ihipStream_tbENKUlT_T0_SK_SP_E_clISE_PiSF_SF_EEDaS13_S14_SK_SP_EUlS13_E_NS1_11comp_targetILNS1_3genE8ELNS1_11target_archE1030ELNS1_3gpuE2ELNS1_3repE0EEENS1_47radix_sort_onesweep_sort_config_static_selectorELNS0_4arch9wavefront6targetE1EEEvSK_.uses_vcc, 0
	.set _ZN7rocprim17ROCPRIM_400000_NS6detail17trampoline_kernelINS0_14default_configENS1_35radix_sort_onesweep_config_selectorIiNS0_10empty_typeEEEZZNS1_29radix_sort_onesweep_iterationIS3_Lb1EN6thrust23THRUST_200600_302600_NS6detail15normal_iteratorINS9_10device_ptrIiEEEESE_PS5_SF_jNS0_19identity_decomposerENS1_16block_id_wrapperIjLb0EEEEE10hipError_tT1_PNSt15iterator_traitsISK_E10value_typeET2_T3_PNSL_ISQ_E10value_typeET4_T5_PSV_SW_PNS1_23onesweep_lookback_stateEbbT6_jjT7_P12ihipStream_tbENKUlT_T0_SK_SP_E_clISE_PiSF_SF_EEDaS13_S14_SK_SP_EUlS13_E_NS1_11comp_targetILNS1_3genE8ELNS1_11target_archE1030ELNS1_3gpuE2ELNS1_3repE0EEENS1_47radix_sort_onesweep_sort_config_static_selectorELNS0_4arch9wavefront6targetE1EEEvSK_.uses_flat_scratch, 0
	.set _ZN7rocprim17ROCPRIM_400000_NS6detail17trampoline_kernelINS0_14default_configENS1_35radix_sort_onesweep_config_selectorIiNS0_10empty_typeEEEZZNS1_29radix_sort_onesweep_iterationIS3_Lb1EN6thrust23THRUST_200600_302600_NS6detail15normal_iteratorINS9_10device_ptrIiEEEESE_PS5_SF_jNS0_19identity_decomposerENS1_16block_id_wrapperIjLb0EEEEE10hipError_tT1_PNSt15iterator_traitsISK_E10value_typeET2_T3_PNSL_ISQ_E10value_typeET4_T5_PSV_SW_PNS1_23onesweep_lookback_stateEbbT6_jjT7_P12ihipStream_tbENKUlT_T0_SK_SP_E_clISE_PiSF_SF_EEDaS13_S14_SK_SP_EUlS13_E_NS1_11comp_targetILNS1_3genE8ELNS1_11target_archE1030ELNS1_3gpuE2ELNS1_3repE0EEENS1_47radix_sort_onesweep_sort_config_static_selectorELNS0_4arch9wavefront6targetE1EEEvSK_.has_dyn_sized_stack, 0
	.set _ZN7rocprim17ROCPRIM_400000_NS6detail17trampoline_kernelINS0_14default_configENS1_35radix_sort_onesweep_config_selectorIiNS0_10empty_typeEEEZZNS1_29radix_sort_onesweep_iterationIS3_Lb1EN6thrust23THRUST_200600_302600_NS6detail15normal_iteratorINS9_10device_ptrIiEEEESE_PS5_SF_jNS0_19identity_decomposerENS1_16block_id_wrapperIjLb0EEEEE10hipError_tT1_PNSt15iterator_traitsISK_E10value_typeET2_T3_PNSL_ISQ_E10value_typeET4_T5_PSV_SW_PNS1_23onesweep_lookback_stateEbbT6_jjT7_P12ihipStream_tbENKUlT_T0_SK_SP_E_clISE_PiSF_SF_EEDaS13_S14_SK_SP_EUlS13_E_NS1_11comp_targetILNS1_3genE8ELNS1_11target_archE1030ELNS1_3gpuE2ELNS1_3repE0EEENS1_47radix_sort_onesweep_sort_config_static_selectorELNS0_4arch9wavefront6targetE1EEEvSK_.has_recursion, 0
	.set _ZN7rocprim17ROCPRIM_400000_NS6detail17trampoline_kernelINS0_14default_configENS1_35radix_sort_onesweep_config_selectorIiNS0_10empty_typeEEEZZNS1_29radix_sort_onesweep_iterationIS3_Lb1EN6thrust23THRUST_200600_302600_NS6detail15normal_iteratorINS9_10device_ptrIiEEEESE_PS5_SF_jNS0_19identity_decomposerENS1_16block_id_wrapperIjLb0EEEEE10hipError_tT1_PNSt15iterator_traitsISK_E10value_typeET2_T3_PNSL_ISQ_E10value_typeET4_T5_PSV_SW_PNS1_23onesweep_lookback_stateEbbT6_jjT7_P12ihipStream_tbENKUlT_T0_SK_SP_E_clISE_PiSF_SF_EEDaS13_S14_SK_SP_EUlS13_E_NS1_11comp_targetILNS1_3genE8ELNS1_11target_archE1030ELNS1_3gpuE2ELNS1_3repE0EEENS1_47radix_sort_onesweep_sort_config_static_selectorELNS0_4arch9wavefront6targetE1EEEvSK_.has_indirect_call, 0
	.section	.AMDGPU.csdata,"",@progbits
; Kernel info:
; codeLenInByte = 0
; TotalNumSgprs: 6
; NumVgprs: 0
; NumAgprs: 0
; TotalNumVgprs: 0
; ScratchSize: 0
; MemoryBound: 0
; FloatMode: 240
; IeeeMode: 1
; LDSByteSize: 0 bytes/workgroup (compile time only)
; SGPRBlocks: 0
; VGPRBlocks: 0
; NumSGPRsForWavesPerEU: 6
; NumVGPRsForWavesPerEU: 1
; AccumOffset: 4
; Occupancy: 8
; WaveLimiterHint : 0
; COMPUTE_PGM_RSRC2:SCRATCH_EN: 0
; COMPUTE_PGM_RSRC2:USER_SGPR: 2
; COMPUTE_PGM_RSRC2:TRAP_HANDLER: 0
; COMPUTE_PGM_RSRC2:TGID_X_EN: 1
; COMPUTE_PGM_RSRC2:TGID_Y_EN: 0
; COMPUTE_PGM_RSRC2:TGID_Z_EN: 0
; COMPUTE_PGM_RSRC2:TIDIG_COMP_CNT: 0
; COMPUTE_PGM_RSRC3_GFX90A:ACCUM_OFFSET: 0
; COMPUTE_PGM_RSRC3_GFX90A:TG_SPLIT: 0
	.section	.text._ZN7rocprim17ROCPRIM_400000_NS6detail17trampoline_kernelINS0_14default_configENS1_35radix_sort_onesweep_config_selectorIiNS0_10empty_typeEEEZZNS1_29radix_sort_onesweep_iterationIS3_Lb1EN6thrust23THRUST_200600_302600_NS6detail15normal_iteratorINS9_10device_ptrIiEEEESE_PS5_SF_jNS0_19identity_decomposerENS1_16block_id_wrapperIjLb0EEEEE10hipError_tT1_PNSt15iterator_traitsISK_E10value_typeET2_T3_PNSL_ISQ_E10value_typeET4_T5_PSV_SW_PNS1_23onesweep_lookback_stateEbbT6_jjT7_P12ihipStream_tbENKUlT_T0_SK_SP_E_clIPiSE_SF_SF_EEDaS13_S14_SK_SP_EUlS13_E_NS1_11comp_targetILNS1_3genE0ELNS1_11target_archE4294967295ELNS1_3gpuE0ELNS1_3repE0EEENS1_47radix_sort_onesweep_sort_config_static_selectorELNS0_4arch9wavefront6targetE1EEEvSK_,"axG",@progbits,_ZN7rocprim17ROCPRIM_400000_NS6detail17trampoline_kernelINS0_14default_configENS1_35radix_sort_onesweep_config_selectorIiNS0_10empty_typeEEEZZNS1_29radix_sort_onesweep_iterationIS3_Lb1EN6thrust23THRUST_200600_302600_NS6detail15normal_iteratorINS9_10device_ptrIiEEEESE_PS5_SF_jNS0_19identity_decomposerENS1_16block_id_wrapperIjLb0EEEEE10hipError_tT1_PNSt15iterator_traitsISK_E10value_typeET2_T3_PNSL_ISQ_E10value_typeET4_T5_PSV_SW_PNS1_23onesweep_lookback_stateEbbT6_jjT7_P12ihipStream_tbENKUlT_T0_SK_SP_E_clIPiSE_SF_SF_EEDaS13_S14_SK_SP_EUlS13_E_NS1_11comp_targetILNS1_3genE0ELNS1_11target_archE4294967295ELNS1_3gpuE0ELNS1_3repE0EEENS1_47radix_sort_onesweep_sort_config_static_selectorELNS0_4arch9wavefront6targetE1EEEvSK_,comdat
	.protected	_ZN7rocprim17ROCPRIM_400000_NS6detail17trampoline_kernelINS0_14default_configENS1_35radix_sort_onesweep_config_selectorIiNS0_10empty_typeEEEZZNS1_29radix_sort_onesweep_iterationIS3_Lb1EN6thrust23THRUST_200600_302600_NS6detail15normal_iteratorINS9_10device_ptrIiEEEESE_PS5_SF_jNS0_19identity_decomposerENS1_16block_id_wrapperIjLb0EEEEE10hipError_tT1_PNSt15iterator_traitsISK_E10value_typeET2_T3_PNSL_ISQ_E10value_typeET4_T5_PSV_SW_PNS1_23onesweep_lookback_stateEbbT6_jjT7_P12ihipStream_tbENKUlT_T0_SK_SP_E_clIPiSE_SF_SF_EEDaS13_S14_SK_SP_EUlS13_E_NS1_11comp_targetILNS1_3genE0ELNS1_11target_archE4294967295ELNS1_3gpuE0ELNS1_3repE0EEENS1_47radix_sort_onesweep_sort_config_static_selectorELNS0_4arch9wavefront6targetE1EEEvSK_ ; -- Begin function _ZN7rocprim17ROCPRIM_400000_NS6detail17trampoline_kernelINS0_14default_configENS1_35radix_sort_onesweep_config_selectorIiNS0_10empty_typeEEEZZNS1_29radix_sort_onesweep_iterationIS3_Lb1EN6thrust23THRUST_200600_302600_NS6detail15normal_iteratorINS9_10device_ptrIiEEEESE_PS5_SF_jNS0_19identity_decomposerENS1_16block_id_wrapperIjLb0EEEEE10hipError_tT1_PNSt15iterator_traitsISK_E10value_typeET2_T3_PNSL_ISQ_E10value_typeET4_T5_PSV_SW_PNS1_23onesweep_lookback_stateEbbT6_jjT7_P12ihipStream_tbENKUlT_T0_SK_SP_E_clIPiSE_SF_SF_EEDaS13_S14_SK_SP_EUlS13_E_NS1_11comp_targetILNS1_3genE0ELNS1_11target_archE4294967295ELNS1_3gpuE0ELNS1_3repE0EEENS1_47radix_sort_onesweep_sort_config_static_selectorELNS0_4arch9wavefront6targetE1EEEvSK_
	.globl	_ZN7rocprim17ROCPRIM_400000_NS6detail17trampoline_kernelINS0_14default_configENS1_35radix_sort_onesweep_config_selectorIiNS0_10empty_typeEEEZZNS1_29radix_sort_onesweep_iterationIS3_Lb1EN6thrust23THRUST_200600_302600_NS6detail15normal_iteratorINS9_10device_ptrIiEEEESE_PS5_SF_jNS0_19identity_decomposerENS1_16block_id_wrapperIjLb0EEEEE10hipError_tT1_PNSt15iterator_traitsISK_E10value_typeET2_T3_PNSL_ISQ_E10value_typeET4_T5_PSV_SW_PNS1_23onesweep_lookback_stateEbbT6_jjT7_P12ihipStream_tbENKUlT_T0_SK_SP_E_clIPiSE_SF_SF_EEDaS13_S14_SK_SP_EUlS13_E_NS1_11comp_targetILNS1_3genE0ELNS1_11target_archE4294967295ELNS1_3gpuE0ELNS1_3repE0EEENS1_47radix_sort_onesweep_sort_config_static_selectorELNS0_4arch9wavefront6targetE1EEEvSK_
	.p2align	8
	.type	_ZN7rocprim17ROCPRIM_400000_NS6detail17trampoline_kernelINS0_14default_configENS1_35radix_sort_onesweep_config_selectorIiNS0_10empty_typeEEEZZNS1_29radix_sort_onesweep_iterationIS3_Lb1EN6thrust23THRUST_200600_302600_NS6detail15normal_iteratorINS9_10device_ptrIiEEEESE_PS5_SF_jNS0_19identity_decomposerENS1_16block_id_wrapperIjLb0EEEEE10hipError_tT1_PNSt15iterator_traitsISK_E10value_typeET2_T3_PNSL_ISQ_E10value_typeET4_T5_PSV_SW_PNS1_23onesweep_lookback_stateEbbT6_jjT7_P12ihipStream_tbENKUlT_T0_SK_SP_E_clIPiSE_SF_SF_EEDaS13_S14_SK_SP_EUlS13_E_NS1_11comp_targetILNS1_3genE0ELNS1_11target_archE4294967295ELNS1_3gpuE0ELNS1_3repE0EEENS1_47radix_sort_onesweep_sort_config_static_selectorELNS0_4arch9wavefront6targetE1EEEvSK_,@function
_ZN7rocprim17ROCPRIM_400000_NS6detail17trampoline_kernelINS0_14default_configENS1_35radix_sort_onesweep_config_selectorIiNS0_10empty_typeEEEZZNS1_29radix_sort_onesweep_iterationIS3_Lb1EN6thrust23THRUST_200600_302600_NS6detail15normal_iteratorINS9_10device_ptrIiEEEESE_PS5_SF_jNS0_19identity_decomposerENS1_16block_id_wrapperIjLb0EEEEE10hipError_tT1_PNSt15iterator_traitsISK_E10value_typeET2_T3_PNSL_ISQ_E10value_typeET4_T5_PSV_SW_PNS1_23onesweep_lookback_stateEbbT6_jjT7_P12ihipStream_tbENKUlT_T0_SK_SP_E_clIPiSE_SF_SF_EEDaS13_S14_SK_SP_EUlS13_E_NS1_11comp_targetILNS1_3genE0ELNS1_11target_archE4294967295ELNS1_3gpuE0ELNS1_3repE0EEENS1_47radix_sort_onesweep_sort_config_static_selectorELNS0_4arch9wavefront6targetE1EEEvSK_: ; @_ZN7rocprim17ROCPRIM_400000_NS6detail17trampoline_kernelINS0_14default_configENS1_35radix_sort_onesweep_config_selectorIiNS0_10empty_typeEEEZZNS1_29radix_sort_onesweep_iterationIS3_Lb1EN6thrust23THRUST_200600_302600_NS6detail15normal_iteratorINS9_10device_ptrIiEEEESE_PS5_SF_jNS0_19identity_decomposerENS1_16block_id_wrapperIjLb0EEEEE10hipError_tT1_PNSt15iterator_traitsISK_E10value_typeET2_T3_PNSL_ISQ_E10value_typeET4_T5_PSV_SW_PNS1_23onesweep_lookback_stateEbbT6_jjT7_P12ihipStream_tbENKUlT_T0_SK_SP_E_clIPiSE_SF_SF_EEDaS13_S14_SK_SP_EUlS13_E_NS1_11comp_targetILNS1_3genE0ELNS1_11target_archE4294967295ELNS1_3gpuE0ELNS1_3repE0EEENS1_47radix_sort_onesweep_sort_config_static_selectorELNS0_4arch9wavefront6targetE1EEEvSK_
; %bb.0:
	.section	.rodata,"a",@progbits
	.p2align	6, 0x0
	.amdhsa_kernel _ZN7rocprim17ROCPRIM_400000_NS6detail17trampoline_kernelINS0_14default_configENS1_35radix_sort_onesweep_config_selectorIiNS0_10empty_typeEEEZZNS1_29radix_sort_onesweep_iterationIS3_Lb1EN6thrust23THRUST_200600_302600_NS6detail15normal_iteratorINS9_10device_ptrIiEEEESE_PS5_SF_jNS0_19identity_decomposerENS1_16block_id_wrapperIjLb0EEEEE10hipError_tT1_PNSt15iterator_traitsISK_E10value_typeET2_T3_PNSL_ISQ_E10value_typeET4_T5_PSV_SW_PNS1_23onesweep_lookback_stateEbbT6_jjT7_P12ihipStream_tbENKUlT_T0_SK_SP_E_clIPiSE_SF_SF_EEDaS13_S14_SK_SP_EUlS13_E_NS1_11comp_targetILNS1_3genE0ELNS1_11target_archE4294967295ELNS1_3gpuE0ELNS1_3repE0EEENS1_47radix_sort_onesweep_sort_config_static_selectorELNS0_4arch9wavefront6targetE1EEEvSK_
		.amdhsa_group_segment_fixed_size 0
		.amdhsa_private_segment_fixed_size 0
		.amdhsa_kernarg_size 88
		.amdhsa_user_sgpr_count 2
		.amdhsa_user_sgpr_dispatch_ptr 0
		.amdhsa_user_sgpr_queue_ptr 0
		.amdhsa_user_sgpr_kernarg_segment_ptr 1
		.amdhsa_user_sgpr_dispatch_id 0
		.amdhsa_user_sgpr_kernarg_preload_length 0
		.amdhsa_user_sgpr_kernarg_preload_offset 0
		.amdhsa_user_sgpr_private_segment_size 0
		.amdhsa_uses_dynamic_stack 0
		.amdhsa_enable_private_segment 0
		.amdhsa_system_sgpr_workgroup_id_x 1
		.amdhsa_system_sgpr_workgroup_id_y 0
		.amdhsa_system_sgpr_workgroup_id_z 0
		.amdhsa_system_sgpr_workgroup_info 0
		.amdhsa_system_vgpr_workitem_id 0
		.amdhsa_next_free_vgpr 1
		.amdhsa_next_free_sgpr 0
		.amdhsa_accum_offset 4
		.amdhsa_reserve_vcc 0
		.amdhsa_float_round_mode_32 0
		.amdhsa_float_round_mode_16_64 0
		.amdhsa_float_denorm_mode_32 3
		.amdhsa_float_denorm_mode_16_64 3
		.amdhsa_dx10_clamp 1
		.amdhsa_ieee_mode 1
		.amdhsa_fp16_overflow 0
		.amdhsa_tg_split 0
		.amdhsa_exception_fp_ieee_invalid_op 0
		.amdhsa_exception_fp_denorm_src 0
		.amdhsa_exception_fp_ieee_div_zero 0
		.amdhsa_exception_fp_ieee_overflow 0
		.amdhsa_exception_fp_ieee_underflow 0
		.amdhsa_exception_fp_ieee_inexact 0
		.amdhsa_exception_int_div_zero 0
	.end_amdhsa_kernel
	.section	.text._ZN7rocprim17ROCPRIM_400000_NS6detail17trampoline_kernelINS0_14default_configENS1_35radix_sort_onesweep_config_selectorIiNS0_10empty_typeEEEZZNS1_29radix_sort_onesweep_iterationIS3_Lb1EN6thrust23THRUST_200600_302600_NS6detail15normal_iteratorINS9_10device_ptrIiEEEESE_PS5_SF_jNS0_19identity_decomposerENS1_16block_id_wrapperIjLb0EEEEE10hipError_tT1_PNSt15iterator_traitsISK_E10value_typeET2_T3_PNSL_ISQ_E10value_typeET4_T5_PSV_SW_PNS1_23onesweep_lookback_stateEbbT6_jjT7_P12ihipStream_tbENKUlT_T0_SK_SP_E_clIPiSE_SF_SF_EEDaS13_S14_SK_SP_EUlS13_E_NS1_11comp_targetILNS1_3genE0ELNS1_11target_archE4294967295ELNS1_3gpuE0ELNS1_3repE0EEENS1_47radix_sort_onesweep_sort_config_static_selectorELNS0_4arch9wavefront6targetE1EEEvSK_,"axG",@progbits,_ZN7rocprim17ROCPRIM_400000_NS6detail17trampoline_kernelINS0_14default_configENS1_35radix_sort_onesweep_config_selectorIiNS0_10empty_typeEEEZZNS1_29radix_sort_onesweep_iterationIS3_Lb1EN6thrust23THRUST_200600_302600_NS6detail15normal_iteratorINS9_10device_ptrIiEEEESE_PS5_SF_jNS0_19identity_decomposerENS1_16block_id_wrapperIjLb0EEEEE10hipError_tT1_PNSt15iterator_traitsISK_E10value_typeET2_T3_PNSL_ISQ_E10value_typeET4_T5_PSV_SW_PNS1_23onesweep_lookback_stateEbbT6_jjT7_P12ihipStream_tbENKUlT_T0_SK_SP_E_clIPiSE_SF_SF_EEDaS13_S14_SK_SP_EUlS13_E_NS1_11comp_targetILNS1_3genE0ELNS1_11target_archE4294967295ELNS1_3gpuE0ELNS1_3repE0EEENS1_47radix_sort_onesweep_sort_config_static_selectorELNS0_4arch9wavefront6targetE1EEEvSK_,comdat
.Lfunc_end381:
	.size	_ZN7rocprim17ROCPRIM_400000_NS6detail17trampoline_kernelINS0_14default_configENS1_35radix_sort_onesweep_config_selectorIiNS0_10empty_typeEEEZZNS1_29radix_sort_onesweep_iterationIS3_Lb1EN6thrust23THRUST_200600_302600_NS6detail15normal_iteratorINS9_10device_ptrIiEEEESE_PS5_SF_jNS0_19identity_decomposerENS1_16block_id_wrapperIjLb0EEEEE10hipError_tT1_PNSt15iterator_traitsISK_E10value_typeET2_T3_PNSL_ISQ_E10value_typeET4_T5_PSV_SW_PNS1_23onesweep_lookback_stateEbbT6_jjT7_P12ihipStream_tbENKUlT_T0_SK_SP_E_clIPiSE_SF_SF_EEDaS13_S14_SK_SP_EUlS13_E_NS1_11comp_targetILNS1_3genE0ELNS1_11target_archE4294967295ELNS1_3gpuE0ELNS1_3repE0EEENS1_47radix_sort_onesweep_sort_config_static_selectorELNS0_4arch9wavefront6targetE1EEEvSK_, .Lfunc_end381-_ZN7rocprim17ROCPRIM_400000_NS6detail17trampoline_kernelINS0_14default_configENS1_35radix_sort_onesweep_config_selectorIiNS0_10empty_typeEEEZZNS1_29radix_sort_onesweep_iterationIS3_Lb1EN6thrust23THRUST_200600_302600_NS6detail15normal_iteratorINS9_10device_ptrIiEEEESE_PS5_SF_jNS0_19identity_decomposerENS1_16block_id_wrapperIjLb0EEEEE10hipError_tT1_PNSt15iterator_traitsISK_E10value_typeET2_T3_PNSL_ISQ_E10value_typeET4_T5_PSV_SW_PNS1_23onesweep_lookback_stateEbbT6_jjT7_P12ihipStream_tbENKUlT_T0_SK_SP_E_clIPiSE_SF_SF_EEDaS13_S14_SK_SP_EUlS13_E_NS1_11comp_targetILNS1_3genE0ELNS1_11target_archE4294967295ELNS1_3gpuE0ELNS1_3repE0EEENS1_47radix_sort_onesweep_sort_config_static_selectorELNS0_4arch9wavefront6targetE1EEEvSK_
                                        ; -- End function
	.set _ZN7rocprim17ROCPRIM_400000_NS6detail17trampoline_kernelINS0_14default_configENS1_35radix_sort_onesweep_config_selectorIiNS0_10empty_typeEEEZZNS1_29radix_sort_onesweep_iterationIS3_Lb1EN6thrust23THRUST_200600_302600_NS6detail15normal_iteratorINS9_10device_ptrIiEEEESE_PS5_SF_jNS0_19identity_decomposerENS1_16block_id_wrapperIjLb0EEEEE10hipError_tT1_PNSt15iterator_traitsISK_E10value_typeET2_T3_PNSL_ISQ_E10value_typeET4_T5_PSV_SW_PNS1_23onesweep_lookback_stateEbbT6_jjT7_P12ihipStream_tbENKUlT_T0_SK_SP_E_clIPiSE_SF_SF_EEDaS13_S14_SK_SP_EUlS13_E_NS1_11comp_targetILNS1_3genE0ELNS1_11target_archE4294967295ELNS1_3gpuE0ELNS1_3repE0EEENS1_47radix_sort_onesweep_sort_config_static_selectorELNS0_4arch9wavefront6targetE1EEEvSK_.num_vgpr, 0
	.set _ZN7rocprim17ROCPRIM_400000_NS6detail17trampoline_kernelINS0_14default_configENS1_35radix_sort_onesweep_config_selectorIiNS0_10empty_typeEEEZZNS1_29radix_sort_onesweep_iterationIS3_Lb1EN6thrust23THRUST_200600_302600_NS6detail15normal_iteratorINS9_10device_ptrIiEEEESE_PS5_SF_jNS0_19identity_decomposerENS1_16block_id_wrapperIjLb0EEEEE10hipError_tT1_PNSt15iterator_traitsISK_E10value_typeET2_T3_PNSL_ISQ_E10value_typeET4_T5_PSV_SW_PNS1_23onesweep_lookback_stateEbbT6_jjT7_P12ihipStream_tbENKUlT_T0_SK_SP_E_clIPiSE_SF_SF_EEDaS13_S14_SK_SP_EUlS13_E_NS1_11comp_targetILNS1_3genE0ELNS1_11target_archE4294967295ELNS1_3gpuE0ELNS1_3repE0EEENS1_47radix_sort_onesweep_sort_config_static_selectorELNS0_4arch9wavefront6targetE1EEEvSK_.num_agpr, 0
	.set _ZN7rocprim17ROCPRIM_400000_NS6detail17trampoline_kernelINS0_14default_configENS1_35radix_sort_onesweep_config_selectorIiNS0_10empty_typeEEEZZNS1_29radix_sort_onesweep_iterationIS3_Lb1EN6thrust23THRUST_200600_302600_NS6detail15normal_iteratorINS9_10device_ptrIiEEEESE_PS5_SF_jNS0_19identity_decomposerENS1_16block_id_wrapperIjLb0EEEEE10hipError_tT1_PNSt15iterator_traitsISK_E10value_typeET2_T3_PNSL_ISQ_E10value_typeET4_T5_PSV_SW_PNS1_23onesweep_lookback_stateEbbT6_jjT7_P12ihipStream_tbENKUlT_T0_SK_SP_E_clIPiSE_SF_SF_EEDaS13_S14_SK_SP_EUlS13_E_NS1_11comp_targetILNS1_3genE0ELNS1_11target_archE4294967295ELNS1_3gpuE0ELNS1_3repE0EEENS1_47radix_sort_onesweep_sort_config_static_selectorELNS0_4arch9wavefront6targetE1EEEvSK_.numbered_sgpr, 0
	.set _ZN7rocprim17ROCPRIM_400000_NS6detail17trampoline_kernelINS0_14default_configENS1_35radix_sort_onesweep_config_selectorIiNS0_10empty_typeEEEZZNS1_29radix_sort_onesweep_iterationIS3_Lb1EN6thrust23THRUST_200600_302600_NS6detail15normal_iteratorINS9_10device_ptrIiEEEESE_PS5_SF_jNS0_19identity_decomposerENS1_16block_id_wrapperIjLb0EEEEE10hipError_tT1_PNSt15iterator_traitsISK_E10value_typeET2_T3_PNSL_ISQ_E10value_typeET4_T5_PSV_SW_PNS1_23onesweep_lookback_stateEbbT6_jjT7_P12ihipStream_tbENKUlT_T0_SK_SP_E_clIPiSE_SF_SF_EEDaS13_S14_SK_SP_EUlS13_E_NS1_11comp_targetILNS1_3genE0ELNS1_11target_archE4294967295ELNS1_3gpuE0ELNS1_3repE0EEENS1_47radix_sort_onesweep_sort_config_static_selectorELNS0_4arch9wavefront6targetE1EEEvSK_.num_named_barrier, 0
	.set _ZN7rocprim17ROCPRIM_400000_NS6detail17trampoline_kernelINS0_14default_configENS1_35radix_sort_onesweep_config_selectorIiNS0_10empty_typeEEEZZNS1_29radix_sort_onesweep_iterationIS3_Lb1EN6thrust23THRUST_200600_302600_NS6detail15normal_iteratorINS9_10device_ptrIiEEEESE_PS5_SF_jNS0_19identity_decomposerENS1_16block_id_wrapperIjLb0EEEEE10hipError_tT1_PNSt15iterator_traitsISK_E10value_typeET2_T3_PNSL_ISQ_E10value_typeET4_T5_PSV_SW_PNS1_23onesweep_lookback_stateEbbT6_jjT7_P12ihipStream_tbENKUlT_T0_SK_SP_E_clIPiSE_SF_SF_EEDaS13_S14_SK_SP_EUlS13_E_NS1_11comp_targetILNS1_3genE0ELNS1_11target_archE4294967295ELNS1_3gpuE0ELNS1_3repE0EEENS1_47radix_sort_onesweep_sort_config_static_selectorELNS0_4arch9wavefront6targetE1EEEvSK_.private_seg_size, 0
	.set _ZN7rocprim17ROCPRIM_400000_NS6detail17trampoline_kernelINS0_14default_configENS1_35radix_sort_onesweep_config_selectorIiNS0_10empty_typeEEEZZNS1_29radix_sort_onesweep_iterationIS3_Lb1EN6thrust23THRUST_200600_302600_NS6detail15normal_iteratorINS9_10device_ptrIiEEEESE_PS5_SF_jNS0_19identity_decomposerENS1_16block_id_wrapperIjLb0EEEEE10hipError_tT1_PNSt15iterator_traitsISK_E10value_typeET2_T3_PNSL_ISQ_E10value_typeET4_T5_PSV_SW_PNS1_23onesweep_lookback_stateEbbT6_jjT7_P12ihipStream_tbENKUlT_T0_SK_SP_E_clIPiSE_SF_SF_EEDaS13_S14_SK_SP_EUlS13_E_NS1_11comp_targetILNS1_3genE0ELNS1_11target_archE4294967295ELNS1_3gpuE0ELNS1_3repE0EEENS1_47radix_sort_onesweep_sort_config_static_selectorELNS0_4arch9wavefront6targetE1EEEvSK_.uses_vcc, 0
	.set _ZN7rocprim17ROCPRIM_400000_NS6detail17trampoline_kernelINS0_14default_configENS1_35radix_sort_onesweep_config_selectorIiNS0_10empty_typeEEEZZNS1_29radix_sort_onesweep_iterationIS3_Lb1EN6thrust23THRUST_200600_302600_NS6detail15normal_iteratorINS9_10device_ptrIiEEEESE_PS5_SF_jNS0_19identity_decomposerENS1_16block_id_wrapperIjLb0EEEEE10hipError_tT1_PNSt15iterator_traitsISK_E10value_typeET2_T3_PNSL_ISQ_E10value_typeET4_T5_PSV_SW_PNS1_23onesweep_lookback_stateEbbT6_jjT7_P12ihipStream_tbENKUlT_T0_SK_SP_E_clIPiSE_SF_SF_EEDaS13_S14_SK_SP_EUlS13_E_NS1_11comp_targetILNS1_3genE0ELNS1_11target_archE4294967295ELNS1_3gpuE0ELNS1_3repE0EEENS1_47radix_sort_onesweep_sort_config_static_selectorELNS0_4arch9wavefront6targetE1EEEvSK_.uses_flat_scratch, 0
	.set _ZN7rocprim17ROCPRIM_400000_NS6detail17trampoline_kernelINS0_14default_configENS1_35radix_sort_onesweep_config_selectorIiNS0_10empty_typeEEEZZNS1_29radix_sort_onesweep_iterationIS3_Lb1EN6thrust23THRUST_200600_302600_NS6detail15normal_iteratorINS9_10device_ptrIiEEEESE_PS5_SF_jNS0_19identity_decomposerENS1_16block_id_wrapperIjLb0EEEEE10hipError_tT1_PNSt15iterator_traitsISK_E10value_typeET2_T3_PNSL_ISQ_E10value_typeET4_T5_PSV_SW_PNS1_23onesweep_lookback_stateEbbT6_jjT7_P12ihipStream_tbENKUlT_T0_SK_SP_E_clIPiSE_SF_SF_EEDaS13_S14_SK_SP_EUlS13_E_NS1_11comp_targetILNS1_3genE0ELNS1_11target_archE4294967295ELNS1_3gpuE0ELNS1_3repE0EEENS1_47radix_sort_onesweep_sort_config_static_selectorELNS0_4arch9wavefront6targetE1EEEvSK_.has_dyn_sized_stack, 0
	.set _ZN7rocprim17ROCPRIM_400000_NS6detail17trampoline_kernelINS0_14default_configENS1_35radix_sort_onesweep_config_selectorIiNS0_10empty_typeEEEZZNS1_29radix_sort_onesweep_iterationIS3_Lb1EN6thrust23THRUST_200600_302600_NS6detail15normal_iteratorINS9_10device_ptrIiEEEESE_PS5_SF_jNS0_19identity_decomposerENS1_16block_id_wrapperIjLb0EEEEE10hipError_tT1_PNSt15iterator_traitsISK_E10value_typeET2_T3_PNSL_ISQ_E10value_typeET4_T5_PSV_SW_PNS1_23onesweep_lookback_stateEbbT6_jjT7_P12ihipStream_tbENKUlT_T0_SK_SP_E_clIPiSE_SF_SF_EEDaS13_S14_SK_SP_EUlS13_E_NS1_11comp_targetILNS1_3genE0ELNS1_11target_archE4294967295ELNS1_3gpuE0ELNS1_3repE0EEENS1_47radix_sort_onesweep_sort_config_static_selectorELNS0_4arch9wavefront6targetE1EEEvSK_.has_recursion, 0
	.set _ZN7rocprim17ROCPRIM_400000_NS6detail17trampoline_kernelINS0_14default_configENS1_35radix_sort_onesweep_config_selectorIiNS0_10empty_typeEEEZZNS1_29radix_sort_onesweep_iterationIS3_Lb1EN6thrust23THRUST_200600_302600_NS6detail15normal_iteratorINS9_10device_ptrIiEEEESE_PS5_SF_jNS0_19identity_decomposerENS1_16block_id_wrapperIjLb0EEEEE10hipError_tT1_PNSt15iterator_traitsISK_E10value_typeET2_T3_PNSL_ISQ_E10value_typeET4_T5_PSV_SW_PNS1_23onesweep_lookback_stateEbbT6_jjT7_P12ihipStream_tbENKUlT_T0_SK_SP_E_clIPiSE_SF_SF_EEDaS13_S14_SK_SP_EUlS13_E_NS1_11comp_targetILNS1_3genE0ELNS1_11target_archE4294967295ELNS1_3gpuE0ELNS1_3repE0EEENS1_47radix_sort_onesweep_sort_config_static_selectorELNS0_4arch9wavefront6targetE1EEEvSK_.has_indirect_call, 0
	.section	.AMDGPU.csdata,"",@progbits
; Kernel info:
; codeLenInByte = 0
; TotalNumSgprs: 6
; NumVgprs: 0
; NumAgprs: 0
; TotalNumVgprs: 0
; ScratchSize: 0
; MemoryBound: 0
; FloatMode: 240
; IeeeMode: 1
; LDSByteSize: 0 bytes/workgroup (compile time only)
; SGPRBlocks: 0
; VGPRBlocks: 0
; NumSGPRsForWavesPerEU: 6
; NumVGPRsForWavesPerEU: 1
; AccumOffset: 4
; Occupancy: 8
; WaveLimiterHint : 0
; COMPUTE_PGM_RSRC2:SCRATCH_EN: 0
; COMPUTE_PGM_RSRC2:USER_SGPR: 2
; COMPUTE_PGM_RSRC2:TRAP_HANDLER: 0
; COMPUTE_PGM_RSRC2:TGID_X_EN: 1
; COMPUTE_PGM_RSRC2:TGID_Y_EN: 0
; COMPUTE_PGM_RSRC2:TGID_Z_EN: 0
; COMPUTE_PGM_RSRC2:TIDIG_COMP_CNT: 0
; COMPUTE_PGM_RSRC3_GFX90A:ACCUM_OFFSET: 0
; COMPUTE_PGM_RSRC3_GFX90A:TG_SPLIT: 0
	.section	.text._ZN7rocprim17ROCPRIM_400000_NS6detail17trampoline_kernelINS0_14default_configENS1_35radix_sort_onesweep_config_selectorIiNS0_10empty_typeEEEZZNS1_29radix_sort_onesweep_iterationIS3_Lb1EN6thrust23THRUST_200600_302600_NS6detail15normal_iteratorINS9_10device_ptrIiEEEESE_PS5_SF_jNS0_19identity_decomposerENS1_16block_id_wrapperIjLb0EEEEE10hipError_tT1_PNSt15iterator_traitsISK_E10value_typeET2_T3_PNSL_ISQ_E10value_typeET4_T5_PSV_SW_PNS1_23onesweep_lookback_stateEbbT6_jjT7_P12ihipStream_tbENKUlT_T0_SK_SP_E_clIPiSE_SF_SF_EEDaS13_S14_SK_SP_EUlS13_E_NS1_11comp_targetILNS1_3genE6ELNS1_11target_archE950ELNS1_3gpuE13ELNS1_3repE0EEENS1_47radix_sort_onesweep_sort_config_static_selectorELNS0_4arch9wavefront6targetE1EEEvSK_,"axG",@progbits,_ZN7rocprim17ROCPRIM_400000_NS6detail17trampoline_kernelINS0_14default_configENS1_35radix_sort_onesweep_config_selectorIiNS0_10empty_typeEEEZZNS1_29radix_sort_onesweep_iterationIS3_Lb1EN6thrust23THRUST_200600_302600_NS6detail15normal_iteratorINS9_10device_ptrIiEEEESE_PS5_SF_jNS0_19identity_decomposerENS1_16block_id_wrapperIjLb0EEEEE10hipError_tT1_PNSt15iterator_traitsISK_E10value_typeET2_T3_PNSL_ISQ_E10value_typeET4_T5_PSV_SW_PNS1_23onesweep_lookback_stateEbbT6_jjT7_P12ihipStream_tbENKUlT_T0_SK_SP_E_clIPiSE_SF_SF_EEDaS13_S14_SK_SP_EUlS13_E_NS1_11comp_targetILNS1_3genE6ELNS1_11target_archE950ELNS1_3gpuE13ELNS1_3repE0EEENS1_47radix_sort_onesweep_sort_config_static_selectorELNS0_4arch9wavefront6targetE1EEEvSK_,comdat
	.protected	_ZN7rocprim17ROCPRIM_400000_NS6detail17trampoline_kernelINS0_14default_configENS1_35radix_sort_onesweep_config_selectorIiNS0_10empty_typeEEEZZNS1_29radix_sort_onesweep_iterationIS3_Lb1EN6thrust23THRUST_200600_302600_NS6detail15normal_iteratorINS9_10device_ptrIiEEEESE_PS5_SF_jNS0_19identity_decomposerENS1_16block_id_wrapperIjLb0EEEEE10hipError_tT1_PNSt15iterator_traitsISK_E10value_typeET2_T3_PNSL_ISQ_E10value_typeET4_T5_PSV_SW_PNS1_23onesweep_lookback_stateEbbT6_jjT7_P12ihipStream_tbENKUlT_T0_SK_SP_E_clIPiSE_SF_SF_EEDaS13_S14_SK_SP_EUlS13_E_NS1_11comp_targetILNS1_3genE6ELNS1_11target_archE950ELNS1_3gpuE13ELNS1_3repE0EEENS1_47radix_sort_onesweep_sort_config_static_selectorELNS0_4arch9wavefront6targetE1EEEvSK_ ; -- Begin function _ZN7rocprim17ROCPRIM_400000_NS6detail17trampoline_kernelINS0_14default_configENS1_35radix_sort_onesweep_config_selectorIiNS0_10empty_typeEEEZZNS1_29radix_sort_onesweep_iterationIS3_Lb1EN6thrust23THRUST_200600_302600_NS6detail15normal_iteratorINS9_10device_ptrIiEEEESE_PS5_SF_jNS0_19identity_decomposerENS1_16block_id_wrapperIjLb0EEEEE10hipError_tT1_PNSt15iterator_traitsISK_E10value_typeET2_T3_PNSL_ISQ_E10value_typeET4_T5_PSV_SW_PNS1_23onesweep_lookback_stateEbbT6_jjT7_P12ihipStream_tbENKUlT_T0_SK_SP_E_clIPiSE_SF_SF_EEDaS13_S14_SK_SP_EUlS13_E_NS1_11comp_targetILNS1_3genE6ELNS1_11target_archE950ELNS1_3gpuE13ELNS1_3repE0EEENS1_47radix_sort_onesweep_sort_config_static_selectorELNS0_4arch9wavefront6targetE1EEEvSK_
	.globl	_ZN7rocprim17ROCPRIM_400000_NS6detail17trampoline_kernelINS0_14default_configENS1_35radix_sort_onesweep_config_selectorIiNS0_10empty_typeEEEZZNS1_29radix_sort_onesweep_iterationIS3_Lb1EN6thrust23THRUST_200600_302600_NS6detail15normal_iteratorINS9_10device_ptrIiEEEESE_PS5_SF_jNS0_19identity_decomposerENS1_16block_id_wrapperIjLb0EEEEE10hipError_tT1_PNSt15iterator_traitsISK_E10value_typeET2_T3_PNSL_ISQ_E10value_typeET4_T5_PSV_SW_PNS1_23onesweep_lookback_stateEbbT6_jjT7_P12ihipStream_tbENKUlT_T0_SK_SP_E_clIPiSE_SF_SF_EEDaS13_S14_SK_SP_EUlS13_E_NS1_11comp_targetILNS1_3genE6ELNS1_11target_archE950ELNS1_3gpuE13ELNS1_3repE0EEENS1_47radix_sort_onesweep_sort_config_static_selectorELNS0_4arch9wavefront6targetE1EEEvSK_
	.p2align	8
	.type	_ZN7rocprim17ROCPRIM_400000_NS6detail17trampoline_kernelINS0_14default_configENS1_35radix_sort_onesweep_config_selectorIiNS0_10empty_typeEEEZZNS1_29radix_sort_onesweep_iterationIS3_Lb1EN6thrust23THRUST_200600_302600_NS6detail15normal_iteratorINS9_10device_ptrIiEEEESE_PS5_SF_jNS0_19identity_decomposerENS1_16block_id_wrapperIjLb0EEEEE10hipError_tT1_PNSt15iterator_traitsISK_E10value_typeET2_T3_PNSL_ISQ_E10value_typeET4_T5_PSV_SW_PNS1_23onesweep_lookback_stateEbbT6_jjT7_P12ihipStream_tbENKUlT_T0_SK_SP_E_clIPiSE_SF_SF_EEDaS13_S14_SK_SP_EUlS13_E_NS1_11comp_targetILNS1_3genE6ELNS1_11target_archE950ELNS1_3gpuE13ELNS1_3repE0EEENS1_47radix_sort_onesweep_sort_config_static_selectorELNS0_4arch9wavefront6targetE1EEEvSK_,@function
_ZN7rocprim17ROCPRIM_400000_NS6detail17trampoline_kernelINS0_14default_configENS1_35radix_sort_onesweep_config_selectorIiNS0_10empty_typeEEEZZNS1_29radix_sort_onesweep_iterationIS3_Lb1EN6thrust23THRUST_200600_302600_NS6detail15normal_iteratorINS9_10device_ptrIiEEEESE_PS5_SF_jNS0_19identity_decomposerENS1_16block_id_wrapperIjLb0EEEEE10hipError_tT1_PNSt15iterator_traitsISK_E10value_typeET2_T3_PNSL_ISQ_E10value_typeET4_T5_PSV_SW_PNS1_23onesweep_lookback_stateEbbT6_jjT7_P12ihipStream_tbENKUlT_T0_SK_SP_E_clIPiSE_SF_SF_EEDaS13_S14_SK_SP_EUlS13_E_NS1_11comp_targetILNS1_3genE6ELNS1_11target_archE950ELNS1_3gpuE13ELNS1_3repE0EEENS1_47radix_sort_onesweep_sort_config_static_selectorELNS0_4arch9wavefront6targetE1EEEvSK_: ; @_ZN7rocprim17ROCPRIM_400000_NS6detail17trampoline_kernelINS0_14default_configENS1_35radix_sort_onesweep_config_selectorIiNS0_10empty_typeEEEZZNS1_29radix_sort_onesweep_iterationIS3_Lb1EN6thrust23THRUST_200600_302600_NS6detail15normal_iteratorINS9_10device_ptrIiEEEESE_PS5_SF_jNS0_19identity_decomposerENS1_16block_id_wrapperIjLb0EEEEE10hipError_tT1_PNSt15iterator_traitsISK_E10value_typeET2_T3_PNSL_ISQ_E10value_typeET4_T5_PSV_SW_PNS1_23onesweep_lookback_stateEbbT6_jjT7_P12ihipStream_tbENKUlT_T0_SK_SP_E_clIPiSE_SF_SF_EEDaS13_S14_SK_SP_EUlS13_E_NS1_11comp_targetILNS1_3genE6ELNS1_11target_archE950ELNS1_3gpuE13ELNS1_3repE0EEENS1_47radix_sort_onesweep_sort_config_static_selectorELNS0_4arch9wavefront6targetE1EEEvSK_
; %bb.0:
	s_load_dwordx2 s[28:29], s[0:1], 0x38
	s_load_dwordx4 s[20:23], s[0:1], 0x44
	s_load_dwordx4 s[24:27], s[0:1], 0x0
	;; [unrolled: 1-line block ×3, first 2 shown]
	s_mov_b64 s[4:5], -1
	v_mbcnt_lo_u32_b32 v1, -1, 0
	s_waitcnt lgkmcnt(0)
	s_cmp_ge_u32 s2, s22
	s_cbranch_scc0 .LBB382_82
; %bb.1:
	s_load_dword s3, s[0:1], 0x20
	s_lshl_b32 s6, s22, 13
	s_lshl_b32 s4, s2, 13
	s_mov_b32 s5, 0
	v_and_b32_e32 v10, 0x3ff, v0
	s_waitcnt lgkmcnt(0)
	s_sub_i32 s3, s3, s6
	s_lshl_b64 s[4:5], s[4:5], 2
	v_mbcnt_hi_u32_b32 v16, -1, v1
	s_add_u32 s4, s24, s4
	v_and_b32_e32 v6, 63, v16
	v_lshlrev_b32_e32 v2, 3, v10
	s_addc_u32 s5, s25, s5
	v_and_b32_e32 v7, 0x1e00, v2
	v_lshlrev_b32_e32 v2, 2, v6
	v_mov_b32_e32 v3, 0
	v_lshl_add_u64 v[4:5], s[4:5], 0, v[2:3]
	v_lshlrev_b32_e32 v2, 2, v7
	v_lshl_add_u64 v[12:13], v[4:5], 0, v[2:3]
	v_or_b32_e32 v11, v6, v7
	v_bfrev_b32_e32 v2, 1
	v_cmp_gt_u32_e32 vcc, s3, v11
	v_mov_b32_e32 v3, v2
	v_mov_b32_e32 v4, v2
	;; [unrolled: 1-line block ×7, first 2 shown]
	s_and_saveexec_b64 s[4:5], vcc
	s_cbranch_execz .LBB382_3
; %bb.2:
	global_load_dword v18, v[12:13], off
	v_mov_b32_e32 v19, v2
	v_mov_b32_e32 v20, v2
	;; [unrolled: 1-line block ×7, first 2 shown]
	s_waitcnt vmcnt(0)
	v_mov_b64_e32 v[2:3], v[18:19]
	v_mov_b64_e32 v[4:5], v[20:21]
	;; [unrolled: 1-line block ×4, first 2 shown]
.LBB382_3:
	s_or_b64 exec, exec, s[4:5]
	v_or_b32_e32 v14, 64, v11
	v_cmp_gt_u32_e32 vcc, s3, v14
	s_and_saveexec_b64 s[4:5], vcc
	s_cbranch_execz .LBB382_5
; %bb.4:
	global_load_dword v3, v[12:13], off offset:256
.LBB382_5:
	s_or_b64 exec, exec, s[4:5]
	v_or_b32_e32 v14, 0x80, v11
	v_cmp_gt_u32_e32 vcc, s3, v14
	s_and_saveexec_b64 s[4:5], vcc
	s_cbranch_execz .LBB382_7
; %bb.6:
	global_load_dword v4, v[12:13], off offset:512
.LBB382_7:
	;; [unrolled: 8-line block ×7, first 2 shown]
	s_or_b64 exec, exec, s[4:5]
	s_load_dword s4, s[0:1], 0x64
	s_load_dword s22, s[0:1], 0x58
	s_add_u32 s5, s0, 0x58
	s_addc_u32 s6, s1, 0
	v_mov_b32_e32 v13, 0
	s_waitcnt lgkmcnt(0)
	s_lshr_b32 s7, s4, 16
	s_cmp_lt_u32 s2, s22
	s_cselect_b32 s4, 12, 18
	s_add_u32 s4, s5, s4
	s_addc_u32 s5, s6, 0
	global_load_ushort v30, v13, s[4:5]
	v_xor_b32_e32 v11, 0x7fffffff, v2
	v_lshrrev_b32_e32 v15, s20, v11
	s_lshl_b32 s4, -1, s21
	v_bfe_u32 v2, v0, 10, 10
	v_bfe_u32 v12, v0, 20, 10
	v_bitop3_b32 v31, v15, s4, v15 bitop3:0x30
	v_mad_u32_u24 v2, v12, s7, v2
	v_and_b32_e32 v12, 1, v31
	v_lshlrev_b32_e32 v15, 30, v31
	v_mov_b32_e32 v14, v13
	v_mov_b32_e32 v20, v13
	v_lshlrev_b32_e32 v19, 29, v31
	v_lshlrev_b32_e32 v21, 28, v31
	v_lshl_add_u64 v[28:29], v[12:13], 0, -1
	v_cmp_ne_u32_e32 vcc, 0, v12
	v_not_b32_e32 v12, v15
	v_mov_b32_e32 v18, v13
	v_mov_b32_e32 v22, v13
	s_not_b32 s23, s4
	v_lshlrev_b32_e32 v23, 27, v31
	v_cmp_gt_i64_e64 s[4:5], 0, v[14:15]
	v_not_b32_e32 v14, v19
	v_cmp_gt_i64_e64 s[8:9], 0, v[20:21]
	v_not_b32_e32 v15, v21
	v_xor_b32_e32 v21, vcc_hi, v29
	v_ashrrev_i32_e32 v12, 31, v12
	v_mov_b32_e32 v24, v13
	v_lshlrev_b32_e32 v25, 26, v31
	v_cmp_gt_i64_e64 s[6:7], 0, v[18:19]
	v_cmp_gt_i64_e64 s[10:11], 0, v[22:23]
	v_not_b32_e32 v18, v23
	v_xor_b32_e32 v22, vcc_lo, v28
	v_ashrrev_i32_e32 v14, 31, v14
	v_and_b32_e32 v21, exec_hi, v21
	v_xor_b32_e32 v23, s5, v12
	v_cmp_gt_i64_e64 s[12:13], 0, v[24:25]
	v_ashrrev_i32_e32 v15, 31, v15
	v_and_b32_e32 v22, exec_lo, v22
	v_xor_b32_e32 v12, s4, v12
	v_xor_b32_e32 v24, s7, v14
	v_and_b32_e32 v21, v21, v23
	v_mov_b32_e32 v26, v13
	v_lshlrev_b32_e32 v27, 25, v31
	v_not_b32_e32 v19, v25
	v_ashrrev_i32_e32 v18, 31, v18
	v_xor_b32_e32 v14, s6, v14
	v_xor_b32_e32 v25, s9, v15
	v_and_b32_e32 v12, v22, v12
	v_and_b32_e32 v21, v21, v24
	v_cmp_gt_i64_e64 s[14:15], 0, v[26:27]
	v_not_b32_e32 v20, v27
	v_ashrrev_i32_e32 v19, 31, v19
	v_xor_b32_e32 v26, s11, v18
	v_and_b32_e32 v12, v12, v14
	v_and_b32_e32 v14, v21, v25
	v_ashrrev_i32_e32 v20, 31, v20
	v_xor_b32_e32 v15, s8, v15
	v_xor_b32_e32 v27, s13, v19
	v_and_b32_e32 v14, v14, v26
	v_xor_b32_e32 v18, s10, v18
	v_xor_b32_e32 v28, s15, v20
	v_and_b32_e32 v12, v12, v15
	v_and_b32_e32 v14, v14, v27
	;; [unrolled: 1-line block ×4, first 2 shown]
	v_xor_b32_e32 v19, s12, v19
	v_xor_b32_e32 v20, s14, v20
	v_and_b32_e32 v12, v12, v19
	v_and_b32_e32 v12, v12, v20
	s_movk_i32 s30, 0x44
	v_mul_lo_u32 v32, v31, s30
	v_mul_u32_u24_e32 v17, 20, v10
	ds_write2_b32 v17, v13, v13 offset0:16 offset1:17
	ds_write2_b32 v17, v13, v13 offset0:18 offset1:19
	ds_write_b32 v17, v13 offset:80
	s_waitcnt lgkmcnt(0)
	s_barrier
	s_waitcnt vmcnt(0)
	; wave barrier
	v_mad_u64_u32 v[14:15], s[4:5], v2, v30, v[10:11]
	v_lshrrev_b32_e32 v2, 4, v14
	v_lshlrev_b32_e32 v15, 24, v31
	v_and_b32_e32 v30, 0xffffffc, v2
	v_mov_b32_e32 v14, v13
	v_not_b32_e32 v2, v15
	v_cmp_gt_i64_e32 vcc, 0, v[14:15]
	v_ashrrev_i32_e32 v2, 31, v2
	v_add_u32_e32 v22, v30, v32
	v_xor_b32_e32 v14, vcc_hi, v2
	v_xor_b32_e32 v2, vcc_lo, v2
	v_and_b32_e32 v15, v18, v14
	v_and_b32_e32 v14, v12, v2
	v_mbcnt_lo_u32_b32 v2, v14, 0
	v_mbcnt_hi_u32_b32 v18, v15, v2
	v_cmp_eq_u32_e32 vcc, 0, v18
	v_cmp_ne_u64_e64 s[4:5], 0, v[14:15]
	s_and_b64 s[6:7], s[4:5], vcc
	s_and_saveexec_b64 s[4:5], s[6:7]
; %bb.18:
	v_bcnt_u32_b32 v2, v14, 0
	v_bcnt_u32_b32 v2, v15, v2
	ds_write_b32 v22, v2 offset:64
; %bb.19:
	s_or_b64 exec, exec, s[4:5]
	v_xor_b32_e32 v14, 0x7fffffff, v3
	v_lshrrev_b32_e32 v2, s20, v14
	v_and_b32_e32 v15, s23, v2
	v_mul_lo_u32 v2, v15, s30
	v_and_b32_e32 v12, 1, v15
	v_add_u32_e32 v23, v30, v2
	v_lshl_add_u64 v[2:3], v[12:13], 0, -1
	v_cmp_ne_u32_e32 vcc, 0, v12
	; wave barrier
	s_nop 1
	v_xor_b32_e32 v3, vcc_hi, v3
	v_xor_b32_e32 v2, vcc_lo, v2
	v_and_b32_e32 v12, exec_hi, v3
	v_and_b32_e32 v20, exec_lo, v2
	v_lshlrev_b32_e32 v3, 30, v15
	v_mov_b32_e32 v2, v13
	v_cmp_gt_i64_e32 vcc, 0, v[2:3]
	v_not_b32_e32 v2, v3
	v_ashrrev_i32_e32 v2, 31, v2
	v_xor_b32_e32 v3, vcc_hi, v2
	v_xor_b32_e32 v2, vcc_lo, v2
	v_and_b32_e32 v12, v12, v3
	v_and_b32_e32 v20, v20, v2
	v_lshlrev_b32_e32 v3, 29, v15
	v_mov_b32_e32 v2, v13
	v_cmp_gt_i64_e32 vcc, 0, v[2:3]
	v_not_b32_e32 v2, v3
	v_ashrrev_i32_e32 v2, 31, v2
	v_xor_b32_e32 v3, vcc_hi, v2
	v_xor_b32_e32 v2, vcc_lo, v2
	v_and_b32_e32 v12, v12, v3
	v_and_b32_e32 v20, v20, v2
	;; [unrolled: 9-line block ×6, first 2 shown]
	v_lshlrev_b32_e32 v3, 24, v15
	v_mov_b32_e32 v2, v13
	v_cmp_gt_i64_e32 vcc, 0, v[2:3]
	v_not_b32_e32 v2, v3
	v_ashrrev_i32_e32 v2, 31, v2
	v_xor_b32_e32 v3, vcc_hi, v2
	v_xor_b32_e32 v2, vcc_lo, v2
	ds_read_b32 v19, v23 offset:64
	v_and_b32_e32 v2, v20, v2
	v_and_b32_e32 v3, v12, v3
	v_mbcnt_lo_u32_b32 v12, v2, 0
	v_mbcnt_hi_u32_b32 v20, v3, v12
	v_cmp_eq_u32_e32 vcc, 0, v20
	v_cmp_ne_u64_e64 s[4:5], 0, v[2:3]
	s_and_b64 s[6:7], s[4:5], vcc
	; wave barrier
	s_and_saveexec_b64 s[4:5], s[6:7]
	s_cbranch_execz .LBB382_21
; %bb.20:
	v_bcnt_u32_b32 v2, v2, 0
	v_bcnt_u32_b32 v2, v3, v2
	s_waitcnt lgkmcnt(0)
	v_add_u32_e32 v2, v19, v2
	ds_write_b32 v23, v2 offset:64
.LBB382_21:
	s_or_b64 exec, exec, s[4:5]
	v_xor_b32_e32 v15, 0x7fffffff, v4
	v_lshrrev_b32_e32 v2, s20, v15
	v_and_b32_e32 v4, s23, v2
	s_movk_i32 s6, 0x44
	v_mul_lo_u32 v2, v4, s6
	v_add_u32_e32 v27, v30, v2
	v_and_b32_e32 v2, 1, v4
	v_mov_b32_e32 v3, 0
	v_lshl_add_u64 v[12:13], v[2:3], 0, -1
	v_cmp_ne_u32_e32 vcc, 0, v2
	; wave barrier
	s_nop 1
	v_xor_b32_e32 v12, vcc_lo, v12
	v_xor_b32_e32 v2, vcc_hi, v13
	v_and_b32_e32 v24, exec_lo, v12
	v_lshlrev_b32_e32 v13, 30, v4
	v_mov_b32_e32 v12, v3
	v_cmp_gt_i64_e32 vcc, 0, v[12:13]
	v_not_b32_e32 v12, v13
	v_ashrrev_i32_e32 v12, 31, v12
	v_and_b32_e32 v2, exec_hi, v2
	v_xor_b32_e32 v13, vcc_hi, v12
	v_xor_b32_e32 v12, vcc_lo, v12
	v_and_b32_e32 v2, v2, v13
	v_and_b32_e32 v24, v24, v12
	v_lshlrev_b32_e32 v13, 29, v4
	v_mov_b32_e32 v12, v3
	v_cmp_gt_i64_e32 vcc, 0, v[12:13]
	v_not_b32_e32 v12, v13
	v_ashrrev_i32_e32 v12, 31, v12
	v_xor_b32_e32 v13, vcc_hi, v12
	v_xor_b32_e32 v12, vcc_lo, v12
	v_and_b32_e32 v2, v2, v13
	v_and_b32_e32 v24, v24, v12
	v_lshlrev_b32_e32 v13, 28, v4
	v_mov_b32_e32 v12, v3
	v_cmp_gt_i64_e32 vcc, 0, v[12:13]
	v_not_b32_e32 v12, v13
	v_ashrrev_i32_e32 v12, 31, v12
	;; [unrolled: 9-line block ×5, first 2 shown]
	v_xor_b32_e32 v13, vcc_hi, v12
	v_xor_b32_e32 v12, vcc_lo, v12
	v_and_b32_e32 v2, v2, v13
	v_lshlrev_b32_e32 v13, 24, v4
	v_and_b32_e32 v24, v24, v12
	v_mov_b32_e32 v12, v3
	v_not_b32_e32 v4, v13
	v_cmp_gt_i64_e32 vcc, 0, v[12:13]
	v_ashrrev_i32_e32 v4, 31, v4
	ds_read_b32 v21, v27 offset:64
	v_xor_b32_e32 v12, vcc_hi, v4
	v_xor_b32_e32 v4, vcc_lo, v4
	v_and_b32_e32 v13, v2, v12
	v_and_b32_e32 v12, v24, v4
	v_mbcnt_lo_u32_b32 v2, v12, 0
	v_mbcnt_hi_u32_b32 v25, v13, v2
	v_cmp_eq_u32_e32 vcc, 0, v25
	v_cmp_ne_u64_e64 s[4:5], 0, v[12:13]
	s_and_b64 s[8:9], s[4:5], vcc
	; wave barrier
	s_and_saveexec_b64 s[4:5], s[8:9]
	s_cbranch_execz .LBB382_23
; %bb.22:
	v_bcnt_u32_b32 v2, v12, 0
	v_bcnt_u32_b32 v2, v13, v2
	s_waitcnt lgkmcnt(0)
	v_add_u32_e32 v2, v21, v2
	ds_write_b32 v27, v2 offset:64
.LBB382_23:
	s_or_b64 exec, exec, s[4:5]
	v_xor_b32_e32 v12, 0x7fffffff, v5
	v_lshrrev_b32_e32 v2, s20, v12
	v_and_b32_e32 v13, s23, v2
	v_mul_lo_u32 v2, v13, s6
	v_add_u32_e32 v31, v30, v2
	v_and_b32_e32 v2, 1, v13
	v_lshl_add_u64 v[4:5], v[2:3], 0, -1
	v_cmp_ne_u32_e32 vcc, 0, v2
	; wave barrier
	s_nop 1
	v_xor_b32_e32 v4, vcc_lo, v4
	v_xor_b32_e32 v2, vcc_hi, v5
	v_and_b32_e32 v24, exec_lo, v4
	v_lshlrev_b32_e32 v5, 30, v13
	v_mov_b32_e32 v4, v3
	v_cmp_gt_i64_e32 vcc, 0, v[4:5]
	v_not_b32_e32 v4, v5
	v_ashrrev_i32_e32 v4, 31, v4
	v_and_b32_e32 v2, exec_hi, v2
	v_xor_b32_e32 v5, vcc_hi, v4
	v_xor_b32_e32 v4, vcc_lo, v4
	v_and_b32_e32 v2, v2, v5
	v_and_b32_e32 v24, v24, v4
	v_lshlrev_b32_e32 v5, 29, v13
	v_mov_b32_e32 v4, v3
	v_cmp_gt_i64_e32 vcc, 0, v[4:5]
	v_not_b32_e32 v4, v5
	v_ashrrev_i32_e32 v4, 31, v4
	v_xor_b32_e32 v5, vcc_hi, v4
	v_xor_b32_e32 v4, vcc_lo, v4
	v_and_b32_e32 v2, v2, v5
	v_and_b32_e32 v24, v24, v4
	v_lshlrev_b32_e32 v5, 28, v13
	v_mov_b32_e32 v4, v3
	v_cmp_gt_i64_e32 vcc, 0, v[4:5]
	v_not_b32_e32 v4, v5
	v_ashrrev_i32_e32 v4, 31, v4
	v_xor_b32_e32 v5, vcc_hi, v4
	v_xor_b32_e32 v4, vcc_lo, v4
	v_and_b32_e32 v2, v2, v5
	v_and_b32_e32 v24, v24, v4
	v_lshlrev_b32_e32 v5, 27, v13
	v_mov_b32_e32 v4, v3
	v_cmp_gt_i64_e32 vcc, 0, v[4:5]
	v_not_b32_e32 v4, v5
	v_ashrrev_i32_e32 v4, 31, v4
	v_xor_b32_e32 v5, vcc_hi, v4
	v_xor_b32_e32 v4, vcc_lo, v4
	v_and_b32_e32 v2, v2, v5
	v_and_b32_e32 v24, v24, v4
	v_lshlrev_b32_e32 v5, 26, v13
	v_mov_b32_e32 v4, v3
	v_cmp_gt_i64_e32 vcc, 0, v[4:5]
	v_not_b32_e32 v4, v5
	v_ashrrev_i32_e32 v4, 31, v4
	v_xor_b32_e32 v5, vcc_hi, v4
	v_xor_b32_e32 v4, vcc_lo, v4
	v_and_b32_e32 v2, v2, v5
	v_and_b32_e32 v24, v24, v4
	v_lshlrev_b32_e32 v5, 25, v13
	v_mov_b32_e32 v4, v3
	v_cmp_gt_i64_e32 vcc, 0, v[4:5]
	v_not_b32_e32 v4, v5
	v_ashrrev_i32_e32 v4, 31, v4
	v_xor_b32_e32 v5, vcc_hi, v4
	v_xor_b32_e32 v4, vcc_lo, v4
	v_and_b32_e32 v2, v2, v5
	v_lshlrev_b32_e32 v5, 24, v13
	v_and_b32_e32 v24, v24, v4
	v_mov_b32_e32 v4, v3
	v_not_b32_e32 v3, v5
	v_cmp_gt_i64_e32 vcc, 0, v[4:5]
	v_ashrrev_i32_e32 v3, 31, v3
	ds_read_b32 v26, v31 offset:64
	v_xor_b32_e32 v4, vcc_hi, v3
	v_xor_b32_e32 v5, vcc_lo, v3
	v_and_b32_e32 v3, v2, v4
	v_and_b32_e32 v2, v24, v5
	v_mbcnt_lo_u32_b32 v4, v2, 0
	v_mbcnt_hi_u32_b32 v28, v3, v4
	v_cmp_eq_u32_e32 vcc, 0, v28
	v_cmp_ne_u64_e64 s[4:5], 0, v[2:3]
	s_and_b64 s[6:7], s[4:5], vcc
	; wave barrier
	s_and_saveexec_b64 s[4:5], s[6:7]
	s_cbranch_execz .LBB382_25
; %bb.24:
	v_bcnt_u32_b32 v2, v2, 0
	v_bcnt_u32_b32 v2, v3, v2
	s_waitcnt lgkmcnt(0)
	v_add_u32_e32 v2, v26, v2
	ds_write_b32 v31, v2 offset:64
.LBB382_25:
	s_or_b64 exec, exec, s[4:5]
	v_xor_b32_e32 v13, 0x7fffffff, v6
	v_lshrrev_b32_e32 v2, s20, v13
	v_and_b32_e32 v24, s23, v2
	s_movk_i32 s6, 0x44
	v_mul_lo_u32 v2, v24, s6
	v_add_u32_e32 v6, v30, v2
	v_and_b32_e32 v2, 1, v24
	v_mov_b32_e32 v3, 0
	v_lshl_add_u64 v[4:5], v[2:3], 0, -1
	v_cmp_ne_u32_e32 vcc, 0, v2
	; wave barrier
	s_nop 1
	v_xor_b32_e32 v4, vcc_lo, v4
	v_xor_b32_e32 v2, vcc_hi, v5
	v_and_b32_e32 v32, exec_lo, v4
	v_lshlrev_b32_e32 v5, 30, v24
	v_mov_b32_e32 v4, v3
	v_cmp_gt_i64_e32 vcc, 0, v[4:5]
	v_not_b32_e32 v4, v5
	v_ashrrev_i32_e32 v4, 31, v4
	v_and_b32_e32 v2, exec_hi, v2
	v_xor_b32_e32 v5, vcc_hi, v4
	v_xor_b32_e32 v4, vcc_lo, v4
	v_and_b32_e32 v2, v2, v5
	v_and_b32_e32 v32, v32, v4
	v_lshlrev_b32_e32 v5, 29, v24
	v_mov_b32_e32 v4, v3
	v_cmp_gt_i64_e32 vcc, 0, v[4:5]
	v_not_b32_e32 v4, v5
	v_ashrrev_i32_e32 v4, 31, v4
	v_xor_b32_e32 v5, vcc_hi, v4
	v_xor_b32_e32 v4, vcc_lo, v4
	v_and_b32_e32 v2, v2, v5
	v_and_b32_e32 v32, v32, v4
	v_lshlrev_b32_e32 v5, 28, v24
	v_mov_b32_e32 v4, v3
	v_cmp_gt_i64_e32 vcc, 0, v[4:5]
	v_not_b32_e32 v4, v5
	v_ashrrev_i32_e32 v4, 31, v4
	;; [unrolled: 9-line block ×6, first 2 shown]
	v_xor_b32_e32 v5, vcc_hi, v4
	v_xor_b32_e32 v4, vcc_lo, v4
	ds_read_b32 v29, v6 offset:64
	v_and_b32_e32 v4, v32, v4
	v_and_b32_e32 v5, v2, v5
	v_mbcnt_lo_u32_b32 v2, v4, 0
	v_mbcnt_hi_u32_b32 v32, v5, v2
	v_cmp_eq_u32_e32 vcc, 0, v32
	v_cmp_ne_u64_e64 s[4:5], 0, v[4:5]
	s_and_b64 s[8:9], s[4:5], vcc
	; wave barrier
	s_and_saveexec_b64 s[4:5], s[8:9]
	s_cbranch_execz .LBB382_27
; %bb.26:
	v_bcnt_u32_b32 v2, v4, 0
	v_bcnt_u32_b32 v2, v5, v2
	s_waitcnt lgkmcnt(0)
	v_add_u32_e32 v2, v29, v2
	ds_write_b32 v6, v2 offset:64
.LBB382_27:
	s_or_b64 exec, exec, s[4:5]
	v_xor_b32_e32 v24, 0x7fffffff, v7
	v_lshrrev_b32_e32 v2, s20, v24
	v_and_b32_e32 v34, s23, v2
	v_mul_lo_u32 v2, v34, s6
	v_add_u32_e32 v7, v30, v2
	v_and_b32_e32 v2, 1, v34
	v_lshl_add_u64 v[4:5], v[2:3], 0, -1
	v_cmp_ne_u32_e32 vcc, 0, v2
	; wave barrier
	s_nop 1
	v_xor_b32_e32 v4, vcc_lo, v4
	v_xor_b32_e32 v2, vcc_hi, v5
	v_and_b32_e32 v35, exec_lo, v4
	v_lshlrev_b32_e32 v5, 30, v34
	v_mov_b32_e32 v4, v3
	v_cmp_gt_i64_e32 vcc, 0, v[4:5]
	v_not_b32_e32 v4, v5
	v_ashrrev_i32_e32 v4, 31, v4
	v_and_b32_e32 v2, exec_hi, v2
	v_xor_b32_e32 v5, vcc_hi, v4
	v_xor_b32_e32 v4, vcc_lo, v4
	v_and_b32_e32 v2, v2, v5
	v_and_b32_e32 v35, v35, v4
	v_lshlrev_b32_e32 v5, 29, v34
	v_mov_b32_e32 v4, v3
	v_cmp_gt_i64_e32 vcc, 0, v[4:5]
	v_not_b32_e32 v4, v5
	v_ashrrev_i32_e32 v4, 31, v4
	v_xor_b32_e32 v5, vcc_hi, v4
	v_xor_b32_e32 v4, vcc_lo, v4
	v_and_b32_e32 v2, v2, v5
	v_and_b32_e32 v35, v35, v4
	v_lshlrev_b32_e32 v5, 28, v34
	v_mov_b32_e32 v4, v3
	v_cmp_gt_i64_e32 vcc, 0, v[4:5]
	v_not_b32_e32 v4, v5
	v_ashrrev_i32_e32 v4, 31, v4
	;; [unrolled: 9-line block ×5, first 2 shown]
	v_xor_b32_e32 v5, vcc_hi, v4
	v_xor_b32_e32 v4, vcc_lo, v4
	v_and_b32_e32 v2, v2, v5
	v_lshlrev_b32_e32 v5, 24, v34
	v_and_b32_e32 v35, v35, v4
	v_mov_b32_e32 v4, v3
	v_not_b32_e32 v3, v5
	v_cmp_gt_i64_e32 vcc, 0, v[4:5]
	v_ashrrev_i32_e32 v3, 31, v3
	ds_read_b32 v33, v7 offset:64
	v_xor_b32_e32 v4, vcc_hi, v3
	v_xor_b32_e32 v5, vcc_lo, v3
	v_and_b32_e32 v3, v2, v4
	v_and_b32_e32 v2, v35, v5
	v_mbcnt_lo_u32_b32 v4, v2, 0
	v_mbcnt_hi_u32_b32 v34, v3, v4
	v_cmp_eq_u32_e32 vcc, 0, v34
	v_cmp_ne_u64_e64 s[4:5], 0, v[2:3]
	s_and_b64 s[6:7], s[4:5], vcc
	; wave barrier
	s_and_saveexec_b64 s[4:5], s[6:7]
	s_cbranch_execz .LBB382_29
; %bb.28:
	v_bcnt_u32_b32 v2, v2, 0
	v_bcnt_u32_b32 v2, v3, v2
	s_waitcnt lgkmcnt(0)
	v_add_u32_e32 v2, v33, v2
	ds_write_b32 v7, v2 offset:64
.LBB382_29:
	s_or_b64 exec, exec, s[4:5]
	v_xor_b32_e32 v8, 0x7fffffff, v8
	v_lshrrev_b32_e32 v2, s20, v8
	v_and_b32_e32 v36, s23, v2
	s_movk_i32 s6, 0x44
	v_mul_lo_u32 v2, v36, s6
	v_add_u32_e32 v38, v30, v2
	v_and_b32_e32 v2, 1, v36
	v_mov_b32_e32 v3, 0
	v_lshl_add_u64 v[4:5], v[2:3], 0, -1
	v_cmp_ne_u32_e32 vcc, 0, v2
	; wave barrier
	s_nop 1
	v_xor_b32_e32 v4, vcc_lo, v4
	v_xor_b32_e32 v2, vcc_hi, v5
	v_and_b32_e32 v37, exec_lo, v4
	v_lshlrev_b32_e32 v5, 30, v36
	v_mov_b32_e32 v4, v3
	v_cmp_gt_i64_e32 vcc, 0, v[4:5]
	v_not_b32_e32 v4, v5
	v_ashrrev_i32_e32 v4, 31, v4
	v_and_b32_e32 v2, exec_hi, v2
	v_xor_b32_e32 v5, vcc_hi, v4
	v_xor_b32_e32 v4, vcc_lo, v4
	v_and_b32_e32 v2, v2, v5
	v_and_b32_e32 v37, v37, v4
	v_lshlrev_b32_e32 v5, 29, v36
	v_mov_b32_e32 v4, v3
	v_cmp_gt_i64_e32 vcc, 0, v[4:5]
	v_not_b32_e32 v4, v5
	v_ashrrev_i32_e32 v4, 31, v4
	v_xor_b32_e32 v5, vcc_hi, v4
	v_xor_b32_e32 v4, vcc_lo, v4
	v_and_b32_e32 v2, v2, v5
	v_and_b32_e32 v37, v37, v4
	v_lshlrev_b32_e32 v5, 28, v36
	v_mov_b32_e32 v4, v3
	v_cmp_gt_i64_e32 vcc, 0, v[4:5]
	v_not_b32_e32 v4, v5
	v_ashrrev_i32_e32 v4, 31, v4
	v_xor_b32_e32 v5, vcc_hi, v4
	v_xor_b32_e32 v4, vcc_lo, v4
	v_and_b32_e32 v2, v2, v5
	v_and_b32_e32 v37, v37, v4
	v_lshlrev_b32_e32 v5, 27, v36
	v_mov_b32_e32 v4, v3
	v_cmp_gt_i64_e32 vcc, 0, v[4:5]
	v_not_b32_e32 v4, v5
	v_ashrrev_i32_e32 v4, 31, v4
	v_xor_b32_e32 v5, vcc_hi, v4
	v_xor_b32_e32 v4, vcc_lo, v4
	v_and_b32_e32 v2, v2, v5
	v_and_b32_e32 v37, v37, v4
	v_lshlrev_b32_e32 v5, 26, v36
	v_mov_b32_e32 v4, v3
	v_cmp_gt_i64_e32 vcc, 0, v[4:5]
	v_not_b32_e32 v4, v5
	v_ashrrev_i32_e32 v4, 31, v4
	v_xor_b32_e32 v5, vcc_hi, v4
	v_xor_b32_e32 v4, vcc_lo, v4
	v_and_b32_e32 v2, v2, v5
	v_and_b32_e32 v37, v37, v4
	v_lshlrev_b32_e32 v5, 25, v36
	v_mov_b32_e32 v4, v3
	v_cmp_gt_i64_e32 vcc, 0, v[4:5]
	v_not_b32_e32 v4, v5
	v_ashrrev_i32_e32 v4, 31, v4
	v_xor_b32_e32 v5, vcc_hi, v4
	v_xor_b32_e32 v4, vcc_lo, v4
	v_and_b32_e32 v2, v2, v5
	v_and_b32_e32 v37, v37, v4
	v_lshlrev_b32_e32 v5, 24, v36
	v_mov_b32_e32 v4, v3
	v_cmp_gt_i64_e32 vcc, 0, v[4:5]
	v_not_b32_e32 v4, v5
	v_ashrrev_i32_e32 v4, 31, v4
	v_xor_b32_e32 v5, vcc_hi, v4
	v_xor_b32_e32 v4, vcc_lo, v4
	ds_read_b32 v35, v38 offset:64
	v_and_b32_e32 v4, v37, v4
	v_and_b32_e32 v5, v2, v5
	v_mbcnt_lo_u32_b32 v2, v4, 0
	v_mbcnt_hi_u32_b32 v36, v5, v2
	v_cmp_eq_u32_e32 vcc, 0, v36
	v_cmp_ne_u64_e64 s[4:5], 0, v[4:5]
	s_and_b64 s[8:9], s[4:5], vcc
	; wave barrier
	s_and_saveexec_b64 s[4:5], s[8:9]
	s_cbranch_execz .LBB382_31
; %bb.30:
	v_bcnt_u32_b32 v2, v4, 0
	v_bcnt_u32_b32 v2, v5, v2
	s_waitcnt lgkmcnt(0)
	v_add_u32_e32 v2, v35, v2
	ds_write_b32 v38, v2 offset:64
.LBB382_31:
	s_or_b64 exec, exec, s[4:5]
	v_xor_b32_e32 v9, 0x7fffffff, v9
	v_lshrrev_b32_e32 v2, s20, v9
	v_and_b32_e32 v39, s23, v2
	v_mul_lo_u32 v2, v39, s6
	v_add_u32_e32 v40, v30, v2
	v_and_b32_e32 v2, 1, v39
	v_lshl_add_u64 v[4:5], v[2:3], 0, -1
	v_cmp_ne_u32_e32 vcc, 0, v2
	; wave barrier
	s_nop 1
	v_xor_b32_e32 v4, vcc_lo, v4
	v_xor_b32_e32 v2, vcc_hi, v5
	v_and_b32_e32 v30, exec_lo, v4
	v_lshlrev_b32_e32 v5, 30, v39
	v_mov_b32_e32 v4, v3
	v_cmp_gt_i64_e32 vcc, 0, v[4:5]
	v_not_b32_e32 v4, v5
	v_ashrrev_i32_e32 v4, 31, v4
	v_and_b32_e32 v2, exec_hi, v2
	v_xor_b32_e32 v5, vcc_hi, v4
	v_xor_b32_e32 v4, vcc_lo, v4
	v_and_b32_e32 v2, v2, v5
	v_and_b32_e32 v30, v30, v4
	v_lshlrev_b32_e32 v5, 29, v39
	v_mov_b32_e32 v4, v3
	v_cmp_gt_i64_e32 vcc, 0, v[4:5]
	v_not_b32_e32 v4, v5
	v_ashrrev_i32_e32 v4, 31, v4
	v_xor_b32_e32 v5, vcc_hi, v4
	v_xor_b32_e32 v4, vcc_lo, v4
	v_and_b32_e32 v2, v2, v5
	v_and_b32_e32 v30, v30, v4
	v_lshlrev_b32_e32 v5, 28, v39
	v_mov_b32_e32 v4, v3
	v_cmp_gt_i64_e32 vcc, 0, v[4:5]
	v_not_b32_e32 v4, v5
	v_ashrrev_i32_e32 v4, 31, v4
	;; [unrolled: 9-line block ×5, first 2 shown]
	v_xor_b32_e32 v5, vcc_hi, v4
	v_xor_b32_e32 v4, vcc_lo, v4
	v_and_b32_e32 v2, v2, v5
	v_lshlrev_b32_e32 v5, 24, v39
	v_and_b32_e32 v30, v30, v4
	v_mov_b32_e32 v4, v3
	v_not_b32_e32 v3, v5
	v_cmp_gt_i64_e32 vcc, 0, v[4:5]
	v_ashrrev_i32_e32 v3, 31, v3
	ds_read_b32 v37, v40 offset:64
	v_xor_b32_e32 v4, vcc_hi, v3
	v_xor_b32_e32 v5, vcc_lo, v3
	v_and_b32_e32 v3, v2, v4
	v_and_b32_e32 v2, v30, v5
	v_mbcnt_lo_u32_b32 v4, v2, 0
	v_mbcnt_hi_u32_b32 v39, v3, v4
	v_cmp_eq_u32_e32 vcc, 0, v39
	v_cmp_ne_u64_e64 s[4:5], 0, v[2:3]
	s_and_b64 s[6:7], s[4:5], vcc
	; wave barrier
	s_and_saveexec_b64 s[4:5], s[6:7]
	s_cbranch_execz .LBB382_33
; %bb.32:
	v_bcnt_u32_b32 v2, v2, 0
	v_bcnt_u32_b32 v2, v3, v2
	s_waitcnt lgkmcnt(0)
	v_add_u32_e32 v2, v37, v2
	ds_write_b32 v40, v2 offset:64
.LBB382_33:
	s_or_b64 exec, exec, s[4:5]
	; wave barrier
	s_waitcnt lgkmcnt(0)
	s_barrier
	ds_read2_b32 v[4:5], v17 offset0:16 offset1:17
	ds_read2_b32 v[2:3], v17 offset0:18 offset1:19
	ds_read_b32 v30, v17 offset:80
	v_cmp_lt_u32_e64 s[10:11], 31, v16
	s_waitcnt lgkmcnt(1)
	v_add3_u32 v41, v5, v4, v2
	s_waitcnt lgkmcnt(0)
	v_add3_u32 v30, v41, v3, v30
	v_and_b32_e32 v41, 15, v16
	v_cmp_eq_u32_e32 vcc, 0, v41
	v_mov_b32_dpp v42, v30 row_shr:1 row_mask:0xf bank_mask:0xf
	v_cmp_lt_u32_e64 s[8:9], 1, v41
	v_cndmask_b32_e64 v42, v42, 0, vcc
	v_add_u32_e32 v30, v42, v30
	v_cmp_lt_u32_e64 s[4:5], 3, v41
	v_cmp_lt_u32_e64 s[6:7], 7, v41
	v_mov_b32_dpp v42, v30 row_shr:2 row_mask:0xf bank_mask:0xf
	v_cndmask_b32_e64 v42, 0, v42, s[8:9]
	v_add_u32_e32 v30, v30, v42
	s_nop 1
	v_mov_b32_dpp v42, v30 row_shr:4 row_mask:0xf bank_mask:0xf
	v_cndmask_b32_e64 v42, 0, v42, s[4:5]
	v_add_u32_e32 v30, v30, v42
	s_nop 1
	v_mov_b32_dpp v42, v30 row_shr:8 row_mask:0xf bank_mask:0xf
	v_cndmask_b32_e64 v41, 0, v42, s[6:7]
	v_add_u32_e32 v30, v30, v41
	v_bfe_i32 v42, v16, 4, 1
	s_nop 0
	v_mov_b32_dpp v41, v30 row_bcast:15 row_mask:0xf bank_mask:0xf
	v_and_b32_e32 v41, v42, v41
	v_add_u32_e32 v30, v30, v41
	v_lshrrev_b32_e32 v42, 6, v10
	s_nop 0
	v_mov_b32_dpp v41, v30 row_bcast:31 row_mask:0xf bank_mask:0xf
	v_cndmask_b32_e64 v41, 0, v41, s[10:11]
	v_add_u32_e32 v41, v30, v41
	v_and_b32_e32 v30, 63, v10
	v_cmp_eq_u32_e64 s[10:11], 63, v30
	s_and_saveexec_b64 s[12:13], s[10:11]
; %bb.34:
	v_lshlrev_b32_e32 v30, 2, v42
	ds_write_b32 v30, v41
; %bb.35:
	s_or_b64 exec, exec, s[12:13]
	v_cmp_gt_u32_e64 s[10:11], 16, v10
	v_lshlrev_b32_e32 v30, 2, v10
	s_waitcnt lgkmcnt(0)
	s_barrier
	s_and_saveexec_b64 s[12:13], s[10:11]
	s_cbranch_execz .LBB382_37
; %bb.36:
	ds_read_b32 v43, v30
	s_waitcnt lgkmcnt(0)
	s_nop 0
	v_mov_b32_dpp v44, v43 row_shr:1 row_mask:0xf bank_mask:0xf
	v_cndmask_b32_e64 v44, v44, 0, vcc
	v_add_u32_e32 v43, v44, v43
	s_nop 1
	v_mov_b32_dpp v44, v43 row_shr:2 row_mask:0xf bank_mask:0xf
	v_cndmask_b32_e64 v44, 0, v44, s[8:9]
	v_add_u32_e32 v43, v43, v44
	s_nop 1
	v_mov_b32_dpp v44, v43 row_shr:4 row_mask:0xf bank_mask:0xf
	v_cndmask_b32_e64 v44, 0, v44, s[4:5]
	;; [unrolled: 4-line block ×3, first 2 shown]
	v_add_u32_e32 v43, v43, v44
	ds_write_b32 v30, v43
.LBB382_37:
	s_or_b64 exec, exec, s[12:13]
	v_cmp_lt_u32_e32 vcc, 63, v10
	v_mov_b32_e32 v43, 0
	s_waitcnt lgkmcnt(0)
	s_barrier
	s_and_saveexec_b64 s[4:5], vcc
; %bb.38:
	v_lshl_add_u32 v42, v42, 2, -4
	ds_read_b32 v43, v42
; %bb.39:
	s_or_b64 exec, exec, s[4:5]
	v_subrev_co_u32_e32 v42, vcc, 1, v16
	v_and_b32_e32 v44, 64, v16
	v_cmp_lt_i32_e64 s[4:5], v42, v44
	s_waitcnt lgkmcnt(0)
	v_add_u32_e32 v41, v43, v41
	s_movk_i32 s6, 0x100
	v_cndmask_b32_e64 v16, v42, v16, s[4:5]
	v_lshlrev_b32_e32 v16, 2, v16
	ds_bpermute_b32 v16, v16, v41
	s_movk_i32 s4, 0xff
	v_cmp_lt_u32_e64 s[4:5], s4, v10
	s_waitcnt lgkmcnt(0)
	v_cndmask_b32_e32 v16, v16, v43, vcc
	v_cmp_ne_u32_e32 vcc, 0, v10
	s_nop 1
	v_cndmask_b32_e32 v16, 0, v16, vcc
	v_add_u32_e32 v4, v16, v4
	v_add_u32_e32 v5, v4, v5
	;; [unrolled: 1-line block ×4, first 2 shown]
	ds_write2_b32 v17, v16, v4 offset0:16 offset1:17
	ds_write2_b32 v17, v5, v2 offset0:18 offset1:19
	ds_write_b32 v17, v3 offset:80
	s_waitcnt lgkmcnt(0)
	s_barrier
	ds_read_b32 v22, v22 offset:64
	ds_read_b32 v23, v23 offset:64
	;; [unrolled: 1-line block ×8, first 2 shown]
	v_cmp_gt_u32_e32 vcc, s6, v10
                                        ; implicit-def: $vgpr16
                                        ; implicit-def: $vgpr17
	s_and_saveexec_b64 s[8:9], vcc
	s_cbranch_execz .LBB382_43
; %bb.40:
	v_mul_u32_u24_e32 v2, 0x44, v10
	ds_read_b32 v16, v2 offset:64
	v_add_u32_e32 v3, 1, v10
	v_cmp_ne_u32_e64 s[6:7], s6, v3
	v_mov_b32_e32 v2, 0x2000
	s_and_saveexec_b64 s[10:11], s[6:7]
; %bb.41:
	v_mul_u32_u24_e32 v2, 0x44, v3
	ds_read_b32 v2, v2 offset:64
; %bb.42:
	s_or_b64 exec, exec, s[10:11]
	s_waitcnt lgkmcnt(0)
	v_sub_u32_e32 v17, v2, v16
.LBB382_43:
	s_or_b64 exec, exec, s[8:9]
	v_mov_b32_e32 v3, 0
	s_waitcnt lgkmcnt(0)
	s_barrier
	s_and_saveexec_b64 s[6:7], vcc
	s_cbranch_execz .LBB382_53
; %bb.44:
	v_lshl_add_u32 v2, s2, 8, v10
	v_lshl_add_u64 v[4:5], v[2:3], 2, s[28:29]
	v_or_b32_e32 v2, 2.0, v17
	s_mov_b64 s[8:9], 0
	s_brev_b32 s14, -4
	s_mov_b32 s15, s2
	v_mov_b32_e32 v43, 0
	global_store_dword v[4:5], v2, off sc1
                                        ; implicit-def: $sgpr10_sgpr11
	s_branch .LBB382_47
.LBB382_45:                             ;   in Loop: Header=BB382_47 Depth=1
	s_or_b64 exec, exec, s[12:13]
.LBB382_46:                             ;   in Loop: Header=BB382_47 Depth=1
	s_or_b64 exec, exec, s[10:11]
	v_and_b32_e32 v6, 0x3fffffff, v2
	v_add_u32_e32 v43, v6, v43
	v_cmp_gt_i32_e64 s[10:11], -2.0, v2
	s_and_b64 s[12:13], exec, s[10:11]
	s_or_b64 s[8:9], s[12:13], s[8:9]
	s_andn2_b64 exec, exec, s[8:9]
	s_cbranch_execz .LBB382_52
.LBB382_47:                             ; =>This Loop Header: Depth=1
                                        ;     Child Loop BB382_50 Depth 2
	s_or_b64 s[10:11], s[10:11], exec
	s_cmp_eq_u32 s15, 0
	s_cbranch_scc1 .LBB382_51
; %bb.48:                               ;   in Loop: Header=BB382_47 Depth=1
	s_add_i32 s15, s15, -1
	v_lshl_or_b32 v2, s15, 8, v10
	v_lshl_add_u64 v[6:7], v[2:3], 2, s[28:29]
	global_load_dword v2, v[6:7], off sc1
	s_waitcnt vmcnt(0)
	v_cmp_gt_u32_e32 vcc, 2.0, v2
	s_and_saveexec_b64 s[10:11], vcc
	s_cbranch_execz .LBB382_46
; %bb.49:                               ;   in Loop: Header=BB382_47 Depth=1
	s_mov_b64 s[12:13], 0
.LBB382_50:                             ;   Parent Loop BB382_47 Depth=1
                                        ; =>  This Inner Loop Header: Depth=2
	global_load_dword v2, v[6:7], off sc1
	s_waitcnt vmcnt(0)
	v_cmp_lt_u32_e32 vcc, s14, v2
	s_or_b64 s[12:13], vcc, s[12:13]
	s_andn2_b64 exec, exec, s[12:13]
	s_cbranch_execnz .LBB382_50
	s_branch .LBB382_45
.LBB382_51:                             ;   in Loop: Header=BB382_47 Depth=1
                                        ; implicit-def: $sgpr15
	s_and_b64 s[12:13], exec, s[10:11]
	s_or_b64 s[8:9], s[12:13], s[8:9]
	s_andn2_b64 exec, exec, s[8:9]
	s_cbranch_execnz .LBB382_47
.LBB382_52:
	s_or_b64 exec, exec, s[8:9]
	v_add_u32_e32 v2, v43, v17
	v_or_b32_e32 v2, 0x80000000, v2
	global_store_dword v[4:5], v2, off sc1
	global_load_dword v2, v30, s[16:17]
	v_sub_u32_e32 v3, v43, v16
	s_waitcnt vmcnt(0)
	v_add_u32_e32 v2, v3, v2
	ds_write_b32 v30, v2
.LBB382_53:
	s_or_b64 exec, exec, s[6:7]
	v_add_u32_e32 v4, v22, v18
	v_add3_u32 v5, v20, v19, v23
	v_add3_u32 v6, v25, v21, v27
	;; [unrolled: 1-line block ×7, first 2 shown]
	v_lshlrev_b32_e32 v22, 2, v21
	v_lshlrev_b32_e32 v23, 2, v20
	;; [unrolled: 1-line block ×8, first 2 shown]
	s_mov_b64 s[6:7], -1
	s_mov_b32 s10, 0
	v_mov_b32_e32 v3, 0
	s_movk_i32 s11, 0x400
	s_movk_i32 s12, 0x800
	s_movk_i32 s13, 0xc00
	s_branch .LBB382_55
.LBB382_54:                             ;   in Loop: Header=BB382_55 Depth=1
	s_or_b64 exec, exec, s[8:9]
	s_xor_b64 s[8:9], s[6:7], -1
	s_addk_i32 s10, 0xc000
	v_add_u32_e32 v10, 0x1000, v10
	s_mov_b64 s[6:7], 0
	s_and_b64 vcc, exec, s[8:9]
	s_barrier
	s_cbranch_vccnz .LBB382_79
.LBB382_55:                             ; =>This Inner Loop Header: Depth=1
	v_subrev_co_u32_e32 v4, vcc, 0x1000, v4
	s_and_saveexec_b64 s[8:9], vcc
	s_cbranch_execz .LBB382_63
; %bb.56:                               ;   in Loop: Header=BB382_55 Depth=1
	v_add_u32_e32 v2, s10, v31
	ds_write_b32 v2, v11 offset:1024
	s_or_b64 exec, exec, s[8:9]
	v_subrev_co_u32_e32 v5, vcc, 0x1000, v5
	s_and_saveexec_b64 s[8:9], vcc
	s_cbranch_execnz .LBB382_64
.LBB382_57:                             ;   in Loop: Header=BB382_55 Depth=1
	s_or_b64 exec, exec, s[8:9]
	v_subrev_co_u32_e32 v6, vcc, 0x1000, v6
	s_and_saveexec_b64 s[8:9], vcc
	s_cbranch_execz .LBB382_65
.LBB382_58:                             ;   in Loop: Header=BB382_55 Depth=1
	v_add_u32_e32 v2, s10, v28
	ds_write_b32 v2, v15 offset:1024
	s_or_b64 exec, exec, s[8:9]
	v_subrev_co_u32_e32 v7, vcc, 0x1000, v7
	s_and_saveexec_b64 s[8:9], vcc
	s_cbranch_execnz .LBB382_66
.LBB382_59:                             ;   in Loop: Header=BB382_55 Depth=1
	s_or_b64 exec, exec, s[8:9]
	v_subrev_co_u32_e32 v18, vcc, 0x1000, v18
	s_and_saveexec_b64 s[8:9], vcc
	s_cbranch_execz .LBB382_67
.LBB382_60:                             ;   in Loop: Header=BB382_55 Depth=1
	v_add_u32_e32 v2, s10, v26
	ds_write_b32 v2, v13 offset:1024
	s_or_b64 exec, exec, s[8:9]
	v_subrev_co_u32_e32 v19, vcc, 0x1000, v19
	s_and_saveexec_b64 s[8:9], vcc
	s_cbranch_execnz .LBB382_68
.LBB382_61:                             ;   in Loop: Header=BB382_55 Depth=1
	s_or_b64 exec, exec, s[8:9]
	v_subrev_co_u32_e32 v20, vcc, 0x1000, v20
	s_and_saveexec_b64 s[8:9], vcc
	s_cbranch_execz .LBB382_69
.LBB382_62:                             ;   in Loop: Header=BB382_55 Depth=1
	v_add_u32_e32 v2, s10, v23
	ds_write_b32 v2, v8 offset:1024
	s_or_b64 exec, exec, s[8:9]
	v_subrev_co_u32_e32 v21, vcc, 0x1000, v21
	s_and_saveexec_b64 s[8:9], vcc
	s_cbranch_execnz .LBB382_70
	s_branch .LBB382_71
.LBB382_63:                             ;   in Loop: Header=BB382_55 Depth=1
	s_or_b64 exec, exec, s[8:9]
	v_subrev_co_u32_e32 v5, vcc, 0x1000, v5
	s_and_saveexec_b64 s[8:9], vcc
	s_cbranch_execz .LBB382_57
.LBB382_64:                             ;   in Loop: Header=BB382_55 Depth=1
	v_add_u32_e32 v2, s10, v29
	ds_write_b32 v2, v14 offset:1024
	s_or_b64 exec, exec, s[8:9]
	v_subrev_co_u32_e32 v6, vcc, 0x1000, v6
	s_and_saveexec_b64 s[8:9], vcc
	s_cbranch_execnz .LBB382_58
.LBB382_65:                             ;   in Loop: Header=BB382_55 Depth=1
	s_or_b64 exec, exec, s[8:9]
	v_subrev_co_u32_e32 v7, vcc, 0x1000, v7
	s_and_saveexec_b64 s[8:9], vcc
	s_cbranch_execz .LBB382_59
.LBB382_66:                             ;   in Loop: Header=BB382_55 Depth=1
	v_add_u32_e32 v2, s10, v27
	ds_write_b32 v2, v12 offset:1024
	s_or_b64 exec, exec, s[8:9]
	v_subrev_co_u32_e32 v18, vcc, 0x1000, v18
	s_and_saveexec_b64 s[8:9], vcc
	s_cbranch_execnz .LBB382_60
.LBB382_67:                             ;   in Loop: Header=BB382_55 Depth=1
	s_or_b64 exec, exec, s[8:9]
	v_subrev_co_u32_e32 v19, vcc, 0x1000, v19
	s_and_saveexec_b64 s[8:9], vcc
	s_cbranch_execz .LBB382_61
.LBB382_68:                             ;   in Loop: Header=BB382_55 Depth=1
	v_add_u32_e32 v2, s10, v25
	ds_write_b32 v2, v24 offset:1024
	s_or_b64 exec, exec, s[8:9]
	v_subrev_co_u32_e32 v20, vcc, 0x1000, v20
	s_and_saveexec_b64 s[8:9], vcc
	s_cbranch_execnz .LBB382_62
.LBB382_69:                             ;   in Loop: Header=BB382_55 Depth=1
	s_or_b64 exec, exec, s[8:9]
	v_subrev_co_u32_e32 v21, vcc, 0x1000, v21
	s_and_saveexec_b64 s[8:9], vcc
.LBB382_70:                             ;   in Loop: Header=BB382_55 Depth=1
	v_add_u32_e32 v2, s10, v22
	ds_write_b32 v2, v9 offset:1024
.LBB382_71:                             ;   in Loop: Header=BB382_55 Depth=1
	s_or_b64 exec, exec, s[8:9]
	v_cmp_gt_u32_e32 vcc, s3, v10
	s_waitcnt lgkmcnt(0)
	s_barrier
	s_and_saveexec_b64 s[8:9], vcc
	s_cbranch_execz .LBB382_73
; %bb.72:                               ;   in Loop: Header=BB382_55 Depth=1
	ds_read_b32 v2, v30 offset:1024
	s_waitcnt lgkmcnt(0)
	v_lshrrev_b32_e32 v32, s20, v2
	v_and_b32_e32 v32, s23, v32
	v_lshlrev_b32_e32 v32, 2, v32
	ds_read_b32 v32, v32
	v_xor_b32_e32 v34, 0x7fffffff, v2
	s_waitcnt lgkmcnt(0)
	v_add_u32_e32 v2, v10, v32
	v_lshl_add_u64 v[32:33], v[2:3], 2, s[26:27]
	global_store_dword v[32:33], v34, off
.LBB382_73:                             ;   in Loop: Header=BB382_55 Depth=1
	s_or_b64 exec, exec, s[8:9]
	v_add_u32_e32 v2, 0x400, v10
	v_cmp_gt_u32_e32 vcc, s3, v2
	s_and_saveexec_b64 s[8:9], vcc
	s_cbranch_execz .LBB382_75
; %bb.74:                               ;   in Loop: Header=BB382_55 Depth=1
	ds_read_b32 v2, v30 offset:5120
	s_waitcnt lgkmcnt(0)
	v_lshrrev_b32_e32 v32, s20, v2
	v_and_b32_e32 v32, s23, v32
	v_lshlrev_b32_e32 v32, 2, v32
	ds_read_b32 v32, v32
	v_xor_b32_e32 v34, 0x7fffffff, v2
	s_waitcnt lgkmcnt(0)
	v_add3_u32 v2, v10, v32, s11
	v_lshl_add_u64 v[32:33], v[2:3], 2, s[26:27]
	global_store_dword v[32:33], v34, off
.LBB382_75:                             ;   in Loop: Header=BB382_55 Depth=1
	s_or_b64 exec, exec, s[8:9]
	v_add_u32_e32 v2, 0x800, v10
	v_cmp_gt_u32_e32 vcc, s3, v2
	s_and_saveexec_b64 s[8:9], vcc
	s_cbranch_execz .LBB382_77
; %bb.76:                               ;   in Loop: Header=BB382_55 Depth=1
	ds_read_b32 v2, v30 offset:9216
	s_waitcnt lgkmcnt(0)
	v_lshrrev_b32_e32 v32, s20, v2
	v_and_b32_e32 v32, s23, v32
	v_lshlrev_b32_e32 v32, 2, v32
	ds_read_b32 v32, v32
	v_xor_b32_e32 v34, 0x7fffffff, v2
	s_waitcnt lgkmcnt(0)
	v_add3_u32 v2, v10, v32, s12
	v_lshl_add_u64 v[32:33], v[2:3], 2, s[26:27]
	global_store_dword v[32:33], v34, off
.LBB382_77:                             ;   in Loop: Header=BB382_55 Depth=1
	s_or_b64 exec, exec, s[8:9]
	v_add_u32_e32 v2, 0xc00, v10
	v_cmp_gt_u32_e32 vcc, s3, v2
	s_and_saveexec_b64 s[8:9], vcc
	s_cbranch_execz .LBB382_54
; %bb.78:                               ;   in Loop: Header=BB382_55 Depth=1
	ds_read_b32 v2, v30 offset:13312
	s_waitcnt lgkmcnt(0)
	v_lshrrev_b32_e32 v32, s20, v2
	v_and_b32_e32 v32, s23, v32
	v_lshlrev_b32_e32 v32, 2, v32
	ds_read_b32 v32, v32
	v_xor_b32_e32 v34, 0x7fffffff, v2
	s_waitcnt lgkmcnt(0)
	v_add3_u32 v2, v10, v32, s13
	v_lshl_add_u64 v[32:33], v[2:3], 2, s[26:27]
	global_store_dword v[32:33], v34, off
	s_branch .LBB382_54
.LBB382_79:
	s_add_i32 s22, s22, -1
	s_cmp_eq_u32 s2, s22
	s_cselect_b64 s[6:7], -1, 0
	s_xor_b64 s[4:5], s[4:5], -1
	s_and_b64 s[6:7], s[4:5], s[6:7]
	s_and_saveexec_b64 s[4:5], s[6:7]
	s_cbranch_execz .LBB382_81
; %bb.80:
	ds_read_b32 v2, v30
	s_waitcnt lgkmcnt(0)
	v_add3_u32 v2, v16, v17, v2
	global_store_dword v30, v2, s[18:19]
.LBB382_81:
	s_or_b64 exec, exec, s[4:5]
	s_mov_b64 s[4:5], 0
.LBB382_82:
	s_and_b64 vcc, exec, s[4:5]
	s_cbranch_vccz .LBB382_139
; %bb.83:
	s_lshl_b32 s4, s2, 13
	s_mov_b32 s5, 0
	s_lshl_b64 s[4:5], s[4:5], 2
	v_mbcnt_hi_u32_b32 v6, -1, v1
	v_and_b32_e32 v2, 0x3ff, v0
	s_add_u32 s4, s24, s4
	v_and_b32_e32 v1, 63, v6
	s_addc_u32 s5, s25, s5
	v_lshlrev_b32_e32 v4, 2, v1
	v_mov_b32_e32 v5, 0
	v_lshlrev_b32_e32 v1, 5, v2
	v_lshl_add_u64 v[8:9], s[4:5], 0, v[4:5]
	v_and_b32_e32 v4, 0x7800, v1
	v_lshl_add_u64 v[10:11], v[8:9], 0, v[4:5]
	global_load_dword v1, v[10:11], off
	s_load_dword s4, s[0:1], 0x64
	s_load_dword s3, s[0:1], 0x58
	s_add_u32 s0, s0, 0x58
	s_addc_u32 s1, s1, 0
	v_mul_u32_u24_e32 v7, 20, v2
	s_waitcnt lgkmcnt(0)
	s_lshr_b32 s4, s4, 16
	s_cmp_lt_u32 s2, s3
	s_cselect_b32 s5, 12, 18
	s_add_u32 s0, s0, s5
	s_addc_u32 s1, s1, 0
	global_load_ushort v13, v5, s[0:1]
	ds_write2_b32 v7, v5, v5 offset0:16 offset1:17
	ds_write2_b32 v7, v5, v5 offset0:18 offset1:19
	ds_write_b32 v7, v5 offset:80
	global_load_dword v8, v[10:11], off offset:256
	global_load_dword v9, v[10:11], off offset:512
	;; [unrolled: 1-line block ×7, first 2 shown]
	v_bfe_u32 v3, v0, 10, 10
	v_bfe_u32 v4, v0, 20, 10
	v_mad_u32_u24 v10, v4, s4, v3
	s_lshl_b32 s0, -1, s21
	v_mov_b32_e32 v0, v5
	s_not_b32 s12, s0
	v_mov_b32_e32 v16, v5
	v_mov_b32_e32 v18, v5
	;; [unrolled: 1-line block ×3, first 2 shown]
	s_movk_i32 s10, 0x44
	s_waitcnt lgkmcnt(0)
	s_barrier
	s_waitcnt vmcnt(8)
	; wave barrier
	v_xor_b32_e32 v3, 0x7fffffff, v1
	v_lshrrev_b32_e32 v1, s20, v3
	v_bitop3_b32 v14, v1, s0, v1 bitop3:0x30
	v_and_b32_e32 v4, 1, v14
	v_lshlrev_b32_e32 v1, 30, v14
	v_lshlrev_b32_e32 v17, 29, v14
	v_lshl_add_u64 v[28:29], v[4:5], 0, -1
	v_cmp_ne_u32_e32 vcc, 0, v4
	v_lshlrev_b32_e32 v19, 28, v14
	v_cmp_gt_i64_e64 s[4:5], 0, v[16:17]
	s_waitcnt vmcnt(7)
	v_mad_u64_u32 v[24:25], s[0:1], v10, v13, v[2:3]
	v_cmp_gt_i64_e64 s[0:1], 0, v[0:1]
	v_not_b32_e32 v0, v1
	v_not_b32_e32 v1, v17
	v_lshrrev_b32_e32 v13, 4, v24
	v_xor_b32_e32 v16, vcc_hi, v29
	v_xor_b32_e32 v17, vcc_lo, v28
	v_ashrrev_i32_e32 v0, 31, v0
	v_lshlrev_b32_e32 v23, 27, v14
	v_not_b32_e32 v4, v19
	v_ashrrev_i32_e32 v1, 31, v1
	v_and_b32_e32 v24, 0xffffffc, v13
	v_and_b32_e32 v13, exec_hi, v16
	v_and_b32_e32 v16, exec_lo, v17
	v_xor_b32_e32 v17, s1, v0
	v_xor_b32_e32 v0, s0, v0
	v_cmp_gt_i64_e64 s[6:7], 0, v[18:19]
	v_not_b32_e32 v10, v23
	v_ashrrev_i32_e32 v4, 31, v4
	v_xor_b32_e32 v18, s5, v1
	v_xor_b32_e32 v1, s4, v1
	v_and_b32_e32 v0, v16, v0
	v_cmp_gt_i64_e64 s[8:9], 0, v[22:23]
	v_ashrrev_i32_e32 v10, 31, v10
	v_xor_b32_e32 v19, s7, v4
	v_xor_b32_e32 v4, s6, v4
	v_and_b32_e32 v0, v0, v1
	v_lshlrev_b32_e32 v11, 26, v14
	v_xor_b32_e32 v22, s9, v10
	v_xor_b32_e32 v10, s8, v10
	v_and_b32_e32 v13, v13, v17
	v_and_b32_e32 v0, v0, v4
	;; [unrolled: 1-line block ×4, first 2 shown]
	v_mov_b32_e32 v10, v5
	v_not_b32_e32 v4, v11
	v_and_b32_e32 v1, v13, v19
	v_cmp_gt_i64_e32 vcc, 0, v[10:11]
	v_ashrrev_i32_e32 v4, 31, v4
	v_and_b32_e32 v1, v1, v22
	v_xor_b32_e32 v10, vcc_hi, v4
	v_xor_b32_e32 v4, vcc_lo, v4
	v_and_b32_e32 v10, v1, v10
	v_and_b32_e32 v4, v0, v4
	v_lshlrev_b32_e32 v1, 25, v14
	v_mov_b32_e32 v0, v5
	v_cmp_gt_i64_e32 vcc, 0, v[0:1]
	v_not_b32_e32 v0, v1
	v_ashrrev_i32_e32 v0, 31, v0
	v_xor_b32_e32 v1, vcc_hi, v0
	v_xor_b32_e32 v0, vcc_lo, v0
	v_and_b32_e32 v10, v10, v1
	v_and_b32_e32 v4, v4, v0
	v_lshlrev_b32_e32 v1, 24, v14
	v_mov_b32_e32 v0, v5
	v_cmp_gt_i64_e32 vcc, 0, v[0:1]
	v_not_b32_e32 v0, v1
	v_ashrrev_i32_e32 v0, 31, v0
	v_xor_b32_e32 v1, vcc_hi, v0
	v_xor_b32_e32 v0, vcc_lo, v0
	v_and_b32_e32 v0, v4, v0
	v_and_b32_e32 v1, v10, v1
	v_mbcnt_lo_u32_b32 v4, v0, 0
	v_mbcnt_hi_u32_b32 v10, v1, v4
	v_mul_lo_u32 v27, v14, s10
	v_cmp_eq_u32_e32 vcc, 0, v10
	v_cmp_ne_u64_e64 s[0:1], 0, v[0:1]
	s_and_b64 s[4:5], s[0:1], vcc
	v_add_u32_e32 v16, v24, v27
	s_and_saveexec_b64 s[0:1], s[4:5]
; %bb.84:
	v_bcnt_u32_b32 v0, v0, 0
	v_bcnt_u32_b32 v0, v1, v0
	ds_write_b32 v16, v0 offset:64
; %bb.85:
	s_or_b64 exec, exec, s[0:1]
	s_waitcnt vmcnt(6)
	v_xor_b32_e32 v8, 0x7fffffff, v8
	v_lshrrev_b32_e32 v0, s20, v8
	v_and_b32_e32 v13, s12, v0
	v_mul_lo_u32 v0, v13, s10
	v_and_b32_e32 v4, 1, v13
	v_add_u32_e32 v17, v24, v0
	v_lshl_add_u64 v[0:1], v[4:5], 0, -1
	v_cmp_ne_u32_e32 vcc, 0, v4
	; wave barrier
	s_nop 1
	v_xor_b32_e32 v1, vcc_hi, v1
	v_xor_b32_e32 v0, vcc_lo, v0
	v_and_b32_e32 v4, exec_hi, v1
	v_and_b32_e32 v14, exec_lo, v0
	v_lshlrev_b32_e32 v1, 30, v13
	v_mov_b32_e32 v0, v5
	v_cmp_gt_i64_e32 vcc, 0, v[0:1]
	v_not_b32_e32 v0, v1
	v_ashrrev_i32_e32 v0, 31, v0
	v_xor_b32_e32 v1, vcc_hi, v0
	v_xor_b32_e32 v0, vcc_lo, v0
	v_and_b32_e32 v4, v4, v1
	v_and_b32_e32 v14, v14, v0
	v_lshlrev_b32_e32 v1, 29, v13
	v_mov_b32_e32 v0, v5
	v_cmp_gt_i64_e32 vcc, 0, v[0:1]
	v_not_b32_e32 v0, v1
	v_ashrrev_i32_e32 v0, 31, v0
	v_xor_b32_e32 v1, vcc_hi, v0
	v_xor_b32_e32 v0, vcc_lo, v0
	v_and_b32_e32 v4, v4, v1
	v_and_b32_e32 v14, v14, v0
	v_lshlrev_b32_e32 v1, 28, v13
	v_mov_b32_e32 v0, v5
	v_cmp_gt_i64_e32 vcc, 0, v[0:1]
	v_not_b32_e32 v0, v1
	v_ashrrev_i32_e32 v0, 31, v0
	v_xor_b32_e32 v1, vcc_hi, v0
	v_xor_b32_e32 v0, vcc_lo, v0
	v_and_b32_e32 v4, v4, v1
	v_and_b32_e32 v14, v14, v0
	v_lshlrev_b32_e32 v1, 27, v13
	v_mov_b32_e32 v0, v5
	v_cmp_gt_i64_e32 vcc, 0, v[0:1]
	v_not_b32_e32 v0, v1
	v_ashrrev_i32_e32 v0, 31, v0
	v_xor_b32_e32 v1, vcc_hi, v0
	v_xor_b32_e32 v0, vcc_lo, v0
	v_and_b32_e32 v4, v4, v1
	v_and_b32_e32 v14, v14, v0
	v_lshlrev_b32_e32 v1, 26, v13
	v_mov_b32_e32 v0, v5
	v_cmp_gt_i64_e32 vcc, 0, v[0:1]
	v_not_b32_e32 v0, v1
	v_ashrrev_i32_e32 v0, 31, v0
	v_xor_b32_e32 v1, vcc_hi, v0
	v_xor_b32_e32 v0, vcc_lo, v0
	v_and_b32_e32 v4, v4, v1
	v_and_b32_e32 v14, v14, v0
	v_lshlrev_b32_e32 v1, 25, v13
	v_mov_b32_e32 v0, v5
	v_cmp_gt_i64_e32 vcc, 0, v[0:1]
	v_not_b32_e32 v0, v1
	v_ashrrev_i32_e32 v0, 31, v0
	v_xor_b32_e32 v1, vcc_hi, v0
	v_xor_b32_e32 v0, vcc_lo, v0
	v_and_b32_e32 v4, v4, v1
	v_and_b32_e32 v14, v14, v0
	v_lshlrev_b32_e32 v1, 24, v13
	v_mov_b32_e32 v0, v5
	v_cmp_gt_i64_e32 vcc, 0, v[0:1]
	v_not_b32_e32 v0, v1
	v_ashrrev_i32_e32 v0, 31, v0
	v_xor_b32_e32 v1, vcc_hi, v0
	v_xor_b32_e32 v0, vcc_lo, v0
	ds_read_b32 v11, v17 offset:64
	v_and_b32_e32 v0, v14, v0
	v_and_b32_e32 v1, v4, v1
	v_mbcnt_lo_u32_b32 v4, v0, 0
	v_mbcnt_hi_u32_b32 v13, v1, v4
	v_cmp_eq_u32_e32 vcc, 0, v13
	v_cmp_ne_u64_e64 s[0:1], 0, v[0:1]
	s_and_b64 s[4:5], s[0:1], vcc
	; wave barrier
	s_and_saveexec_b64 s[0:1], s[4:5]
	s_cbranch_execz .LBB382_87
; %bb.86:
	v_bcnt_u32_b32 v0, v0, 0
	v_bcnt_u32_b32 v0, v1, v0
	s_waitcnt lgkmcnt(0)
	v_add_u32_e32 v0, v11, v0
	ds_write_b32 v17, v0 offset:64
.LBB382_87:
	s_or_b64 exec, exec, s[0:1]
	s_waitcnt vmcnt(5)
	v_xor_b32_e32 v9, 0x7fffffff, v9
	v_lshrrev_b32_e32 v0, s20, v9
	v_and_b32_e32 v18, s12, v0
	s_movk_i32 s4, 0x44
	v_mul_lo_u32 v0, v18, s4
	v_add_u32_e32 v22, v24, v0
	v_and_b32_e32 v0, 1, v18
	v_mov_b32_e32 v1, 0
	v_lshl_add_u64 v[4:5], v[0:1], 0, -1
	v_cmp_ne_u32_e32 vcc, 0, v0
	; wave barrier
	s_nop 1
	v_xor_b32_e32 v4, vcc_lo, v4
	v_xor_b32_e32 v0, vcc_hi, v5
	v_and_b32_e32 v19, exec_lo, v4
	v_lshlrev_b32_e32 v5, 30, v18
	v_mov_b32_e32 v4, v1
	v_cmp_gt_i64_e32 vcc, 0, v[4:5]
	v_not_b32_e32 v4, v5
	v_ashrrev_i32_e32 v4, 31, v4
	v_and_b32_e32 v0, exec_hi, v0
	v_xor_b32_e32 v5, vcc_hi, v4
	v_xor_b32_e32 v4, vcc_lo, v4
	v_and_b32_e32 v0, v0, v5
	v_and_b32_e32 v19, v19, v4
	v_lshlrev_b32_e32 v5, 29, v18
	v_mov_b32_e32 v4, v1
	v_cmp_gt_i64_e32 vcc, 0, v[4:5]
	v_not_b32_e32 v4, v5
	v_ashrrev_i32_e32 v4, 31, v4
	v_xor_b32_e32 v5, vcc_hi, v4
	v_xor_b32_e32 v4, vcc_lo, v4
	v_and_b32_e32 v0, v0, v5
	v_and_b32_e32 v19, v19, v4
	v_lshlrev_b32_e32 v5, 28, v18
	v_mov_b32_e32 v4, v1
	v_cmp_gt_i64_e32 vcc, 0, v[4:5]
	v_not_b32_e32 v4, v5
	v_ashrrev_i32_e32 v4, 31, v4
	;; [unrolled: 9-line block ×6, first 2 shown]
	v_xor_b32_e32 v5, vcc_hi, v4
	v_xor_b32_e32 v4, vcc_lo, v4
	ds_read_b32 v14, v22 offset:64
	v_and_b32_e32 v4, v19, v4
	v_and_b32_e32 v5, v0, v5
	v_mbcnt_lo_u32_b32 v0, v4, 0
	v_mbcnt_hi_u32_b32 v18, v5, v0
	v_cmp_eq_u32_e32 vcc, 0, v18
	v_cmp_ne_u64_e64 s[0:1], 0, v[4:5]
	s_and_b64 s[6:7], s[0:1], vcc
	; wave barrier
	s_and_saveexec_b64 s[0:1], s[6:7]
	s_cbranch_execz .LBB382_89
; %bb.88:
	v_bcnt_u32_b32 v0, v4, 0
	v_bcnt_u32_b32 v0, v5, v0
	s_waitcnt lgkmcnt(0)
	v_add_u32_e32 v0, v14, v0
	ds_write_b32 v22, v0 offset:64
.LBB382_89:
	s_or_b64 exec, exec, s[0:1]
	s_waitcnt vmcnt(4)
	v_xor_b32_e32 v12, 0x7fffffff, v12
	v_lshrrev_b32_e32 v0, s20, v12
	v_and_b32_e32 v23, s12, v0
	v_mul_lo_u32 v0, v23, s4
	v_add_u32_e32 v27, v24, v0
	v_and_b32_e32 v0, 1, v23
	v_lshl_add_u64 v[4:5], v[0:1], 0, -1
	v_cmp_ne_u32_e32 vcc, 0, v0
	; wave barrier
	s_nop 1
	v_xor_b32_e32 v4, vcc_lo, v4
	v_xor_b32_e32 v0, vcc_hi, v5
	v_and_b32_e32 v25, exec_lo, v4
	v_lshlrev_b32_e32 v5, 30, v23
	v_mov_b32_e32 v4, v1
	v_cmp_gt_i64_e32 vcc, 0, v[4:5]
	v_not_b32_e32 v4, v5
	v_ashrrev_i32_e32 v4, 31, v4
	v_and_b32_e32 v0, exec_hi, v0
	v_xor_b32_e32 v5, vcc_hi, v4
	v_xor_b32_e32 v4, vcc_lo, v4
	v_and_b32_e32 v0, v0, v5
	v_and_b32_e32 v25, v25, v4
	v_lshlrev_b32_e32 v5, 29, v23
	v_mov_b32_e32 v4, v1
	v_cmp_gt_i64_e32 vcc, 0, v[4:5]
	v_not_b32_e32 v4, v5
	v_ashrrev_i32_e32 v4, 31, v4
	v_xor_b32_e32 v5, vcc_hi, v4
	v_xor_b32_e32 v4, vcc_lo, v4
	v_and_b32_e32 v0, v0, v5
	v_and_b32_e32 v25, v25, v4
	v_lshlrev_b32_e32 v5, 28, v23
	v_mov_b32_e32 v4, v1
	v_cmp_gt_i64_e32 vcc, 0, v[4:5]
	v_not_b32_e32 v4, v5
	v_ashrrev_i32_e32 v4, 31, v4
	;; [unrolled: 9-line block ×5, first 2 shown]
	v_xor_b32_e32 v5, vcc_hi, v4
	v_xor_b32_e32 v4, vcc_lo, v4
	v_and_b32_e32 v0, v0, v5
	v_lshlrev_b32_e32 v5, 24, v23
	v_and_b32_e32 v25, v25, v4
	v_mov_b32_e32 v4, v1
	v_not_b32_e32 v1, v5
	v_cmp_gt_i64_e32 vcc, 0, v[4:5]
	v_ashrrev_i32_e32 v1, 31, v1
	ds_read_b32 v19, v27 offset:64
	v_xor_b32_e32 v4, vcc_hi, v1
	v_xor_b32_e32 v5, vcc_lo, v1
	v_and_b32_e32 v1, v0, v4
	v_and_b32_e32 v0, v25, v5
	v_mbcnt_lo_u32_b32 v4, v0, 0
	v_mbcnt_hi_u32_b32 v23, v1, v4
	v_cmp_eq_u32_e32 vcc, 0, v23
	v_cmp_ne_u64_e64 s[0:1], 0, v[0:1]
	s_and_b64 s[4:5], s[0:1], vcc
	; wave barrier
	s_and_saveexec_b64 s[0:1], s[4:5]
	s_cbranch_execz .LBB382_91
; %bb.90:
	v_bcnt_u32_b32 v0, v0, 0
	v_bcnt_u32_b32 v0, v1, v0
	s_waitcnt lgkmcnt(0)
	v_add_u32_e32 v0, v19, v0
	ds_write_b32 v27, v0 offset:64
.LBB382_91:
	s_or_b64 exec, exec, s[0:1]
	s_waitcnt vmcnt(3)
	v_xor_b32_e32 v15, 0x7fffffff, v15
	v_lshrrev_b32_e32 v0, s20, v15
	v_and_b32_e32 v28, s12, v0
	s_movk_i32 s4, 0x44
	v_mul_lo_u32 v0, v28, s4
	v_add_u32_e32 v30, v24, v0
	v_and_b32_e32 v0, 1, v28
	v_mov_b32_e32 v1, 0
	v_lshl_add_u64 v[4:5], v[0:1], 0, -1
	v_cmp_ne_u32_e32 vcc, 0, v0
	; wave barrier
	s_nop 1
	v_xor_b32_e32 v4, vcc_lo, v4
	v_xor_b32_e32 v0, vcc_hi, v5
	v_and_b32_e32 v29, exec_lo, v4
	v_lshlrev_b32_e32 v5, 30, v28
	v_mov_b32_e32 v4, v1
	v_cmp_gt_i64_e32 vcc, 0, v[4:5]
	v_not_b32_e32 v4, v5
	v_ashrrev_i32_e32 v4, 31, v4
	v_and_b32_e32 v0, exec_hi, v0
	v_xor_b32_e32 v5, vcc_hi, v4
	v_xor_b32_e32 v4, vcc_lo, v4
	v_and_b32_e32 v0, v0, v5
	v_and_b32_e32 v29, v29, v4
	v_lshlrev_b32_e32 v5, 29, v28
	v_mov_b32_e32 v4, v1
	v_cmp_gt_i64_e32 vcc, 0, v[4:5]
	v_not_b32_e32 v4, v5
	v_ashrrev_i32_e32 v4, 31, v4
	v_xor_b32_e32 v5, vcc_hi, v4
	v_xor_b32_e32 v4, vcc_lo, v4
	v_and_b32_e32 v0, v0, v5
	v_and_b32_e32 v29, v29, v4
	v_lshlrev_b32_e32 v5, 28, v28
	v_mov_b32_e32 v4, v1
	v_cmp_gt_i64_e32 vcc, 0, v[4:5]
	v_not_b32_e32 v4, v5
	v_ashrrev_i32_e32 v4, 31, v4
	;; [unrolled: 9-line block ×6, first 2 shown]
	v_xor_b32_e32 v5, vcc_hi, v4
	v_xor_b32_e32 v4, vcc_lo, v4
	ds_read_b32 v25, v30 offset:64
	v_and_b32_e32 v4, v29, v4
	v_and_b32_e32 v5, v0, v5
	v_mbcnt_lo_u32_b32 v0, v4, 0
	v_mbcnt_hi_u32_b32 v28, v5, v0
	v_cmp_eq_u32_e32 vcc, 0, v28
	v_cmp_ne_u64_e64 s[0:1], 0, v[4:5]
	s_and_b64 s[6:7], s[0:1], vcc
	; wave barrier
	s_and_saveexec_b64 s[0:1], s[6:7]
	s_cbranch_execz .LBB382_93
; %bb.92:
	v_bcnt_u32_b32 v0, v4, 0
	v_bcnt_u32_b32 v0, v5, v0
	s_waitcnt lgkmcnt(0)
	v_add_u32_e32 v0, v25, v0
	ds_write_b32 v30, v0 offset:64
.LBB382_93:
	s_or_b64 exec, exec, s[0:1]
	s_waitcnt vmcnt(2)
	v_xor_b32_e32 v20, 0x7fffffff, v20
	v_lshrrev_b32_e32 v0, s20, v20
	v_and_b32_e32 v31, s12, v0
	v_mul_lo_u32 v0, v31, s4
	v_add_u32_e32 v33, v24, v0
	v_and_b32_e32 v0, 1, v31
	v_lshl_add_u64 v[4:5], v[0:1], 0, -1
	v_cmp_ne_u32_e32 vcc, 0, v0
	; wave barrier
	s_nop 1
	v_xor_b32_e32 v4, vcc_lo, v4
	v_xor_b32_e32 v0, vcc_hi, v5
	v_and_b32_e32 v32, exec_lo, v4
	v_lshlrev_b32_e32 v5, 30, v31
	v_mov_b32_e32 v4, v1
	v_cmp_gt_i64_e32 vcc, 0, v[4:5]
	v_not_b32_e32 v4, v5
	v_ashrrev_i32_e32 v4, 31, v4
	v_and_b32_e32 v0, exec_hi, v0
	v_xor_b32_e32 v5, vcc_hi, v4
	v_xor_b32_e32 v4, vcc_lo, v4
	v_and_b32_e32 v0, v0, v5
	v_and_b32_e32 v32, v32, v4
	v_lshlrev_b32_e32 v5, 29, v31
	v_mov_b32_e32 v4, v1
	v_cmp_gt_i64_e32 vcc, 0, v[4:5]
	v_not_b32_e32 v4, v5
	v_ashrrev_i32_e32 v4, 31, v4
	v_xor_b32_e32 v5, vcc_hi, v4
	v_xor_b32_e32 v4, vcc_lo, v4
	v_and_b32_e32 v0, v0, v5
	v_and_b32_e32 v32, v32, v4
	v_lshlrev_b32_e32 v5, 28, v31
	v_mov_b32_e32 v4, v1
	v_cmp_gt_i64_e32 vcc, 0, v[4:5]
	v_not_b32_e32 v4, v5
	v_ashrrev_i32_e32 v4, 31, v4
	;; [unrolled: 9-line block ×5, first 2 shown]
	v_xor_b32_e32 v5, vcc_hi, v4
	v_xor_b32_e32 v4, vcc_lo, v4
	v_and_b32_e32 v0, v0, v5
	v_lshlrev_b32_e32 v5, 24, v31
	v_and_b32_e32 v32, v32, v4
	v_mov_b32_e32 v4, v1
	v_not_b32_e32 v1, v5
	v_cmp_gt_i64_e32 vcc, 0, v[4:5]
	v_ashrrev_i32_e32 v1, 31, v1
	ds_read_b32 v29, v33 offset:64
	v_xor_b32_e32 v4, vcc_hi, v1
	v_xor_b32_e32 v5, vcc_lo, v1
	v_and_b32_e32 v1, v0, v4
	v_and_b32_e32 v0, v32, v5
	v_mbcnt_lo_u32_b32 v4, v0, 0
	v_mbcnt_hi_u32_b32 v31, v1, v4
	v_cmp_eq_u32_e32 vcc, 0, v31
	v_cmp_ne_u64_e64 s[0:1], 0, v[0:1]
	s_and_b64 s[4:5], s[0:1], vcc
	; wave barrier
	s_and_saveexec_b64 s[0:1], s[4:5]
	s_cbranch_execz .LBB382_95
; %bb.94:
	v_bcnt_u32_b32 v0, v0, 0
	v_bcnt_u32_b32 v0, v1, v0
	s_waitcnt lgkmcnt(0)
	v_add_u32_e32 v0, v29, v0
	ds_write_b32 v33, v0 offset:64
.LBB382_95:
	s_or_b64 exec, exec, s[0:1]
	s_waitcnt vmcnt(1)
	v_xor_b32_e32 v26, 0x7fffffff, v26
	v_lshrrev_b32_e32 v0, s20, v26
	v_and_b32_e32 v34, s12, v0
	s_movk_i32 s4, 0x44
	v_mul_lo_u32 v0, v34, s4
	v_add_u32_e32 v36, v24, v0
	v_and_b32_e32 v0, 1, v34
	v_mov_b32_e32 v1, 0
	v_lshl_add_u64 v[4:5], v[0:1], 0, -1
	v_cmp_ne_u32_e32 vcc, 0, v0
	; wave barrier
	s_nop 1
	v_xor_b32_e32 v4, vcc_lo, v4
	v_xor_b32_e32 v0, vcc_hi, v5
	v_and_b32_e32 v35, exec_lo, v4
	v_lshlrev_b32_e32 v5, 30, v34
	v_mov_b32_e32 v4, v1
	v_cmp_gt_i64_e32 vcc, 0, v[4:5]
	v_not_b32_e32 v4, v5
	v_ashrrev_i32_e32 v4, 31, v4
	v_and_b32_e32 v0, exec_hi, v0
	v_xor_b32_e32 v5, vcc_hi, v4
	v_xor_b32_e32 v4, vcc_lo, v4
	v_and_b32_e32 v0, v0, v5
	v_and_b32_e32 v35, v35, v4
	v_lshlrev_b32_e32 v5, 29, v34
	v_mov_b32_e32 v4, v1
	v_cmp_gt_i64_e32 vcc, 0, v[4:5]
	v_not_b32_e32 v4, v5
	v_ashrrev_i32_e32 v4, 31, v4
	v_xor_b32_e32 v5, vcc_hi, v4
	v_xor_b32_e32 v4, vcc_lo, v4
	v_and_b32_e32 v0, v0, v5
	v_and_b32_e32 v35, v35, v4
	v_lshlrev_b32_e32 v5, 28, v34
	v_mov_b32_e32 v4, v1
	v_cmp_gt_i64_e32 vcc, 0, v[4:5]
	v_not_b32_e32 v4, v5
	v_ashrrev_i32_e32 v4, 31, v4
	;; [unrolled: 9-line block ×6, first 2 shown]
	v_xor_b32_e32 v5, vcc_hi, v4
	v_xor_b32_e32 v4, vcc_lo, v4
	ds_read_b32 v32, v36 offset:64
	v_and_b32_e32 v4, v35, v4
	v_and_b32_e32 v5, v0, v5
	v_mbcnt_lo_u32_b32 v0, v4, 0
	v_mbcnt_hi_u32_b32 v34, v5, v0
	v_cmp_eq_u32_e32 vcc, 0, v34
	v_cmp_ne_u64_e64 s[0:1], 0, v[4:5]
	s_and_b64 s[6:7], s[0:1], vcc
	; wave barrier
	s_and_saveexec_b64 s[0:1], s[6:7]
	s_cbranch_execz .LBB382_97
; %bb.96:
	v_bcnt_u32_b32 v0, v4, 0
	v_bcnt_u32_b32 v0, v5, v0
	s_waitcnt lgkmcnt(0)
	v_add_u32_e32 v0, v32, v0
	ds_write_b32 v36, v0 offset:64
.LBB382_97:
	s_or_b64 exec, exec, s[0:1]
	s_waitcnt vmcnt(0)
	v_xor_b32_e32 v21, 0x7fffffff, v21
	v_lshrrev_b32_e32 v0, s20, v21
	v_and_b32_e32 v37, s12, v0
	v_mul_lo_u32 v0, v37, s4
	v_add_u32_e32 v38, v24, v0
	v_and_b32_e32 v0, 1, v37
	v_lshl_add_u64 v[4:5], v[0:1], 0, -1
	v_cmp_ne_u32_e32 vcc, 0, v0
	; wave barrier
	s_nop 1
	v_xor_b32_e32 v4, vcc_lo, v4
	v_xor_b32_e32 v0, vcc_hi, v5
	v_and_b32_e32 v24, exec_lo, v4
	v_lshlrev_b32_e32 v5, 30, v37
	v_mov_b32_e32 v4, v1
	v_cmp_gt_i64_e32 vcc, 0, v[4:5]
	v_not_b32_e32 v4, v5
	v_ashrrev_i32_e32 v4, 31, v4
	v_and_b32_e32 v0, exec_hi, v0
	v_xor_b32_e32 v5, vcc_hi, v4
	v_xor_b32_e32 v4, vcc_lo, v4
	v_and_b32_e32 v0, v0, v5
	v_and_b32_e32 v24, v24, v4
	v_lshlrev_b32_e32 v5, 29, v37
	v_mov_b32_e32 v4, v1
	v_cmp_gt_i64_e32 vcc, 0, v[4:5]
	v_not_b32_e32 v4, v5
	v_ashrrev_i32_e32 v4, 31, v4
	v_xor_b32_e32 v5, vcc_hi, v4
	v_xor_b32_e32 v4, vcc_lo, v4
	v_and_b32_e32 v0, v0, v5
	v_and_b32_e32 v24, v24, v4
	v_lshlrev_b32_e32 v5, 28, v37
	v_mov_b32_e32 v4, v1
	v_cmp_gt_i64_e32 vcc, 0, v[4:5]
	v_not_b32_e32 v4, v5
	v_ashrrev_i32_e32 v4, 31, v4
	;; [unrolled: 9-line block ×5, first 2 shown]
	v_xor_b32_e32 v5, vcc_hi, v4
	v_xor_b32_e32 v4, vcc_lo, v4
	v_and_b32_e32 v0, v0, v5
	v_lshlrev_b32_e32 v5, 24, v37
	v_and_b32_e32 v24, v24, v4
	v_mov_b32_e32 v4, v1
	v_not_b32_e32 v1, v5
	v_cmp_gt_i64_e32 vcc, 0, v[4:5]
	v_ashrrev_i32_e32 v1, 31, v1
	ds_read_b32 v35, v38 offset:64
	v_xor_b32_e32 v4, vcc_hi, v1
	v_xor_b32_e32 v5, vcc_lo, v1
	v_and_b32_e32 v1, v0, v4
	v_and_b32_e32 v0, v24, v5
	v_mbcnt_lo_u32_b32 v4, v0, 0
	v_mbcnt_hi_u32_b32 v37, v1, v4
	v_cmp_eq_u32_e32 vcc, 0, v37
	v_cmp_ne_u64_e64 s[0:1], 0, v[0:1]
	s_and_b64 s[4:5], s[0:1], vcc
	; wave barrier
	s_and_saveexec_b64 s[0:1], s[4:5]
	s_cbranch_execz .LBB382_99
; %bb.98:
	v_bcnt_u32_b32 v0, v0, 0
	v_bcnt_u32_b32 v0, v1, v0
	s_waitcnt lgkmcnt(0)
	v_add_u32_e32 v0, v35, v0
	ds_write_b32 v38, v0 offset:64
.LBB382_99:
	s_or_b64 exec, exec, s[0:1]
	; wave barrier
	s_waitcnt lgkmcnt(0)
	s_barrier
	ds_read2_b32 v[4:5], v7 offset0:16 offset1:17
	ds_read2_b32 v[0:1], v7 offset0:18 offset1:19
	ds_read_b32 v24, v7 offset:80
	v_cmp_lt_u32_e64 s[8:9], 31, v6
	s_waitcnt lgkmcnt(1)
	v_add3_u32 v39, v5, v4, v0
	s_waitcnt lgkmcnt(0)
	v_add3_u32 v24, v39, v1, v24
	v_and_b32_e32 v39, 15, v6
	v_cmp_eq_u32_e32 vcc, 0, v39
	v_mov_b32_dpp v40, v24 row_shr:1 row_mask:0xf bank_mask:0xf
	v_cmp_lt_u32_e64 s[0:1], 1, v39
	v_cndmask_b32_e64 v40, v40, 0, vcc
	v_add_u32_e32 v24, v40, v24
	v_cmp_lt_u32_e64 s[6:7], 3, v39
	v_cmp_lt_u32_e64 s[4:5], 7, v39
	v_mov_b32_dpp v40, v24 row_shr:2 row_mask:0xf bank_mask:0xf
	v_cndmask_b32_e64 v40, 0, v40, s[0:1]
	v_add_u32_e32 v24, v24, v40
	s_nop 1
	v_mov_b32_dpp v40, v24 row_shr:4 row_mask:0xf bank_mask:0xf
	v_cndmask_b32_e64 v40, 0, v40, s[6:7]
	v_add_u32_e32 v24, v24, v40
	s_nop 1
	v_mov_b32_dpp v40, v24 row_shr:8 row_mask:0xf bank_mask:0xf
	v_cndmask_b32_e64 v39, 0, v40, s[4:5]
	v_add_u32_e32 v24, v24, v39
	v_bfe_i32 v40, v6, 4, 1
	s_nop 0
	v_mov_b32_dpp v39, v24 row_bcast:15 row_mask:0xf bank_mask:0xf
	v_and_b32_e32 v39, v40, v39
	v_add_u32_e32 v24, v24, v39
	v_lshrrev_b32_e32 v40, 6, v2
	s_nop 0
	v_mov_b32_dpp v39, v24 row_bcast:31 row_mask:0xf bank_mask:0xf
	v_cndmask_b32_e64 v39, 0, v39, s[8:9]
	v_add_u32_e32 v39, v24, v39
	v_and_b32_e32 v24, 63, v2
	v_cmp_eq_u32_e64 s[8:9], 63, v24
	s_and_saveexec_b64 s[10:11], s[8:9]
; %bb.100:
	v_lshlrev_b32_e32 v24, 2, v40
	ds_write_b32 v24, v39
; %bb.101:
	s_or_b64 exec, exec, s[10:11]
	v_cmp_gt_u32_e64 s[8:9], 16, v2
	v_lshlrev_b32_e32 v24, 2, v2
	s_waitcnt lgkmcnt(0)
	s_barrier
	s_and_saveexec_b64 s[10:11], s[8:9]
	s_cbranch_execz .LBB382_103
; %bb.102:
	ds_read_b32 v41, v24
	s_waitcnt lgkmcnt(0)
	s_nop 0
	v_mov_b32_dpp v42, v41 row_shr:1 row_mask:0xf bank_mask:0xf
	v_cndmask_b32_e64 v42, v42, 0, vcc
	v_add_u32_e32 v41, v42, v41
	s_nop 1
	v_mov_b32_dpp v42, v41 row_shr:2 row_mask:0xf bank_mask:0xf
	v_cndmask_b32_e64 v42, 0, v42, s[0:1]
	v_add_u32_e32 v41, v41, v42
	s_nop 1
	v_mov_b32_dpp v42, v41 row_shr:4 row_mask:0xf bank_mask:0xf
	v_cndmask_b32_e64 v42, 0, v42, s[6:7]
	;; [unrolled: 4-line block ×3, first 2 shown]
	v_add_u32_e32 v41, v41, v42
	ds_write_b32 v24, v41
.LBB382_103:
	s_or_b64 exec, exec, s[10:11]
	v_cmp_lt_u32_e32 vcc, 63, v2
	v_mov_b32_e32 v41, 0
	s_waitcnt lgkmcnt(0)
	s_barrier
	s_and_saveexec_b64 s[0:1], vcc
; %bb.104:
	v_lshl_add_u32 v40, v40, 2, -4
	ds_read_b32 v41, v40
; %bb.105:
	s_or_b64 exec, exec, s[0:1]
	v_subrev_co_u32_e32 v40, vcc, 1, v6
	v_and_b32_e32 v42, 64, v6
	v_cmp_lt_i32_e64 s[0:1], v40, v42
	s_waitcnt lgkmcnt(0)
	v_add_u32_e32 v39, v41, v39
	s_movk_i32 s4, 0x100
	v_cndmask_b32_e64 v6, v40, v6, s[0:1]
	v_lshlrev_b32_e32 v6, 2, v6
	ds_bpermute_b32 v6, v6, v39
	s_movk_i32 s0, 0xff
	v_cmp_lt_u32_e64 s[0:1], s0, v2
	s_waitcnt lgkmcnt(0)
	v_cndmask_b32_e32 v6, v6, v41, vcc
	v_cmp_ne_u32_e32 vcc, 0, v2
	s_nop 1
	v_cndmask_b32_e32 v6, 0, v6, vcc
	v_add_u32_e32 v4, v6, v4
	v_add_u32_e32 v5, v4, v5
	;; [unrolled: 1-line block ×4, first 2 shown]
	ds_write2_b32 v7, v6, v4 offset0:16 offset1:17
	ds_write2_b32 v7, v5, v0 offset0:18 offset1:19
	ds_write_b32 v7, v1 offset:80
	s_waitcnt lgkmcnt(0)
	s_barrier
	ds_read_b32 v42, v16 offset:64
	ds_read_b32 v39, v17 offset:64
	;; [unrolled: 1-line block ×8, first 2 shown]
	v_cmp_gt_u32_e32 vcc, s4, v2
                                        ; implicit-def: $vgpr16
                                        ; implicit-def: $vgpr17
	s_and_saveexec_b64 s[6:7], vcc
	s_cbranch_execz .LBB382_109
; %bb.106:
	v_mul_u32_u24_e32 v0, 0x44, v2
	ds_read_b32 v16, v0 offset:64
	v_add_u32_e32 v1, 1, v2
	v_cmp_ne_u32_e64 s[4:5], s4, v1
	v_mov_b32_e32 v0, 0x2000
	s_and_saveexec_b64 s[8:9], s[4:5]
; %bb.107:
	v_mul_u32_u24_e32 v0, 0x44, v1
	ds_read_b32 v0, v0 offset:64
; %bb.108:
	s_or_b64 exec, exec, s[8:9]
	s_waitcnt lgkmcnt(0)
	v_sub_u32_e32 v17, v0, v16
.LBB382_109:
	s_or_b64 exec, exec, s[6:7]
	v_mov_b32_e32 v1, 0
	s_waitcnt lgkmcnt(0)
	s_barrier
	s_and_saveexec_b64 s[4:5], vcc
	s_cbranch_execz .LBB382_119
; %bb.110:
	v_lshl_add_u32 v0, s2, 8, v2
	v_lshl_add_u64 v[4:5], v[0:1], 2, s[28:29]
	v_or_b32_e32 v0, 2.0, v17
	s_mov_b64 s[6:7], 0
	s_brev_b32 s13, -4
	s_mov_b32 s14, s2
	v_mov_b32_e32 v36, 0
	global_store_dword v[4:5], v0, off sc1
                                        ; implicit-def: $sgpr8_sgpr9
	s_branch .LBB382_113
.LBB382_111:                            ;   in Loop: Header=BB382_113 Depth=1
	s_or_b64 exec, exec, s[10:11]
.LBB382_112:                            ;   in Loop: Header=BB382_113 Depth=1
	s_or_b64 exec, exec, s[8:9]
	v_and_b32_e32 v6, 0x3fffffff, v0
	v_add_u32_e32 v36, v6, v36
	v_cmp_gt_i32_e64 s[8:9], -2.0, v0
	s_and_b64 s[10:11], exec, s[8:9]
	s_or_b64 s[6:7], s[10:11], s[6:7]
	s_andn2_b64 exec, exec, s[6:7]
	s_cbranch_execz .LBB382_118
.LBB382_113:                            ; =>This Loop Header: Depth=1
                                        ;     Child Loop BB382_116 Depth 2
	s_or_b64 s[8:9], s[8:9], exec
	s_cmp_eq_u32 s14, 0
	s_cbranch_scc1 .LBB382_117
; %bb.114:                              ;   in Loop: Header=BB382_113 Depth=1
	s_add_i32 s14, s14, -1
	v_lshl_or_b32 v0, s14, 8, v2
	v_lshl_add_u64 v[6:7], v[0:1], 2, s[28:29]
	global_load_dword v0, v[6:7], off sc1
	s_waitcnt vmcnt(0)
	v_cmp_gt_u32_e32 vcc, 2.0, v0
	s_and_saveexec_b64 s[8:9], vcc
	s_cbranch_execz .LBB382_112
; %bb.115:                              ;   in Loop: Header=BB382_113 Depth=1
	s_mov_b64 s[10:11], 0
.LBB382_116:                            ;   Parent Loop BB382_113 Depth=1
                                        ; =>  This Inner Loop Header: Depth=2
	global_load_dword v0, v[6:7], off sc1
	s_waitcnt vmcnt(0)
	v_cmp_lt_u32_e32 vcc, s13, v0
	s_or_b64 s[10:11], vcc, s[10:11]
	s_andn2_b64 exec, exec, s[10:11]
	s_cbranch_execnz .LBB382_116
	s_branch .LBB382_111
.LBB382_117:                            ;   in Loop: Header=BB382_113 Depth=1
                                        ; implicit-def: $sgpr14
	s_and_b64 s[10:11], exec, s[8:9]
	s_or_b64 s[6:7], s[10:11], s[6:7]
	s_andn2_b64 exec, exec, s[6:7]
	s_cbranch_execnz .LBB382_113
.LBB382_118:
	s_or_b64 exec, exec, s[6:7]
	v_add_u32_e32 v0, v36, v17
	v_or_b32_e32 v0, 0x80000000, v0
	global_store_dword v[4:5], v0, off sc1
	global_load_dword v0, v24, s[16:17]
	v_sub_u32_e32 v1, v36, v16
	s_waitcnt vmcnt(0)
	v_add_u32_e32 v0, v1, v0
	ds_write_b32 v24, v0
.LBB382_119:
	s_or_b64 exec, exec, s[4:5]
	v_add_u32_e32 v0, v37, v35
	v_add_u32_e32 v1, v34, v32
	;; [unrolled: 1-line block ×8, first 2 shown]
	v_add_lshl_u32 v5, v0, v33, 2
	v_add3_u32 v6, v37, v33, v35
	v_add_lshl_u32 v7, v1, v22, 2
	v_add3_u32 v10, v34, v22, v32
	;; [unrolled: 2-line block ×7, first 2 shown]
	v_lshlrev_b32_e32 v13, 2, v4
	s_mov_b64 s[4:5], -1
	s_mov_b32 s8, 0
	s_movk_i32 s9, 0x1000
	v_mov_b32_e32 v1, 0
	s_movk_i32 s10, 0x400
	s_movk_i32 s11, 0x800
	;; [unrolled: 1-line block ×3, first 2 shown]
	s_mov_b32 s14, 0
	s_branch .LBB382_121
.LBB382_120:                            ;   in Loop: Header=BB382_121 Depth=1
	s_or_b64 exec, exec, s[6:7]
	s_waitcnt lgkmcnt(0)
	s_barrier
	ds_read2st64_b32 v[30:31], v24 offset0:4 offset1:20
	s_xor_b64 s[6:7], s[4:5], -1
	s_addk_i32 s14, 0xc000
	s_addk_i32 s8, 0xf000
	s_mov_b64 s[4:5], 0
	s_waitcnt lgkmcnt(0)
	v_lshrrev_b32_e32 v0, s20, v30
	v_and_b32_e32 v0, s12, v0
	v_lshlrev_b32_e32 v0, 2, v0
	ds_read2st64_b32 v[32:33], v24 offset0:36 offset1:52
	ds_read_b32 v0, v0
	v_lshrrev_b32_e32 v34, s20, v31
	v_and_b32_e32 v34, s12, v34
	v_lshlrev_b32_e32 v34, 2, v34
	s_waitcnt lgkmcnt(1)
	v_lshrrev_b32_e32 v36, s20, v33
	v_lshrrev_b32_e32 v35, s20, v32
	v_and_b32_e32 v36, s12, v36
	v_and_b32_e32 v35, s12, v35
	v_lshlrev_b32_e32 v36, 2, v36
	v_lshlrev_b32_e32 v35, 2, v35
	ds_read_b32 v37, v34
	ds_read_b32 v38, v35
	;; [unrolled: 1-line block ×3, first 2 shown]
	s_waitcnt lgkmcnt(3)
	v_add_u32_e32 v0, v2, v0
	v_xor_b32_e32 v30, 0x7fffffff, v30
	v_lshl_add_u64 v[34:35], v[0:1], 2, s[26:27]
	s_waitcnt lgkmcnt(2)
	v_add3_u32 v0, v2, v37, s10
	global_store_dword v[34:35], v30, off
	v_xor_b32_e32 v34, 0x7fffffff, v31
	v_lshl_add_u64 v[30:31], v[0:1], 2, s[26:27]
	s_waitcnt lgkmcnt(1)
	v_add3_u32 v0, v2, v38, s11
	global_store_dword v[30:31], v34, off
	;; [unrolled: 5-line block ×3, first 2 shown]
	v_xor_b32_e32 v32, 0x7fffffff, v33
	v_lshl_add_u64 v[30:31], v[0:1], 2, s[26:27]
	v_add_u32_e32 v2, 0x1000, v2
	s_and_b64 vcc, exec, s[6:7]
	global_store_dword v[30:31], v32, off
	s_barrier
	s_cbranch_vccnz .LBB382_137
.LBB382_121:                            ; =>This Inner Loop Header: Depth=1
	v_add_u32_e32 v0, s8, v4
	v_cmp_gt_u32_e32 vcc, s9, v0
	s_and_saveexec_b64 s[6:7], vcc
; %bb.122:                              ;   in Loop: Header=BB382_121 Depth=1
	v_add_u32_e32 v0, s14, v13
	ds_write_b32 v0, v3 offset:1024
; %bb.123:                              ;   in Loop: Header=BB382_121 Depth=1
	s_or_b64 exec, exec, s[6:7]
	v_add_u32_e32 v0, s8, v11
	v_cmp_gt_u32_e32 vcc, s9, v0
	s_and_saveexec_b64 s[6:7], vcc
; %bb.124:                              ;   in Loop: Header=BB382_121 Depth=1
	v_add_u32_e32 v0, s14, v18
	ds_write_b32 v0, v8 offset:1024
; %bb.125:                              ;   in Loop: Header=BB382_121 Depth=1
	s_or_b64 exec, exec, s[6:7]
	v_add_u32_e32 v0, s8, v14
	v_cmp_gt_u32_e32 vcc, s9, v0
	s_and_saveexec_b64 s[6:7], vcc
; %bb.126:                              ;   in Loop: Header=BB382_121 Depth=1
	v_add_u32_e32 v0, s14, v23
	ds_write_b32 v0, v9 offset:1024
; %bb.127:                              ;   in Loop: Header=BB382_121 Depth=1
	s_or_b64 exec, exec, s[6:7]
	v_add_u32_e32 v0, s8, v19
	v_cmp_gt_u32_e32 vcc, s9, v0
	s_and_saveexec_b64 s[6:7], vcc
; %bb.128:                              ;   in Loop: Header=BB382_121 Depth=1
	v_add_u32_e32 v0, s14, v28
	ds_write_b32 v0, v12 offset:1024
; %bb.129:                              ;   in Loop: Header=BB382_121 Depth=1
	s_or_b64 exec, exec, s[6:7]
	v_add_u32_e32 v0, s8, v25
	v_cmp_gt_u32_e32 vcc, s9, v0
	s_and_saveexec_b64 s[6:7], vcc
; %bb.130:                              ;   in Loop: Header=BB382_121 Depth=1
	v_add_u32_e32 v0, s14, v29
	ds_write_b32 v0, v15 offset:1024
; %bb.131:                              ;   in Loop: Header=BB382_121 Depth=1
	s_or_b64 exec, exec, s[6:7]
	v_add_u32_e32 v0, s8, v27
	v_cmp_gt_u32_e32 vcc, s9, v0
	s_and_saveexec_b64 s[6:7], vcc
; %bb.132:                              ;   in Loop: Header=BB382_121 Depth=1
	v_add_u32_e32 v0, s14, v22
	ds_write_b32 v0, v20 offset:1024
; %bb.133:                              ;   in Loop: Header=BB382_121 Depth=1
	s_or_b64 exec, exec, s[6:7]
	v_add_u32_e32 v0, s8, v10
	v_cmp_gt_u32_e32 vcc, s9, v0
	s_and_saveexec_b64 s[6:7], vcc
; %bb.134:                              ;   in Loop: Header=BB382_121 Depth=1
	v_add_u32_e32 v0, s14, v7
	ds_write_b32 v0, v26 offset:1024
; %bb.135:                              ;   in Loop: Header=BB382_121 Depth=1
	s_or_b64 exec, exec, s[6:7]
	v_add_u32_e32 v0, s8, v6
	v_cmp_gt_u32_e32 vcc, s9, v0
	s_and_saveexec_b64 s[6:7], vcc
	s_cbranch_execz .LBB382_120
; %bb.136:                              ;   in Loop: Header=BB382_121 Depth=1
	v_add_u32_e32 v0, s14, v5
	ds_write_b32 v0, v21 offset:1024
	s_branch .LBB382_120
.LBB382_137:
	s_add_i32 s3, s3, -1
	s_cmp_eq_u32 s2, s3
	s_cselect_b64 s[2:3], -1, 0
	s_xor_b64 s[0:1], s[0:1], -1
	s_and_b64 s[0:1], s[0:1], s[2:3]
	s_and_saveexec_b64 s[2:3], s[0:1]
	s_cbranch_execz .LBB382_139
; %bb.138:
	ds_read_b32 v0, v24
	s_waitcnt lgkmcnt(0)
	v_add3_u32 v0, v16, v17, v0
	global_store_dword v24, v0, s[18:19]
.LBB382_139:
	s_endpgm
	.section	.rodata,"a",@progbits
	.p2align	6, 0x0
	.amdhsa_kernel _ZN7rocprim17ROCPRIM_400000_NS6detail17trampoline_kernelINS0_14default_configENS1_35radix_sort_onesweep_config_selectorIiNS0_10empty_typeEEEZZNS1_29radix_sort_onesweep_iterationIS3_Lb1EN6thrust23THRUST_200600_302600_NS6detail15normal_iteratorINS9_10device_ptrIiEEEESE_PS5_SF_jNS0_19identity_decomposerENS1_16block_id_wrapperIjLb0EEEEE10hipError_tT1_PNSt15iterator_traitsISK_E10value_typeET2_T3_PNSL_ISQ_E10value_typeET4_T5_PSV_SW_PNS1_23onesweep_lookback_stateEbbT6_jjT7_P12ihipStream_tbENKUlT_T0_SK_SP_E_clIPiSE_SF_SF_EEDaS13_S14_SK_SP_EUlS13_E_NS1_11comp_targetILNS1_3genE6ELNS1_11target_archE950ELNS1_3gpuE13ELNS1_3repE0EEENS1_47radix_sort_onesweep_sort_config_static_selectorELNS0_4arch9wavefront6targetE1EEEvSK_
		.amdhsa_group_segment_fixed_size 20552
		.amdhsa_private_segment_fixed_size 0
		.amdhsa_kernarg_size 344
		.amdhsa_user_sgpr_count 2
		.amdhsa_user_sgpr_dispatch_ptr 0
		.amdhsa_user_sgpr_queue_ptr 0
		.amdhsa_user_sgpr_kernarg_segment_ptr 1
		.amdhsa_user_sgpr_dispatch_id 0
		.amdhsa_user_sgpr_kernarg_preload_length 0
		.amdhsa_user_sgpr_kernarg_preload_offset 0
		.amdhsa_user_sgpr_private_segment_size 0
		.amdhsa_uses_dynamic_stack 0
		.amdhsa_enable_private_segment 0
		.amdhsa_system_sgpr_workgroup_id_x 1
		.amdhsa_system_sgpr_workgroup_id_y 0
		.amdhsa_system_sgpr_workgroup_id_z 0
		.amdhsa_system_sgpr_workgroup_info 0
		.amdhsa_system_vgpr_workitem_id 2
		.amdhsa_next_free_vgpr 46
		.amdhsa_next_free_sgpr 31
		.amdhsa_accum_offset 48
		.amdhsa_reserve_vcc 1
		.amdhsa_float_round_mode_32 0
		.amdhsa_float_round_mode_16_64 0
		.amdhsa_float_denorm_mode_32 3
		.amdhsa_float_denorm_mode_16_64 3
		.amdhsa_dx10_clamp 1
		.amdhsa_ieee_mode 1
		.amdhsa_fp16_overflow 0
		.amdhsa_tg_split 0
		.amdhsa_exception_fp_ieee_invalid_op 0
		.amdhsa_exception_fp_denorm_src 0
		.amdhsa_exception_fp_ieee_div_zero 0
		.amdhsa_exception_fp_ieee_overflow 0
		.amdhsa_exception_fp_ieee_underflow 0
		.amdhsa_exception_fp_ieee_inexact 0
		.amdhsa_exception_int_div_zero 0
	.end_amdhsa_kernel
	.section	.text._ZN7rocprim17ROCPRIM_400000_NS6detail17trampoline_kernelINS0_14default_configENS1_35radix_sort_onesweep_config_selectorIiNS0_10empty_typeEEEZZNS1_29radix_sort_onesweep_iterationIS3_Lb1EN6thrust23THRUST_200600_302600_NS6detail15normal_iteratorINS9_10device_ptrIiEEEESE_PS5_SF_jNS0_19identity_decomposerENS1_16block_id_wrapperIjLb0EEEEE10hipError_tT1_PNSt15iterator_traitsISK_E10value_typeET2_T3_PNSL_ISQ_E10value_typeET4_T5_PSV_SW_PNS1_23onesweep_lookback_stateEbbT6_jjT7_P12ihipStream_tbENKUlT_T0_SK_SP_E_clIPiSE_SF_SF_EEDaS13_S14_SK_SP_EUlS13_E_NS1_11comp_targetILNS1_3genE6ELNS1_11target_archE950ELNS1_3gpuE13ELNS1_3repE0EEENS1_47radix_sort_onesweep_sort_config_static_selectorELNS0_4arch9wavefront6targetE1EEEvSK_,"axG",@progbits,_ZN7rocprim17ROCPRIM_400000_NS6detail17trampoline_kernelINS0_14default_configENS1_35radix_sort_onesweep_config_selectorIiNS0_10empty_typeEEEZZNS1_29radix_sort_onesweep_iterationIS3_Lb1EN6thrust23THRUST_200600_302600_NS6detail15normal_iteratorINS9_10device_ptrIiEEEESE_PS5_SF_jNS0_19identity_decomposerENS1_16block_id_wrapperIjLb0EEEEE10hipError_tT1_PNSt15iterator_traitsISK_E10value_typeET2_T3_PNSL_ISQ_E10value_typeET4_T5_PSV_SW_PNS1_23onesweep_lookback_stateEbbT6_jjT7_P12ihipStream_tbENKUlT_T0_SK_SP_E_clIPiSE_SF_SF_EEDaS13_S14_SK_SP_EUlS13_E_NS1_11comp_targetILNS1_3genE6ELNS1_11target_archE950ELNS1_3gpuE13ELNS1_3repE0EEENS1_47radix_sort_onesweep_sort_config_static_selectorELNS0_4arch9wavefront6targetE1EEEvSK_,comdat
.Lfunc_end382:
	.size	_ZN7rocprim17ROCPRIM_400000_NS6detail17trampoline_kernelINS0_14default_configENS1_35radix_sort_onesweep_config_selectorIiNS0_10empty_typeEEEZZNS1_29radix_sort_onesweep_iterationIS3_Lb1EN6thrust23THRUST_200600_302600_NS6detail15normal_iteratorINS9_10device_ptrIiEEEESE_PS5_SF_jNS0_19identity_decomposerENS1_16block_id_wrapperIjLb0EEEEE10hipError_tT1_PNSt15iterator_traitsISK_E10value_typeET2_T3_PNSL_ISQ_E10value_typeET4_T5_PSV_SW_PNS1_23onesweep_lookback_stateEbbT6_jjT7_P12ihipStream_tbENKUlT_T0_SK_SP_E_clIPiSE_SF_SF_EEDaS13_S14_SK_SP_EUlS13_E_NS1_11comp_targetILNS1_3genE6ELNS1_11target_archE950ELNS1_3gpuE13ELNS1_3repE0EEENS1_47radix_sort_onesweep_sort_config_static_selectorELNS0_4arch9wavefront6targetE1EEEvSK_, .Lfunc_end382-_ZN7rocprim17ROCPRIM_400000_NS6detail17trampoline_kernelINS0_14default_configENS1_35radix_sort_onesweep_config_selectorIiNS0_10empty_typeEEEZZNS1_29radix_sort_onesweep_iterationIS3_Lb1EN6thrust23THRUST_200600_302600_NS6detail15normal_iteratorINS9_10device_ptrIiEEEESE_PS5_SF_jNS0_19identity_decomposerENS1_16block_id_wrapperIjLb0EEEEE10hipError_tT1_PNSt15iterator_traitsISK_E10value_typeET2_T3_PNSL_ISQ_E10value_typeET4_T5_PSV_SW_PNS1_23onesweep_lookback_stateEbbT6_jjT7_P12ihipStream_tbENKUlT_T0_SK_SP_E_clIPiSE_SF_SF_EEDaS13_S14_SK_SP_EUlS13_E_NS1_11comp_targetILNS1_3genE6ELNS1_11target_archE950ELNS1_3gpuE13ELNS1_3repE0EEENS1_47radix_sort_onesweep_sort_config_static_selectorELNS0_4arch9wavefront6targetE1EEEvSK_
                                        ; -- End function
	.set _ZN7rocprim17ROCPRIM_400000_NS6detail17trampoline_kernelINS0_14default_configENS1_35radix_sort_onesweep_config_selectorIiNS0_10empty_typeEEEZZNS1_29radix_sort_onesweep_iterationIS3_Lb1EN6thrust23THRUST_200600_302600_NS6detail15normal_iteratorINS9_10device_ptrIiEEEESE_PS5_SF_jNS0_19identity_decomposerENS1_16block_id_wrapperIjLb0EEEEE10hipError_tT1_PNSt15iterator_traitsISK_E10value_typeET2_T3_PNSL_ISQ_E10value_typeET4_T5_PSV_SW_PNS1_23onesweep_lookback_stateEbbT6_jjT7_P12ihipStream_tbENKUlT_T0_SK_SP_E_clIPiSE_SF_SF_EEDaS13_S14_SK_SP_EUlS13_E_NS1_11comp_targetILNS1_3genE6ELNS1_11target_archE950ELNS1_3gpuE13ELNS1_3repE0EEENS1_47radix_sort_onesweep_sort_config_static_selectorELNS0_4arch9wavefront6targetE1EEEvSK_.num_vgpr, 46
	.set _ZN7rocprim17ROCPRIM_400000_NS6detail17trampoline_kernelINS0_14default_configENS1_35radix_sort_onesweep_config_selectorIiNS0_10empty_typeEEEZZNS1_29radix_sort_onesweep_iterationIS3_Lb1EN6thrust23THRUST_200600_302600_NS6detail15normal_iteratorINS9_10device_ptrIiEEEESE_PS5_SF_jNS0_19identity_decomposerENS1_16block_id_wrapperIjLb0EEEEE10hipError_tT1_PNSt15iterator_traitsISK_E10value_typeET2_T3_PNSL_ISQ_E10value_typeET4_T5_PSV_SW_PNS1_23onesweep_lookback_stateEbbT6_jjT7_P12ihipStream_tbENKUlT_T0_SK_SP_E_clIPiSE_SF_SF_EEDaS13_S14_SK_SP_EUlS13_E_NS1_11comp_targetILNS1_3genE6ELNS1_11target_archE950ELNS1_3gpuE13ELNS1_3repE0EEENS1_47radix_sort_onesweep_sort_config_static_selectorELNS0_4arch9wavefront6targetE1EEEvSK_.num_agpr, 0
	.set _ZN7rocprim17ROCPRIM_400000_NS6detail17trampoline_kernelINS0_14default_configENS1_35radix_sort_onesweep_config_selectorIiNS0_10empty_typeEEEZZNS1_29radix_sort_onesweep_iterationIS3_Lb1EN6thrust23THRUST_200600_302600_NS6detail15normal_iteratorINS9_10device_ptrIiEEEESE_PS5_SF_jNS0_19identity_decomposerENS1_16block_id_wrapperIjLb0EEEEE10hipError_tT1_PNSt15iterator_traitsISK_E10value_typeET2_T3_PNSL_ISQ_E10value_typeET4_T5_PSV_SW_PNS1_23onesweep_lookback_stateEbbT6_jjT7_P12ihipStream_tbENKUlT_T0_SK_SP_E_clIPiSE_SF_SF_EEDaS13_S14_SK_SP_EUlS13_E_NS1_11comp_targetILNS1_3genE6ELNS1_11target_archE950ELNS1_3gpuE13ELNS1_3repE0EEENS1_47radix_sort_onesweep_sort_config_static_selectorELNS0_4arch9wavefront6targetE1EEEvSK_.numbered_sgpr, 31
	.set _ZN7rocprim17ROCPRIM_400000_NS6detail17trampoline_kernelINS0_14default_configENS1_35radix_sort_onesweep_config_selectorIiNS0_10empty_typeEEEZZNS1_29radix_sort_onesweep_iterationIS3_Lb1EN6thrust23THRUST_200600_302600_NS6detail15normal_iteratorINS9_10device_ptrIiEEEESE_PS5_SF_jNS0_19identity_decomposerENS1_16block_id_wrapperIjLb0EEEEE10hipError_tT1_PNSt15iterator_traitsISK_E10value_typeET2_T3_PNSL_ISQ_E10value_typeET4_T5_PSV_SW_PNS1_23onesweep_lookback_stateEbbT6_jjT7_P12ihipStream_tbENKUlT_T0_SK_SP_E_clIPiSE_SF_SF_EEDaS13_S14_SK_SP_EUlS13_E_NS1_11comp_targetILNS1_3genE6ELNS1_11target_archE950ELNS1_3gpuE13ELNS1_3repE0EEENS1_47radix_sort_onesweep_sort_config_static_selectorELNS0_4arch9wavefront6targetE1EEEvSK_.num_named_barrier, 0
	.set _ZN7rocprim17ROCPRIM_400000_NS6detail17trampoline_kernelINS0_14default_configENS1_35radix_sort_onesweep_config_selectorIiNS0_10empty_typeEEEZZNS1_29radix_sort_onesweep_iterationIS3_Lb1EN6thrust23THRUST_200600_302600_NS6detail15normal_iteratorINS9_10device_ptrIiEEEESE_PS5_SF_jNS0_19identity_decomposerENS1_16block_id_wrapperIjLb0EEEEE10hipError_tT1_PNSt15iterator_traitsISK_E10value_typeET2_T3_PNSL_ISQ_E10value_typeET4_T5_PSV_SW_PNS1_23onesweep_lookback_stateEbbT6_jjT7_P12ihipStream_tbENKUlT_T0_SK_SP_E_clIPiSE_SF_SF_EEDaS13_S14_SK_SP_EUlS13_E_NS1_11comp_targetILNS1_3genE6ELNS1_11target_archE950ELNS1_3gpuE13ELNS1_3repE0EEENS1_47radix_sort_onesweep_sort_config_static_selectorELNS0_4arch9wavefront6targetE1EEEvSK_.private_seg_size, 0
	.set _ZN7rocprim17ROCPRIM_400000_NS6detail17trampoline_kernelINS0_14default_configENS1_35radix_sort_onesweep_config_selectorIiNS0_10empty_typeEEEZZNS1_29radix_sort_onesweep_iterationIS3_Lb1EN6thrust23THRUST_200600_302600_NS6detail15normal_iteratorINS9_10device_ptrIiEEEESE_PS5_SF_jNS0_19identity_decomposerENS1_16block_id_wrapperIjLb0EEEEE10hipError_tT1_PNSt15iterator_traitsISK_E10value_typeET2_T3_PNSL_ISQ_E10value_typeET4_T5_PSV_SW_PNS1_23onesweep_lookback_stateEbbT6_jjT7_P12ihipStream_tbENKUlT_T0_SK_SP_E_clIPiSE_SF_SF_EEDaS13_S14_SK_SP_EUlS13_E_NS1_11comp_targetILNS1_3genE6ELNS1_11target_archE950ELNS1_3gpuE13ELNS1_3repE0EEENS1_47radix_sort_onesweep_sort_config_static_selectorELNS0_4arch9wavefront6targetE1EEEvSK_.uses_vcc, 1
	.set _ZN7rocprim17ROCPRIM_400000_NS6detail17trampoline_kernelINS0_14default_configENS1_35radix_sort_onesweep_config_selectorIiNS0_10empty_typeEEEZZNS1_29radix_sort_onesweep_iterationIS3_Lb1EN6thrust23THRUST_200600_302600_NS6detail15normal_iteratorINS9_10device_ptrIiEEEESE_PS5_SF_jNS0_19identity_decomposerENS1_16block_id_wrapperIjLb0EEEEE10hipError_tT1_PNSt15iterator_traitsISK_E10value_typeET2_T3_PNSL_ISQ_E10value_typeET4_T5_PSV_SW_PNS1_23onesweep_lookback_stateEbbT6_jjT7_P12ihipStream_tbENKUlT_T0_SK_SP_E_clIPiSE_SF_SF_EEDaS13_S14_SK_SP_EUlS13_E_NS1_11comp_targetILNS1_3genE6ELNS1_11target_archE950ELNS1_3gpuE13ELNS1_3repE0EEENS1_47radix_sort_onesweep_sort_config_static_selectorELNS0_4arch9wavefront6targetE1EEEvSK_.uses_flat_scratch, 0
	.set _ZN7rocprim17ROCPRIM_400000_NS6detail17trampoline_kernelINS0_14default_configENS1_35radix_sort_onesweep_config_selectorIiNS0_10empty_typeEEEZZNS1_29radix_sort_onesweep_iterationIS3_Lb1EN6thrust23THRUST_200600_302600_NS6detail15normal_iteratorINS9_10device_ptrIiEEEESE_PS5_SF_jNS0_19identity_decomposerENS1_16block_id_wrapperIjLb0EEEEE10hipError_tT1_PNSt15iterator_traitsISK_E10value_typeET2_T3_PNSL_ISQ_E10value_typeET4_T5_PSV_SW_PNS1_23onesweep_lookback_stateEbbT6_jjT7_P12ihipStream_tbENKUlT_T0_SK_SP_E_clIPiSE_SF_SF_EEDaS13_S14_SK_SP_EUlS13_E_NS1_11comp_targetILNS1_3genE6ELNS1_11target_archE950ELNS1_3gpuE13ELNS1_3repE0EEENS1_47radix_sort_onesweep_sort_config_static_selectorELNS0_4arch9wavefront6targetE1EEEvSK_.has_dyn_sized_stack, 0
	.set _ZN7rocprim17ROCPRIM_400000_NS6detail17trampoline_kernelINS0_14default_configENS1_35radix_sort_onesweep_config_selectorIiNS0_10empty_typeEEEZZNS1_29radix_sort_onesweep_iterationIS3_Lb1EN6thrust23THRUST_200600_302600_NS6detail15normal_iteratorINS9_10device_ptrIiEEEESE_PS5_SF_jNS0_19identity_decomposerENS1_16block_id_wrapperIjLb0EEEEE10hipError_tT1_PNSt15iterator_traitsISK_E10value_typeET2_T3_PNSL_ISQ_E10value_typeET4_T5_PSV_SW_PNS1_23onesweep_lookback_stateEbbT6_jjT7_P12ihipStream_tbENKUlT_T0_SK_SP_E_clIPiSE_SF_SF_EEDaS13_S14_SK_SP_EUlS13_E_NS1_11comp_targetILNS1_3genE6ELNS1_11target_archE950ELNS1_3gpuE13ELNS1_3repE0EEENS1_47radix_sort_onesweep_sort_config_static_selectorELNS0_4arch9wavefront6targetE1EEEvSK_.has_recursion, 0
	.set _ZN7rocprim17ROCPRIM_400000_NS6detail17trampoline_kernelINS0_14default_configENS1_35radix_sort_onesweep_config_selectorIiNS0_10empty_typeEEEZZNS1_29radix_sort_onesweep_iterationIS3_Lb1EN6thrust23THRUST_200600_302600_NS6detail15normal_iteratorINS9_10device_ptrIiEEEESE_PS5_SF_jNS0_19identity_decomposerENS1_16block_id_wrapperIjLb0EEEEE10hipError_tT1_PNSt15iterator_traitsISK_E10value_typeET2_T3_PNSL_ISQ_E10value_typeET4_T5_PSV_SW_PNS1_23onesweep_lookback_stateEbbT6_jjT7_P12ihipStream_tbENKUlT_T0_SK_SP_E_clIPiSE_SF_SF_EEDaS13_S14_SK_SP_EUlS13_E_NS1_11comp_targetILNS1_3genE6ELNS1_11target_archE950ELNS1_3gpuE13ELNS1_3repE0EEENS1_47radix_sort_onesweep_sort_config_static_selectorELNS0_4arch9wavefront6targetE1EEEvSK_.has_indirect_call, 0
	.section	.AMDGPU.csdata,"",@progbits
; Kernel info:
; codeLenInByte = 11196
; TotalNumSgprs: 37
; NumVgprs: 46
; NumAgprs: 0
; TotalNumVgprs: 46
; ScratchSize: 0
; MemoryBound: 0
; FloatMode: 240
; IeeeMode: 1
; LDSByteSize: 20552 bytes/workgroup (compile time only)
; SGPRBlocks: 4
; VGPRBlocks: 5
; NumSGPRsForWavesPerEU: 37
; NumVGPRsForWavesPerEU: 46
; AccumOffset: 48
; Occupancy: 8
; WaveLimiterHint : 1
; COMPUTE_PGM_RSRC2:SCRATCH_EN: 0
; COMPUTE_PGM_RSRC2:USER_SGPR: 2
; COMPUTE_PGM_RSRC2:TRAP_HANDLER: 0
; COMPUTE_PGM_RSRC2:TGID_X_EN: 1
; COMPUTE_PGM_RSRC2:TGID_Y_EN: 0
; COMPUTE_PGM_RSRC2:TGID_Z_EN: 0
; COMPUTE_PGM_RSRC2:TIDIG_COMP_CNT: 2
; COMPUTE_PGM_RSRC3_GFX90A:ACCUM_OFFSET: 11
; COMPUTE_PGM_RSRC3_GFX90A:TG_SPLIT: 0
	.section	.text._ZN7rocprim17ROCPRIM_400000_NS6detail17trampoline_kernelINS0_14default_configENS1_35radix_sort_onesweep_config_selectorIiNS0_10empty_typeEEEZZNS1_29radix_sort_onesweep_iterationIS3_Lb1EN6thrust23THRUST_200600_302600_NS6detail15normal_iteratorINS9_10device_ptrIiEEEESE_PS5_SF_jNS0_19identity_decomposerENS1_16block_id_wrapperIjLb0EEEEE10hipError_tT1_PNSt15iterator_traitsISK_E10value_typeET2_T3_PNSL_ISQ_E10value_typeET4_T5_PSV_SW_PNS1_23onesweep_lookback_stateEbbT6_jjT7_P12ihipStream_tbENKUlT_T0_SK_SP_E_clIPiSE_SF_SF_EEDaS13_S14_SK_SP_EUlS13_E_NS1_11comp_targetILNS1_3genE5ELNS1_11target_archE942ELNS1_3gpuE9ELNS1_3repE0EEENS1_47radix_sort_onesweep_sort_config_static_selectorELNS0_4arch9wavefront6targetE1EEEvSK_,"axG",@progbits,_ZN7rocprim17ROCPRIM_400000_NS6detail17trampoline_kernelINS0_14default_configENS1_35radix_sort_onesweep_config_selectorIiNS0_10empty_typeEEEZZNS1_29radix_sort_onesweep_iterationIS3_Lb1EN6thrust23THRUST_200600_302600_NS6detail15normal_iteratorINS9_10device_ptrIiEEEESE_PS5_SF_jNS0_19identity_decomposerENS1_16block_id_wrapperIjLb0EEEEE10hipError_tT1_PNSt15iterator_traitsISK_E10value_typeET2_T3_PNSL_ISQ_E10value_typeET4_T5_PSV_SW_PNS1_23onesweep_lookback_stateEbbT6_jjT7_P12ihipStream_tbENKUlT_T0_SK_SP_E_clIPiSE_SF_SF_EEDaS13_S14_SK_SP_EUlS13_E_NS1_11comp_targetILNS1_3genE5ELNS1_11target_archE942ELNS1_3gpuE9ELNS1_3repE0EEENS1_47radix_sort_onesweep_sort_config_static_selectorELNS0_4arch9wavefront6targetE1EEEvSK_,comdat
	.protected	_ZN7rocprim17ROCPRIM_400000_NS6detail17trampoline_kernelINS0_14default_configENS1_35radix_sort_onesweep_config_selectorIiNS0_10empty_typeEEEZZNS1_29radix_sort_onesweep_iterationIS3_Lb1EN6thrust23THRUST_200600_302600_NS6detail15normal_iteratorINS9_10device_ptrIiEEEESE_PS5_SF_jNS0_19identity_decomposerENS1_16block_id_wrapperIjLb0EEEEE10hipError_tT1_PNSt15iterator_traitsISK_E10value_typeET2_T3_PNSL_ISQ_E10value_typeET4_T5_PSV_SW_PNS1_23onesweep_lookback_stateEbbT6_jjT7_P12ihipStream_tbENKUlT_T0_SK_SP_E_clIPiSE_SF_SF_EEDaS13_S14_SK_SP_EUlS13_E_NS1_11comp_targetILNS1_3genE5ELNS1_11target_archE942ELNS1_3gpuE9ELNS1_3repE0EEENS1_47radix_sort_onesweep_sort_config_static_selectorELNS0_4arch9wavefront6targetE1EEEvSK_ ; -- Begin function _ZN7rocprim17ROCPRIM_400000_NS6detail17trampoline_kernelINS0_14default_configENS1_35radix_sort_onesweep_config_selectorIiNS0_10empty_typeEEEZZNS1_29radix_sort_onesweep_iterationIS3_Lb1EN6thrust23THRUST_200600_302600_NS6detail15normal_iteratorINS9_10device_ptrIiEEEESE_PS5_SF_jNS0_19identity_decomposerENS1_16block_id_wrapperIjLb0EEEEE10hipError_tT1_PNSt15iterator_traitsISK_E10value_typeET2_T3_PNSL_ISQ_E10value_typeET4_T5_PSV_SW_PNS1_23onesweep_lookback_stateEbbT6_jjT7_P12ihipStream_tbENKUlT_T0_SK_SP_E_clIPiSE_SF_SF_EEDaS13_S14_SK_SP_EUlS13_E_NS1_11comp_targetILNS1_3genE5ELNS1_11target_archE942ELNS1_3gpuE9ELNS1_3repE0EEENS1_47radix_sort_onesweep_sort_config_static_selectorELNS0_4arch9wavefront6targetE1EEEvSK_
	.globl	_ZN7rocprim17ROCPRIM_400000_NS6detail17trampoline_kernelINS0_14default_configENS1_35radix_sort_onesweep_config_selectorIiNS0_10empty_typeEEEZZNS1_29radix_sort_onesweep_iterationIS3_Lb1EN6thrust23THRUST_200600_302600_NS6detail15normal_iteratorINS9_10device_ptrIiEEEESE_PS5_SF_jNS0_19identity_decomposerENS1_16block_id_wrapperIjLb0EEEEE10hipError_tT1_PNSt15iterator_traitsISK_E10value_typeET2_T3_PNSL_ISQ_E10value_typeET4_T5_PSV_SW_PNS1_23onesweep_lookback_stateEbbT6_jjT7_P12ihipStream_tbENKUlT_T0_SK_SP_E_clIPiSE_SF_SF_EEDaS13_S14_SK_SP_EUlS13_E_NS1_11comp_targetILNS1_3genE5ELNS1_11target_archE942ELNS1_3gpuE9ELNS1_3repE0EEENS1_47radix_sort_onesweep_sort_config_static_selectorELNS0_4arch9wavefront6targetE1EEEvSK_
	.p2align	8
	.type	_ZN7rocprim17ROCPRIM_400000_NS6detail17trampoline_kernelINS0_14default_configENS1_35radix_sort_onesweep_config_selectorIiNS0_10empty_typeEEEZZNS1_29radix_sort_onesweep_iterationIS3_Lb1EN6thrust23THRUST_200600_302600_NS6detail15normal_iteratorINS9_10device_ptrIiEEEESE_PS5_SF_jNS0_19identity_decomposerENS1_16block_id_wrapperIjLb0EEEEE10hipError_tT1_PNSt15iterator_traitsISK_E10value_typeET2_T3_PNSL_ISQ_E10value_typeET4_T5_PSV_SW_PNS1_23onesweep_lookback_stateEbbT6_jjT7_P12ihipStream_tbENKUlT_T0_SK_SP_E_clIPiSE_SF_SF_EEDaS13_S14_SK_SP_EUlS13_E_NS1_11comp_targetILNS1_3genE5ELNS1_11target_archE942ELNS1_3gpuE9ELNS1_3repE0EEENS1_47radix_sort_onesweep_sort_config_static_selectorELNS0_4arch9wavefront6targetE1EEEvSK_,@function
_ZN7rocprim17ROCPRIM_400000_NS6detail17trampoline_kernelINS0_14default_configENS1_35radix_sort_onesweep_config_selectorIiNS0_10empty_typeEEEZZNS1_29radix_sort_onesweep_iterationIS3_Lb1EN6thrust23THRUST_200600_302600_NS6detail15normal_iteratorINS9_10device_ptrIiEEEESE_PS5_SF_jNS0_19identity_decomposerENS1_16block_id_wrapperIjLb0EEEEE10hipError_tT1_PNSt15iterator_traitsISK_E10value_typeET2_T3_PNSL_ISQ_E10value_typeET4_T5_PSV_SW_PNS1_23onesweep_lookback_stateEbbT6_jjT7_P12ihipStream_tbENKUlT_T0_SK_SP_E_clIPiSE_SF_SF_EEDaS13_S14_SK_SP_EUlS13_E_NS1_11comp_targetILNS1_3genE5ELNS1_11target_archE942ELNS1_3gpuE9ELNS1_3repE0EEENS1_47radix_sort_onesweep_sort_config_static_selectorELNS0_4arch9wavefront6targetE1EEEvSK_: ; @_ZN7rocprim17ROCPRIM_400000_NS6detail17trampoline_kernelINS0_14default_configENS1_35radix_sort_onesweep_config_selectorIiNS0_10empty_typeEEEZZNS1_29radix_sort_onesweep_iterationIS3_Lb1EN6thrust23THRUST_200600_302600_NS6detail15normal_iteratorINS9_10device_ptrIiEEEESE_PS5_SF_jNS0_19identity_decomposerENS1_16block_id_wrapperIjLb0EEEEE10hipError_tT1_PNSt15iterator_traitsISK_E10value_typeET2_T3_PNSL_ISQ_E10value_typeET4_T5_PSV_SW_PNS1_23onesweep_lookback_stateEbbT6_jjT7_P12ihipStream_tbENKUlT_T0_SK_SP_E_clIPiSE_SF_SF_EEDaS13_S14_SK_SP_EUlS13_E_NS1_11comp_targetILNS1_3genE5ELNS1_11target_archE942ELNS1_3gpuE9ELNS1_3repE0EEENS1_47radix_sort_onesweep_sort_config_static_selectorELNS0_4arch9wavefront6targetE1EEEvSK_
; %bb.0:
	.section	.rodata,"a",@progbits
	.p2align	6, 0x0
	.amdhsa_kernel _ZN7rocprim17ROCPRIM_400000_NS6detail17trampoline_kernelINS0_14default_configENS1_35radix_sort_onesweep_config_selectorIiNS0_10empty_typeEEEZZNS1_29radix_sort_onesweep_iterationIS3_Lb1EN6thrust23THRUST_200600_302600_NS6detail15normal_iteratorINS9_10device_ptrIiEEEESE_PS5_SF_jNS0_19identity_decomposerENS1_16block_id_wrapperIjLb0EEEEE10hipError_tT1_PNSt15iterator_traitsISK_E10value_typeET2_T3_PNSL_ISQ_E10value_typeET4_T5_PSV_SW_PNS1_23onesweep_lookback_stateEbbT6_jjT7_P12ihipStream_tbENKUlT_T0_SK_SP_E_clIPiSE_SF_SF_EEDaS13_S14_SK_SP_EUlS13_E_NS1_11comp_targetILNS1_3genE5ELNS1_11target_archE942ELNS1_3gpuE9ELNS1_3repE0EEENS1_47radix_sort_onesweep_sort_config_static_selectorELNS0_4arch9wavefront6targetE1EEEvSK_
		.amdhsa_group_segment_fixed_size 0
		.amdhsa_private_segment_fixed_size 0
		.amdhsa_kernarg_size 88
		.amdhsa_user_sgpr_count 2
		.amdhsa_user_sgpr_dispatch_ptr 0
		.amdhsa_user_sgpr_queue_ptr 0
		.amdhsa_user_sgpr_kernarg_segment_ptr 1
		.amdhsa_user_sgpr_dispatch_id 0
		.amdhsa_user_sgpr_kernarg_preload_length 0
		.amdhsa_user_sgpr_kernarg_preload_offset 0
		.amdhsa_user_sgpr_private_segment_size 0
		.amdhsa_uses_dynamic_stack 0
		.amdhsa_enable_private_segment 0
		.amdhsa_system_sgpr_workgroup_id_x 1
		.amdhsa_system_sgpr_workgroup_id_y 0
		.amdhsa_system_sgpr_workgroup_id_z 0
		.amdhsa_system_sgpr_workgroup_info 0
		.amdhsa_system_vgpr_workitem_id 0
		.amdhsa_next_free_vgpr 1
		.amdhsa_next_free_sgpr 0
		.amdhsa_accum_offset 4
		.amdhsa_reserve_vcc 0
		.amdhsa_float_round_mode_32 0
		.amdhsa_float_round_mode_16_64 0
		.amdhsa_float_denorm_mode_32 3
		.amdhsa_float_denorm_mode_16_64 3
		.amdhsa_dx10_clamp 1
		.amdhsa_ieee_mode 1
		.amdhsa_fp16_overflow 0
		.amdhsa_tg_split 0
		.amdhsa_exception_fp_ieee_invalid_op 0
		.amdhsa_exception_fp_denorm_src 0
		.amdhsa_exception_fp_ieee_div_zero 0
		.amdhsa_exception_fp_ieee_overflow 0
		.amdhsa_exception_fp_ieee_underflow 0
		.amdhsa_exception_fp_ieee_inexact 0
		.amdhsa_exception_int_div_zero 0
	.end_amdhsa_kernel
	.section	.text._ZN7rocprim17ROCPRIM_400000_NS6detail17trampoline_kernelINS0_14default_configENS1_35radix_sort_onesweep_config_selectorIiNS0_10empty_typeEEEZZNS1_29radix_sort_onesweep_iterationIS3_Lb1EN6thrust23THRUST_200600_302600_NS6detail15normal_iteratorINS9_10device_ptrIiEEEESE_PS5_SF_jNS0_19identity_decomposerENS1_16block_id_wrapperIjLb0EEEEE10hipError_tT1_PNSt15iterator_traitsISK_E10value_typeET2_T3_PNSL_ISQ_E10value_typeET4_T5_PSV_SW_PNS1_23onesweep_lookback_stateEbbT6_jjT7_P12ihipStream_tbENKUlT_T0_SK_SP_E_clIPiSE_SF_SF_EEDaS13_S14_SK_SP_EUlS13_E_NS1_11comp_targetILNS1_3genE5ELNS1_11target_archE942ELNS1_3gpuE9ELNS1_3repE0EEENS1_47radix_sort_onesweep_sort_config_static_selectorELNS0_4arch9wavefront6targetE1EEEvSK_,"axG",@progbits,_ZN7rocprim17ROCPRIM_400000_NS6detail17trampoline_kernelINS0_14default_configENS1_35radix_sort_onesweep_config_selectorIiNS0_10empty_typeEEEZZNS1_29radix_sort_onesweep_iterationIS3_Lb1EN6thrust23THRUST_200600_302600_NS6detail15normal_iteratorINS9_10device_ptrIiEEEESE_PS5_SF_jNS0_19identity_decomposerENS1_16block_id_wrapperIjLb0EEEEE10hipError_tT1_PNSt15iterator_traitsISK_E10value_typeET2_T3_PNSL_ISQ_E10value_typeET4_T5_PSV_SW_PNS1_23onesweep_lookback_stateEbbT6_jjT7_P12ihipStream_tbENKUlT_T0_SK_SP_E_clIPiSE_SF_SF_EEDaS13_S14_SK_SP_EUlS13_E_NS1_11comp_targetILNS1_3genE5ELNS1_11target_archE942ELNS1_3gpuE9ELNS1_3repE0EEENS1_47radix_sort_onesweep_sort_config_static_selectorELNS0_4arch9wavefront6targetE1EEEvSK_,comdat
.Lfunc_end383:
	.size	_ZN7rocprim17ROCPRIM_400000_NS6detail17trampoline_kernelINS0_14default_configENS1_35radix_sort_onesweep_config_selectorIiNS0_10empty_typeEEEZZNS1_29radix_sort_onesweep_iterationIS3_Lb1EN6thrust23THRUST_200600_302600_NS6detail15normal_iteratorINS9_10device_ptrIiEEEESE_PS5_SF_jNS0_19identity_decomposerENS1_16block_id_wrapperIjLb0EEEEE10hipError_tT1_PNSt15iterator_traitsISK_E10value_typeET2_T3_PNSL_ISQ_E10value_typeET4_T5_PSV_SW_PNS1_23onesweep_lookback_stateEbbT6_jjT7_P12ihipStream_tbENKUlT_T0_SK_SP_E_clIPiSE_SF_SF_EEDaS13_S14_SK_SP_EUlS13_E_NS1_11comp_targetILNS1_3genE5ELNS1_11target_archE942ELNS1_3gpuE9ELNS1_3repE0EEENS1_47radix_sort_onesweep_sort_config_static_selectorELNS0_4arch9wavefront6targetE1EEEvSK_, .Lfunc_end383-_ZN7rocprim17ROCPRIM_400000_NS6detail17trampoline_kernelINS0_14default_configENS1_35radix_sort_onesweep_config_selectorIiNS0_10empty_typeEEEZZNS1_29radix_sort_onesweep_iterationIS3_Lb1EN6thrust23THRUST_200600_302600_NS6detail15normal_iteratorINS9_10device_ptrIiEEEESE_PS5_SF_jNS0_19identity_decomposerENS1_16block_id_wrapperIjLb0EEEEE10hipError_tT1_PNSt15iterator_traitsISK_E10value_typeET2_T3_PNSL_ISQ_E10value_typeET4_T5_PSV_SW_PNS1_23onesweep_lookback_stateEbbT6_jjT7_P12ihipStream_tbENKUlT_T0_SK_SP_E_clIPiSE_SF_SF_EEDaS13_S14_SK_SP_EUlS13_E_NS1_11comp_targetILNS1_3genE5ELNS1_11target_archE942ELNS1_3gpuE9ELNS1_3repE0EEENS1_47radix_sort_onesweep_sort_config_static_selectorELNS0_4arch9wavefront6targetE1EEEvSK_
                                        ; -- End function
	.set _ZN7rocprim17ROCPRIM_400000_NS6detail17trampoline_kernelINS0_14default_configENS1_35radix_sort_onesweep_config_selectorIiNS0_10empty_typeEEEZZNS1_29radix_sort_onesweep_iterationIS3_Lb1EN6thrust23THRUST_200600_302600_NS6detail15normal_iteratorINS9_10device_ptrIiEEEESE_PS5_SF_jNS0_19identity_decomposerENS1_16block_id_wrapperIjLb0EEEEE10hipError_tT1_PNSt15iterator_traitsISK_E10value_typeET2_T3_PNSL_ISQ_E10value_typeET4_T5_PSV_SW_PNS1_23onesweep_lookback_stateEbbT6_jjT7_P12ihipStream_tbENKUlT_T0_SK_SP_E_clIPiSE_SF_SF_EEDaS13_S14_SK_SP_EUlS13_E_NS1_11comp_targetILNS1_3genE5ELNS1_11target_archE942ELNS1_3gpuE9ELNS1_3repE0EEENS1_47radix_sort_onesweep_sort_config_static_selectorELNS0_4arch9wavefront6targetE1EEEvSK_.num_vgpr, 0
	.set _ZN7rocprim17ROCPRIM_400000_NS6detail17trampoline_kernelINS0_14default_configENS1_35radix_sort_onesweep_config_selectorIiNS0_10empty_typeEEEZZNS1_29radix_sort_onesweep_iterationIS3_Lb1EN6thrust23THRUST_200600_302600_NS6detail15normal_iteratorINS9_10device_ptrIiEEEESE_PS5_SF_jNS0_19identity_decomposerENS1_16block_id_wrapperIjLb0EEEEE10hipError_tT1_PNSt15iterator_traitsISK_E10value_typeET2_T3_PNSL_ISQ_E10value_typeET4_T5_PSV_SW_PNS1_23onesweep_lookback_stateEbbT6_jjT7_P12ihipStream_tbENKUlT_T0_SK_SP_E_clIPiSE_SF_SF_EEDaS13_S14_SK_SP_EUlS13_E_NS1_11comp_targetILNS1_3genE5ELNS1_11target_archE942ELNS1_3gpuE9ELNS1_3repE0EEENS1_47radix_sort_onesweep_sort_config_static_selectorELNS0_4arch9wavefront6targetE1EEEvSK_.num_agpr, 0
	.set _ZN7rocprim17ROCPRIM_400000_NS6detail17trampoline_kernelINS0_14default_configENS1_35radix_sort_onesweep_config_selectorIiNS0_10empty_typeEEEZZNS1_29radix_sort_onesweep_iterationIS3_Lb1EN6thrust23THRUST_200600_302600_NS6detail15normal_iteratorINS9_10device_ptrIiEEEESE_PS5_SF_jNS0_19identity_decomposerENS1_16block_id_wrapperIjLb0EEEEE10hipError_tT1_PNSt15iterator_traitsISK_E10value_typeET2_T3_PNSL_ISQ_E10value_typeET4_T5_PSV_SW_PNS1_23onesweep_lookback_stateEbbT6_jjT7_P12ihipStream_tbENKUlT_T0_SK_SP_E_clIPiSE_SF_SF_EEDaS13_S14_SK_SP_EUlS13_E_NS1_11comp_targetILNS1_3genE5ELNS1_11target_archE942ELNS1_3gpuE9ELNS1_3repE0EEENS1_47radix_sort_onesweep_sort_config_static_selectorELNS0_4arch9wavefront6targetE1EEEvSK_.numbered_sgpr, 0
	.set _ZN7rocprim17ROCPRIM_400000_NS6detail17trampoline_kernelINS0_14default_configENS1_35radix_sort_onesweep_config_selectorIiNS0_10empty_typeEEEZZNS1_29radix_sort_onesweep_iterationIS3_Lb1EN6thrust23THRUST_200600_302600_NS6detail15normal_iteratorINS9_10device_ptrIiEEEESE_PS5_SF_jNS0_19identity_decomposerENS1_16block_id_wrapperIjLb0EEEEE10hipError_tT1_PNSt15iterator_traitsISK_E10value_typeET2_T3_PNSL_ISQ_E10value_typeET4_T5_PSV_SW_PNS1_23onesweep_lookback_stateEbbT6_jjT7_P12ihipStream_tbENKUlT_T0_SK_SP_E_clIPiSE_SF_SF_EEDaS13_S14_SK_SP_EUlS13_E_NS1_11comp_targetILNS1_3genE5ELNS1_11target_archE942ELNS1_3gpuE9ELNS1_3repE0EEENS1_47radix_sort_onesweep_sort_config_static_selectorELNS0_4arch9wavefront6targetE1EEEvSK_.num_named_barrier, 0
	.set _ZN7rocprim17ROCPRIM_400000_NS6detail17trampoline_kernelINS0_14default_configENS1_35radix_sort_onesweep_config_selectorIiNS0_10empty_typeEEEZZNS1_29radix_sort_onesweep_iterationIS3_Lb1EN6thrust23THRUST_200600_302600_NS6detail15normal_iteratorINS9_10device_ptrIiEEEESE_PS5_SF_jNS0_19identity_decomposerENS1_16block_id_wrapperIjLb0EEEEE10hipError_tT1_PNSt15iterator_traitsISK_E10value_typeET2_T3_PNSL_ISQ_E10value_typeET4_T5_PSV_SW_PNS1_23onesweep_lookback_stateEbbT6_jjT7_P12ihipStream_tbENKUlT_T0_SK_SP_E_clIPiSE_SF_SF_EEDaS13_S14_SK_SP_EUlS13_E_NS1_11comp_targetILNS1_3genE5ELNS1_11target_archE942ELNS1_3gpuE9ELNS1_3repE0EEENS1_47radix_sort_onesweep_sort_config_static_selectorELNS0_4arch9wavefront6targetE1EEEvSK_.private_seg_size, 0
	.set _ZN7rocprim17ROCPRIM_400000_NS6detail17trampoline_kernelINS0_14default_configENS1_35radix_sort_onesweep_config_selectorIiNS0_10empty_typeEEEZZNS1_29radix_sort_onesweep_iterationIS3_Lb1EN6thrust23THRUST_200600_302600_NS6detail15normal_iteratorINS9_10device_ptrIiEEEESE_PS5_SF_jNS0_19identity_decomposerENS1_16block_id_wrapperIjLb0EEEEE10hipError_tT1_PNSt15iterator_traitsISK_E10value_typeET2_T3_PNSL_ISQ_E10value_typeET4_T5_PSV_SW_PNS1_23onesweep_lookback_stateEbbT6_jjT7_P12ihipStream_tbENKUlT_T0_SK_SP_E_clIPiSE_SF_SF_EEDaS13_S14_SK_SP_EUlS13_E_NS1_11comp_targetILNS1_3genE5ELNS1_11target_archE942ELNS1_3gpuE9ELNS1_3repE0EEENS1_47radix_sort_onesweep_sort_config_static_selectorELNS0_4arch9wavefront6targetE1EEEvSK_.uses_vcc, 0
	.set _ZN7rocprim17ROCPRIM_400000_NS6detail17trampoline_kernelINS0_14default_configENS1_35radix_sort_onesweep_config_selectorIiNS0_10empty_typeEEEZZNS1_29radix_sort_onesweep_iterationIS3_Lb1EN6thrust23THRUST_200600_302600_NS6detail15normal_iteratorINS9_10device_ptrIiEEEESE_PS5_SF_jNS0_19identity_decomposerENS1_16block_id_wrapperIjLb0EEEEE10hipError_tT1_PNSt15iterator_traitsISK_E10value_typeET2_T3_PNSL_ISQ_E10value_typeET4_T5_PSV_SW_PNS1_23onesweep_lookback_stateEbbT6_jjT7_P12ihipStream_tbENKUlT_T0_SK_SP_E_clIPiSE_SF_SF_EEDaS13_S14_SK_SP_EUlS13_E_NS1_11comp_targetILNS1_3genE5ELNS1_11target_archE942ELNS1_3gpuE9ELNS1_3repE0EEENS1_47radix_sort_onesweep_sort_config_static_selectorELNS0_4arch9wavefront6targetE1EEEvSK_.uses_flat_scratch, 0
	.set _ZN7rocprim17ROCPRIM_400000_NS6detail17trampoline_kernelINS0_14default_configENS1_35radix_sort_onesweep_config_selectorIiNS0_10empty_typeEEEZZNS1_29radix_sort_onesweep_iterationIS3_Lb1EN6thrust23THRUST_200600_302600_NS6detail15normal_iteratorINS9_10device_ptrIiEEEESE_PS5_SF_jNS0_19identity_decomposerENS1_16block_id_wrapperIjLb0EEEEE10hipError_tT1_PNSt15iterator_traitsISK_E10value_typeET2_T3_PNSL_ISQ_E10value_typeET4_T5_PSV_SW_PNS1_23onesweep_lookback_stateEbbT6_jjT7_P12ihipStream_tbENKUlT_T0_SK_SP_E_clIPiSE_SF_SF_EEDaS13_S14_SK_SP_EUlS13_E_NS1_11comp_targetILNS1_3genE5ELNS1_11target_archE942ELNS1_3gpuE9ELNS1_3repE0EEENS1_47radix_sort_onesweep_sort_config_static_selectorELNS0_4arch9wavefront6targetE1EEEvSK_.has_dyn_sized_stack, 0
	.set _ZN7rocprim17ROCPRIM_400000_NS6detail17trampoline_kernelINS0_14default_configENS1_35radix_sort_onesweep_config_selectorIiNS0_10empty_typeEEEZZNS1_29radix_sort_onesweep_iterationIS3_Lb1EN6thrust23THRUST_200600_302600_NS6detail15normal_iteratorINS9_10device_ptrIiEEEESE_PS5_SF_jNS0_19identity_decomposerENS1_16block_id_wrapperIjLb0EEEEE10hipError_tT1_PNSt15iterator_traitsISK_E10value_typeET2_T3_PNSL_ISQ_E10value_typeET4_T5_PSV_SW_PNS1_23onesweep_lookback_stateEbbT6_jjT7_P12ihipStream_tbENKUlT_T0_SK_SP_E_clIPiSE_SF_SF_EEDaS13_S14_SK_SP_EUlS13_E_NS1_11comp_targetILNS1_3genE5ELNS1_11target_archE942ELNS1_3gpuE9ELNS1_3repE0EEENS1_47radix_sort_onesweep_sort_config_static_selectorELNS0_4arch9wavefront6targetE1EEEvSK_.has_recursion, 0
	.set _ZN7rocprim17ROCPRIM_400000_NS6detail17trampoline_kernelINS0_14default_configENS1_35radix_sort_onesweep_config_selectorIiNS0_10empty_typeEEEZZNS1_29radix_sort_onesweep_iterationIS3_Lb1EN6thrust23THRUST_200600_302600_NS6detail15normal_iteratorINS9_10device_ptrIiEEEESE_PS5_SF_jNS0_19identity_decomposerENS1_16block_id_wrapperIjLb0EEEEE10hipError_tT1_PNSt15iterator_traitsISK_E10value_typeET2_T3_PNSL_ISQ_E10value_typeET4_T5_PSV_SW_PNS1_23onesweep_lookback_stateEbbT6_jjT7_P12ihipStream_tbENKUlT_T0_SK_SP_E_clIPiSE_SF_SF_EEDaS13_S14_SK_SP_EUlS13_E_NS1_11comp_targetILNS1_3genE5ELNS1_11target_archE942ELNS1_3gpuE9ELNS1_3repE0EEENS1_47radix_sort_onesweep_sort_config_static_selectorELNS0_4arch9wavefront6targetE1EEEvSK_.has_indirect_call, 0
	.section	.AMDGPU.csdata,"",@progbits
; Kernel info:
; codeLenInByte = 0
; TotalNumSgprs: 6
; NumVgprs: 0
; NumAgprs: 0
; TotalNumVgprs: 0
; ScratchSize: 0
; MemoryBound: 0
; FloatMode: 240
; IeeeMode: 1
; LDSByteSize: 0 bytes/workgroup (compile time only)
; SGPRBlocks: 0
; VGPRBlocks: 0
; NumSGPRsForWavesPerEU: 6
; NumVGPRsForWavesPerEU: 1
; AccumOffset: 4
; Occupancy: 8
; WaveLimiterHint : 0
; COMPUTE_PGM_RSRC2:SCRATCH_EN: 0
; COMPUTE_PGM_RSRC2:USER_SGPR: 2
; COMPUTE_PGM_RSRC2:TRAP_HANDLER: 0
; COMPUTE_PGM_RSRC2:TGID_X_EN: 1
; COMPUTE_PGM_RSRC2:TGID_Y_EN: 0
; COMPUTE_PGM_RSRC2:TGID_Z_EN: 0
; COMPUTE_PGM_RSRC2:TIDIG_COMP_CNT: 0
; COMPUTE_PGM_RSRC3_GFX90A:ACCUM_OFFSET: 0
; COMPUTE_PGM_RSRC3_GFX90A:TG_SPLIT: 0
	.section	.text._ZN7rocprim17ROCPRIM_400000_NS6detail17trampoline_kernelINS0_14default_configENS1_35radix_sort_onesweep_config_selectorIiNS0_10empty_typeEEEZZNS1_29radix_sort_onesweep_iterationIS3_Lb1EN6thrust23THRUST_200600_302600_NS6detail15normal_iteratorINS9_10device_ptrIiEEEESE_PS5_SF_jNS0_19identity_decomposerENS1_16block_id_wrapperIjLb0EEEEE10hipError_tT1_PNSt15iterator_traitsISK_E10value_typeET2_T3_PNSL_ISQ_E10value_typeET4_T5_PSV_SW_PNS1_23onesweep_lookback_stateEbbT6_jjT7_P12ihipStream_tbENKUlT_T0_SK_SP_E_clIPiSE_SF_SF_EEDaS13_S14_SK_SP_EUlS13_E_NS1_11comp_targetILNS1_3genE2ELNS1_11target_archE906ELNS1_3gpuE6ELNS1_3repE0EEENS1_47radix_sort_onesweep_sort_config_static_selectorELNS0_4arch9wavefront6targetE1EEEvSK_,"axG",@progbits,_ZN7rocprim17ROCPRIM_400000_NS6detail17trampoline_kernelINS0_14default_configENS1_35radix_sort_onesweep_config_selectorIiNS0_10empty_typeEEEZZNS1_29radix_sort_onesweep_iterationIS3_Lb1EN6thrust23THRUST_200600_302600_NS6detail15normal_iteratorINS9_10device_ptrIiEEEESE_PS5_SF_jNS0_19identity_decomposerENS1_16block_id_wrapperIjLb0EEEEE10hipError_tT1_PNSt15iterator_traitsISK_E10value_typeET2_T3_PNSL_ISQ_E10value_typeET4_T5_PSV_SW_PNS1_23onesweep_lookback_stateEbbT6_jjT7_P12ihipStream_tbENKUlT_T0_SK_SP_E_clIPiSE_SF_SF_EEDaS13_S14_SK_SP_EUlS13_E_NS1_11comp_targetILNS1_3genE2ELNS1_11target_archE906ELNS1_3gpuE6ELNS1_3repE0EEENS1_47radix_sort_onesweep_sort_config_static_selectorELNS0_4arch9wavefront6targetE1EEEvSK_,comdat
	.protected	_ZN7rocprim17ROCPRIM_400000_NS6detail17trampoline_kernelINS0_14default_configENS1_35radix_sort_onesweep_config_selectorIiNS0_10empty_typeEEEZZNS1_29radix_sort_onesweep_iterationIS3_Lb1EN6thrust23THRUST_200600_302600_NS6detail15normal_iteratorINS9_10device_ptrIiEEEESE_PS5_SF_jNS0_19identity_decomposerENS1_16block_id_wrapperIjLb0EEEEE10hipError_tT1_PNSt15iterator_traitsISK_E10value_typeET2_T3_PNSL_ISQ_E10value_typeET4_T5_PSV_SW_PNS1_23onesweep_lookback_stateEbbT6_jjT7_P12ihipStream_tbENKUlT_T0_SK_SP_E_clIPiSE_SF_SF_EEDaS13_S14_SK_SP_EUlS13_E_NS1_11comp_targetILNS1_3genE2ELNS1_11target_archE906ELNS1_3gpuE6ELNS1_3repE0EEENS1_47radix_sort_onesweep_sort_config_static_selectorELNS0_4arch9wavefront6targetE1EEEvSK_ ; -- Begin function _ZN7rocprim17ROCPRIM_400000_NS6detail17trampoline_kernelINS0_14default_configENS1_35radix_sort_onesweep_config_selectorIiNS0_10empty_typeEEEZZNS1_29radix_sort_onesweep_iterationIS3_Lb1EN6thrust23THRUST_200600_302600_NS6detail15normal_iteratorINS9_10device_ptrIiEEEESE_PS5_SF_jNS0_19identity_decomposerENS1_16block_id_wrapperIjLb0EEEEE10hipError_tT1_PNSt15iterator_traitsISK_E10value_typeET2_T3_PNSL_ISQ_E10value_typeET4_T5_PSV_SW_PNS1_23onesweep_lookback_stateEbbT6_jjT7_P12ihipStream_tbENKUlT_T0_SK_SP_E_clIPiSE_SF_SF_EEDaS13_S14_SK_SP_EUlS13_E_NS1_11comp_targetILNS1_3genE2ELNS1_11target_archE906ELNS1_3gpuE6ELNS1_3repE0EEENS1_47radix_sort_onesweep_sort_config_static_selectorELNS0_4arch9wavefront6targetE1EEEvSK_
	.globl	_ZN7rocprim17ROCPRIM_400000_NS6detail17trampoline_kernelINS0_14default_configENS1_35radix_sort_onesweep_config_selectorIiNS0_10empty_typeEEEZZNS1_29radix_sort_onesweep_iterationIS3_Lb1EN6thrust23THRUST_200600_302600_NS6detail15normal_iteratorINS9_10device_ptrIiEEEESE_PS5_SF_jNS0_19identity_decomposerENS1_16block_id_wrapperIjLb0EEEEE10hipError_tT1_PNSt15iterator_traitsISK_E10value_typeET2_T3_PNSL_ISQ_E10value_typeET4_T5_PSV_SW_PNS1_23onesweep_lookback_stateEbbT6_jjT7_P12ihipStream_tbENKUlT_T0_SK_SP_E_clIPiSE_SF_SF_EEDaS13_S14_SK_SP_EUlS13_E_NS1_11comp_targetILNS1_3genE2ELNS1_11target_archE906ELNS1_3gpuE6ELNS1_3repE0EEENS1_47radix_sort_onesweep_sort_config_static_selectorELNS0_4arch9wavefront6targetE1EEEvSK_
	.p2align	8
	.type	_ZN7rocprim17ROCPRIM_400000_NS6detail17trampoline_kernelINS0_14default_configENS1_35radix_sort_onesweep_config_selectorIiNS0_10empty_typeEEEZZNS1_29radix_sort_onesweep_iterationIS3_Lb1EN6thrust23THRUST_200600_302600_NS6detail15normal_iteratorINS9_10device_ptrIiEEEESE_PS5_SF_jNS0_19identity_decomposerENS1_16block_id_wrapperIjLb0EEEEE10hipError_tT1_PNSt15iterator_traitsISK_E10value_typeET2_T3_PNSL_ISQ_E10value_typeET4_T5_PSV_SW_PNS1_23onesweep_lookback_stateEbbT6_jjT7_P12ihipStream_tbENKUlT_T0_SK_SP_E_clIPiSE_SF_SF_EEDaS13_S14_SK_SP_EUlS13_E_NS1_11comp_targetILNS1_3genE2ELNS1_11target_archE906ELNS1_3gpuE6ELNS1_3repE0EEENS1_47radix_sort_onesweep_sort_config_static_selectorELNS0_4arch9wavefront6targetE1EEEvSK_,@function
_ZN7rocprim17ROCPRIM_400000_NS6detail17trampoline_kernelINS0_14default_configENS1_35radix_sort_onesweep_config_selectorIiNS0_10empty_typeEEEZZNS1_29radix_sort_onesweep_iterationIS3_Lb1EN6thrust23THRUST_200600_302600_NS6detail15normal_iteratorINS9_10device_ptrIiEEEESE_PS5_SF_jNS0_19identity_decomposerENS1_16block_id_wrapperIjLb0EEEEE10hipError_tT1_PNSt15iterator_traitsISK_E10value_typeET2_T3_PNSL_ISQ_E10value_typeET4_T5_PSV_SW_PNS1_23onesweep_lookback_stateEbbT6_jjT7_P12ihipStream_tbENKUlT_T0_SK_SP_E_clIPiSE_SF_SF_EEDaS13_S14_SK_SP_EUlS13_E_NS1_11comp_targetILNS1_3genE2ELNS1_11target_archE906ELNS1_3gpuE6ELNS1_3repE0EEENS1_47radix_sort_onesweep_sort_config_static_selectorELNS0_4arch9wavefront6targetE1EEEvSK_: ; @_ZN7rocprim17ROCPRIM_400000_NS6detail17trampoline_kernelINS0_14default_configENS1_35radix_sort_onesweep_config_selectorIiNS0_10empty_typeEEEZZNS1_29radix_sort_onesweep_iterationIS3_Lb1EN6thrust23THRUST_200600_302600_NS6detail15normal_iteratorINS9_10device_ptrIiEEEESE_PS5_SF_jNS0_19identity_decomposerENS1_16block_id_wrapperIjLb0EEEEE10hipError_tT1_PNSt15iterator_traitsISK_E10value_typeET2_T3_PNSL_ISQ_E10value_typeET4_T5_PSV_SW_PNS1_23onesweep_lookback_stateEbbT6_jjT7_P12ihipStream_tbENKUlT_T0_SK_SP_E_clIPiSE_SF_SF_EEDaS13_S14_SK_SP_EUlS13_E_NS1_11comp_targetILNS1_3genE2ELNS1_11target_archE906ELNS1_3gpuE6ELNS1_3repE0EEENS1_47radix_sort_onesweep_sort_config_static_selectorELNS0_4arch9wavefront6targetE1EEEvSK_
; %bb.0:
	.section	.rodata,"a",@progbits
	.p2align	6, 0x0
	.amdhsa_kernel _ZN7rocprim17ROCPRIM_400000_NS6detail17trampoline_kernelINS0_14default_configENS1_35radix_sort_onesweep_config_selectorIiNS0_10empty_typeEEEZZNS1_29radix_sort_onesweep_iterationIS3_Lb1EN6thrust23THRUST_200600_302600_NS6detail15normal_iteratorINS9_10device_ptrIiEEEESE_PS5_SF_jNS0_19identity_decomposerENS1_16block_id_wrapperIjLb0EEEEE10hipError_tT1_PNSt15iterator_traitsISK_E10value_typeET2_T3_PNSL_ISQ_E10value_typeET4_T5_PSV_SW_PNS1_23onesweep_lookback_stateEbbT6_jjT7_P12ihipStream_tbENKUlT_T0_SK_SP_E_clIPiSE_SF_SF_EEDaS13_S14_SK_SP_EUlS13_E_NS1_11comp_targetILNS1_3genE2ELNS1_11target_archE906ELNS1_3gpuE6ELNS1_3repE0EEENS1_47radix_sort_onesweep_sort_config_static_selectorELNS0_4arch9wavefront6targetE1EEEvSK_
		.amdhsa_group_segment_fixed_size 0
		.amdhsa_private_segment_fixed_size 0
		.amdhsa_kernarg_size 88
		.amdhsa_user_sgpr_count 2
		.amdhsa_user_sgpr_dispatch_ptr 0
		.amdhsa_user_sgpr_queue_ptr 0
		.amdhsa_user_sgpr_kernarg_segment_ptr 1
		.amdhsa_user_sgpr_dispatch_id 0
		.amdhsa_user_sgpr_kernarg_preload_length 0
		.amdhsa_user_sgpr_kernarg_preload_offset 0
		.amdhsa_user_sgpr_private_segment_size 0
		.amdhsa_uses_dynamic_stack 0
		.amdhsa_enable_private_segment 0
		.amdhsa_system_sgpr_workgroup_id_x 1
		.amdhsa_system_sgpr_workgroup_id_y 0
		.amdhsa_system_sgpr_workgroup_id_z 0
		.amdhsa_system_sgpr_workgroup_info 0
		.amdhsa_system_vgpr_workitem_id 0
		.amdhsa_next_free_vgpr 1
		.amdhsa_next_free_sgpr 0
		.amdhsa_accum_offset 4
		.amdhsa_reserve_vcc 0
		.amdhsa_float_round_mode_32 0
		.amdhsa_float_round_mode_16_64 0
		.amdhsa_float_denorm_mode_32 3
		.amdhsa_float_denorm_mode_16_64 3
		.amdhsa_dx10_clamp 1
		.amdhsa_ieee_mode 1
		.amdhsa_fp16_overflow 0
		.amdhsa_tg_split 0
		.amdhsa_exception_fp_ieee_invalid_op 0
		.amdhsa_exception_fp_denorm_src 0
		.amdhsa_exception_fp_ieee_div_zero 0
		.amdhsa_exception_fp_ieee_overflow 0
		.amdhsa_exception_fp_ieee_underflow 0
		.amdhsa_exception_fp_ieee_inexact 0
		.amdhsa_exception_int_div_zero 0
	.end_amdhsa_kernel
	.section	.text._ZN7rocprim17ROCPRIM_400000_NS6detail17trampoline_kernelINS0_14default_configENS1_35radix_sort_onesweep_config_selectorIiNS0_10empty_typeEEEZZNS1_29radix_sort_onesweep_iterationIS3_Lb1EN6thrust23THRUST_200600_302600_NS6detail15normal_iteratorINS9_10device_ptrIiEEEESE_PS5_SF_jNS0_19identity_decomposerENS1_16block_id_wrapperIjLb0EEEEE10hipError_tT1_PNSt15iterator_traitsISK_E10value_typeET2_T3_PNSL_ISQ_E10value_typeET4_T5_PSV_SW_PNS1_23onesweep_lookback_stateEbbT6_jjT7_P12ihipStream_tbENKUlT_T0_SK_SP_E_clIPiSE_SF_SF_EEDaS13_S14_SK_SP_EUlS13_E_NS1_11comp_targetILNS1_3genE2ELNS1_11target_archE906ELNS1_3gpuE6ELNS1_3repE0EEENS1_47radix_sort_onesweep_sort_config_static_selectorELNS0_4arch9wavefront6targetE1EEEvSK_,"axG",@progbits,_ZN7rocprim17ROCPRIM_400000_NS6detail17trampoline_kernelINS0_14default_configENS1_35radix_sort_onesweep_config_selectorIiNS0_10empty_typeEEEZZNS1_29radix_sort_onesweep_iterationIS3_Lb1EN6thrust23THRUST_200600_302600_NS6detail15normal_iteratorINS9_10device_ptrIiEEEESE_PS5_SF_jNS0_19identity_decomposerENS1_16block_id_wrapperIjLb0EEEEE10hipError_tT1_PNSt15iterator_traitsISK_E10value_typeET2_T3_PNSL_ISQ_E10value_typeET4_T5_PSV_SW_PNS1_23onesweep_lookback_stateEbbT6_jjT7_P12ihipStream_tbENKUlT_T0_SK_SP_E_clIPiSE_SF_SF_EEDaS13_S14_SK_SP_EUlS13_E_NS1_11comp_targetILNS1_3genE2ELNS1_11target_archE906ELNS1_3gpuE6ELNS1_3repE0EEENS1_47radix_sort_onesweep_sort_config_static_selectorELNS0_4arch9wavefront6targetE1EEEvSK_,comdat
.Lfunc_end384:
	.size	_ZN7rocprim17ROCPRIM_400000_NS6detail17trampoline_kernelINS0_14default_configENS1_35radix_sort_onesweep_config_selectorIiNS0_10empty_typeEEEZZNS1_29radix_sort_onesweep_iterationIS3_Lb1EN6thrust23THRUST_200600_302600_NS6detail15normal_iteratorINS9_10device_ptrIiEEEESE_PS5_SF_jNS0_19identity_decomposerENS1_16block_id_wrapperIjLb0EEEEE10hipError_tT1_PNSt15iterator_traitsISK_E10value_typeET2_T3_PNSL_ISQ_E10value_typeET4_T5_PSV_SW_PNS1_23onesweep_lookback_stateEbbT6_jjT7_P12ihipStream_tbENKUlT_T0_SK_SP_E_clIPiSE_SF_SF_EEDaS13_S14_SK_SP_EUlS13_E_NS1_11comp_targetILNS1_3genE2ELNS1_11target_archE906ELNS1_3gpuE6ELNS1_3repE0EEENS1_47radix_sort_onesweep_sort_config_static_selectorELNS0_4arch9wavefront6targetE1EEEvSK_, .Lfunc_end384-_ZN7rocprim17ROCPRIM_400000_NS6detail17trampoline_kernelINS0_14default_configENS1_35radix_sort_onesweep_config_selectorIiNS0_10empty_typeEEEZZNS1_29radix_sort_onesweep_iterationIS3_Lb1EN6thrust23THRUST_200600_302600_NS6detail15normal_iteratorINS9_10device_ptrIiEEEESE_PS5_SF_jNS0_19identity_decomposerENS1_16block_id_wrapperIjLb0EEEEE10hipError_tT1_PNSt15iterator_traitsISK_E10value_typeET2_T3_PNSL_ISQ_E10value_typeET4_T5_PSV_SW_PNS1_23onesweep_lookback_stateEbbT6_jjT7_P12ihipStream_tbENKUlT_T0_SK_SP_E_clIPiSE_SF_SF_EEDaS13_S14_SK_SP_EUlS13_E_NS1_11comp_targetILNS1_3genE2ELNS1_11target_archE906ELNS1_3gpuE6ELNS1_3repE0EEENS1_47radix_sort_onesweep_sort_config_static_selectorELNS0_4arch9wavefront6targetE1EEEvSK_
                                        ; -- End function
	.set _ZN7rocprim17ROCPRIM_400000_NS6detail17trampoline_kernelINS0_14default_configENS1_35radix_sort_onesweep_config_selectorIiNS0_10empty_typeEEEZZNS1_29radix_sort_onesweep_iterationIS3_Lb1EN6thrust23THRUST_200600_302600_NS6detail15normal_iteratorINS9_10device_ptrIiEEEESE_PS5_SF_jNS0_19identity_decomposerENS1_16block_id_wrapperIjLb0EEEEE10hipError_tT1_PNSt15iterator_traitsISK_E10value_typeET2_T3_PNSL_ISQ_E10value_typeET4_T5_PSV_SW_PNS1_23onesweep_lookback_stateEbbT6_jjT7_P12ihipStream_tbENKUlT_T0_SK_SP_E_clIPiSE_SF_SF_EEDaS13_S14_SK_SP_EUlS13_E_NS1_11comp_targetILNS1_3genE2ELNS1_11target_archE906ELNS1_3gpuE6ELNS1_3repE0EEENS1_47radix_sort_onesweep_sort_config_static_selectorELNS0_4arch9wavefront6targetE1EEEvSK_.num_vgpr, 0
	.set _ZN7rocprim17ROCPRIM_400000_NS6detail17trampoline_kernelINS0_14default_configENS1_35radix_sort_onesweep_config_selectorIiNS0_10empty_typeEEEZZNS1_29radix_sort_onesweep_iterationIS3_Lb1EN6thrust23THRUST_200600_302600_NS6detail15normal_iteratorINS9_10device_ptrIiEEEESE_PS5_SF_jNS0_19identity_decomposerENS1_16block_id_wrapperIjLb0EEEEE10hipError_tT1_PNSt15iterator_traitsISK_E10value_typeET2_T3_PNSL_ISQ_E10value_typeET4_T5_PSV_SW_PNS1_23onesweep_lookback_stateEbbT6_jjT7_P12ihipStream_tbENKUlT_T0_SK_SP_E_clIPiSE_SF_SF_EEDaS13_S14_SK_SP_EUlS13_E_NS1_11comp_targetILNS1_3genE2ELNS1_11target_archE906ELNS1_3gpuE6ELNS1_3repE0EEENS1_47radix_sort_onesweep_sort_config_static_selectorELNS0_4arch9wavefront6targetE1EEEvSK_.num_agpr, 0
	.set _ZN7rocprim17ROCPRIM_400000_NS6detail17trampoline_kernelINS0_14default_configENS1_35radix_sort_onesweep_config_selectorIiNS0_10empty_typeEEEZZNS1_29radix_sort_onesweep_iterationIS3_Lb1EN6thrust23THRUST_200600_302600_NS6detail15normal_iteratorINS9_10device_ptrIiEEEESE_PS5_SF_jNS0_19identity_decomposerENS1_16block_id_wrapperIjLb0EEEEE10hipError_tT1_PNSt15iterator_traitsISK_E10value_typeET2_T3_PNSL_ISQ_E10value_typeET4_T5_PSV_SW_PNS1_23onesweep_lookback_stateEbbT6_jjT7_P12ihipStream_tbENKUlT_T0_SK_SP_E_clIPiSE_SF_SF_EEDaS13_S14_SK_SP_EUlS13_E_NS1_11comp_targetILNS1_3genE2ELNS1_11target_archE906ELNS1_3gpuE6ELNS1_3repE0EEENS1_47radix_sort_onesweep_sort_config_static_selectorELNS0_4arch9wavefront6targetE1EEEvSK_.numbered_sgpr, 0
	.set _ZN7rocprim17ROCPRIM_400000_NS6detail17trampoline_kernelINS0_14default_configENS1_35radix_sort_onesweep_config_selectorIiNS0_10empty_typeEEEZZNS1_29radix_sort_onesweep_iterationIS3_Lb1EN6thrust23THRUST_200600_302600_NS6detail15normal_iteratorINS9_10device_ptrIiEEEESE_PS5_SF_jNS0_19identity_decomposerENS1_16block_id_wrapperIjLb0EEEEE10hipError_tT1_PNSt15iterator_traitsISK_E10value_typeET2_T3_PNSL_ISQ_E10value_typeET4_T5_PSV_SW_PNS1_23onesweep_lookback_stateEbbT6_jjT7_P12ihipStream_tbENKUlT_T0_SK_SP_E_clIPiSE_SF_SF_EEDaS13_S14_SK_SP_EUlS13_E_NS1_11comp_targetILNS1_3genE2ELNS1_11target_archE906ELNS1_3gpuE6ELNS1_3repE0EEENS1_47radix_sort_onesweep_sort_config_static_selectorELNS0_4arch9wavefront6targetE1EEEvSK_.num_named_barrier, 0
	.set _ZN7rocprim17ROCPRIM_400000_NS6detail17trampoline_kernelINS0_14default_configENS1_35radix_sort_onesweep_config_selectorIiNS0_10empty_typeEEEZZNS1_29radix_sort_onesweep_iterationIS3_Lb1EN6thrust23THRUST_200600_302600_NS6detail15normal_iteratorINS9_10device_ptrIiEEEESE_PS5_SF_jNS0_19identity_decomposerENS1_16block_id_wrapperIjLb0EEEEE10hipError_tT1_PNSt15iterator_traitsISK_E10value_typeET2_T3_PNSL_ISQ_E10value_typeET4_T5_PSV_SW_PNS1_23onesweep_lookback_stateEbbT6_jjT7_P12ihipStream_tbENKUlT_T0_SK_SP_E_clIPiSE_SF_SF_EEDaS13_S14_SK_SP_EUlS13_E_NS1_11comp_targetILNS1_3genE2ELNS1_11target_archE906ELNS1_3gpuE6ELNS1_3repE0EEENS1_47radix_sort_onesweep_sort_config_static_selectorELNS0_4arch9wavefront6targetE1EEEvSK_.private_seg_size, 0
	.set _ZN7rocprim17ROCPRIM_400000_NS6detail17trampoline_kernelINS0_14default_configENS1_35radix_sort_onesweep_config_selectorIiNS0_10empty_typeEEEZZNS1_29radix_sort_onesweep_iterationIS3_Lb1EN6thrust23THRUST_200600_302600_NS6detail15normal_iteratorINS9_10device_ptrIiEEEESE_PS5_SF_jNS0_19identity_decomposerENS1_16block_id_wrapperIjLb0EEEEE10hipError_tT1_PNSt15iterator_traitsISK_E10value_typeET2_T3_PNSL_ISQ_E10value_typeET4_T5_PSV_SW_PNS1_23onesweep_lookback_stateEbbT6_jjT7_P12ihipStream_tbENKUlT_T0_SK_SP_E_clIPiSE_SF_SF_EEDaS13_S14_SK_SP_EUlS13_E_NS1_11comp_targetILNS1_3genE2ELNS1_11target_archE906ELNS1_3gpuE6ELNS1_3repE0EEENS1_47radix_sort_onesweep_sort_config_static_selectorELNS0_4arch9wavefront6targetE1EEEvSK_.uses_vcc, 0
	.set _ZN7rocprim17ROCPRIM_400000_NS6detail17trampoline_kernelINS0_14default_configENS1_35radix_sort_onesweep_config_selectorIiNS0_10empty_typeEEEZZNS1_29radix_sort_onesweep_iterationIS3_Lb1EN6thrust23THRUST_200600_302600_NS6detail15normal_iteratorINS9_10device_ptrIiEEEESE_PS5_SF_jNS0_19identity_decomposerENS1_16block_id_wrapperIjLb0EEEEE10hipError_tT1_PNSt15iterator_traitsISK_E10value_typeET2_T3_PNSL_ISQ_E10value_typeET4_T5_PSV_SW_PNS1_23onesweep_lookback_stateEbbT6_jjT7_P12ihipStream_tbENKUlT_T0_SK_SP_E_clIPiSE_SF_SF_EEDaS13_S14_SK_SP_EUlS13_E_NS1_11comp_targetILNS1_3genE2ELNS1_11target_archE906ELNS1_3gpuE6ELNS1_3repE0EEENS1_47radix_sort_onesweep_sort_config_static_selectorELNS0_4arch9wavefront6targetE1EEEvSK_.uses_flat_scratch, 0
	.set _ZN7rocprim17ROCPRIM_400000_NS6detail17trampoline_kernelINS0_14default_configENS1_35radix_sort_onesweep_config_selectorIiNS0_10empty_typeEEEZZNS1_29radix_sort_onesweep_iterationIS3_Lb1EN6thrust23THRUST_200600_302600_NS6detail15normal_iteratorINS9_10device_ptrIiEEEESE_PS5_SF_jNS0_19identity_decomposerENS1_16block_id_wrapperIjLb0EEEEE10hipError_tT1_PNSt15iterator_traitsISK_E10value_typeET2_T3_PNSL_ISQ_E10value_typeET4_T5_PSV_SW_PNS1_23onesweep_lookback_stateEbbT6_jjT7_P12ihipStream_tbENKUlT_T0_SK_SP_E_clIPiSE_SF_SF_EEDaS13_S14_SK_SP_EUlS13_E_NS1_11comp_targetILNS1_3genE2ELNS1_11target_archE906ELNS1_3gpuE6ELNS1_3repE0EEENS1_47radix_sort_onesweep_sort_config_static_selectorELNS0_4arch9wavefront6targetE1EEEvSK_.has_dyn_sized_stack, 0
	.set _ZN7rocprim17ROCPRIM_400000_NS6detail17trampoline_kernelINS0_14default_configENS1_35radix_sort_onesweep_config_selectorIiNS0_10empty_typeEEEZZNS1_29radix_sort_onesweep_iterationIS3_Lb1EN6thrust23THRUST_200600_302600_NS6detail15normal_iteratorINS9_10device_ptrIiEEEESE_PS5_SF_jNS0_19identity_decomposerENS1_16block_id_wrapperIjLb0EEEEE10hipError_tT1_PNSt15iterator_traitsISK_E10value_typeET2_T3_PNSL_ISQ_E10value_typeET4_T5_PSV_SW_PNS1_23onesweep_lookback_stateEbbT6_jjT7_P12ihipStream_tbENKUlT_T0_SK_SP_E_clIPiSE_SF_SF_EEDaS13_S14_SK_SP_EUlS13_E_NS1_11comp_targetILNS1_3genE2ELNS1_11target_archE906ELNS1_3gpuE6ELNS1_3repE0EEENS1_47radix_sort_onesweep_sort_config_static_selectorELNS0_4arch9wavefront6targetE1EEEvSK_.has_recursion, 0
	.set _ZN7rocprim17ROCPRIM_400000_NS6detail17trampoline_kernelINS0_14default_configENS1_35radix_sort_onesweep_config_selectorIiNS0_10empty_typeEEEZZNS1_29radix_sort_onesweep_iterationIS3_Lb1EN6thrust23THRUST_200600_302600_NS6detail15normal_iteratorINS9_10device_ptrIiEEEESE_PS5_SF_jNS0_19identity_decomposerENS1_16block_id_wrapperIjLb0EEEEE10hipError_tT1_PNSt15iterator_traitsISK_E10value_typeET2_T3_PNSL_ISQ_E10value_typeET4_T5_PSV_SW_PNS1_23onesweep_lookback_stateEbbT6_jjT7_P12ihipStream_tbENKUlT_T0_SK_SP_E_clIPiSE_SF_SF_EEDaS13_S14_SK_SP_EUlS13_E_NS1_11comp_targetILNS1_3genE2ELNS1_11target_archE906ELNS1_3gpuE6ELNS1_3repE0EEENS1_47radix_sort_onesweep_sort_config_static_selectorELNS0_4arch9wavefront6targetE1EEEvSK_.has_indirect_call, 0
	.section	.AMDGPU.csdata,"",@progbits
; Kernel info:
; codeLenInByte = 0
; TotalNumSgprs: 6
; NumVgprs: 0
; NumAgprs: 0
; TotalNumVgprs: 0
; ScratchSize: 0
; MemoryBound: 0
; FloatMode: 240
; IeeeMode: 1
; LDSByteSize: 0 bytes/workgroup (compile time only)
; SGPRBlocks: 0
; VGPRBlocks: 0
; NumSGPRsForWavesPerEU: 6
; NumVGPRsForWavesPerEU: 1
; AccumOffset: 4
; Occupancy: 8
; WaveLimiterHint : 0
; COMPUTE_PGM_RSRC2:SCRATCH_EN: 0
; COMPUTE_PGM_RSRC2:USER_SGPR: 2
; COMPUTE_PGM_RSRC2:TRAP_HANDLER: 0
; COMPUTE_PGM_RSRC2:TGID_X_EN: 1
; COMPUTE_PGM_RSRC2:TGID_Y_EN: 0
; COMPUTE_PGM_RSRC2:TGID_Z_EN: 0
; COMPUTE_PGM_RSRC2:TIDIG_COMP_CNT: 0
; COMPUTE_PGM_RSRC3_GFX90A:ACCUM_OFFSET: 0
; COMPUTE_PGM_RSRC3_GFX90A:TG_SPLIT: 0
	.section	.text._ZN7rocprim17ROCPRIM_400000_NS6detail17trampoline_kernelINS0_14default_configENS1_35radix_sort_onesweep_config_selectorIiNS0_10empty_typeEEEZZNS1_29radix_sort_onesweep_iterationIS3_Lb1EN6thrust23THRUST_200600_302600_NS6detail15normal_iteratorINS9_10device_ptrIiEEEESE_PS5_SF_jNS0_19identity_decomposerENS1_16block_id_wrapperIjLb0EEEEE10hipError_tT1_PNSt15iterator_traitsISK_E10value_typeET2_T3_PNSL_ISQ_E10value_typeET4_T5_PSV_SW_PNS1_23onesweep_lookback_stateEbbT6_jjT7_P12ihipStream_tbENKUlT_T0_SK_SP_E_clIPiSE_SF_SF_EEDaS13_S14_SK_SP_EUlS13_E_NS1_11comp_targetILNS1_3genE4ELNS1_11target_archE910ELNS1_3gpuE8ELNS1_3repE0EEENS1_47radix_sort_onesweep_sort_config_static_selectorELNS0_4arch9wavefront6targetE1EEEvSK_,"axG",@progbits,_ZN7rocprim17ROCPRIM_400000_NS6detail17trampoline_kernelINS0_14default_configENS1_35radix_sort_onesweep_config_selectorIiNS0_10empty_typeEEEZZNS1_29radix_sort_onesweep_iterationIS3_Lb1EN6thrust23THRUST_200600_302600_NS6detail15normal_iteratorINS9_10device_ptrIiEEEESE_PS5_SF_jNS0_19identity_decomposerENS1_16block_id_wrapperIjLb0EEEEE10hipError_tT1_PNSt15iterator_traitsISK_E10value_typeET2_T3_PNSL_ISQ_E10value_typeET4_T5_PSV_SW_PNS1_23onesweep_lookback_stateEbbT6_jjT7_P12ihipStream_tbENKUlT_T0_SK_SP_E_clIPiSE_SF_SF_EEDaS13_S14_SK_SP_EUlS13_E_NS1_11comp_targetILNS1_3genE4ELNS1_11target_archE910ELNS1_3gpuE8ELNS1_3repE0EEENS1_47radix_sort_onesweep_sort_config_static_selectorELNS0_4arch9wavefront6targetE1EEEvSK_,comdat
	.protected	_ZN7rocprim17ROCPRIM_400000_NS6detail17trampoline_kernelINS0_14default_configENS1_35radix_sort_onesweep_config_selectorIiNS0_10empty_typeEEEZZNS1_29radix_sort_onesweep_iterationIS3_Lb1EN6thrust23THRUST_200600_302600_NS6detail15normal_iteratorINS9_10device_ptrIiEEEESE_PS5_SF_jNS0_19identity_decomposerENS1_16block_id_wrapperIjLb0EEEEE10hipError_tT1_PNSt15iterator_traitsISK_E10value_typeET2_T3_PNSL_ISQ_E10value_typeET4_T5_PSV_SW_PNS1_23onesweep_lookback_stateEbbT6_jjT7_P12ihipStream_tbENKUlT_T0_SK_SP_E_clIPiSE_SF_SF_EEDaS13_S14_SK_SP_EUlS13_E_NS1_11comp_targetILNS1_3genE4ELNS1_11target_archE910ELNS1_3gpuE8ELNS1_3repE0EEENS1_47radix_sort_onesweep_sort_config_static_selectorELNS0_4arch9wavefront6targetE1EEEvSK_ ; -- Begin function _ZN7rocprim17ROCPRIM_400000_NS6detail17trampoline_kernelINS0_14default_configENS1_35radix_sort_onesweep_config_selectorIiNS0_10empty_typeEEEZZNS1_29radix_sort_onesweep_iterationIS3_Lb1EN6thrust23THRUST_200600_302600_NS6detail15normal_iteratorINS9_10device_ptrIiEEEESE_PS5_SF_jNS0_19identity_decomposerENS1_16block_id_wrapperIjLb0EEEEE10hipError_tT1_PNSt15iterator_traitsISK_E10value_typeET2_T3_PNSL_ISQ_E10value_typeET4_T5_PSV_SW_PNS1_23onesweep_lookback_stateEbbT6_jjT7_P12ihipStream_tbENKUlT_T0_SK_SP_E_clIPiSE_SF_SF_EEDaS13_S14_SK_SP_EUlS13_E_NS1_11comp_targetILNS1_3genE4ELNS1_11target_archE910ELNS1_3gpuE8ELNS1_3repE0EEENS1_47radix_sort_onesweep_sort_config_static_selectorELNS0_4arch9wavefront6targetE1EEEvSK_
	.globl	_ZN7rocprim17ROCPRIM_400000_NS6detail17trampoline_kernelINS0_14default_configENS1_35radix_sort_onesweep_config_selectorIiNS0_10empty_typeEEEZZNS1_29radix_sort_onesweep_iterationIS3_Lb1EN6thrust23THRUST_200600_302600_NS6detail15normal_iteratorINS9_10device_ptrIiEEEESE_PS5_SF_jNS0_19identity_decomposerENS1_16block_id_wrapperIjLb0EEEEE10hipError_tT1_PNSt15iterator_traitsISK_E10value_typeET2_T3_PNSL_ISQ_E10value_typeET4_T5_PSV_SW_PNS1_23onesweep_lookback_stateEbbT6_jjT7_P12ihipStream_tbENKUlT_T0_SK_SP_E_clIPiSE_SF_SF_EEDaS13_S14_SK_SP_EUlS13_E_NS1_11comp_targetILNS1_3genE4ELNS1_11target_archE910ELNS1_3gpuE8ELNS1_3repE0EEENS1_47radix_sort_onesweep_sort_config_static_selectorELNS0_4arch9wavefront6targetE1EEEvSK_
	.p2align	8
	.type	_ZN7rocprim17ROCPRIM_400000_NS6detail17trampoline_kernelINS0_14default_configENS1_35radix_sort_onesweep_config_selectorIiNS0_10empty_typeEEEZZNS1_29radix_sort_onesweep_iterationIS3_Lb1EN6thrust23THRUST_200600_302600_NS6detail15normal_iteratorINS9_10device_ptrIiEEEESE_PS5_SF_jNS0_19identity_decomposerENS1_16block_id_wrapperIjLb0EEEEE10hipError_tT1_PNSt15iterator_traitsISK_E10value_typeET2_T3_PNSL_ISQ_E10value_typeET4_T5_PSV_SW_PNS1_23onesweep_lookback_stateEbbT6_jjT7_P12ihipStream_tbENKUlT_T0_SK_SP_E_clIPiSE_SF_SF_EEDaS13_S14_SK_SP_EUlS13_E_NS1_11comp_targetILNS1_3genE4ELNS1_11target_archE910ELNS1_3gpuE8ELNS1_3repE0EEENS1_47radix_sort_onesweep_sort_config_static_selectorELNS0_4arch9wavefront6targetE1EEEvSK_,@function
_ZN7rocprim17ROCPRIM_400000_NS6detail17trampoline_kernelINS0_14default_configENS1_35radix_sort_onesweep_config_selectorIiNS0_10empty_typeEEEZZNS1_29radix_sort_onesweep_iterationIS3_Lb1EN6thrust23THRUST_200600_302600_NS6detail15normal_iteratorINS9_10device_ptrIiEEEESE_PS5_SF_jNS0_19identity_decomposerENS1_16block_id_wrapperIjLb0EEEEE10hipError_tT1_PNSt15iterator_traitsISK_E10value_typeET2_T3_PNSL_ISQ_E10value_typeET4_T5_PSV_SW_PNS1_23onesweep_lookback_stateEbbT6_jjT7_P12ihipStream_tbENKUlT_T0_SK_SP_E_clIPiSE_SF_SF_EEDaS13_S14_SK_SP_EUlS13_E_NS1_11comp_targetILNS1_3genE4ELNS1_11target_archE910ELNS1_3gpuE8ELNS1_3repE0EEENS1_47radix_sort_onesweep_sort_config_static_selectorELNS0_4arch9wavefront6targetE1EEEvSK_: ; @_ZN7rocprim17ROCPRIM_400000_NS6detail17trampoline_kernelINS0_14default_configENS1_35radix_sort_onesweep_config_selectorIiNS0_10empty_typeEEEZZNS1_29radix_sort_onesweep_iterationIS3_Lb1EN6thrust23THRUST_200600_302600_NS6detail15normal_iteratorINS9_10device_ptrIiEEEESE_PS5_SF_jNS0_19identity_decomposerENS1_16block_id_wrapperIjLb0EEEEE10hipError_tT1_PNSt15iterator_traitsISK_E10value_typeET2_T3_PNSL_ISQ_E10value_typeET4_T5_PSV_SW_PNS1_23onesweep_lookback_stateEbbT6_jjT7_P12ihipStream_tbENKUlT_T0_SK_SP_E_clIPiSE_SF_SF_EEDaS13_S14_SK_SP_EUlS13_E_NS1_11comp_targetILNS1_3genE4ELNS1_11target_archE910ELNS1_3gpuE8ELNS1_3repE0EEENS1_47radix_sort_onesweep_sort_config_static_selectorELNS0_4arch9wavefront6targetE1EEEvSK_
; %bb.0:
	.section	.rodata,"a",@progbits
	.p2align	6, 0x0
	.amdhsa_kernel _ZN7rocprim17ROCPRIM_400000_NS6detail17trampoline_kernelINS0_14default_configENS1_35radix_sort_onesweep_config_selectorIiNS0_10empty_typeEEEZZNS1_29radix_sort_onesweep_iterationIS3_Lb1EN6thrust23THRUST_200600_302600_NS6detail15normal_iteratorINS9_10device_ptrIiEEEESE_PS5_SF_jNS0_19identity_decomposerENS1_16block_id_wrapperIjLb0EEEEE10hipError_tT1_PNSt15iterator_traitsISK_E10value_typeET2_T3_PNSL_ISQ_E10value_typeET4_T5_PSV_SW_PNS1_23onesweep_lookback_stateEbbT6_jjT7_P12ihipStream_tbENKUlT_T0_SK_SP_E_clIPiSE_SF_SF_EEDaS13_S14_SK_SP_EUlS13_E_NS1_11comp_targetILNS1_3genE4ELNS1_11target_archE910ELNS1_3gpuE8ELNS1_3repE0EEENS1_47radix_sort_onesweep_sort_config_static_selectorELNS0_4arch9wavefront6targetE1EEEvSK_
		.amdhsa_group_segment_fixed_size 0
		.amdhsa_private_segment_fixed_size 0
		.amdhsa_kernarg_size 88
		.amdhsa_user_sgpr_count 2
		.amdhsa_user_sgpr_dispatch_ptr 0
		.amdhsa_user_sgpr_queue_ptr 0
		.amdhsa_user_sgpr_kernarg_segment_ptr 1
		.amdhsa_user_sgpr_dispatch_id 0
		.amdhsa_user_sgpr_kernarg_preload_length 0
		.amdhsa_user_sgpr_kernarg_preload_offset 0
		.amdhsa_user_sgpr_private_segment_size 0
		.amdhsa_uses_dynamic_stack 0
		.amdhsa_enable_private_segment 0
		.amdhsa_system_sgpr_workgroup_id_x 1
		.amdhsa_system_sgpr_workgroup_id_y 0
		.amdhsa_system_sgpr_workgroup_id_z 0
		.amdhsa_system_sgpr_workgroup_info 0
		.amdhsa_system_vgpr_workitem_id 0
		.amdhsa_next_free_vgpr 1
		.amdhsa_next_free_sgpr 0
		.amdhsa_accum_offset 4
		.amdhsa_reserve_vcc 0
		.amdhsa_float_round_mode_32 0
		.amdhsa_float_round_mode_16_64 0
		.amdhsa_float_denorm_mode_32 3
		.amdhsa_float_denorm_mode_16_64 3
		.amdhsa_dx10_clamp 1
		.amdhsa_ieee_mode 1
		.amdhsa_fp16_overflow 0
		.amdhsa_tg_split 0
		.amdhsa_exception_fp_ieee_invalid_op 0
		.amdhsa_exception_fp_denorm_src 0
		.amdhsa_exception_fp_ieee_div_zero 0
		.amdhsa_exception_fp_ieee_overflow 0
		.amdhsa_exception_fp_ieee_underflow 0
		.amdhsa_exception_fp_ieee_inexact 0
		.amdhsa_exception_int_div_zero 0
	.end_amdhsa_kernel
	.section	.text._ZN7rocprim17ROCPRIM_400000_NS6detail17trampoline_kernelINS0_14default_configENS1_35radix_sort_onesweep_config_selectorIiNS0_10empty_typeEEEZZNS1_29radix_sort_onesweep_iterationIS3_Lb1EN6thrust23THRUST_200600_302600_NS6detail15normal_iteratorINS9_10device_ptrIiEEEESE_PS5_SF_jNS0_19identity_decomposerENS1_16block_id_wrapperIjLb0EEEEE10hipError_tT1_PNSt15iterator_traitsISK_E10value_typeET2_T3_PNSL_ISQ_E10value_typeET4_T5_PSV_SW_PNS1_23onesweep_lookback_stateEbbT6_jjT7_P12ihipStream_tbENKUlT_T0_SK_SP_E_clIPiSE_SF_SF_EEDaS13_S14_SK_SP_EUlS13_E_NS1_11comp_targetILNS1_3genE4ELNS1_11target_archE910ELNS1_3gpuE8ELNS1_3repE0EEENS1_47radix_sort_onesweep_sort_config_static_selectorELNS0_4arch9wavefront6targetE1EEEvSK_,"axG",@progbits,_ZN7rocprim17ROCPRIM_400000_NS6detail17trampoline_kernelINS0_14default_configENS1_35radix_sort_onesweep_config_selectorIiNS0_10empty_typeEEEZZNS1_29radix_sort_onesweep_iterationIS3_Lb1EN6thrust23THRUST_200600_302600_NS6detail15normal_iteratorINS9_10device_ptrIiEEEESE_PS5_SF_jNS0_19identity_decomposerENS1_16block_id_wrapperIjLb0EEEEE10hipError_tT1_PNSt15iterator_traitsISK_E10value_typeET2_T3_PNSL_ISQ_E10value_typeET4_T5_PSV_SW_PNS1_23onesweep_lookback_stateEbbT6_jjT7_P12ihipStream_tbENKUlT_T0_SK_SP_E_clIPiSE_SF_SF_EEDaS13_S14_SK_SP_EUlS13_E_NS1_11comp_targetILNS1_3genE4ELNS1_11target_archE910ELNS1_3gpuE8ELNS1_3repE0EEENS1_47radix_sort_onesweep_sort_config_static_selectorELNS0_4arch9wavefront6targetE1EEEvSK_,comdat
.Lfunc_end385:
	.size	_ZN7rocprim17ROCPRIM_400000_NS6detail17trampoline_kernelINS0_14default_configENS1_35radix_sort_onesweep_config_selectorIiNS0_10empty_typeEEEZZNS1_29radix_sort_onesweep_iterationIS3_Lb1EN6thrust23THRUST_200600_302600_NS6detail15normal_iteratorINS9_10device_ptrIiEEEESE_PS5_SF_jNS0_19identity_decomposerENS1_16block_id_wrapperIjLb0EEEEE10hipError_tT1_PNSt15iterator_traitsISK_E10value_typeET2_T3_PNSL_ISQ_E10value_typeET4_T5_PSV_SW_PNS1_23onesweep_lookback_stateEbbT6_jjT7_P12ihipStream_tbENKUlT_T0_SK_SP_E_clIPiSE_SF_SF_EEDaS13_S14_SK_SP_EUlS13_E_NS1_11comp_targetILNS1_3genE4ELNS1_11target_archE910ELNS1_3gpuE8ELNS1_3repE0EEENS1_47radix_sort_onesweep_sort_config_static_selectorELNS0_4arch9wavefront6targetE1EEEvSK_, .Lfunc_end385-_ZN7rocprim17ROCPRIM_400000_NS6detail17trampoline_kernelINS0_14default_configENS1_35radix_sort_onesweep_config_selectorIiNS0_10empty_typeEEEZZNS1_29radix_sort_onesweep_iterationIS3_Lb1EN6thrust23THRUST_200600_302600_NS6detail15normal_iteratorINS9_10device_ptrIiEEEESE_PS5_SF_jNS0_19identity_decomposerENS1_16block_id_wrapperIjLb0EEEEE10hipError_tT1_PNSt15iterator_traitsISK_E10value_typeET2_T3_PNSL_ISQ_E10value_typeET4_T5_PSV_SW_PNS1_23onesweep_lookback_stateEbbT6_jjT7_P12ihipStream_tbENKUlT_T0_SK_SP_E_clIPiSE_SF_SF_EEDaS13_S14_SK_SP_EUlS13_E_NS1_11comp_targetILNS1_3genE4ELNS1_11target_archE910ELNS1_3gpuE8ELNS1_3repE0EEENS1_47radix_sort_onesweep_sort_config_static_selectorELNS0_4arch9wavefront6targetE1EEEvSK_
                                        ; -- End function
	.set _ZN7rocprim17ROCPRIM_400000_NS6detail17trampoline_kernelINS0_14default_configENS1_35radix_sort_onesweep_config_selectorIiNS0_10empty_typeEEEZZNS1_29radix_sort_onesweep_iterationIS3_Lb1EN6thrust23THRUST_200600_302600_NS6detail15normal_iteratorINS9_10device_ptrIiEEEESE_PS5_SF_jNS0_19identity_decomposerENS1_16block_id_wrapperIjLb0EEEEE10hipError_tT1_PNSt15iterator_traitsISK_E10value_typeET2_T3_PNSL_ISQ_E10value_typeET4_T5_PSV_SW_PNS1_23onesweep_lookback_stateEbbT6_jjT7_P12ihipStream_tbENKUlT_T0_SK_SP_E_clIPiSE_SF_SF_EEDaS13_S14_SK_SP_EUlS13_E_NS1_11comp_targetILNS1_3genE4ELNS1_11target_archE910ELNS1_3gpuE8ELNS1_3repE0EEENS1_47radix_sort_onesweep_sort_config_static_selectorELNS0_4arch9wavefront6targetE1EEEvSK_.num_vgpr, 0
	.set _ZN7rocprim17ROCPRIM_400000_NS6detail17trampoline_kernelINS0_14default_configENS1_35radix_sort_onesweep_config_selectorIiNS0_10empty_typeEEEZZNS1_29radix_sort_onesweep_iterationIS3_Lb1EN6thrust23THRUST_200600_302600_NS6detail15normal_iteratorINS9_10device_ptrIiEEEESE_PS5_SF_jNS0_19identity_decomposerENS1_16block_id_wrapperIjLb0EEEEE10hipError_tT1_PNSt15iterator_traitsISK_E10value_typeET2_T3_PNSL_ISQ_E10value_typeET4_T5_PSV_SW_PNS1_23onesweep_lookback_stateEbbT6_jjT7_P12ihipStream_tbENKUlT_T0_SK_SP_E_clIPiSE_SF_SF_EEDaS13_S14_SK_SP_EUlS13_E_NS1_11comp_targetILNS1_3genE4ELNS1_11target_archE910ELNS1_3gpuE8ELNS1_3repE0EEENS1_47radix_sort_onesweep_sort_config_static_selectorELNS0_4arch9wavefront6targetE1EEEvSK_.num_agpr, 0
	.set _ZN7rocprim17ROCPRIM_400000_NS6detail17trampoline_kernelINS0_14default_configENS1_35radix_sort_onesweep_config_selectorIiNS0_10empty_typeEEEZZNS1_29radix_sort_onesweep_iterationIS3_Lb1EN6thrust23THRUST_200600_302600_NS6detail15normal_iteratorINS9_10device_ptrIiEEEESE_PS5_SF_jNS0_19identity_decomposerENS1_16block_id_wrapperIjLb0EEEEE10hipError_tT1_PNSt15iterator_traitsISK_E10value_typeET2_T3_PNSL_ISQ_E10value_typeET4_T5_PSV_SW_PNS1_23onesweep_lookback_stateEbbT6_jjT7_P12ihipStream_tbENKUlT_T0_SK_SP_E_clIPiSE_SF_SF_EEDaS13_S14_SK_SP_EUlS13_E_NS1_11comp_targetILNS1_3genE4ELNS1_11target_archE910ELNS1_3gpuE8ELNS1_3repE0EEENS1_47radix_sort_onesweep_sort_config_static_selectorELNS0_4arch9wavefront6targetE1EEEvSK_.numbered_sgpr, 0
	.set _ZN7rocprim17ROCPRIM_400000_NS6detail17trampoline_kernelINS0_14default_configENS1_35radix_sort_onesweep_config_selectorIiNS0_10empty_typeEEEZZNS1_29radix_sort_onesweep_iterationIS3_Lb1EN6thrust23THRUST_200600_302600_NS6detail15normal_iteratorINS9_10device_ptrIiEEEESE_PS5_SF_jNS0_19identity_decomposerENS1_16block_id_wrapperIjLb0EEEEE10hipError_tT1_PNSt15iterator_traitsISK_E10value_typeET2_T3_PNSL_ISQ_E10value_typeET4_T5_PSV_SW_PNS1_23onesweep_lookback_stateEbbT6_jjT7_P12ihipStream_tbENKUlT_T0_SK_SP_E_clIPiSE_SF_SF_EEDaS13_S14_SK_SP_EUlS13_E_NS1_11comp_targetILNS1_3genE4ELNS1_11target_archE910ELNS1_3gpuE8ELNS1_3repE0EEENS1_47radix_sort_onesweep_sort_config_static_selectorELNS0_4arch9wavefront6targetE1EEEvSK_.num_named_barrier, 0
	.set _ZN7rocprim17ROCPRIM_400000_NS6detail17trampoline_kernelINS0_14default_configENS1_35radix_sort_onesweep_config_selectorIiNS0_10empty_typeEEEZZNS1_29radix_sort_onesweep_iterationIS3_Lb1EN6thrust23THRUST_200600_302600_NS6detail15normal_iteratorINS9_10device_ptrIiEEEESE_PS5_SF_jNS0_19identity_decomposerENS1_16block_id_wrapperIjLb0EEEEE10hipError_tT1_PNSt15iterator_traitsISK_E10value_typeET2_T3_PNSL_ISQ_E10value_typeET4_T5_PSV_SW_PNS1_23onesweep_lookback_stateEbbT6_jjT7_P12ihipStream_tbENKUlT_T0_SK_SP_E_clIPiSE_SF_SF_EEDaS13_S14_SK_SP_EUlS13_E_NS1_11comp_targetILNS1_3genE4ELNS1_11target_archE910ELNS1_3gpuE8ELNS1_3repE0EEENS1_47radix_sort_onesweep_sort_config_static_selectorELNS0_4arch9wavefront6targetE1EEEvSK_.private_seg_size, 0
	.set _ZN7rocprim17ROCPRIM_400000_NS6detail17trampoline_kernelINS0_14default_configENS1_35radix_sort_onesweep_config_selectorIiNS0_10empty_typeEEEZZNS1_29radix_sort_onesweep_iterationIS3_Lb1EN6thrust23THRUST_200600_302600_NS6detail15normal_iteratorINS9_10device_ptrIiEEEESE_PS5_SF_jNS0_19identity_decomposerENS1_16block_id_wrapperIjLb0EEEEE10hipError_tT1_PNSt15iterator_traitsISK_E10value_typeET2_T3_PNSL_ISQ_E10value_typeET4_T5_PSV_SW_PNS1_23onesweep_lookback_stateEbbT6_jjT7_P12ihipStream_tbENKUlT_T0_SK_SP_E_clIPiSE_SF_SF_EEDaS13_S14_SK_SP_EUlS13_E_NS1_11comp_targetILNS1_3genE4ELNS1_11target_archE910ELNS1_3gpuE8ELNS1_3repE0EEENS1_47radix_sort_onesweep_sort_config_static_selectorELNS0_4arch9wavefront6targetE1EEEvSK_.uses_vcc, 0
	.set _ZN7rocprim17ROCPRIM_400000_NS6detail17trampoline_kernelINS0_14default_configENS1_35radix_sort_onesweep_config_selectorIiNS0_10empty_typeEEEZZNS1_29radix_sort_onesweep_iterationIS3_Lb1EN6thrust23THRUST_200600_302600_NS6detail15normal_iteratorINS9_10device_ptrIiEEEESE_PS5_SF_jNS0_19identity_decomposerENS1_16block_id_wrapperIjLb0EEEEE10hipError_tT1_PNSt15iterator_traitsISK_E10value_typeET2_T3_PNSL_ISQ_E10value_typeET4_T5_PSV_SW_PNS1_23onesweep_lookback_stateEbbT6_jjT7_P12ihipStream_tbENKUlT_T0_SK_SP_E_clIPiSE_SF_SF_EEDaS13_S14_SK_SP_EUlS13_E_NS1_11comp_targetILNS1_3genE4ELNS1_11target_archE910ELNS1_3gpuE8ELNS1_3repE0EEENS1_47radix_sort_onesweep_sort_config_static_selectorELNS0_4arch9wavefront6targetE1EEEvSK_.uses_flat_scratch, 0
	.set _ZN7rocprim17ROCPRIM_400000_NS6detail17trampoline_kernelINS0_14default_configENS1_35radix_sort_onesweep_config_selectorIiNS0_10empty_typeEEEZZNS1_29radix_sort_onesweep_iterationIS3_Lb1EN6thrust23THRUST_200600_302600_NS6detail15normal_iteratorINS9_10device_ptrIiEEEESE_PS5_SF_jNS0_19identity_decomposerENS1_16block_id_wrapperIjLb0EEEEE10hipError_tT1_PNSt15iterator_traitsISK_E10value_typeET2_T3_PNSL_ISQ_E10value_typeET4_T5_PSV_SW_PNS1_23onesweep_lookback_stateEbbT6_jjT7_P12ihipStream_tbENKUlT_T0_SK_SP_E_clIPiSE_SF_SF_EEDaS13_S14_SK_SP_EUlS13_E_NS1_11comp_targetILNS1_3genE4ELNS1_11target_archE910ELNS1_3gpuE8ELNS1_3repE0EEENS1_47radix_sort_onesweep_sort_config_static_selectorELNS0_4arch9wavefront6targetE1EEEvSK_.has_dyn_sized_stack, 0
	.set _ZN7rocprim17ROCPRIM_400000_NS6detail17trampoline_kernelINS0_14default_configENS1_35radix_sort_onesweep_config_selectorIiNS0_10empty_typeEEEZZNS1_29radix_sort_onesweep_iterationIS3_Lb1EN6thrust23THRUST_200600_302600_NS6detail15normal_iteratorINS9_10device_ptrIiEEEESE_PS5_SF_jNS0_19identity_decomposerENS1_16block_id_wrapperIjLb0EEEEE10hipError_tT1_PNSt15iterator_traitsISK_E10value_typeET2_T3_PNSL_ISQ_E10value_typeET4_T5_PSV_SW_PNS1_23onesweep_lookback_stateEbbT6_jjT7_P12ihipStream_tbENKUlT_T0_SK_SP_E_clIPiSE_SF_SF_EEDaS13_S14_SK_SP_EUlS13_E_NS1_11comp_targetILNS1_3genE4ELNS1_11target_archE910ELNS1_3gpuE8ELNS1_3repE0EEENS1_47radix_sort_onesweep_sort_config_static_selectorELNS0_4arch9wavefront6targetE1EEEvSK_.has_recursion, 0
	.set _ZN7rocprim17ROCPRIM_400000_NS6detail17trampoline_kernelINS0_14default_configENS1_35radix_sort_onesweep_config_selectorIiNS0_10empty_typeEEEZZNS1_29radix_sort_onesweep_iterationIS3_Lb1EN6thrust23THRUST_200600_302600_NS6detail15normal_iteratorINS9_10device_ptrIiEEEESE_PS5_SF_jNS0_19identity_decomposerENS1_16block_id_wrapperIjLb0EEEEE10hipError_tT1_PNSt15iterator_traitsISK_E10value_typeET2_T3_PNSL_ISQ_E10value_typeET4_T5_PSV_SW_PNS1_23onesweep_lookback_stateEbbT6_jjT7_P12ihipStream_tbENKUlT_T0_SK_SP_E_clIPiSE_SF_SF_EEDaS13_S14_SK_SP_EUlS13_E_NS1_11comp_targetILNS1_3genE4ELNS1_11target_archE910ELNS1_3gpuE8ELNS1_3repE0EEENS1_47radix_sort_onesweep_sort_config_static_selectorELNS0_4arch9wavefront6targetE1EEEvSK_.has_indirect_call, 0
	.section	.AMDGPU.csdata,"",@progbits
; Kernel info:
; codeLenInByte = 0
; TotalNumSgprs: 6
; NumVgprs: 0
; NumAgprs: 0
; TotalNumVgprs: 0
; ScratchSize: 0
; MemoryBound: 0
; FloatMode: 240
; IeeeMode: 1
; LDSByteSize: 0 bytes/workgroup (compile time only)
; SGPRBlocks: 0
; VGPRBlocks: 0
; NumSGPRsForWavesPerEU: 6
; NumVGPRsForWavesPerEU: 1
; AccumOffset: 4
; Occupancy: 8
; WaveLimiterHint : 0
; COMPUTE_PGM_RSRC2:SCRATCH_EN: 0
; COMPUTE_PGM_RSRC2:USER_SGPR: 2
; COMPUTE_PGM_RSRC2:TRAP_HANDLER: 0
; COMPUTE_PGM_RSRC2:TGID_X_EN: 1
; COMPUTE_PGM_RSRC2:TGID_Y_EN: 0
; COMPUTE_PGM_RSRC2:TGID_Z_EN: 0
; COMPUTE_PGM_RSRC2:TIDIG_COMP_CNT: 0
; COMPUTE_PGM_RSRC3_GFX90A:ACCUM_OFFSET: 0
; COMPUTE_PGM_RSRC3_GFX90A:TG_SPLIT: 0
	.section	.text._ZN7rocprim17ROCPRIM_400000_NS6detail17trampoline_kernelINS0_14default_configENS1_35radix_sort_onesweep_config_selectorIiNS0_10empty_typeEEEZZNS1_29radix_sort_onesweep_iterationIS3_Lb1EN6thrust23THRUST_200600_302600_NS6detail15normal_iteratorINS9_10device_ptrIiEEEESE_PS5_SF_jNS0_19identity_decomposerENS1_16block_id_wrapperIjLb0EEEEE10hipError_tT1_PNSt15iterator_traitsISK_E10value_typeET2_T3_PNSL_ISQ_E10value_typeET4_T5_PSV_SW_PNS1_23onesweep_lookback_stateEbbT6_jjT7_P12ihipStream_tbENKUlT_T0_SK_SP_E_clIPiSE_SF_SF_EEDaS13_S14_SK_SP_EUlS13_E_NS1_11comp_targetILNS1_3genE3ELNS1_11target_archE908ELNS1_3gpuE7ELNS1_3repE0EEENS1_47radix_sort_onesweep_sort_config_static_selectorELNS0_4arch9wavefront6targetE1EEEvSK_,"axG",@progbits,_ZN7rocprim17ROCPRIM_400000_NS6detail17trampoline_kernelINS0_14default_configENS1_35radix_sort_onesweep_config_selectorIiNS0_10empty_typeEEEZZNS1_29radix_sort_onesweep_iterationIS3_Lb1EN6thrust23THRUST_200600_302600_NS6detail15normal_iteratorINS9_10device_ptrIiEEEESE_PS5_SF_jNS0_19identity_decomposerENS1_16block_id_wrapperIjLb0EEEEE10hipError_tT1_PNSt15iterator_traitsISK_E10value_typeET2_T3_PNSL_ISQ_E10value_typeET4_T5_PSV_SW_PNS1_23onesweep_lookback_stateEbbT6_jjT7_P12ihipStream_tbENKUlT_T0_SK_SP_E_clIPiSE_SF_SF_EEDaS13_S14_SK_SP_EUlS13_E_NS1_11comp_targetILNS1_3genE3ELNS1_11target_archE908ELNS1_3gpuE7ELNS1_3repE0EEENS1_47radix_sort_onesweep_sort_config_static_selectorELNS0_4arch9wavefront6targetE1EEEvSK_,comdat
	.protected	_ZN7rocprim17ROCPRIM_400000_NS6detail17trampoline_kernelINS0_14default_configENS1_35radix_sort_onesweep_config_selectorIiNS0_10empty_typeEEEZZNS1_29radix_sort_onesweep_iterationIS3_Lb1EN6thrust23THRUST_200600_302600_NS6detail15normal_iteratorINS9_10device_ptrIiEEEESE_PS5_SF_jNS0_19identity_decomposerENS1_16block_id_wrapperIjLb0EEEEE10hipError_tT1_PNSt15iterator_traitsISK_E10value_typeET2_T3_PNSL_ISQ_E10value_typeET4_T5_PSV_SW_PNS1_23onesweep_lookback_stateEbbT6_jjT7_P12ihipStream_tbENKUlT_T0_SK_SP_E_clIPiSE_SF_SF_EEDaS13_S14_SK_SP_EUlS13_E_NS1_11comp_targetILNS1_3genE3ELNS1_11target_archE908ELNS1_3gpuE7ELNS1_3repE0EEENS1_47radix_sort_onesweep_sort_config_static_selectorELNS0_4arch9wavefront6targetE1EEEvSK_ ; -- Begin function _ZN7rocprim17ROCPRIM_400000_NS6detail17trampoline_kernelINS0_14default_configENS1_35radix_sort_onesweep_config_selectorIiNS0_10empty_typeEEEZZNS1_29radix_sort_onesweep_iterationIS3_Lb1EN6thrust23THRUST_200600_302600_NS6detail15normal_iteratorINS9_10device_ptrIiEEEESE_PS5_SF_jNS0_19identity_decomposerENS1_16block_id_wrapperIjLb0EEEEE10hipError_tT1_PNSt15iterator_traitsISK_E10value_typeET2_T3_PNSL_ISQ_E10value_typeET4_T5_PSV_SW_PNS1_23onesweep_lookback_stateEbbT6_jjT7_P12ihipStream_tbENKUlT_T0_SK_SP_E_clIPiSE_SF_SF_EEDaS13_S14_SK_SP_EUlS13_E_NS1_11comp_targetILNS1_3genE3ELNS1_11target_archE908ELNS1_3gpuE7ELNS1_3repE0EEENS1_47radix_sort_onesweep_sort_config_static_selectorELNS0_4arch9wavefront6targetE1EEEvSK_
	.globl	_ZN7rocprim17ROCPRIM_400000_NS6detail17trampoline_kernelINS0_14default_configENS1_35radix_sort_onesweep_config_selectorIiNS0_10empty_typeEEEZZNS1_29radix_sort_onesweep_iterationIS3_Lb1EN6thrust23THRUST_200600_302600_NS6detail15normal_iteratorINS9_10device_ptrIiEEEESE_PS5_SF_jNS0_19identity_decomposerENS1_16block_id_wrapperIjLb0EEEEE10hipError_tT1_PNSt15iterator_traitsISK_E10value_typeET2_T3_PNSL_ISQ_E10value_typeET4_T5_PSV_SW_PNS1_23onesweep_lookback_stateEbbT6_jjT7_P12ihipStream_tbENKUlT_T0_SK_SP_E_clIPiSE_SF_SF_EEDaS13_S14_SK_SP_EUlS13_E_NS1_11comp_targetILNS1_3genE3ELNS1_11target_archE908ELNS1_3gpuE7ELNS1_3repE0EEENS1_47radix_sort_onesweep_sort_config_static_selectorELNS0_4arch9wavefront6targetE1EEEvSK_
	.p2align	8
	.type	_ZN7rocprim17ROCPRIM_400000_NS6detail17trampoline_kernelINS0_14default_configENS1_35radix_sort_onesweep_config_selectorIiNS0_10empty_typeEEEZZNS1_29radix_sort_onesweep_iterationIS3_Lb1EN6thrust23THRUST_200600_302600_NS6detail15normal_iteratorINS9_10device_ptrIiEEEESE_PS5_SF_jNS0_19identity_decomposerENS1_16block_id_wrapperIjLb0EEEEE10hipError_tT1_PNSt15iterator_traitsISK_E10value_typeET2_T3_PNSL_ISQ_E10value_typeET4_T5_PSV_SW_PNS1_23onesweep_lookback_stateEbbT6_jjT7_P12ihipStream_tbENKUlT_T0_SK_SP_E_clIPiSE_SF_SF_EEDaS13_S14_SK_SP_EUlS13_E_NS1_11comp_targetILNS1_3genE3ELNS1_11target_archE908ELNS1_3gpuE7ELNS1_3repE0EEENS1_47radix_sort_onesweep_sort_config_static_selectorELNS0_4arch9wavefront6targetE1EEEvSK_,@function
_ZN7rocprim17ROCPRIM_400000_NS6detail17trampoline_kernelINS0_14default_configENS1_35radix_sort_onesweep_config_selectorIiNS0_10empty_typeEEEZZNS1_29radix_sort_onesweep_iterationIS3_Lb1EN6thrust23THRUST_200600_302600_NS6detail15normal_iteratorINS9_10device_ptrIiEEEESE_PS5_SF_jNS0_19identity_decomposerENS1_16block_id_wrapperIjLb0EEEEE10hipError_tT1_PNSt15iterator_traitsISK_E10value_typeET2_T3_PNSL_ISQ_E10value_typeET4_T5_PSV_SW_PNS1_23onesweep_lookback_stateEbbT6_jjT7_P12ihipStream_tbENKUlT_T0_SK_SP_E_clIPiSE_SF_SF_EEDaS13_S14_SK_SP_EUlS13_E_NS1_11comp_targetILNS1_3genE3ELNS1_11target_archE908ELNS1_3gpuE7ELNS1_3repE0EEENS1_47radix_sort_onesweep_sort_config_static_selectorELNS0_4arch9wavefront6targetE1EEEvSK_: ; @_ZN7rocprim17ROCPRIM_400000_NS6detail17trampoline_kernelINS0_14default_configENS1_35radix_sort_onesweep_config_selectorIiNS0_10empty_typeEEEZZNS1_29radix_sort_onesweep_iterationIS3_Lb1EN6thrust23THRUST_200600_302600_NS6detail15normal_iteratorINS9_10device_ptrIiEEEESE_PS5_SF_jNS0_19identity_decomposerENS1_16block_id_wrapperIjLb0EEEEE10hipError_tT1_PNSt15iterator_traitsISK_E10value_typeET2_T3_PNSL_ISQ_E10value_typeET4_T5_PSV_SW_PNS1_23onesweep_lookback_stateEbbT6_jjT7_P12ihipStream_tbENKUlT_T0_SK_SP_E_clIPiSE_SF_SF_EEDaS13_S14_SK_SP_EUlS13_E_NS1_11comp_targetILNS1_3genE3ELNS1_11target_archE908ELNS1_3gpuE7ELNS1_3repE0EEENS1_47radix_sort_onesweep_sort_config_static_selectorELNS0_4arch9wavefront6targetE1EEEvSK_
; %bb.0:
	.section	.rodata,"a",@progbits
	.p2align	6, 0x0
	.amdhsa_kernel _ZN7rocprim17ROCPRIM_400000_NS6detail17trampoline_kernelINS0_14default_configENS1_35radix_sort_onesweep_config_selectorIiNS0_10empty_typeEEEZZNS1_29radix_sort_onesweep_iterationIS3_Lb1EN6thrust23THRUST_200600_302600_NS6detail15normal_iteratorINS9_10device_ptrIiEEEESE_PS5_SF_jNS0_19identity_decomposerENS1_16block_id_wrapperIjLb0EEEEE10hipError_tT1_PNSt15iterator_traitsISK_E10value_typeET2_T3_PNSL_ISQ_E10value_typeET4_T5_PSV_SW_PNS1_23onesweep_lookback_stateEbbT6_jjT7_P12ihipStream_tbENKUlT_T0_SK_SP_E_clIPiSE_SF_SF_EEDaS13_S14_SK_SP_EUlS13_E_NS1_11comp_targetILNS1_3genE3ELNS1_11target_archE908ELNS1_3gpuE7ELNS1_3repE0EEENS1_47radix_sort_onesweep_sort_config_static_selectorELNS0_4arch9wavefront6targetE1EEEvSK_
		.amdhsa_group_segment_fixed_size 0
		.amdhsa_private_segment_fixed_size 0
		.amdhsa_kernarg_size 88
		.amdhsa_user_sgpr_count 2
		.amdhsa_user_sgpr_dispatch_ptr 0
		.amdhsa_user_sgpr_queue_ptr 0
		.amdhsa_user_sgpr_kernarg_segment_ptr 1
		.amdhsa_user_sgpr_dispatch_id 0
		.amdhsa_user_sgpr_kernarg_preload_length 0
		.amdhsa_user_sgpr_kernarg_preload_offset 0
		.amdhsa_user_sgpr_private_segment_size 0
		.amdhsa_uses_dynamic_stack 0
		.amdhsa_enable_private_segment 0
		.amdhsa_system_sgpr_workgroup_id_x 1
		.amdhsa_system_sgpr_workgroup_id_y 0
		.amdhsa_system_sgpr_workgroup_id_z 0
		.amdhsa_system_sgpr_workgroup_info 0
		.amdhsa_system_vgpr_workitem_id 0
		.amdhsa_next_free_vgpr 1
		.amdhsa_next_free_sgpr 0
		.amdhsa_accum_offset 4
		.amdhsa_reserve_vcc 0
		.amdhsa_float_round_mode_32 0
		.amdhsa_float_round_mode_16_64 0
		.amdhsa_float_denorm_mode_32 3
		.amdhsa_float_denorm_mode_16_64 3
		.amdhsa_dx10_clamp 1
		.amdhsa_ieee_mode 1
		.amdhsa_fp16_overflow 0
		.amdhsa_tg_split 0
		.amdhsa_exception_fp_ieee_invalid_op 0
		.amdhsa_exception_fp_denorm_src 0
		.amdhsa_exception_fp_ieee_div_zero 0
		.amdhsa_exception_fp_ieee_overflow 0
		.amdhsa_exception_fp_ieee_underflow 0
		.amdhsa_exception_fp_ieee_inexact 0
		.amdhsa_exception_int_div_zero 0
	.end_amdhsa_kernel
	.section	.text._ZN7rocprim17ROCPRIM_400000_NS6detail17trampoline_kernelINS0_14default_configENS1_35radix_sort_onesweep_config_selectorIiNS0_10empty_typeEEEZZNS1_29radix_sort_onesweep_iterationIS3_Lb1EN6thrust23THRUST_200600_302600_NS6detail15normal_iteratorINS9_10device_ptrIiEEEESE_PS5_SF_jNS0_19identity_decomposerENS1_16block_id_wrapperIjLb0EEEEE10hipError_tT1_PNSt15iterator_traitsISK_E10value_typeET2_T3_PNSL_ISQ_E10value_typeET4_T5_PSV_SW_PNS1_23onesweep_lookback_stateEbbT6_jjT7_P12ihipStream_tbENKUlT_T0_SK_SP_E_clIPiSE_SF_SF_EEDaS13_S14_SK_SP_EUlS13_E_NS1_11comp_targetILNS1_3genE3ELNS1_11target_archE908ELNS1_3gpuE7ELNS1_3repE0EEENS1_47radix_sort_onesweep_sort_config_static_selectorELNS0_4arch9wavefront6targetE1EEEvSK_,"axG",@progbits,_ZN7rocprim17ROCPRIM_400000_NS6detail17trampoline_kernelINS0_14default_configENS1_35radix_sort_onesweep_config_selectorIiNS0_10empty_typeEEEZZNS1_29radix_sort_onesweep_iterationIS3_Lb1EN6thrust23THRUST_200600_302600_NS6detail15normal_iteratorINS9_10device_ptrIiEEEESE_PS5_SF_jNS0_19identity_decomposerENS1_16block_id_wrapperIjLb0EEEEE10hipError_tT1_PNSt15iterator_traitsISK_E10value_typeET2_T3_PNSL_ISQ_E10value_typeET4_T5_PSV_SW_PNS1_23onesweep_lookback_stateEbbT6_jjT7_P12ihipStream_tbENKUlT_T0_SK_SP_E_clIPiSE_SF_SF_EEDaS13_S14_SK_SP_EUlS13_E_NS1_11comp_targetILNS1_3genE3ELNS1_11target_archE908ELNS1_3gpuE7ELNS1_3repE0EEENS1_47radix_sort_onesweep_sort_config_static_selectorELNS0_4arch9wavefront6targetE1EEEvSK_,comdat
.Lfunc_end386:
	.size	_ZN7rocprim17ROCPRIM_400000_NS6detail17trampoline_kernelINS0_14default_configENS1_35radix_sort_onesweep_config_selectorIiNS0_10empty_typeEEEZZNS1_29radix_sort_onesweep_iterationIS3_Lb1EN6thrust23THRUST_200600_302600_NS6detail15normal_iteratorINS9_10device_ptrIiEEEESE_PS5_SF_jNS0_19identity_decomposerENS1_16block_id_wrapperIjLb0EEEEE10hipError_tT1_PNSt15iterator_traitsISK_E10value_typeET2_T3_PNSL_ISQ_E10value_typeET4_T5_PSV_SW_PNS1_23onesweep_lookback_stateEbbT6_jjT7_P12ihipStream_tbENKUlT_T0_SK_SP_E_clIPiSE_SF_SF_EEDaS13_S14_SK_SP_EUlS13_E_NS1_11comp_targetILNS1_3genE3ELNS1_11target_archE908ELNS1_3gpuE7ELNS1_3repE0EEENS1_47radix_sort_onesweep_sort_config_static_selectorELNS0_4arch9wavefront6targetE1EEEvSK_, .Lfunc_end386-_ZN7rocprim17ROCPRIM_400000_NS6detail17trampoline_kernelINS0_14default_configENS1_35radix_sort_onesweep_config_selectorIiNS0_10empty_typeEEEZZNS1_29radix_sort_onesweep_iterationIS3_Lb1EN6thrust23THRUST_200600_302600_NS6detail15normal_iteratorINS9_10device_ptrIiEEEESE_PS5_SF_jNS0_19identity_decomposerENS1_16block_id_wrapperIjLb0EEEEE10hipError_tT1_PNSt15iterator_traitsISK_E10value_typeET2_T3_PNSL_ISQ_E10value_typeET4_T5_PSV_SW_PNS1_23onesweep_lookback_stateEbbT6_jjT7_P12ihipStream_tbENKUlT_T0_SK_SP_E_clIPiSE_SF_SF_EEDaS13_S14_SK_SP_EUlS13_E_NS1_11comp_targetILNS1_3genE3ELNS1_11target_archE908ELNS1_3gpuE7ELNS1_3repE0EEENS1_47radix_sort_onesweep_sort_config_static_selectorELNS0_4arch9wavefront6targetE1EEEvSK_
                                        ; -- End function
	.set _ZN7rocprim17ROCPRIM_400000_NS6detail17trampoline_kernelINS0_14default_configENS1_35radix_sort_onesweep_config_selectorIiNS0_10empty_typeEEEZZNS1_29radix_sort_onesweep_iterationIS3_Lb1EN6thrust23THRUST_200600_302600_NS6detail15normal_iteratorINS9_10device_ptrIiEEEESE_PS5_SF_jNS0_19identity_decomposerENS1_16block_id_wrapperIjLb0EEEEE10hipError_tT1_PNSt15iterator_traitsISK_E10value_typeET2_T3_PNSL_ISQ_E10value_typeET4_T5_PSV_SW_PNS1_23onesweep_lookback_stateEbbT6_jjT7_P12ihipStream_tbENKUlT_T0_SK_SP_E_clIPiSE_SF_SF_EEDaS13_S14_SK_SP_EUlS13_E_NS1_11comp_targetILNS1_3genE3ELNS1_11target_archE908ELNS1_3gpuE7ELNS1_3repE0EEENS1_47radix_sort_onesweep_sort_config_static_selectorELNS0_4arch9wavefront6targetE1EEEvSK_.num_vgpr, 0
	.set _ZN7rocprim17ROCPRIM_400000_NS6detail17trampoline_kernelINS0_14default_configENS1_35radix_sort_onesweep_config_selectorIiNS0_10empty_typeEEEZZNS1_29radix_sort_onesweep_iterationIS3_Lb1EN6thrust23THRUST_200600_302600_NS6detail15normal_iteratorINS9_10device_ptrIiEEEESE_PS5_SF_jNS0_19identity_decomposerENS1_16block_id_wrapperIjLb0EEEEE10hipError_tT1_PNSt15iterator_traitsISK_E10value_typeET2_T3_PNSL_ISQ_E10value_typeET4_T5_PSV_SW_PNS1_23onesweep_lookback_stateEbbT6_jjT7_P12ihipStream_tbENKUlT_T0_SK_SP_E_clIPiSE_SF_SF_EEDaS13_S14_SK_SP_EUlS13_E_NS1_11comp_targetILNS1_3genE3ELNS1_11target_archE908ELNS1_3gpuE7ELNS1_3repE0EEENS1_47radix_sort_onesweep_sort_config_static_selectorELNS0_4arch9wavefront6targetE1EEEvSK_.num_agpr, 0
	.set _ZN7rocprim17ROCPRIM_400000_NS6detail17trampoline_kernelINS0_14default_configENS1_35radix_sort_onesweep_config_selectorIiNS0_10empty_typeEEEZZNS1_29radix_sort_onesweep_iterationIS3_Lb1EN6thrust23THRUST_200600_302600_NS6detail15normal_iteratorINS9_10device_ptrIiEEEESE_PS5_SF_jNS0_19identity_decomposerENS1_16block_id_wrapperIjLb0EEEEE10hipError_tT1_PNSt15iterator_traitsISK_E10value_typeET2_T3_PNSL_ISQ_E10value_typeET4_T5_PSV_SW_PNS1_23onesweep_lookback_stateEbbT6_jjT7_P12ihipStream_tbENKUlT_T0_SK_SP_E_clIPiSE_SF_SF_EEDaS13_S14_SK_SP_EUlS13_E_NS1_11comp_targetILNS1_3genE3ELNS1_11target_archE908ELNS1_3gpuE7ELNS1_3repE0EEENS1_47radix_sort_onesweep_sort_config_static_selectorELNS0_4arch9wavefront6targetE1EEEvSK_.numbered_sgpr, 0
	.set _ZN7rocprim17ROCPRIM_400000_NS6detail17trampoline_kernelINS0_14default_configENS1_35radix_sort_onesweep_config_selectorIiNS0_10empty_typeEEEZZNS1_29radix_sort_onesweep_iterationIS3_Lb1EN6thrust23THRUST_200600_302600_NS6detail15normal_iteratorINS9_10device_ptrIiEEEESE_PS5_SF_jNS0_19identity_decomposerENS1_16block_id_wrapperIjLb0EEEEE10hipError_tT1_PNSt15iterator_traitsISK_E10value_typeET2_T3_PNSL_ISQ_E10value_typeET4_T5_PSV_SW_PNS1_23onesweep_lookback_stateEbbT6_jjT7_P12ihipStream_tbENKUlT_T0_SK_SP_E_clIPiSE_SF_SF_EEDaS13_S14_SK_SP_EUlS13_E_NS1_11comp_targetILNS1_3genE3ELNS1_11target_archE908ELNS1_3gpuE7ELNS1_3repE0EEENS1_47radix_sort_onesweep_sort_config_static_selectorELNS0_4arch9wavefront6targetE1EEEvSK_.num_named_barrier, 0
	.set _ZN7rocprim17ROCPRIM_400000_NS6detail17trampoline_kernelINS0_14default_configENS1_35radix_sort_onesweep_config_selectorIiNS0_10empty_typeEEEZZNS1_29radix_sort_onesweep_iterationIS3_Lb1EN6thrust23THRUST_200600_302600_NS6detail15normal_iteratorINS9_10device_ptrIiEEEESE_PS5_SF_jNS0_19identity_decomposerENS1_16block_id_wrapperIjLb0EEEEE10hipError_tT1_PNSt15iterator_traitsISK_E10value_typeET2_T3_PNSL_ISQ_E10value_typeET4_T5_PSV_SW_PNS1_23onesweep_lookback_stateEbbT6_jjT7_P12ihipStream_tbENKUlT_T0_SK_SP_E_clIPiSE_SF_SF_EEDaS13_S14_SK_SP_EUlS13_E_NS1_11comp_targetILNS1_3genE3ELNS1_11target_archE908ELNS1_3gpuE7ELNS1_3repE0EEENS1_47radix_sort_onesweep_sort_config_static_selectorELNS0_4arch9wavefront6targetE1EEEvSK_.private_seg_size, 0
	.set _ZN7rocprim17ROCPRIM_400000_NS6detail17trampoline_kernelINS0_14default_configENS1_35radix_sort_onesweep_config_selectorIiNS0_10empty_typeEEEZZNS1_29radix_sort_onesweep_iterationIS3_Lb1EN6thrust23THRUST_200600_302600_NS6detail15normal_iteratorINS9_10device_ptrIiEEEESE_PS5_SF_jNS0_19identity_decomposerENS1_16block_id_wrapperIjLb0EEEEE10hipError_tT1_PNSt15iterator_traitsISK_E10value_typeET2_T3_PNSL_ISQ_E10value_typeET4_T5_PSV_SW_PNS1_23onesweep_lookback_stateEbbT6_jjT7_P12ihipStream_tbENKUlT_T0_SK_SP_E_clIPiSE_SF_SF_EEDaS13_S14_SK_SP_EUlS13_E_NS1_11comp_targetILNS1_3genE3ELNS1_11target_archE908ELNS1_3gpuE7ELNS1_3repE0EEENS1_47radix_sort_onesweep_sort_config_static_selectorELNS0_4arch9wavefront6targetE1EEEvSK_.uses_vcc, 0
	.set _ZN7rocprim17ROCPRIM_400000_NS6detail17trampoline_kernelINS0_14default_configENS1_35radix_sort_onesweep_config_selectorIiNS0_10empty_typeEEEZZNS1_29radix_sort_onesweep_iterationIS3_Lb1EN6thrust23THRUST_200600_302600_NS6detail15normal_iteratorINS9_10device_ptrIiEEEESE_PS5_SF_jNS0_19identity_decomposerENS1_16block_id_wrapperIjLb0EEEEE10hipError_tT1_PNSt15iterator_traitsISK_E10value_typeET2_T3_PNSL_ISQ_E10value_typeET4_T5_PSV_SW_PNS1_23onesweep_lookback_stateEbbT6_jjT7_P12ihipStream_tbENKUlT_T0_SK_SP_E_clIPiSE_SF_SF_EEDaS13_S14_SK_SP_EUlS13_E_NS1_11comp_targetILNS1_3genE3ELNS1_11target_archE908ELNS1_3gpuE7ELNS1_3repE0EEENS1_47radix_sort_onesweep_sort_config_static_selectorELNS0_4arch9wavefront6targetE1EEEvSK_.uses_flat_scratch, 0
	.set _ZN7rocprim17ROCPRIM_400000_NS6detail17trampoline_kernelINS0_14default_configENS1_35radix_sort_onesweep_config_selectorIiNS0_10empty_typeEEEZZNS1_29radix_sort_onesweep_iterationIS3_Lb1EN6thrust23THRUST_200600_302600_NS6detail15normal_iteratorINS9_10device_ptrIiEEEESE_PS5_SF_jNS0_19identity_decomposerENS1_16block_id_wrapperIjLb0EEEEE10hipError_tT1_PNSt15iterator_traitsISK_E10value_typeET2_T3_PNSL_ISQ_E10value_typeET4_T5_PSV_SW_PNS1_23onesweep_lookback_stateEbbT6_jjT7_P12ihipStream_tbENKUlT_T0_SK_SP_E_clIPiSE_SF_SF_EEDaS13_S14_SK_SP_EUlS13_E_NS1_11comp_targetILNS1_3genE3ELNS1_11target_archE908ELNS1_3gpuE7ELNS1_3repE0EEENS1_47radix_sort_onesweep_sort_config_static_selectorELNS0_4arch9wavefront6targetE1EEEvSK_.has_dyn_sized_stack, 0
	.set _ZN7rocprim17ROCPRIM_400000_NS6detail17trampoline_kernelINS0_14default_configENS1_35radix_sort_onesweep_config_selectorIiNS0_10empty_typeEEEZZNS1_29radix_sort_onesweep_iterationIS3_Lb1EN6thrust23THRUST_200600_302600_NS6detail15normal_iteratorINS9_10device_ptrIiEEEESE_PS5_SF_jNS0_19identity_decomposerENS1_16block_id_wrapperIjLb0EEEEE10hipError_tT1_PNSt15iterator_traitsISK_E10value_typeET2_T3_PNSL_ISQ_E10value_typeET4_T5_PSV_SW_PNS1_23onesweep_lookback_stateEbbT6_jjT7_P12ihipStream_tbENKUlT_T0_SK_SP_E_clIPiSE_SF_SF_EEDaS13_S14_SK_SP_EUlS13_E_NS1_11comp_targetILNS1_3genE3ELNS1_11target_archE908ELNS1_3gpuE7ELNS1_3repE0EEENS1_47radix_sort_onesweep_sort_config_static_selectorELNS0_4arch9wavefront6targetE1EEEvSK_.has_recursion, 0
	.set _ZN7rocprim17ROCPRIM_400000_NS6detail17trampoline_kernelINS0_14default_configENS1_35radix_sort_onesweep_config_selectorIiNS0_10empty_typeEEEZZNS1_29radix_sort_onesweep_iterationIS3_Lb1EN6thrust23THRUST_200600_302600_NS6detail15normal_iteratorINS9_10device_ptrIiEEEESE_PS5_SF_jNS0_19identity_decomposerENS1_16block_id_wrapperIjLb0EEEEE10hipError_tT1_PNSt15iterator_traitsISK_E10value_typeET2_T3_PNSL_ISQ_E10value_typeET4_T5_PSV_SW_PNS1_23onesweep_lookback_stateEbbT6_jjT7_P12ihipStream_tbENKUlT_T0_SK_SP_E_clIPiSE_SF_SF_EEDaS13_S14_SK_SP_EUlS13_E_NS1_11comp_targetILNS1_3genE3ELNS1_11target_archE908ELNS1_3gpuE7ELNS1_3repE0EEENS1_47radix_sort_onesweep_sort_config_static_selectorELNS0_4arch9wavefront6targetE1EEEvSK_.has_indirect_call, 0
	.section	.AMDGPU.csdata,"",@progbits
; Kernel info:
; codeLenInByte = 0
; TotalNumSgprs: 6
; NumVgprs: 0
; NumAgprs: 0
; TotalNumVgprs: 0
; ScratchSize: 0
; MemoryBound: 0
; FloatMode: 240
; IeeeMode: 1
; LDSByteSize: 0 bytes/workgroup (compile time only)
; SGPRBlocks: 0
; VGPRBlocks: 0
; NumSGPRsForWavesPerEU: 6
; NumVGPRsForWavesPerEU: 1
; AccumOffset: 4
; Occupancy: 8
; WaveLimiterHint : 0
; COMPUTE_PGM_RSRC2:SCRATCH_EN: 0
; COMPUTE_PGM_RSRC2:USER_SGPR: 2
; COMPUTE_PGM_RSRC2:TRAP_HANDLER: 0
; COMPUTE_PGM_RSRC2:TGID_X_EN: 1
; COMPUTE_PGM_RSRC2:TGID_Y_EN: 0
; COMPUTE_PGM_RSRC2:TGID_Z_EN: 0
; COMPUTE_PGM_RSRC2:TIDIG_COMP_CNT: 0
; COMPUTE_PGM_RSRC3_GFX90A:ACCUM_OFFSET: 0
; COMPUTE_PGM_RSRC3_GFX90A:TG_SPLIT: 0
	.section	.text._ZN7rocprim17ROCPRIM_400000_NS6detail17trampoline_kernelINS0_14default_configENS1_35radix_sort_onesweep_config_selectorIiNS0_10empty_typeEEEZZNS1_29radix_sort_onesweep_iterationIS3_Lb1EN6thrust23THRUST_200600_302600_NS6detail15normal_iteratorINS9_10device_ptrIiEEEESE_PS5_SF_jNS0_19identity_decomposerENS1_16block_id_wrapperIjLb0EEEEE10hipError_tT1_PNSt15iterator_traitsISK_E10value_typeET2_T3_PNSL_ISQ_E10value_typeET4_T5_PSV_SW_PNS1_23onesweep_lookback_stateEbbT6_jjT7_P12ihipStream_tbENKUlT_T0_SK_SP_E_clIPiSE_SF_SF_EEDaS13_S14_SK_SP_EUlS13_E_NS1_11comp_targetILNS1_3genE10ELNS1_11target_archE1201ELNS1_3gpuE5ELNS1_3repE0EEENS1_47radix_sort_onesweep_sort_config_static_selectorELNS0_4arch9wavefront6targetE1EEEvSK_,"axG",@progbits,_ZN7rocprim17ROCPRIM_400000_NS6detail17trampoline_kernelINS0_14default_configENS1_35radix_sort_onesweep_config_selectorIiNS0_10empty_typeEEEZZNS1_29radix_sort_onesweep_iterationIS3_Lb1EN6thrust23THRUST_200600_302600_NS6detail15normal_iteratorINS9_10device_ptrIiEEEESE_PS5_SF_jNS0_19identity_decomposerENS1_16block_id_wrapperIjLb0EEEEE10hipError_tT1_PNSt15iterator_traitsISK_E10value_typeET2_T3_PNSL_ISQ_E10value_typeET4_T5_PSV_SW_PNS1_23onesweep_lookback_stateEbbT6_jjT7_P12ihipStream_tbENKUlT_T0_SK_SP_E_clIPiSE_SF_SF_EEDaS13_S14_SK_SP_EUlS13_E_NS1_11comp_targetILNS1_3genE10ELNS1_11target_archE1201ELNS1_3gpuE5ELNS1_3repE0EEENS1_47radix_sort_onesweep_sort_config_static_selectorELNS0_4arch9wavefront6targetE1EEEvSK_,comdat
	.protected	_ZN7rocprim17ROCPRIM_400000_NS6detail17trampoline_kernelINS0_14default_configENS1_35radix_sort_onesweep_config_selectorIiNS0_10empty_typeEEEZZNS1_29radix_sort_onesweep_iterationIS3_Lb1EN6thrust23THRUST_200600_302600_NS6detail15normal_iteratorINS9_10device_ptrIiEEEESE_PS5_SF_jNS0_19identity_decomposerENS1_16block_id_wrapperIjLb0EEEEE10hipError_tT1_PNSt15iterator_traitsISK_E10value_typeET2_T3_PNSL_ISQ_E10value_typeET4_T5_PSV_SW_PNS1_23onesweep_lookback_stateEbbT6_jjT7_P12ihipStream_tbENKUlT_T0_SK_SP_E_clIPiSE_SF_SF_EEDaS13_S14_SK_SP_EUlS13_E_NS1_11comp_targetILNS1_3genE10ELNS1_11target_archE1201ELNS1_3gpuE5ELNS1_3repE0EEENS1_47radix_sort_onesweep_sort_config_static_selectorELNS0_4arch9wavefront6targetE1EEEvSK_ ; -- Begin function _ZN7rocprim17ROCPRIM_400000_NS6detail17trampoline_kernelINS0_14default_configENS1_35radix_sort_onesweep_config_selectorIiNS0_10empty_typeEEEZZNS1_29radix_sort_onesweep_iterationIS3_Lb1EN6thrust23THRUST_200600_302600_NS6detail15normal_iteratorINS9_10device_ptrIiEEEESE_PS5_SF_jNS0_19identity_decomposerENS1_16block_id_wrapperIjLb0EEEEE10hipError_tT1_PNSt15iterator_traitsISK_E10value_typeET2_T3_PNSL_ISQ_E10value_typeET4_T5_PSV_SW_PNS1_23onesweep_lookback_stateEbbT6_jjT7_P12ihipStream_tbENKUlT_T0_SK_SP_E_clIPiSE_SF_SF_EEDaS13_S14_SK_SP_EUlS13_E_NS1_11comp_targetILNS1_3genE10ELNS1_11target_archE1201ELNS1_3gpuE5ELNS1_3repE0EEENS1_47radix_sort_onesweep_sort_config_static_selectorELNS0_4arch9wavefront6targetE1EEEvSK_
	.globl	_ZN7rocprim17ROCPRIM_400000_NS6detail17trampoline_kernelINS0_14default_configENS1_35radix_sort_onesweep_config_selectorIiNS0_10empty_typeEEEZZNS1_29radix_sort_onesweep_iterationIS3_Lb1EN6thrust23THRUST_200600_302600_NS6detail15normal_iteratorINS9_10device_ptrIiEEEESE_PS5_SF_jNS0_19identity_decomposerENS1_16block_id_wrapperIjLb0EEEEE10hipError_tT1_PNSt15iterator_traitsISK_E10value_typeET2_T3_PNSL_ISQ_E10value_typeET4_T5_PSV_SW_PNS1_23onesweep_lookback_stateEbbT6_jjT7_P12ihipStream_tbENKUlT_T0_SK_SP_E_clIPiSE_SF_SF_EEDaS13_S14_SK_SP_EUlS13_E_NS1_11comp_targetILNS1_3genE10ELNS1_11target_archE1201ELNS1_3gpuE5ELNS1_3repE0EEENS1_47radix_sort_onesweep_sort_config_static_selectorELNS0_4arch9wavefront6targetE1EEEvSK_
	.p2align	8
	.type	_ZN7rocprim17ROCPRIM_400000_NS6detail17trampoline_kernelINS0_14default_configENS1_35radix_sort_onesweep_config_selectorIiNS0_10empty_typeEEEZZNS1_29radix_sort_onesweep_iterationIS3_Lb1EN6thrust23THRUST_200600_302600_NS6detail15normal_iteratorINS9_10device_ptrIiEEEESE_PS5_SF_jNS0_19identity_decomposerENS1_16block_id_wrapperIjLb0EEEEE10hipError_tT1_PNSt15iterator_traitsISK_E10value_typeET2_T3_PNSL_ISQ_E10value_typeET4_T5_PSV_SW_PNS1_23onesweep_lookback_stateEbbT6_jjT7_P12ihipStream_tbENKUlT_T0_SK_SP_E_clIPiSE_SF_SF_EEDaS13_S14_SK_SP_EUlS13_E_NS1_11comp_targetILNS1_3genE10ELNS1_11target_archE1201ELNS1_3gpuE5ELNS1_3repE0EEENS1_47radix_sort_onesweep_sort_config_static_selectorELNS0_4arch9wavefront6targetE1EEEvSK_,@function
_ZN7rocprim17ROCPRIM_400000_NS6detail17trampoline_kernelINS0_14default_configENS1_35radix_sort_onesweep_config_selectorIiNS0_10empty_typeEEEZZNS1_29radix_sort_onesweep_iterationIS3_Lb1EN6thrust23THRUST_200600_302600_NS6detail15normal_iteratorINS9_10device_ptrIiEEEESE_PS5_SF_jNS0_19identity_decomposerENS1_16block_id_wrapperIjLb0EEEEE10hipError_tT1_PNSt15iterator_traitsISK_E10value_typeET2_T3_PNSL_ISQ_E10value_typeET4_T5_PSV_SW_PNS1_23onesweep_lookback_stateEbbT6_jjT7_P12ihipStream_tbENKUlT_T0_SK_SP_E_clIPiSE_SF_SF_EEDaS13_S14_SK_SP_EUlS13_E_NS1_11comp_targetILNS1_3genE10ELNS1_11target_archE1201ELNS1_3gpuE5ELNS1_3repE0EEENS1_47radix_sort_onesweep_sort_config_static_selectorELNS0_4arch9wavefront6targetE1EEEvSK_: ; @_ZN7rocprim17ROCPRIM_400000_NS6detail17trampoline_kernelINS0_14default_configENS1_35radix_sort_onesweep_config_selectorIiNS0_10empty_typeEEEZZNS1_29radix_sort_onesweep_iterationIS3_Lb1EN6thrust23THRUST_200600_302600_NS6detail15normal_iteratorINS9_10device_ptrIiEEEESE_PS5_SF_jNS0_19identity_decomposerENS1_16block_id_wrapperIjLb0EEEEE10hipError_tT1_PNSt15iterator_traitsISK_E10value_typeET2_T3_PNSL_ISQ_E10value_typeET4_T5_PSV_SW_PNS1_23onesweep_lookback_stateEbbT6_jjT7_P12ihipStream_tbENKUlT_T0_SK_SP_E_clIPiSE_SF_SF_EEDaS13_S14_SK_SP_EUlS13_E_NS1_11comp_targetILNS1_3genE10ELNS1_11target_archE1201ELNS1_3gpuE5ELNS1_3repE0EEENS1_47radix_sort_onesweep_sort_config_static_selectorELNS0_4arch9wavefront6targetE1EEEvSK_
; %bb.0:
	.section	.rodata,"a",@progbits
	.p2align	6, 0x0
	.amdhsa_kernel _ZN7rocprim17ROCPRIM_400000_NS6detail17trampoline_kernelINS0_14default_configENS1_35radix_sort_onesweep_config_selectorIiNS0_10empty_typeEEEZZNS1_29radix_sort_onesweep_iterationIS3_Lb1EN6thrust23THRUST_200600_302600_NS6detail15normal_iteratorINS9_10device_ptrIiEEEESE_PS5_SF_jNS0_19identity_decomposerENS1_16block_id_wrapperIjLb0EEEEE10hipError_tT1_PNSt15iterator_traitsISK_E10value_typeET2_T3_PNSL_ISQ_E10value_typeET4_T5_PSV_SW_PNS1_23onesweep_lookback_stateEbbT6_jjT7_P12ihipStream_tbENKUlT_T0_SK_SP_E_clIPiSE_SF_SF_EEDaS13_S14_SK_SP_EUlS13_E_NS1_11comp_targetILNS1_3genE10ELNS1_11target_archE1201ELNS1_3gpuE5ELNS1_3repE0EEENS1_47radix_sort_onesweep_sort_config_static_selectorELNS0_4arch9wavefront6targetE1EEEvSK_
		.amdhsa_group_segment_fixed_size 0
		.amdhsa_private_segment_fixed_size 0
		.amdhsa_kernarg_size 88
		.amdhsa_user_sgpr_count 2
		.amdhsa_user_sgpr_dispatch_ptr 0
		.amdhsa_user_sgpr_queue_ptr 0
		.amdhsa_user_sgpr_kernarg_segment_ptr 1
		.amdhsa_user_sgpr_dispatch_id 0
		.amdhsa_user_sgpr_kernarg_preload_length 0
		.amdhsa_user_sgpr_kernarg_preload_offset 0
		.amdhsa_user_sgpr_private_segment_size 0
		.amdhsa_uses_dynamic_stack 0
		.amdhsa_enable_private_segment 0
		.amdhsa_system_sgpr_workgroup_id_x 1
		.amdhsa_system_sgpr_workgroup_id_y 0
		.amdhsa_system_sgpr_workgroup_id_z 0
		.amdhsa_system_sgpr_workgroup_info 0
		.amdhsa_system_vgpr_workitem_id 0
		.amdhsa_next_free_vgpr 1
		.amdhsa_next_free_sgpr 0
		.amdhsa_accum_offset 4
		.amdhsa_reserve_vcc 0
		.amdhsa_float_round_mode_32 0
		.amdhsa_float_round_mode_16_64 0
		.amdhsa_float_denorm_mode_32 3
		.amdhsa_float_denorm_mode_16_64 3
		.amdhsa_dx10_clamp 1
		.amdhsa_ieee_mode 1
		.amdhsa_fp16_overflow 0
		.amdhsa_tg_split 0
		.amdhsa_exception_fp_ieee_invalid_op 0
		.amdhsa_exception_fp_denorm_src 0
		.amdhsa_exception_fp_ieee_div_zero 0
		.amdhsa_exception_fp_ieee_overflow 0
		.amdhsa_exception_fp_ieee_underflow 0
		.amdhsa_exception_fp_ieee_inexact 0
		.amdhsa_exception_int_div_zero 0
	.end_amdhsa_kernel
	.section	.text._ZN7rocprim17ROCPRIM_400000_NS6detail17trampoline_kernelINS0_14default_configENS1_35radix_sort_onesweep_config_selectorIiNS0_10empty_typeEEEZZNS1_29radix_sort_onesweep_iterationIS3_Lb1EN6thrust23THRUST_200600_302600_NS6detail15normal_iteratorINS9_10device_ptrIiEEEESE_PS5_SF_jNS0_19identity_decomposerENS1_16block_id_wrapperIjLb0EEEEE10hipError_tT1_PNSt15iterator_traitsISK_E10value_typeET2_T3_PNSL_ISQ_E10value_typeET4_T5_PSV_SW_PNS1_23onesweep_lookback_stateEbbT6_jjT7_P12ihipStream_tbENKUlT_T0_SK_SP_E_clIPiSE_SF_SF_EEDaS13_S14_SK_SP_EUlS13_E_NS1_11comp_targetILNS1_3genE10ELNS1_11target_archE1201ELNS1_3gpuE5ELNS1_3repE0EEENS1_47radix_sort_onesweep_sort_config_static_selectorELNS0_4arch9wavefront6targetE1EEEvSK_,"axG",@progbits,_ZN7rocprim17ROCPRIM_400000_NS6detail17trampoline_kernelINS0_14default_configENS1_35radix_sort_onesweep_config_selectorIiNS0_10empty_typeEEEZZNS1_29radix_sort_onesweep_iterationIS3_Lb1EN6thrust23THRUST_200600_302600_NS6detail15normal_iteratorINS9_10device_ptrIiEEEESE_PS5_SF_jNS0_19identity_decomposerENS1_16block_id_wrapperIjLb0EEEEE10hipError_tT1_PNSt15iterator_traitsISK_E10value_typeET2_T3_PNSL_ISQ_E10value_typeET4_T5_PSV_SW_PNS1_23onesweep_lookback_stateEbbT6_jjT7_P12ihipStream_tbENKUlT_T0_SK_SP_E_clIPiSE_SF_SF_EEDaS13_S14_SK_SP_EUlS13_E_NS1_11comp_targetILNS1_3genE10ELNS1_11target_archE1201ELNS1_3gpuE5ELNS1_3repE0EEENS1_47radix_sort_onesweep_sort_config_static_selectorELNS0_4arch9wavefront6targetE1EEEvSK_,comdat
.Lfunc_end387:
	.size	_ZN7rocprim17ROCPRIM_400000_NS6detail17trampoline_kernelINS0_14default_configENS1_35radix_sort_onesweep_config_selectorIiNS0_10empty_typeEEEZZNS1_29radix_sort_onesweep_iterationIS3_Lb1EN6thrust23THRUST_200600_302600_NS6detail15normal_iteratorINS9_10device_ptrIiEEEESE_PS5_SF_jNS0_19identity_decomposerENS1_16block_id_wrapperIjLb0EEEEE10hipError_tT1_PNSt15iterator_traitsISK_E10value_typeET2_T3_PNSL_ISQ_E10value_typeET4_T5_PSV_SW_PNS1_23onesweep_lookback_stateEbbT6_jjT7_P12ihipStream_tbENKUlT_T0_SK_SP_E_clIPiSE_SF_SF_EEDaS13_S14_SK_SP_EUlS13_E_NS1_11comp_targetILNS1_3genE10ELNS1_11target_archE1201ELNS1_3gpuE5ELNS1_3repE0EEENS1_47radix_sort_onesweep_sort_config_static_selectorELNS0_4arch9wavefront6targetE1EEEvSK_, .Lfunc_end387-_ZN7rocprim17ROCPRIM_400000_NS6detail17trampoline_kernelINS0_14default_configENS1_35radix_sort_onesweep_config_selectorIiNS0_10empty_typeEEEZZNS1_29radix_sort_onesweep_iterationIS3_Lb1EN6thrust23THRUST_200600_302600_NS6detail15normal_iteratorINS9_10device_ptrIiEEEESE_PS5_SF_jNS0_19identity_decomposerENS1_16block_id_wrapperIjLb0EEEEE10hipError_tT1_PNSt15iterator_traitsISK_E10value_typeET2_T3_PNSL_ISQ_E10value_typeET4_T5_PSV_SW_PNS1_23onesweep_lookback_stateEbbT6_jjT7_P12ihipStream_tbENKUlT_T0_SK_SP_E_clIPiSE_SF_SF_EEDaS13_S14_SK_SP_EUlS13_E_NS1_11comp_targetILNS1_3genE10ELNS1_11target_archE1201ELNS1_3gpuE5ELNS1_3repE0EEENS1_47radix_sort_onesweep_sort_config_static_selectorELNS0_4arch9wavefront6targetE1EEEvSK_
                                        ; -- End function
	.set _ZN7rocprim17ROCPRIM_400000_NS6detail17trampoline_kernelINS0_14default_configENS1_35radix_sort_onesweep_config_selectorIiNS0_10empty_typeEEEZZNS1_29radix_sort_onesweep_iterationIS3_Lb1EN6thrust23THRUST_200600_302600_NS6detail15normal_iteratorINS9_10device_ptrIiEEEESE_PS5_SF_jNS0_19identity_decomposerENS1_16block_id_wrapperIjLb0EEEEE10hipError_tT1_PNSt15iterator_traitsISK_E10value_typeET2_T3_PNSL_ISQ_E10value_typeET4_T5_PSV_SW_PNS1_23onesweep_lookback_stateEbbT6_jjT7_P12ihipStream_tbENKUlT_T0_SK_SP_E_clIPiSE_SF_SF_EEDaS13_S14_SK_SP_EUlS13_E_NS1_11comp_targetILNS1_3genE10ELNS1_11target_archE1201ELNS1_3gpuE5ELNS1_3repE0EEENS1_47radix_sort_onesweep_sort_config_static_selectorELNS0_4arch9wavefront6targetE1EEEvSK_.num_vgpr, 0
	.set _ZN7rocprim17ROCPRIM_400000_NS6detail17trampoline_kernelINS0_14default_configENS1_35radix_sort_onesweep_config_selectorIiNS0_10empty_typeEEEZZNS1_29radix_sort_onesweep_iterationIS3_Lb1EN6thrust23THRUST_200600_302600_NS6detail15normal_iteratorINS9_10device_ptrIiEEEESE_PS5_SF_jNS0_19identity_decomposerENS1_16block_id_wrapperIjLb0EEEEE10hipError_tT1_PNSt15iterator_traitsISK_E10value_typeET2_T3_PNSL_ISQ_E10value_typeET4_T5_PSV_SW_PNS1_23onesweep_lookback_stateEbbT6_jjT7_P12ihipStream_tbENKUlT_T0_SK_SP_E_clIPiSE_SF_SF_EEDaS13_S14_SK_SP_EUlS13_E_NS1_11comp_targetILNS1_3genE10ELNS1_11target_archE1201ELNS1_3gpuE5ELNS1_3repE0EEENS1_47radix_sort_onesweep_sort_config_static_selectorELNS0_4arch9wavefront6targetE1EEEvSK_.num_agpr, 0
	.set _ZN7rocprim17ROCPRIM_400000_NS6detail17trampoline_kernelINS0_14default_configENS1_35radix_sort_onesweep_config_selectorIiNS0_10empty_typeEEEZZNS1_29radix_sort_onesweep_iterationIS3_Lb1EN6thrust23THRUST_200600_302600_NS6detail15normal_iteratorINS9_10device_ptrIiEEEESE_PS5_SF_jNS0_19identity_decomposerENS1_16block_id_wrapperIjLb0EEEEE10hipError_tT1_PNSt15iterator_traitsISK_E10value_typeET2_T3_PNSL_ISQ_E10value_typeET4_T5_PSV_SW_PNS1_23onesweep_lookback_stateEbbT6_jjT7_P12ihipStream_tbENKUlT_T0_SK_SP_E_clIPiSE_SF_SF_EEDaS13_S14_SK_SP_EUlS13_E_NS1_11comp_targetILNS1_3genE10ELNS1_11target_archE1201ELNS1_3gpuE5ELNS1_3repE0EEENS1_47radix_sort_onesweep_sort_config_static_selectorELNS0_4arch9wavefront6targetE1EEEvSK_.numbered_sgpr, 0
	.set _ZN7rocprim17ROCPRIM_400000_NS6detail17trampoline_kernelINS0_14default_configENS1_35radix_sort_onesweep_config_selectorIiNS0_10empty_typeEEEZZNS1_29radix_sort_onesweep_iterationIS3_Lb1EN6thrust23THRUST_200600_302600_NS6detail15normal_iteratorINS9_10device_ptrIiEEEESE_PS5_SF_jNS0_19identity_decomposerENS1_16block_id_wrapperIjLb0EEEEE10hipError_tT1_PNSt15iterator_traitsISK_E10value_typeET2_T3_PNSL_ISQ_E10value_typeET4_T5_PSV_SW_PNS1_23onesweep_lookback_stateEbbT6_jjT7_P12ihipStream_tbENKUlT_T0_SK_SP_E_clIPiSE_SF_SF_EEDaS13_S14_SK_SP_EUlS13_E_NS1_11comp_targetILNS1_3genE10ELNS1_11target_archE1201ELNS1_3gpuE5ELNS1_3repE0EEENS1_47radix_sort_onesweep_sort_config_static_selectorELNS0_4arch9wavefront6targetE1EEEvSK_.num_named_barrier, 0
	.set _ZN7rocprim17ROCPRIM_400000_NS6detail17trampoline_kernelINS0_14default_configENS1_35radix_sort_onesweep_config_selectorIiNS0_10empty_typeEEEZZNS1_29radix_sort_onesweep_iterationIS3_Lb1EN6thrust23THRUST_200600_302600_NS6detail15normal_iteratorINS9_10device_ptrIiEEEESE_PS5_SF_jNS0_19identity_decomposerENS1_16block_id_wrapperIjLb0EEEEE10hipError_tT1_PNSt15iterator_traitsISK_E10value_typeET2_T3_PNSL_ISQ_E10value_typeET4_T5_PSV_SW_PNS1_23onesweep_lookback_stateEbbT6_jjT7_P12ihipStream_tbENKUlT_T0_SK_SP_E_clIPiSE_SF_SF_EEDaS13_S14_SK_SP_EUlS13_E_NS1_11comp_targetILNS1_3genE10ELNS1_11target_archE1201ELNS1_3gpuE5ELNS1_3repE0EEENS1_47radix_sort_onesweep_sort_config_static_selectorELNS0_4arch9wavefront6targetE1EEEvSK_.private_seg_size, 0
	.set _ZN7rocprim17ROCPRIM_400000_NS6detail17trampoline_kernelINS0_14default_configENS1_35radix_sort_onesweep_config_selectorIiNS0_10empty_typeEEEZZNS1_29radix_sort_onesweep_iterationIS3_Lb1EN6thrust23THRUST_200600_302600_NS6detail15normal_iteratorINS9_10device_ptrIiEEEESE_PS5_SF_jNS0_19identity_decomposerENS1_16block_id_wrapperIjLb0EEEEE10hipError_tT1_PNSt15iterator_traitsISK_E10value_typeET2_T3_PNSL_ISQ_E10value_typeET4_T5_PSV_SW_PNS1_23onesweep_lookback_stateEbbT6_jjT7_P12ihipStream_tbENKUlT_T0_SK_SP_E_clIPiSE_SF_SF_EEDaS13_S14_SK_SP_EUlS13_E_NS1_11comp_targetILNS1_3genE10ELNS1_11target_archE1201ELNS1_3gpuE5ELNS1_3repE0EEENS1_47radix_sort_onesweep_sort_config_static_selectorELNS0_4arch9wavefront6targetE1EEEvSK_.uses_vcc, 0
	.set _ZN7rocprim17ROCPRIM_400000_NS6detail17trampoline_kernelINS0_14default_configENS1_35radix_sort_onesweep_config_selectorIiNS0_10empty_typeEEEZZNS1_29radix_sort_onesweep_iterationIS3_Lb1EN6thrust23THRUST_200600_302600_NS6detail15normal_iteratorINS9_10device_ptrIiEEEESE_PS5_SF_jNS0_19identity_decomposerENS1_16block_id_wrapperIjLb0EEEEE10hipError_tT1_PNSt15iterator_traitsISK_E10value_typeET2_T3_PNSL_ISQ_E10value_typeET4_T5_PSV_SW_PNS1_23onesweep_lookback_stateEbbT6_jjT7_P12ihipStream_tbENKUlT_T0_SK_SP_E_clIPiSE_SF_SF_EEDaS13_S14_SK_SP_EUlS13_E_NS1_11comp_targetILNS1_3genE10ELNS1_11target_archE1201ELNS1_3gpuE5ELNS1_3repE0EEENS1_47radix_sort_onesweep_sort_config_static_selectorELNS0_4arch9wavefront6targetE1EEEvSK_.uses_flat_scratch, 0
	.set _ZN7rocprim17ROCPRIM_400000_NS6detail17trampoline_kernelINS0_14default_configENS1_35radix_sort_onesweep_config_selectorIiNS0_10empty_typeEEEZZNS1_29radix_sort_onesweep_iterationIS3_Lb1EN6thrust23THRUST_200600_302600_NS6detail15normal_iteratorINS9_10device_ptrIiEEEESE_PS5_SF_jNS0_19identity_decomposerENS1_16block_id_wrapperIjLb0EEEEE10hipError_tT1_PNSt15iterator_traitsISK_E10value_typeET2_T3_PNSL_ISQ_E10value_typeET4_T5_PSV_SW_PNS1_23onesweep_lookback_stateEbbT6_jjT7_P12ihipStream_tbENKUlT_T0_SK_SP_E_clIPiSE_SF_SF_EEDaS13_S14_SK_SP_EUlS13_E_NS1_11comp_targetILNS1_3genE10ELNS1_11target_archE1201ELNS1_3gpuE5ELNS1_3repE0EEENS1_47radix_sort_onesweep_sort_config_static_selectorELNS0_4arch9wavefront6targetE1EEEvSK_.has_dyn_sized_stack, 0
	.set _ZN7rocprim17ROCPRIM_400000_NS6detail17trampoline_kernelINS0_14default_configENS1_35radix_sort_onesweep_config_selectorIiNS0_10empty_typeEEEZZNS1_29radix_sort_onesweep_iterationIS3_Lb1EN6thrust23THRUST_200600_302600_NS6detail15normal_iteratorINS9_10device_ptrIiEEEESE_PS5_SF_jNS0_19identity_decomposerENS1_16block_id_wrapperIjLb0EEEEE10hipError_tT1_PNSt15iterator_traitsISK_E10value_typeET2_T3_PNSL_ISQ_E10value_typeET4_T5_PSV_SW_PNS1_23onesweep_lookback_stateEbbT6_jjT7_P12ihipStream_tbENKUlT_T0_SK_SP_E_clIPiSE_SF_SF_EEDaS13_S14_SK_SP_EUlS13_E_NS1_11comp_targetILNS1_3genE10ELNS1_11target_archE1201ELNS1_3gpuE5ELNS1_3repE0EEENS1_47radix_sort_onesweep_sort_config_static_selectorELNS0_4arch9wavefront6targetE1EEEvSK_.has_recursion, 0
	.set _ZN7rocprim17ROCPRIM_400000_NS6detail17trampoline_kernelINS0_14default_configENS1_35radix_sort_onesweep_config_selectorIiNS0_10empty_typeEEEZZNS1_29radix_sort_onesweep_iterationIS3_Lb1EN6thrust23THRUST_200600_302600_NS6detail15normal_iteratorINS9_10device_ptrIiEEEESE_PS5_SF_jNS0_19identity_decomposerENS1_16block_id_wrapperIjLb0EEEEE10hipError_tT1_PNSt15iterator_traitsISK_E10value_typeET2_T3_PNSL_ISQ_E10value_typeET4_T5_PSV_SW_PNS1_23onesweep_lookback_stateEbbT6_jjT7_P12ihipStream_tbENKUlT_T0_SK_SP_E_clIPiSE_SF_SF_EEDaS13_S14_SK_SP_EUlS13_E_NS1_11comp_targetILNS1_3genE10ELNS1_11target_archE1201ELNS1_3gpuE5ELNS1_3repE0EEENS1_47radix_sort_onesweep_sort_config_static_selectorELNS0_4arch9wavefront6targetE1EEEvSK_.has_indirect_call, 0
	.section	.AMDGPU.csdata,"",@progbits
; Kernel info:
; codeLenInByte = 0
; TotalNumSgprs: 6
; NumVgprs: 0
; NumAgprs: 0
; TotalNumVgprs: 0
; ScratchSize: 0
; MemoryBound: 0
; FloatMode: 240
; IeeeMode: 1
; LDSByteSize: 0 bytes/workgroup (compile time only)
; SGPRBlocks: 0
; VGPRBlocks: 0
; NumSGPRsForWavesPerEU: 6
; NumVGPRsForWavesPerEU: 1
; AccumOffset: 4
; Occupancy: 8
; WaveLimiterHint : 0
; COMPUTE_PGM_RSRC2:SCRATCH_EN: 0
; COMPUTE_PGM_RSRC2:USER_SGPR: 2
; COMPUTE_PGM_RSRC2:TRAP_HANDLER: 0
; COMPUTE_PGM_RSRC2:TGID_X_EN: 1
; COMPUTE_PGM_RSRC2:TGID_Y_EN: 0
; COMPUTE_PGM_RSRC2:TGID_Z_EN: 0
; COMPUTE_PGM_RSRC2:TIDIG_COMP_CNT: 0
; COMPUTE_PGM_RSRC3_GFX90A:ACCUM_OFFSET: 0
; COMPUTE_PGM_RSRC3_GFX90A:TG_SPLIT: 0
	.section	.text._ZN7rocprim17ROCPRIM_400000_NS6detail17trampoline_kernelINS0_14default_configENS1_35radix_sort_onesweep_config_selectorIiNS0_10empty_typeEEEZZNS1_29radix_sort_onesweep_iterationIS3_Lb1EN6thrust23THRUST_200600_302600_NS6detail15normal_iteratorINS9_10device_ptrIiEEEESE_PS5_SF_jNS0_19identity_decomposerENS1_16block_id_wrapperIjLb0EEEEE10hipError_tT1_PNSt15iterator_traitsISK_E10value_typeET2_T3_PNSL_ISQ_E10value_typeET4_T5_PSV_SW_PNS1_23onesweep_lookback_stateEbbT6_jjT7_P12ihipStream_tbENKUlT_T0_SK_SP_E_clIPiSE_SF_SF_EEDaS13_S14_SK_SP_EUlS13_E_NS1_11comp_targetILNS1_3genE9ELNS1_11target_archE1100ELNS1_3gpuE3ELNS1_3repE0EEENS1_47radix_sort_onesweep_sort_config_static_selectorELNS0_4arch9wavefront6targetE1EEEvSK_,"axG",@progbits,_ZN7rocprim17ROCPRIM_400000_NS6detail17trampoline_kernelINS0_14default_configENS1_35radix_sort_onesweep_config_selectorIiNS0_10empty_typeEEEZZNS1_29radix_sort_onesweep_iterationIS3_Lb1EN6thrust23THRUST_200600_302600_NS6detail15normal_iteratorINS9_10device_ptrIiEEEESE_PS5_SF_jNS0_19identity_decomposerENS1_16block_id_wrapperIjLb0EEEEE10hipError_tT1_PNSt15iterator_traitsISK_E10value_typeET2_T3_PNSL_ISQ_E10value_typeET4_T5_PSV_SW_PNS1_23onesweep_lookback_stateEbbT6_jjT7_P12ihipStream_tbENKUlT_T0_SK_SP_E_clIPiSE_SF_SF_EEDaS13_S14_SK_SP_EUlS13_E_NS1_11comp_targetILNS1_3genE9ELNS1_11target_archE1100ELNS1_3gpuE3ELNS1_3repE0EEENS1_47radix_sort_onesweep_sort_config_static_selectorELNS0_4arch9wavefront6targetE1EEEvSK_,comdat
	.protected	_ZN7rocprim17ROCPRIM_400000_NS6detail17trampoline_kernelINS0_14default_configENS1_35radix_sort_onesweep_config_selectorIiNS0_10empty_typeEEEZZNS1_29radix_sort_onesweep_iterationIS3_Lb1EN6thrust23THRUST_200600_302600_NS6detail15normal_iteratorINS9_10device_ptrIiEEEESE_PS5_SF_jNS0_19identity_decomposerENS1_16block_id_wrapperIjLb0EEEEE10hipError_tT1_PNSt15iterator_traitsISK_E10value_typeET2_T3_PNSL_ISQ_E10value_typeET4_T5_PSV_SW_PNS1_23onesweep_lookback_stateEbbT6_jjT7_P12ihipStream_tbENKUlT_T0_SK_SP_E_clIPiSE_SF_SF_EEDaS13_S14_SK_SP_EUlS13_E_NS1_11comp_targetILNS1_3genE9ELNS1_11target_archE1100ELNS1_3gpuE3ELNS1_3repE0EEENS1_47radix_sort_onesweep_sort_config_static_selectorELNS0_4arch9wavefront6targetE1EEEvSK_ ; -- Begin function _ZN7rocprim17ROCPRIM_400000_NS6detail17trampoline_kernelINS0_14default_configENS1_35radix_sort_onesweep_config_selectorIiNS0_10empty_typeEEEZZNS1_29radix_sort_onesweep_iterationIS3_Lb1EN6thrust23THRUST_200600_302600_NS6detail15normal_iteratorINS9_10device_ptrIiEEEESE_PS5_SF_jNS0_19identity_decomposerENS1_16block_id_wrapperIjLb0EEEEE10hipError_tT1_PNSt15iterator_traitsISK_E10value_typeET2_T3_PNSL_ISQ_E10value_typeET4_T5_PSV_SW_PNS1_23onesweep_lookback_stateEbbT6_jjT7_P12ihipStream_tbENKUlT_T0_SK_SP_E_clIPiSE_SF_SF_EEDaS13_S14_SK_SP_EUlS13_E_NS1_11comp_targetILNS1_3genE9ELNS1_11target_archE1100ELNS1_3gpuE3ELNS1_3repE0EEENS1_47radix_sort_onesweep_sort_config_static_selectorELNS0_4arch9wavefront6targetE1EEEvSK_
	.globl	_ZN7rocprim17ROCPRIM_400000_NS6detail17trampoline_kernelINS0_14default_configENS1_35radix_sort_onesweep_config_selectorIiNS0_10empty_typeEEEZZNS1_29radix_sort_onesweep_iterationIS3_Lb1EN6thrust23THRUST_200600_302600_NS6detail15normal_iteratorINS9_10device_ptrIiEEEESE_PS5_SF_jNS0_19identity_decomposerENS1_16block_id_wrapperIjLb0EEEEE10hipError_tT1_PNSt15iterator_traitsISK_E10value_typeET2_T3_PNSL_ISQ_E10value_typeET4_T5_PSV_SW_PNS1_23onesweep_lookback_stateEbbT6_jjT7_P12ihipStream_tbENKUlT_T0_SK_SP_E_clIPiSE_SF_SF_EEDaS13_S14_SK_SP_EUlS13_E_NS1_11comp_targetILNS1_3genE9ELNS1_11target_archE1100ELNS1_3gpuE3ELNS1_3repE0EEENS1_47radix_sort_onesweep_sort_config_static_selectorELNS0_4arch9wavefront6targetE1EEEvSK_
	.p2align	8
	.type	_ZN7rocprim17ROCPRIM_400000_NS6detail17trampoline_kernelINS0_14default_configENS1_35radix_sort_onesweep_config_selectorIiNS0_10empty_typeEEEZZNS1_29radix_sort_onesweep_iterationIS3_Lb1EN6thrust23THRUST_200600_302600_NS6detail15normal_iteratorINS9_10device_ptrIiEEEESE_PS5_SF_jNS0_19identity_decomposerENS1_16block_id_wrapperIjLb0EEEEE10hipError_tT1_PNSt15iterator_traitsISK_E10value_typeET2_T3_PNSL_ISQ_E10value_typeET4_T5_PSV_SW_PNS1_23onesweep_lookback_stateEbbT6_jjT7_P12ihipStream_tbENKUlT_T0_SK_SP_E_clIPiSE_SF_SF_EEDaS13_S14_SK_SP_EUlS13_E_NS1_11comp_targetILNS1_3genE9ELNS1_11target_archE1100ELNS1_3gpuE3ELNS1_3repE0EEENS1_47radix_sort_onesweep_sort_config_static_selectorELNS0_4arch9wavefront6targetE1EEEvSK_,@function
_ZN7rocprim17ROCPRIM_400000_NS6detail17trampoline_kernelINS0_14default_configENS1_35radix_sort_onesweep_config_selectorIiNS0_10empty_typeEEEZZNS1_29radix_sort_onesweep_iterationIS3_Lb1EN6thrust23THRUST_200600_302600_NS6detail15normal_iteratorINS9_10device_ptrIiEEEESE_PS5_SF_jNS0_19identity_decomposerENS1_16block_id_wrapperIjLb0EEEEE10hipError_tT1_PNSt15iterator_traitsISK_E10value_typeET2_T3_PNSL_ISQ_E10value_typeET4_T5_PSV_SW_PNS1_23onesweep_lookback_stateEbbT6_jjT7_P12ihipStream_tbENKUlT_T0_SK_SP_E_clIPiSE_SF_SF_EEDaS13_S14_SK_SP_EUlS13_E_NS1_11comp_targetILNS1_3genE9ELNS1_11target_archE1100ELNS1_3gpuE3ELNS1_3repE0EEENS1_47radix_sort_onesweep_sort_config_static_selectorELNS0_4arch9wavefront6targetE1EEEvSK_: ; @_ZN7rocprim17ROCPRIM_400000_NS6detail17trampoline_kernelINS0_14default_configENS1_35radix_sort_onesweep_config_selectorIiNS0_10empty_typeEEEZZNS1_29radix_sort_onesweep_iterationIS3_Lb1EN6thrust23THRUST_200600_302600_NS6detail15normal_iteratorINS9_10device_ptrIiEEEESE_PS5_SF_jNS0_19identity_decomposerENS1_16block_id_wrapperIjLb0EEEEE10hipError_tT1_PNSt15iterator_traitsISK_E10value_typeET2_T3_PNSL_ISQ_E10value_typeET4_T5_PSV_SW_PNS1_23onesweep_lookback_stateEbbT6_jjT7_P12ihipStream_tbENKUlT_T0_SK_SP_E_clIPiSE_SF_SF_EEDaS13_S14_SK_SP_EUlS13_E_NS1_11comp_targetILNS1_3genE9ELNS1_11target_archE1100ELNS1_3gpuE3ELNS1_3repE0EEENS1_47radix_sort_onesweep_sort_config_static_selectorELNS0_4arch9wavefront6targetE1EEEvSK_
; %bb.0:
	.section	.rodata,"a",@progbits
	.p2align	6, 0x0
	.amdhsa_kernel _ZN7rocprim17ROCPRIM_400000_NS6detail17trampoline_kernelINS0_14default_configENS1_35radix_sort_onesweep_config_selectorIiNS0_10empty_typeEEEZZNS1_29radix_sort_onesweep_iterationIS3_Lb1EN6thrust23THRUST_200600_302600_NS6detail15normal_iteratorINS9_10device_ptrIiEEEESE_PS5_SF_jNS0_19identity_decomposerENS1_16block_id_wrapperIjLb0EEEEE10hipError_tT1_PNSt15iterator_traitsISK_E10value_typeET2_T3_PNSL_ISQ_E10value_typeET4_T5_PSV_SW_PNS1_23onesweep_lookback_stateEbbT6_jjT7_P12ihipStream_tbENKUlT_T0_SK_SP_E_clIPiSE_SF_SF_EEDaS13_S14_SK_SP_EUlS13_E_NS1_11comp_targetILNS1_3genE9ELNS1_11target_archE1100ELNS1_3gpuE3ELNS1_3repE0EEENS1_47radix_sort_onesweep_sort_config_static_selectorELNS0_4arch9wavefront6targetE1EEEvSK_
		.amdhsa_group_segment_fixed_size 0
		.amdhsa_private_segment_fixed_size 0
		.amdhsa_kernarg_size 88
		.amdhsa_user_sgpr_count 2
		.amdhsa_user_sgpr_dispatch_ptr 0
		.amdhsa_user_sgpr_queue_ptr 0
		.amdhsa_user_sgpr_kernarg_segment_ptr 1
		.amdhsa_user_sgpr_dispatch_id 0
		.amdhsa_user_sgpr_kernarg_preload_length 0
		.amdhsa_user_sgpr_kernarg_preload_offset 0
		.amdhsa_user_sgpr_private_segment_size 0
		.amdhsa_uses_dynamic_stack 0
		.amdhsa_enable_private_segment 0
		.amdhsa_system_sgpr_workgroup_id_x 1
		.amdhsa_system_sgpr_workgroup_id_y 0
		.amdhsa_system_sgpr_workgroup_id_z 0
		.amdhsa_system_sgpr_workgroup_info 0
		.amdhsa_system_vgpr_workitem_id 0
		.amdhsa_next_free_vgpr 1
		.amdhsa_next_free_sgpr 0
		.amdhsa_accum_offset 4
		.amdhsa_reserve_vcc 0
		.amdhsa_float_round_mode_32 0
		.amdhsa_float_round_mode_16_64 0
		.amdhsa_float_denorm_mode_32 3
		.amdhsa_float_denorm_mode_16_64 3
		.amdhsa_dx10_clamp 1
		.amdhsa_ieee_mode 1
		.amdhsa_fp16_overflow 0
		.amdhsa_tg_split 0
		.amdhsa_exception_fp_ieee_invalid_op 0
		.amdhsa_exception_fp_denorm_src 0
		.amdhsa_exception_fp_ieee_div_zero 0
		.amdhsa_exception_fp_ieee_overflow 0
		.amdhsa_exception_fp_ieee_underflow 0
		.amdhsa_exception_fp_ieee_inexact 0
		.amdhsa_exception_int_div_zero 0
	.end_amdhsa_kernel
	.section	.text._ZN7rocprim17ROCPRIM_400000_NS6detail17trampoline_kernelINS0_14default_configENS1_35radix_sort_onesweep_config_selectorIiNS0_10empty_typeEEEZZNS1_29radix_sort_onesweep_iterationIS3_Lb1EN6thrust23THRUST_200600_302600_NS6detail15normal_iteratorINS9_10device_ptrIiEEEESE_PS5_SF_jNS0_19identity_decomposerENS1_16block_id_wrapperIjLb0EEEEE10hipError_tT1_PNSt15iterator_traitsISK_E10value_typeET2_T3_PNSL_ISQ_E10value_typeET4_T5_PSV_SW_PNS1_23onesweep_lookback_stateEbbT6_jjT7_P12ihipStream_tbENKUlT_T0_SK_SP_E_clIPiSE_SF_SF_EEDaS13_S14_SK_SP_EUlS13_E_NS1_11comp_targetILNS1_3genE9ELNS1_11target_archE1100ELNS1_3gpuE3ELNS1_3repE0EEENS1_47radix_sort_onesweep_sort_config_static_selectorELNS0_4arch9wavefront6targetE1EEEvSK_,"axG",@progbits,_ZN7rocprim17ROCPRIM_400000_NS6detail17trampoline_kernelINS0_14default_configENS1_35radix_sort_onesweep_config_selectorIiNS0_10empty_typeEEEZZNS1_29radix_sort_onesweep_iterationIS3_Lb1EN6thrust23THRUST_200600_302600_NS6detail15normal_iteratorINS9_10device_ptrIiEEEESE_PS5_SF_jNS0_19identity_decomposerENS1_16block_id_wrapperIjLb0EEEEE10hipError_tT1_PNSt15iterator_traitsISK_E10value_typeET2_T3_PNSL_ISQ_E10value_typeET4_T5_PSV_SW_PNS1_23onesweep_lookback_stateEbbT6_jjT7_P12ihipStream_tbENKUlT_T0_SK_SP_E_clIPiSE_SF_SF_EEDaS13_S14_SK_SP_EUlS13_E_NS1_11comp_targetILNS1_3genE9ELNS1_11target_archE1100ELNS1_3gpuE3ELNS1_3repE0EEENS1_47radix_sort_onesweep_sort_config_static_selectorELNS0_4arch9wavefront6targetE1EEEvSK_,comdat
.Lfunc_end388:
	.size	_ZN7rocprim17ROCPRIM_400000_NS6detail17trampoline_kernelINS0_14default_configENS1_35radix_sort_onesweep_config_selectorIiNS0_10empty_typeEEEZZNS1_29radix_sort_onesweep_iterationIS3_Lb1EN6thrust23THRUST_200600_302600_NS6detail15normal_iteratorINS9_10device_ptrIiEEEESE_PS5_SF_jNS0_19identity_decomposerENS1_16block_id_wrapperIjLb0EEEEE10hipError_tT1_PNSt15iterator_traitsISK_E10value_typeET2_T3_PNSL_ISQ_E10value_typeET4_T5_PSV_SW_PNS1_23onesweep_lookback_stateEbbT6_jjT7_P12ihipStream_tbENKUlT_T0_SK_SP_E_clIPiSE_SF_SF_EEDaS13_S14_SK_SP_EUlS13_E_NS1_11comp_targetILNS1_3genE9ELNS1_11target_archE1100ELNS1_3gpuE3ELNS1_3repE0EEENS1_47radix_sort_onesweep_sort_config_static_selectorELNS0_4arch9wavefront6targetE1EEEvSK_, .Lfunc_end388-_ZN7rocprim17ROCPRIM_400000_NS6detail17trampoline_kernelINS0_14default_configENS1_35radix_sort_onesweep_config_selectorIiNS0_10empty_typeEEEZZNS1_29radix_sort_onesweep_iterationIS3_Lb1EN6thrust23THRUST_200600_302600_NS6detail15normal_iteratorINS9_10device_ptrIiEEEESE_PS5_SF_jNS0_19identity_decomposerENS1_16block_id_wrapperIjLb0EEEEE10hipError_tT1_PNSt15iterator_traitsISK_E10value_typeET2_T3_PNSL_ISQ_E10value_typeET4_T5_PSV_SW_PNS1_23onesweep_lookback_stateEbbT6_jjT7_P12ihipStream_tbENKUlT_T0_SK_SP_E_clIPiSE_SF_SF_EEDaS13_S14_SK_SP_EUlS13_E_NS1_11comp_targetILNS1_3genE9ELNS1_11target_archE1100ELNS1_3gpuE3ELNS1_3repE0EEENS1_47radix_sort_onesweep_sort_config_static_selectorELNS0_4arch9wavefront6targetE1EEEvSK_
                                        ; -- End function
	.set _ZN7rocprim17ROCPRIM_400000_NS6detail17trampoline_kernelINS0_14default_configENS1_35radix_sort_onesweep_config_selectorIiNS0_10empty_typeEEEZZNS1_29radix_sort_onesweep_iterationIS3_Lb1EN6thrust23THRUST_200600_302600_NS6detail15normal_iteratorINS9_10device_ptrIiEEEESE_PS5_SF_jNS0_19identity_decomposerENS1_16block_id_wrapperIjLb0EEEEE10hipError_tT1_PNSt15iterator_traitsISK_E10value_typeET2_T3_PNSL_ISQ_E10value_typeET4_T5_PSV_SW_PNS1_23onesweep_lookback_stateEbbT6_jjT7_P12ihipStream_tbENKUlT_T0_SK_SP_E_clIPiSE_SF_SF_EEDaS13_S14_SK_SP_EUlS13_E_NS1_11comp_targetILNS1_3genE9ELNS1_11target_archE1100ELNS1_3gpuE3ELNS1_3repE0EEENS1_47radix_sort_onesweep_sort_config_static_selectorELNS0_4arch9wavefront6targetE1EEEvSK_.num_vgpr, 0
	.set _ZN7rocprim17ROCPRIM_400000_NS6detail17trampoline_kernelINS0_14default_configENS1_35radix_sort_onesweep_config_selectorIiNS0_10empty_typeEEEZZNS1_29radix_sort_onesweep_iterationIS3_Lb1EN6thrust23THRUST_200600_302600_NS6detail15normal_iteratorINS9_10device_ptrIiEEEESE_PS5_SF_jNS0_19identity_decomposerENS1_16block_id_wrapperIjLb0EEEEE10hipError_tT1_PNSt15iterator_traitsISK_E10value_typeET2_T3_PNSL_ISQ_E10value_typeET4_T5_PSV_SW_PNS1_23onesweep_lookback_stateEbbT6_jjT7_P12ihipStream_tbENKUlT_T0_SK_SP_E_clIPiSE_SF_SF_EEDaS13_S14_SK_SP_EUlS13_E_NS1_11comp_targetILNS1_3genE9ELNS1_11target_archE1100ELNS1_3gpuE3ELNS1_3repE0EEENS1_47radix_sort_onesweep_sort_config_static_selectorELNS0_4arch9wavefront6targetE1EEEvSK_.num_agpr, 0
	.set _ZN7rocprim17ROCPRIM_400000_NS6detail17trampoline_kernelINS0_14default_configENS1_35radix_sort_onesweep_config_selectorIiNS0_10empty_typeEEEZZNS1_29radix_sort_onesweep_iterationIS3_Lb1EN6thrust23THRUST_200600_302600_NS6detail15normal_iteratorINS9_10device_ptrIiEEEESE_PS5_SF_jNS0_19identity_decomposerENS1_16block_id_wrapperIjLb0EEEEE10hipError_tT1_PNSt15iterator_traitsISK_E10value_typeET2_T3_PNSL_ISQ_E10value_typeET4_T5_PSV_SW_PNS1_23onesweep_lookback_stateEbbT6_jjT7_P12ihipStream_tbENKUlT_T0_SK_SP_E_clIPiSE_SF_SF_EEDaS13_S14_SK_SP_EUlS13_E_NS1_11comp_targetILNS1_3genE9ELNS1_11target_archE1100ELNS1_3gpuE3ELNS1_3repE0EEENS1_47radix_sort_onesweep_sort_config_static_selectorELNS0_4arch9wavefront6targetE1EEEvSK_.numbered_sgpr, 0
	.set _ZN7rocprim17ROCPRIM_400000_NS6detail17trampoline_kernelINS0_14default_configENS1_35radix_sort_onesweep_config_selectorIiNS0_10empty_typeEEEZZNS1_29radix_sort_onesweep_iterationIS3_Lb1EN6thrust23THRUST_200600_302600_NS6detail15normal_iteratorINS9_10device_ptrIiEEEESE_PS5_SF_jNS0_19identity_decomposerENS1_16block_id_wrapperIjLb0EEEEE10hipError_tT1_PNSt15iterator_traitsISK_E10value_typeET2_T3_PNSL_ISQ_E10value_typeET4_T5_PSV_SW_PNS1_23onesweep_lookback_stateEbbT6_jjT7_P12ihipStream_tbENKUlT_T0_SK_SP_E_clIPiSE_SF_SF_EEDaS13_S14_SK_SP_EUlS13_E_NS1_11comp_targetILNS1_3genE9ELNS1_11target_archE1100ELNS1_3gpuE3ELNS1_3repE0EEENS1_47radix_sort_onesweep_sort_config_static_selectorELNS0_4arch9wavefront6targetE1EEEvSK_.num_named_barrier, 0
	.set _ZN7rocprim17ROCPRIM_400000_NS6detail17trampoline_kernelINS0_14default_configENS1_35radix_sort_onesweep_config_selectorIiNS0_10empty_typeEEEZZNS1_29radix_sort_onesweep_iterationIS3_Lb1EN6thrust23THRUST_200600_302600_NS6detail15normal_iteratorINS9_10device_ptrIiEEEESE_PS5_SF_jNS0_19identity_decomposerENS1_16block_id_wrapperIjLb0EEEEE10hipError_tT1_PNSt15iterator_traitsISK_E10value_typeET2_T3_PNSL_ISQ_E10value_typeET4_T5_PSV_SW_PNS1_23onesweep_lookback_stateEbbT6_jjT7_P12ihipStream_tbENKUlT_T0_SK_SP_E_clIPiSE_SF_SF_EEDaS13_S14_SK_SP_EUlS13_E_NS1_11comp_targetILNS1_3genE9ELNS1_11target_archE1100ELNS1_3gpuE3ELNS1_3repE0EEENS1_47radix_sort_onesweep_sort_config_static_selectorELNS0_4arch9wavefront6targetE1EEEvSK_.private_seg_size, 0
	.set _ZN7rocprim17ROCPRIM_400000_NS6detail17trampoline_kernelINS0_14default_configENS1_35radix_sort_onesweep_config_selectorIiNS0_10empty_typeEEEZZNS1_29radix_sort_onesweep_iterationIS3_Lb1EN6thrust23THRUST_200600_302600_NS6detail15normal_iteratorINS9_10device_ptrIiEEEESE_PS5_SF_jNS0_19identity_decomposerENS1_16block_id_wrapperIjLb0EEEEE10hipError_tT1_PNSt15iterator_traitsISK_E10value_typeET2_T3_PNSL_ISQ_E10value_typeET4_T5_PSV_SW_PNS1_23onesweep_lookback_stateEbbT6_jjT7_P12ihipStream_tbENKUlT_T0_SK_SP_E_clIPiSE_SF_SF_EEDaS13_S14_SK_SP_EUlS13_E_NS1_11comp_targetILNS1_3genE9ELNS1_11target_archE1100ELNS1_3gpuE3ELNS1_3repE0EEENS1_47radix_sort_onesweep_sort_config_static_selectorELNS0_4arch9wavefront6targetE1EEEvSK_.uses_vcc, 0
	.set _ZN7rocprim17ROCPRIM_400000_NS6detail17trampoline_kernelINS0_14default_configENS1_35radix_sort_onesweep_config_selectorIiNS0_10empty_typeEEEZZNS1_29radix_sort_onesweep_iterationIS3_Lb1EN6thrust23THRUST_200600_302600_NS6detail15normal_iteratorINS9_10device_ptrIiEEEESE_PS5_SF_jNS0_19identity_decomposerENS1_16block_id_wrapperIjLb0EEEEE10hipError_tT1_PNSt15iterator_traitsISK_E10value_typeET2_T3_PNSL_ISQ_E10value_typeET4_T5_PSV_SW_PNS1_23onesweep_lookback_stateEbbT6_jjT7_P12ihipStream_tbENKUlT_T0_SK_SP_E_clIPiSE_SF_SF_EEDaS13_S14_SK_SP_EUlS13_E_NS1_11comp_targetILNS1_3genE9ELNS1_11target_archE1100ELNS1_3gpuE3ELNS1_3repE0EEENS1_47radix_sort_onesweep_sort_config_static_selectorELNS0_4arch9wavefront6targetE1EEEvSK_.uses_flat_scratch, 0
	.set _ZN7rocprim17ROCPRIM_400000_NS6detail17trampoline_kernelINS0_14default_configENS1_35radix_sort_onesweep_config_selectorIiNS0_10empty_typeEEEZZNS1_29radix_sort_onesweep_iterationIS3_Lb1EN6thrust23THRUST_200600_302600_NS6detail15normal_iteratorINS9_10device_ptrIiEEEESE_PS5_SF_jNS0_19identity_decomposerENS1_16block_id_wrapperIjLb0EEEEE10hipError_tT1_PNSt15iterator_traitsISK_E10value_typeET2_T3_PNSL_ISQ_E10value_typeET4_T5_PSV_SW_PNS1_23onesweep_lookback_stateEbbT6_jjT7_P12ihipStream_tbENKUlT_T0_SK_SP_E_clIPiSE_SF_SF_EEDaS13_S14_SK_SP_EUlS13_E_NS1_11comp_targetILNS1_3genE9ELNS1_11target_archE1100ELNS1_3gpuE3ELNS1_3repE0EEENS1_47radix_sort_onesweep_sort_config_static_selectorELNS0_4arch9wavefront6targetE1EEEvSK_.has_dyn_sized_stack, 0
	.set _ZN7rocprim17ROCPRIM_400000_NS6detail17trampoline_kernelINS0_14default_configENS1_35radix_sort_onesweep_config_selectorIiNS0_10empty_typeEEEZZNS1_29radix_sort_onesweep_iterationIS3_Lb1EN6thrust23THRUST_200600_302600_NS6detail15normal_iteratorINS9_10device_ptrIiEEEESE_PS5_SF_jNS0_19identity_decomposerENS1_16block_id_wrapperIjLb0EEEEE10hipError_tT1_PNSt15iterator_traitsISK_E10value_typeET2_T3_PNSL_ISQ_E10value_typeET4_T5_PSV_SW_PNS1_23onesweep_lookback_stateEbbT6_jjT7_P12ihipStream_tbENKUlT_T0_SK_SP_E_clIPiSE_SF_SF_EEDaS13_S14_SK_SP_EUlS13_E_NS1_11comp_targetILNS1_3genE9ELNS1_11target_archE1100ELNS1_3gpuE3ELNS1_3repE0EEENS1_47radix_sort_onesweep_sort_config_static_selectorELNS0_4arch9wavefront6targetE1EEEvSK_.has_recursion, 0
	.set _ZN7rocprim17ROCPRIM_400000_NS6detail17trampoline_kernelINS0_14default_configENS1_35radix_sort_onesweep_config_selectorIiNS0_10empty_typeEEEZZNS1_29radix_sort_onesweep_iterationIS3_Lb1EN6thrust23THRUST_200600_302600_NS6detail15normal_iteratorINS9_10device_ptrIiEEEESE_PS5_SF_jNS0_19identity_decomposerENS1_16block_id_wrapperIjLb0EEEEE10hipError_tT1_PNSt15iterator_traitsISK_E10value_typeET2_T3_PNSL_ISQ_E10value_typeET4_T5_PSV_SW_PNS1_23onesweep_lookback_stateEbbT6_jjT7_P12ihipStream_tbENKUlT_T0_SK_SP_E_clIPiSE_SF_SF_EEDaS13_S14_SK_SP_EUlS13_E_NS1_11comp_targetILNS1_3genE9ELNS1_11target_archE1100ELNS1_3gpuE3ELNS1_3repE0EEENS1_47radix_sort_onesweep_sort_config_static_selectorELNS0_4arch9wavefront6targetE1EEEvSK_.has_indirect_call, 0
	.section	.AMDGPU.csdata,"",@progbits
; Kernel info:
; codeLenInByte = 0
; TotalNumSgprs: 6
; NumVgprs: 0
; NumAgprs: 0
; TotalNumVgprs: 0
; ScratchSize: 0
; MemoryBound: 0
; FloatMode: 240
; IeeeMode: 1
; LDSByteSize: 0 bytes/workgroup (compile time only)
; SGPRBlocks: 0
; VGPRBlocks: 0
; NumSGPRsForWavesPerEU: 6
; NumVGPRsForWavesPerEU: 1
; AccumOffset: 4
; Occupancy: 8
; WaveLimiterHint : 0
; COMPUTE_PGM_RSRC2:SCRATCH_EN: 0
; COMPUTE_PGM_RSRC2:USER_SGPR: 2
; COMPUTE_PGM_RSRC2:TRAP_HANDLER: 0
; COMPUTE_PGM_RSRC2:TGID_X_EN: 1
; COMPUTE_PGM_RSRC2:TGID_Y_EN: 0
; COMPUTE_PGM_RSRC2:TGID_Z_EN: 0
; COMPUTE_PGM_RSRC2:TIDIG_COMP_CNT: 0
; COMPUTE_PGM_RSRC3_GFX90A:ACCUM_OFFSET: 0
; COMPUTE_PGM_RSRC3_GFX90A:TG_SPLIT: 0
	.section	.text._ZN7rocprim17ROCPRIM_400000_NS6detail17trampoline_kernelINS0_14default_configENS1_35radix_sort_onesweep_config_selectorIiNS0_10empty_typeEEEZZNS1_29radix_sort_onesweep_iterationIS3_Lb1EN6thrust23THRUST_200600_302600_NS6detail15normal_iteratorINS9_10device_ptrIiEEEESE_PS5_SF_jNS0_19identity_decomposerENS1_16block_id_wrapperIjLb0EEEEE10hipError_tT1_PNSt15iterator_traitsISK_E10value_typeET2_T3_PNSL_ISQ_E10value_typeET4_T5_PSV_SW_PNS1_23onesweep_lookback_stateEbbT6_jjT7_P12ihipStream_tbENKUlT_T0_SK_SP_E_clIPiSE_SF_SF_EEDaS13_S14_SK_SP_EUlS13_E_NS1_11comp_targetILNS1_3genE8ELNS1_11target_archE1030ELNS1_3gpuE2ELNS1_3repE0EEENS1_47radix_sort_onesweep_sort_config_static_selectorELNS0_4arch9wavefront6targetE1EEEvSK_,"axG",@progbits,_ZN7rocprim17ROCPRIM_400000_NS6detail17trampoline_kernelINS0_14default_configENS1_35radix_sort_onesweep_config_selectorIiNS0_10empty_typeEEEZZNS1_29radix_sort_onesweep_iterationIS3_Lb1EN6thrust23THRUST_200600_302600_NS6detail15normal_iteratorINS9_10device_ptrIiEEEESE_PS5_SF_jNS0_19identity_decomposerENS1_16block_id_wrapperIjLb0EEEEE10hipError_tT1_PNSt15iterator_traitsISK_E10value_typeET2_T3_PNSL_ISQ_E10value_typeET4_T5_PSV_SW_PNS1_23onesweep_lookback_stateEbbT6_jjT7_P12ihipStream_tbENKUlT_T0_SK_SP_E_clIPiSE_SF_SF_EEDaS13_S14_SK_SP_EUlS13_E_NS1_11comp_targetILNS1_3genE8ELNS1_11target_archE1030ELNS1_3gpuE2ELNS1_3repE0EEENS1_47radix_sort_onesweep_sort_config_static_selectorELNS0_4arch9wavefront6targetE1EEEvSK_,comdat
	.protected	_ZN7rocprim17ROCPRIM_400000_NS6detail17trampoline_kernelINS0_14default_configENS1_35radix_sort_onesweep_config_selectorIiNS0_10empty_typeEEEZZNS1_29radix_sort_onesweep_iterationIS3_Lb1EN6thrust23THRUST_200600_302600_NS6detail15normal_iteratorINS9_10device_ptrIiEEEESE_PS5_SF_jNS0_19identity_decomposerENS1_16block_id_wrapperIjLb0EEEEE10hipError_tT1_PNSt15iterator_traitsISK_E10value_typeET2_T3_PNSL_ISQ_E10value_typeET4_T5_PSV_SW_PNS1_23onesweep_lookback_stateEbbT6_jjT7_P12ihipStream_tbENKUlT_T0_SK_SP_E_clIPiSE_SF_SF_EEDaS13_S14_SK_SP_EUlS13_E_NS1_11comp_targetILNS1_3genE8ELNS1_11target_archE1030ELNS1_3gpuE2ELNS1_3repE0EEENS1_47radix_sort_onesweep_sort_config_static_selectorELNS0_4arch9wavefront6targetE1EEEvSK_ ; -- Begin function _ZN7rocprim17ROCPRIM_400000_NS6detail17trampoline_kernelINS0_14default_configENS1_35radix_sort_onesweep_config_selectorIiNS0_10empty_typeEEEZZNS1_29radix_sort_onesweep_iterationIS3_Lb1EN6thrust23THRUST_200600_302600_NS6detail15normal_iteratorINS9_10device_ptrIiEEEESE_PS5_SF_jNS0_19identity_decomposerENS1_16block_id_wrapperIjLb0EEEEE10hipError_tT1_PNSt15iterator_traitsISK_E10value_typeET2_T3_PNSL_ISQ_E10value_typeET4_T5_PSV_SW_PNS1_23onesweep_lookback_stateEbbT6_jjT7_P12ihipStream_tbENKUlT_T0_SK_SP_E_clIPiSE_SF_SF_EEDaS13_S14_SK_SP_EUlS13_E_NS1_11comp_targetILNS1_3genE8ELNS1_11target_archE1030ELNS1_3gpuE2ELNS1_3repE0EEENS1_47radix_sort_onesweep_sort_config_static_selectorELNS0_4arch9wavefront6targetE1EEEvSK_
	.globl	_ZN7rocprim17ROCPRIM_400000_NS6detail17trampoline_kernelINS0_14default_configENS1_35radix_sort_onesweep_config_selectorIiNS0_10empty_typeEEEZZNS1_29radix_sort_onesweep_iterationIS3_Lb1EN6thrust23THRUST_200600_302600_NS6detail15normal_iteratorINS9_10device_ptrIiEEEESE_PS5_SF_jNS0_19identity_decomposerENS1_16block_id_wrapperIjLb0EEEEE10hipError_tT1_PNSt15iterator_traitsISK_E10value_typeET2_T3_PNSL_ISQ_E10value_typeET4_T5_PSV_SW_PNS1_23onesweep_lookback_stateEbbT6_jjT7_P12ihipStream_tbENKUlT_T0_SK_SP_E_clIPiSE_SF_SF_EEDaS13_S14_SK_SP_EUlS13_E_NS1_11comp_targetILNS1_3genE8ELNS1_11target_archE1030ELNS1_3gpuE2ELNS1_3repE0EEENS1_47radix_sort_onesweep_sort_config_static_selectorELNS0_4arch9wavefront6targetE1EEEvSK_
	.p2align	8
	.type	_ZN7rocprim17ROCPRIM_400000_NS6detail17trampoline_kernelINS0_14default_configENS1_35radix_sort_onesweep_config_selectorIiNS0_10empty_typeEEEZZNS1_29radix_sort_onesweep_iterationIS3_Lb1EN6thrust23THRUST_200600_302600_NS6detail15normal_iteratorINS9_10device_ptrIiEEEESE_PS5_SF_jNS0_19identity_decomposerENS1_16block_id_wrapperIjLb0EEEEE10hipError_tT1_PNSt15iterator_traitsISK_E10value_typeET2_T3_PNSL_ISQ_E10value_typeET4_T5_PSV_SW_PNS1_23onesweep_lookback_stateEbbT6_jjT7_P12ihipStream_tbENKUlT_T0_SK_SP_E_clIPiSE_SF_SF_EEDaS13_S14_SK_SP_EUlS13_E_NS1_11comp_targetILNS1_3genE8ELNS1_11target_archE1030ELNS1_3gpuE2ELNS1_3repE0EEENS1_47radix_sort_onesweep_sort_config_static_selectorELNS0_4arch9wavefront6targetE1EEEvSK_,@function
_ZN7rocprim17ROCPRIM_400000_NS6detail17trampoline_kernelINS0_14default_configENS1_35radix_sort_onesweep_config_selectorIiNS0_10empty_typeEEEZZNS1_29radix_sort_onesweep_iterationIS3_Lb1EN6thrust23THRUST_200600_302600_NS6detail15normal_iteratorINS9_10device_ptrIiEEEESE_PS5_SF_jNS0_19identity_decomposerENS1_16block_id_wrapperIjLb0EEEEE10hipError_tT1_PNSt15iterator_traitsISK_E10value_typeET2_T3_PNSL_ISQ_E10value_typeET4_T5_PSV_SW_PNS1_23onesweep_lookback_stateEbbT6_jjT7_P12ihipStream_tbENKUlT_T0_SK_SP_E_clIPiSE_SF_SF_EEDaS13_S14_SK_SP_EUlS13_E_NS1_11comp_targetILNS1_3genE8ELNS1_11target_archE1030ELNS1_3gpuE2ELNS1_3repE0EEENS1_47radix_sort_onesweep_sort_config_static_selectorELNS0_4arch9wavefront6targetE1EEEvSK_: ; @_ZN7rocprim17ROCPRIM_400000_NS6detail17trampoline_kernelINS0_14default_configENS1_35radix_sort_onesweep_config_selectorIiNS0_10empty_typeEEEZZNS1_29radix_sort_onesweep_iterationIS3_Lb1EN6thrust23THRUST_200600_302600_NS6detail15normal_iteratorINS9_10device_ptrIiEEEESE_PS5_SF_jNS0_19identity_decomposerENS1_16block_id_wrapperIjLb0EEEEE10hipError_tT1_PNSt15iterator_traitsISK_E10value_typeET2_T3_PNSL_ISQ_E10value_typeET4_T5_PSV_SW_PNS1_23onesweep_lookback_stateEbbT6_jjT7_P12ihipStream_tbENKUlT_T0_SK_SP_E_clIPiSE_SF_SF_EEDaS13_S14_SK_SP_EUlS13_E_NS1_11comp_targetILNS1_3genE8ELNS1_11target_archE1030ELNS1_3gpuE2ELNS1_3repE0EEENS1_47radix_sort_onesweep_sort_config_static_selectorELNS0_4arch9wavefront6targetE1EEEvSK_
; %bb.0:
	.section	.rodata,"a",@progbits
	.p2align	6, 0x0
	.amdhsa_kernel _ZN7rocprim17ROCPRIM_400000_NS6detail17trampoline_kernelINS0_14default_configENS1_35radix_sort_onesweep_config_selectorIiNS0_10empty_typeEEEZZNS1_29radix_sort_onesweep_iterationIS3_Lb1EN6thrust23THRUST_200600_302600_NS6detail15normal_iteratorINS9_10device_ptrIiEEEESE_PS5_SF_jNS0_19identity_decomposerENS1_16block_id_wrapperIjLb0EEEEE10hipError_tT1_PNSt15iterator_traitsISK_E10value_typeET2_T3_PNSL_ISQ_E10value_typeET4_T5_PSV_SW_PNS1_23onesweep_lookback_stateEbbT6_jjT7_P12ihipStream_tbENKUlT_T0_SK_SP_E_clIPiSE_SF_SF_EEDaS13_S14_SK_SP_EUlS13_E_NS1_11comp_targetILNS1_3genE8ELNS1_11target_archE1030ELNS1_3gpuE2ELNS1_3repE0EEENS1_47radix_sort_onesweep_sort_config_static_selectorELNS0_4arch9wavefront6targetE1EEEvSK_
		.amdhsa_group_segment_fixed_size 0
		.amdhsa_private_segment_fixed_size 0
		.amdhsa_kernarg_size 88
		.amdhsa_user_sgpr_count 2
		.amdhsa_user_sgpr_dispatch_ptr 0
		.amdhsa_user_sgpr_queue_ptr 0
		.amdhsa_user_sgpr_kernarg_segment_ptr 1
		.amdhsa_user_sgpr_dispatch_id 0
		.amdhsa_user_sgpr_kernarg_preload_length 0
		.amdhsa_user_sgpr_kernarg_preload_offset 0
		.amdhsa_user_sgpr_private_segment_size 0
		.amdhsa_uses_dynamic_stack 0
		.amdhsa_enable_private_segment 0
		.amdhsa_system_sgpr_workgroup_id_x 1
		.amdhsa_system_sgpr_workgroup_id_y 0
		.amdhsa_system_sgpr_workgroup_id_z 0
		.amdhsa_system_sgpr_workgroup_info 0
		.amdhsa_system_vgpr_workitem_id 0
		.amdhsa_next_free_vgpr 1
		.amdhsa_next_free_sgpr 0
		.amdhsa_accum_offset 4
		.amdhsa_reserve_vcc 0
		.amdhsa_float_round_mode_32 0
		.amdhsa_float_round_mode_16_64 0
		.amdhsa_float_denorm_mode_32 3
		.amdhsa_float_denorm_mode_16_64 3
		.amdhsa_dx10_clamp 1
		.amdhsa_ieee_mode 1
		.amdhsa_fp16_overflow 0
		.amdhsa_tg_split 0
		.amdhsa_exception_fp_ieee_invalid_op 0
		.amdhsa_exception_fp_denorm_src 0
		.amdhsa_exception_fp_ieee_div_zero 0
		.amdhsa_exception_fp_ieee_overflow 0
		.amdhsa_exception_fp_ieee_underflow 0
		.amdhsa_exception_fp_ieee_inexact 0
		.amdhsa_exception_int_div_zero 0
	.end_amdhsa_kernel
	.section	.text._ZN7rocprim17ROCPRIM_400000_NS6detail17trampoline_kernelINS0_14default_configENS1_35radix_sort_onesweep_config_selectorIiNS0_10empty_typeEEEZZNS1_29radix_sort_onesweep_iterationIS3_Lb1EN6thrust23THRUST_200600_302600_NS6detail15normal_iteratorINS9_10device_ptrIiEEEESE_PS5_SF_jNS0_19identity_decomposerENS1_16block_id_wrapperIjLb0EEEEE10hipError_tT1_PNSt15iterator_traitsISK_E10value_typeET2_T3_PNSL_ISQ_E10value_typeET4_T5_PSV_SW_PNS1_23onesweep_lookback_stateEbbT6_jjT7_P12ihipStream_tbENKUlT_T0_SK_SP_E_clIPiSE_SF_SF_EEDaS13_S14_SK_SP_EUlS13_E_NS1_11comp_targetILNS1_3genE8ELNS1_11target_archE1030ELNS1_3gpuE2ELNS1_3repE0EEENS1_47radix_sort_onesweep_sort_config_static_selectorELNS0_4arch9wavefront6targetE1EEEvSK_,"axG",@progbits,_ZN7rocprim17ROCPRIM_400000_NS6detail17trampoline_kernelINS0_14default_configENS1_35radix_sort_onesweep_config_selectorIiNS0_10empty_typeEEEZZNS1_29radix_sort_onesweep_iterationIS3_Lb1EN6thrust23THRUST_200600_302600_NS6detail15normal_iteratorINS9_10device_ptrIiEEEESE_PS5_SF_jNS0_19identity_decomposerENS1_16block_id_wrapperIjLb0EEEEE10hipError_tT1_PNSt15iterator_traitsISK_E10value_typeET2_T3_PNSL_ISQ_E10value_typeET4_T5_PSV_SW_PNS1_23onesweep_lookback_stateEbbT6_jjT7_P12ihipStream_tbENKUlT_T0_SK_SP_E_clIPiSE_SF_SF_EEDaS13_S14_SK_SP_EUlS13_E_NS1_11comp_targetILNS1_3genE8ELNS1_11target_archE1030ELNS1_3gpuE2ELNS1_3repE0EEENS1_47radix_sort_onesweep_sort_config_static_selectorELNS0_4arch9wavefront6targetE1EEEvSK_,comdat
.Lfunc_end389:
	.size	_ZN7rocprim17ROCPRIM_400000_NS6detail17trampoline_kernelINS0_14default_configENS1_35radix_sort_onesweep_config_selectorIiNS0_10empty_typeEEEZZNS1_29radix_sort_onesweep_iterationIS3_Lb1EN6thrust23THRUST_200600_302600_NS6detail15normal_iteratorINS9_10device_ptrIiEEEESE_PS5_SF_jNS0_19identity_decomposerENS1_16block_id_wrapperIjLb0EEEEE10hipError_tT1_PNSt15iterator_traitsISK_E10value_typeET2_T3_PNSL_ISQ_E10value_typeET4_T5_PSV_SW_PNS1_23onesweep_lookback_stateEbbT6_jjT7_P12ihipStream_tbENKUlT_T0_SK_SP_E_clIPiSE_SF_SF_EEDaS13_S14_SK_SP_EUlS13_E_NS1_11comp_targetILNS1_3genE8ELNS1_11target_archE1030ELNS1_3gpuE2ELNS1_3repE0EEENS1_47radix_sort_onesweep_sort_config_static_selectorELNS0_4arch9wavefront6targetE1EEEvSK_, .Lfunc_end389-_ZN7rocprim17ROCPRIM_400000_NS6detail17trampoline_kernelINS0_14default_configENS1_35radix_sort_onesweep_config_selectorIiNS0_10empty_typeEEEZZNS1_29radix_sort_onesweep_iterationIS3_Lb1EN6thrust23THRUST_200600_302600_NS6detail15normal_iteratorINS9_10device_ptrIiEEEESE_PS5_SF_jNS0_19identity_decomposerENS1_16block_id_wrapperIjLb0EEEEE10hipError_tT1_PNSt15iterator_traitsISK_E10value_typeET2_T3_PNSL_ISQ_E10value_typeET4_T5_PSV_SW_PNS1_23onesweep_lookback_stateEbbT6_jjT7_P12ihipStream_tbENKUlT_T0_SK_SP_E_clIPiSE_SF_SF_EEDaS13_S14_SK_SP_EUlS13_E_NS1_11comp_targetILNS1_3genE8ELNS1_11target_archE1030ELNS1_3gpuE2ELNS1_3repE0EEENS1_47radix_sort_onesweep_sort_config_static_selectorELNS0_4arch9wavefront6targetE1EEEvSK_
                                        ; -- End function
	.set _ZN7rocprim17ROCPRIM_400000_NS6detail17trampoline_kernelINS0_14default_configENS1_35radix_sort_onesweep_config_selectorIiNS0_10empty_typeEEEZZNS1_29radix_sort_onesweep_iterationIS3_Lb1EN6thrust23THRUST_200600_302600_NS6detail15normal_iteratorINS9_10device_ptrIiEEEESE_PS5_SF_jNS0_19identity_decomposerENS1_16block_id_wrapperIjLb0EEEEE10hipError_tT1_PNSt15iterator_traitsISK_E10value_typeET2_T3_PNSL_ISQ_E10value_typeET4_T5_PSV_SW_PNS1_23onesweep_lookback_stateEbbT6_jjT7_P12ihipStream_tbENKUlT_T0_SK_SP_E_clIPiSE_SF_SF_EEDaS13_S14_SK_SP_EUlS13_E_NS1_11comp_targetILNS1_3genE8ELNS1_11target_archE1030ELNS1_3gpuE2ELNS1_3repE0EEENS1_47radix_sort_onesweep_sort_config_static_selectorELNS0_4arch9wavefront6targetE1EEEvSK_.num_vgpr, 0
	.set _ZN7rocprim17ROCPRIM_400000_NS6detail17trampoline_kernelINS0_14default_configENS1_35radix_sort_onesweep_config_selectorIiNS0_10empty_typeEEEZZNS1_29radix_sort_onesweep_iterationIS3_Lb1EN6thrust23THRUST_200600_302600_NS6detail15normal_iteratorINS9_10device_ptrIiEEEESE_PS5_SF_jNS0_19identity_decomposerENS1_16block_id_wrapperIjLb0EEEEE10hipError_tT1_PNSt15iterator_traitsISK_E10value_typeET2_T3_PNSL_ISQ_E10value_typeET4_T5_PSV_SW_PNS1_23onesweep_lookback_stateEbbT6_jjT7_P12ihipStream_tbENKUlT_T0_SK_SP_E_clIPiSE_SF_SF_EEDaS13_S14_SK_SP_EUlS13_E_NS1_11comp_targetILNS1_3genE8ELNS1_11target_archE1030ELNS1_3gpuE2ELNS1_3repE0EEENS1_47radix_sort_onesweep_sort_config_static_selectorELNS0_4arch9wavefront6targetE1EEEvSK_.num_agpr, 0
	.set _ZN7rocprim17ROCPRIM_400000_NS6detail17trampoline_kernelINS0_14default_configENS1_35radix_sort_onesweep_config_selectorIiNS0_10empty_typeEEEZZNS1_29radix_sort_onesweep_iterationIS3_Lb1EN6thrust23THRUST_200600_302600_NS6detail15normal_iteratorINS9_10device_ptrIiEEEESE_PS5_SF_jNS0_19identity_decomposerENS1_16block_id_wrapperIjLb0EEEEE10hipError_tT1_PNSt15iterator_traitsISK_E10value_typeET2_T3_PNSL_ISQ_E10value_typeET4_T5_PSV_SW_PNS1_23onesweep_lookback_stateEbbT6_jjT7_P12ihipStream_tbENKUlT_T0_SK_SP_E_clIPiSE_SF_SF_EEDaS13_S14_SK_SP_EUlS13_E_NS1_11comp_targetILNS1_3genE8ELNS1_11target_archE1030ELNS1_3gpuE2ELNS1_3repE0EEENS1_47radix_sort_onesweep_sort_config_static_selectorELNS0_4arch9wavefront6targetE1EEEvSK_.numbered_sgpr, 0
	.set _ZN7rocprim17ROCPRIM_400000_NS6detail17trampoline_kernelINS0_14default_configENS1_35radix_sort_onesweep_config_selectorIiNS0_10empty_typeEEEZZNS1_29radix_sort_onesweep_iterationIS3_Lb1EN6thrust23THRUST_200600_302600_NS6detail15normal_iteratorINS9_10device_ptrIiEEEESE_PS5_SF_jNS0_19identity_decomposerENS1_16block_id_wrapperIjLb0EEEEE10hipError_tT1_PNSt15iterator_traitsISK_E10value_typeET2_T3_PNSL_ISQ_E10value_typeET4_T5_PSV_SW_PNS1_23onesweep_lookback_stateEbbT6_jjT7_P12ihipStream_tbENKUlT_T0_SK_SP_E_clIPiSE_SF_SF_EEDaS13_S14_SK_SP_EUlS13_E_NS1_11comp_targetILNS1_3genE8ELNS1_11target_archE1030ELNS1_3gpuE2ELNS1_3repE0EEENS1_47radix_sort_onesweep_sort_config_static_selectorELNS0_4arch9wavefront6targetE1EEEvSK_.num_named_barrier, 0
	.set _ZN7rocprim17ROCPRIM_400000_NS6detail17trampoline_kernelINS0_14default_configENS1_35radix_sort_onesweep_config_selectorIiNS0_10empty_typeEEEZZNS1_29radix_sort_onesweep_iterationIS3_Lb1EN6thrust23THRUST_200600_302600_NS6detail15normal_iteratorINS9_10device_ptrIiEEEESE_PS5_SF_jNS0_19identity_decomposerENS1_16block_id_wrapperIjLb0EEEEE10hipError_tT1_PNSt15iterator_traitsISK_E10value_typeET2_T3_PNSL_ISQ_E10value_typeET4_T5_PSV_SW_PNS1_23onesweep_lookback_stateEbbT6_jjT7_P12ihipStream_tbENKUlT_T0_SK_SP_E_clIPiSE_SF_SF_EEDaS13_S14_SK_SP_EUlS13_E_NS1_11comp_targetILNS1_3genE8ELNS1_11target_archE1030ELNS1_3gpuE2ELNS1_3repE0EEENS1_47radix_sort_onesweep_sort_config_static_selectorELNS0_4arch9wavefront6targetE1EEEvSK_.private_seg_size, 0
	.set _ZN7rocprim17ROCPRIM_400000_NS6detail17trampoline_kernelINS0_14default_configENS1_35radix_sort_onesweep_config_selectorIiNS0_10empty_typeEEEZZNS1_29radix_sort_onesweep_iterationIS3_Lb1EN6thrust23THRUST_200600_302600_NS6detail15normal_iteratorINS9_10device_ptrIiEEEESE_PS5_SF_jNS0_19identity_decomposerENS1_16block_id_wrapperIjLb0EEEEE10hipError_tT1_PNSt15iterator_traitsISK_E10value_typeET2_T3_PNSL_ISQ_E10value_typeET4_T5_PSV_SW_PNS1_23onesweep_lookback_stateEbbT6_jjT7_P12ihipStream_tbENKUlT_T0_SK_SP_E_clIPiSE_SF_SF_EEDaS13_S14_SK_SP_EUlS13_E_NS1_11comp_targetILNS1_3genE8ELNS1_11target_archE1030ELNS1_3gpuE2ELNS1_3repE0EEENS1_47radix_sort_onesweep_sort_config_static_selectorELNS0_4arch9wavefront6targetE1EEEvSK_.uses_vcc, 0
	.set _ZN7rocprim17ROCPRIM_400000_NS6detail17trampoline_kernelINS0_14default_configENS1_35radix_sort_onesweep_config_selectorIiNS0_10empty_typeEEEZZNS1_29radix_sort_onesweep_iterationIS3_Lb1EN6thrust23THRUST_200600_302600_NS6detail15normal_iteratorINS9_10device_ptrIiEEEESE_PS5_SF_jNS0_19identity_decomposerENS1_16block_id_wrapperIjLb0EEEEE10hipError_tT1_PNSt15iterator_traitsISK_E10value_typeET2_T3_PNSL_ISQ_E10value_typeET4_T5_PSV_SW_PNS1_23onesweep_lookback_stateEbbT6_jjT7_P12ihipStream_tbENKUlT_T0_SK_SP_E_clIPiSE_SF_SF_EEDaS13_S14_SK_SP_EUlS13_E_NS1_11comp_targetILNS1_3genE8ELNS1_11target_archE1030ELNS1_3gpuE2ELNS1_3repE0EEENS1_47radix_sort_onesweep_sort_config_static_selectorELNS0_4arch9wavefront6targetE1EEEvSK_.uses_flat_scratch, 0
	.set _ZN7rocprim17ROCPRIM_400000_NS6detail17trampoline_kernelINS0_14default_configENS1_35radix_sort_onesweep_config_selectorIiNS0_10empty_typeEEEZZNS1_29radix_sort_onesweep_iterationIS3_Lb1EN6thrust23THRUST_200600_302600_NS6detail15normal_iteratorINS9_10device_ptrIiEEEESE_PS5_SF_jNS0_19identity_decomposerENS1_16block_id_wrapperIjLb0EEEEE10hipError_tT1_PNSt15iterator_traitsISK_E10value_typeET2_T3_PNSL_ISQ_E10value_typeET4_T5_PSV_SW_PNS1_23onesweep_lookback_stateEbbT6_jjT7_P12ihipStream_tbENKUlT_T0_SK_SP_E_clIPiSE_SF_SF_EEDaS13_S14_SK_SP_EUlS13_E_NS1_11comp_targetILNS1_3genE8ELNS1_11target_archE1030ELNS1_3gpuE2ELNS1_3repE0EEENS1_47radix_sort_onesweep_sort_config_static_selectorELNS0_4arch9wavefront6targetE1EEEvSK_.has_dyn_sized_stack, 0
	.set _ZN7rocprim17ROCPRIM_400000_NS6detail17trampoline_kernelINS0_14default_configENS1_35radix_sort_onesweep_config_selectorIiNS0_10empty_typeEEEZZNS1_29radix_sort_onesweep_iterationIS3_Lb1EN6thrust23THRUST_200600_302600_NS6detail15normal_iteratorINS9_10device_ptrIiEEEESE_PS5_SF_jNS0_19identity_decomposerENS1_16block_id_wrapperIjLb0EEEEE10hipError_tT1_PNSt15iterator_traitsISK_E10value_typeET2_T3_PNSL_ISQ_E10value_typeET4_T5_PSV_SW_PNS1_23onesweep_lookback_stateEbbT6_jjT7_P12ihipStream_tbENKUlT_T0_SK_SP_E_clIPiSE_SF_SF_EEDaS13_S14_SK_SP_EUlS13_E_NS1_11comp_targetILNS1_3genE8ELNS1_11target_archE1030ELNS1_3gpuE2ELNS1_3repE0EEENS1_47radix_sort_onesweep_sort_config_static_selectorELNS0_4arch9wavefront6targetE1EEEvSK_.has_recursion, 0
	.set _ZN7rocprim17ROCPRIM_400000_NS6detail17trampoline_kernelINS0_14default_configENS1_35radix_sort_onesweep_config_selectorIiNS0_10empty_typeEEEZZNS1_29radix_sort_onesweep_iterationIS3_Lb1EN6thrust23THRUST_200600_302600_NS6detail15normal_iteratorINS9_10device_ptrIiEEEESE_PS5_SF_jNS0_19identity_decomposerENS1_16block_id_wrapperIjLb0EEEEE10hipError_tT1_PNSt15iterator_traitsISK_E10value_typeET2_T3_PNSL_ISQ_E10value_typeET4_T5_PSV_SW_PNS1_23onesweep_lookback_stateEbbT6_jjT7_P12ihipStream_tbENKUlT_T0_SK_SP_E_clIPiSE_SF_SF_EEDaS13_S14_SK_SP_EUlS13_E_NS1_11comp_targetILNS1_3genE8ELNS1_11target_archE1030ELNS1_3gpuE2ELNS1_3repE0EEENS1_47radix_sort_onesweep_sort_config_static_selectorELNS0_4arch9wavefront6targetE1EEEvSK_.has_indirect_call, 0
	.section	.AMDGPU.csdata,"",@progbits
; Kernel info:
; codeLenInByte = 0
; TotalNumSgprs: 6
; NumVgprs: 0
; NumAgprs: 0
; TotalNumVgprs: 0
; ScratchSize: 0
; MemoryBound: 0
; FloatMode: 240
; IeeeMode: 1
; LDSByteSize: 0 bytes/workgroup (compile time only)
; SGPRBlocks: 0
; VGPRBlocks: 0
; NumSGPRsForWavesPerEU: 6
; NumVGPRsForWavesPerEU: 1
; AccumOffset: 4
; Occupancy: 8
; WaveLimiterHint : 0
; COMPUTE_PGM_RSRC2:SCRATCH_EN: 0
; COMPUTE_PGM_RSRC2:USER_SGPR: 2
; COMPUTE_PGM_RSRC2:TRAP_HANDLER: 0
; COMPUTE_PGM_RSRC2:TGID_X_EN: 1
; COMPUTE_PGM_RSRC2:TGID_Y_EN: 0
; COMPUTE_PGM_RSRC2:TGID_Z_EN: 0
; COMPUTE_PGM_RSRC2:TIDIG_COMP_CNT: 0
; COMPUTE_PGM_RSRC3_GFX90A:ACCUM_OFFSET: 0
; COMPUTE_PGM_RSRC3_GFX90A:TG_SPLIT: 0
	.section	.text._ZN7rocprim17ROCPRIM_400000_NS6detail44device_merge_sort_compile_time_verifier_archINS1_11comp_targetILNS1_3genE0ELNS1_11target_archE4294967295ELNS1_3gpuE0ELNS1_3repE0EEES8_NS0_14default_configES9_NS1_37merge_sort_block_sort_config_selectorIiNS0_10empty_typeEEENS1_38merge_sort_block_merge_config_selectorIiSB_EEEEvv,"axG",@progbits,_ZN7rocprim17ROCPRIM_400000_NS6detail44device_merge_sort_compile_time_verifier_archINS1_11comp_targetILNS1_3genE0ELNS1_11target_archE4294967295ELNS1_3gpuE0ELNS1_3repE0EEES8_NS0_14default_configES9_NS1_37merge_sort_block_sort_config_selectorIiNS0_10empty_typeEEENS1_38merge_sort_block_merge_config_selectorIiSB_EEEEvv,comdat
	.protected	_ZN7rocprim17ROCPRIM_400000_NS6detail44device_merge_sort_compile_time_verifier_archINS1_11comp_targetILNS1_3genE0ELNS1_11target_archE4294967295ELNS1_3gpuE0ELNS1_3repE0EEES8_NS0_14default_configES9_NS1_37merge_sort_block_sort_config_selectorIiNS0_10empty_typeEEENS1_38merge_sort_block_merge_config_selectorIiSB_EEEEvv ; -- Begin function _ZN7rocprim17ROCPRIM_400000_NS6detail44device_merge_sort_compile_time_verifier_archINS1_11comp_targetILNS1_3genE0ELNS1_11target_archE4294967295ELNS1_3gpuE0ELNS1_3repE0EEES8_NS0_14default_configES9_NS1_37merge_sort_block_sort_config_selectorIiNS0_10empty_typeEEENS1_38merge_sort_block_merge_config_selectorIiSB_EEEEvv
	.globl	_ZN7rocprim17ROCPRIM_400000_NS6detail44device_merge_sort_compile_time_verifier_archINS1_11comp_targetILNS1_3genE0ELNS1_11target_archE4294967295ELNS1_3gpuE0ELNS1_3repE0EEES8_NS0_14default_configES9_NS1_37merge_sort_block_sort_config_selectorIiNS0_10empty_typeEEENS1_38merge_sort_block_merge_config_selectorIiSB_EEEEvv
	.p2align	8
	.type	_ZN7rocprim17ROCPRIM_400000_NS6detail44device_merge_sort_compile_time_verifier_archINS1_11comp_targetILNS1_3genE0ELNS1_11target_archE4294967295ELNS1_3gpuE0ELNS1_3repE0EEES8_NS0_14default_configES9_NS1_37merge_sort_block_sort_config_selectorIiNS0_10empty_typeEEENS1_38merge_sort_block_merge_config_selectorIiSB_EEEEvv,@function
_ZN7rocprim17ROCPRIM_400000_NS6detail44device_merge_sort_compile_time_verifier_archINS1_11comp_targetILNS1_3genE0ELNS1_11target_archE4294967295ELNS1_3gpuE0ELNS1_3repE0EEES8_NS0_14default_configES9_NS1_37merge_sort_block_sort_config_selectorIiNS0_10empty_typeEEENS1_38merge_sort_block_merge_config_selectorIiSB_EEEEvv: ; @_ZN7rocprim17ROCPRIM_400000_NS6detail44device_merge_sort_compile_time_verifier_archINS1_11comp_targetILNS1_3genE0ELNS1_11target_archE4294967295ELNS1_3gpuE0ELNS1_3repE0EEES8_NS0_14default_configES9_NS1_37merge_sort_block_sort_config_selectorIiNS0_10empty_typeEEENS1_38merge_sort_block_merge_config_selectorIiSB_EEEEvv
; %bb.0:
	s_endpgm
	.section	.rodata,"a",@progbits
	.p2align	6, 0x0
	.amdhsa_kernel _ZN7rocprim17ROCPRIM_400000_NS6detail44device_merge_sort_compile_time_verifier_archINS1_11comp_targetILNS1_3genE0ELNS1_11target_archE4294967295ELNS1_3gpuE0ELNS1_3repE0EEES8_NS0_14default_configES9_NS1_37merge_sort_block_sort_config_selectorIiNS0_10empty_typeEEENS1_38merge_sort_block_merge_config_selectorIiSB_EEEEvv
		.amdhsa_group_segment_fixed_size 0
		.amdhsa_private_segment_fixed_size 0
		.amdhsa_kernarg_size 0
		.amdhsa_user_sgpr_count 0
		.amdhsa_user_sgpr_dispatch_ptr 0
		.amdhsa_user_sgpr_queue_ptr 0
		.amdhsa_user_sgpr_kernarg_segment_ptr 0
		.amdhsa_user_sgpr_dispatch_id 0
		.amdhsa_user_sgpr_kernarg_preload_length 0
		.amdhsa_user_sgpr_kernarg_preload_offset 0
		.amdhsa_user_sgpr_private_segment_size 0
		.amdhsa_uses_dynamic_stack 0
		.amdhsa_enable_private_segment 0
		.amdhsa_system_sgpr_workgroup_id_x 1
		.amdhsa_system_sgpr_workgroup_id_y 0
		.amdhsa_system_sgpr_workgroup_id_z 0
		.amdhsa_system_sgpr_workgroup_info 0
		.amdhsa_system_vgpr_workitem_id 0
		.amdhsa_next_free_vgpr 1
		.amdhsa_next_free_sgpr 0
		.amdhsa_accum_offset 4
		.amdhsa_reserve_vcc 0
		.amdhsa_float_round_mode_32 0
		.amdhsa_float_round_mode_16_64 0
		.amdhsa_float_denorm_mode_32 3
		.amdhsa_float_denorm_mode_16_64 3
		.amdhsa_dx10_clamp 1
		.amdhsa_ieee_mode 1
		.amdhsa_fp16_overflow 0
		.amdhsa_tg_split 0
		.amdhsa_exception_fp_ieee_invalid_op 0
		.amdhsa_exception_fp_denorm_src 0
		.amdhsa_exception_fp_ieee_div_zero 0
		.amdhsa_exception_fp_ieee_overflow 0
		.amdhsa_exception_fp_ieee_underflow 0
		.amdhsa_exception_fp_ieee_inexact 0
		.amdhsa_exception_int_div_zero 0
	.end_amdhsa_kernel
	.section	.text._ZN7rocprim17ROCPRIM_400000_NS6detail44device_merge_sort_compile_time_verifier_archINS1_11comp_targetILNS1_3genE0ELNS1_11target_archE4294967295ELNS1_3gpuE0ELNS1_3repE0EEES8_NS0_14default_configES9_NS1_37merge_sort_block_sort_config_selectorIiNS0_10empty_typeEEENS1_38merge_sort_block_merge_config_selectorIiSB_EEEEvv,"axG",@progbits,_ZN7rocprim17ROCPRIM_400000_NS6detail44device_merge_sort_compile_time_verifier_archINS1_11comp_targetILNS1_3genE0ELNS1_11target_archE4294967295ELNS1_3gpuE0ELNS1_3repE0EEES8_NS0_14default_configES9_NS1_37merge_sort_block_sort_config_selectorIiNS0_10empty_typeEEENS1_38merge_sort_block_merge_config_selectorIiSB_EEEEvv,comdat
.Lfunc_end390:
	.size	_ZN7rocprim17ROCPRIM_400000_NS6detail44device_merge_sort_compile_time_verifier_archINS1_11comp_targetILNS1_3genE0ELNS1_11target_archE4294967295ELNS1_3gpuE0ELNS1_3repE0EEES8_NS0_14default_configES9_NS1_37merge_sort_block_sort_config_selectorIiNS0_10empty_typeEEENS1_38merge_sort_block_merge_config_selectorIiSB_EEEEvv, .Lfunc_end390-_ZN7rocprim17ROCPRIM_400000_NS6detail44device_merge_sort_compile_time_verifier_archINS1_11comp_targetILNS1_3genE0ELNS1_11target_archE4294967295ELNS1_3gpuE0ELNS1_3repE0EEES8_NS0_14default_configES9_NS1_37merge_sort_block_sort_config_selectorIiNS0_10empty_typeEEENS1_38merge_sort_block_merge_config_selectorIiSB_EEEEvv
                                        ; -- End function
	.set _ZN7rocprim17ROCPRIM_400000_NS6detail44device_merge_sort_compile_time_verifier_archINS1_11comp_targetILNS1_3genE0ELNS1_11target_archE4294967295ELNS1_3gpuE0ELNS1_3repE0EEES8_NS0_14default_configES9_NS1_37merge_sort_block_sort_config_selectorIiNS0_10empty_typeEEENS1_38merge_sort_block_merge_config_selectorIiSB_EEEEvv.num_vgpr, 0
	.set _ZN7rocprim17ROCPRIM_400000_NS6detail44device_merge_sort_compile_time_verifier_archINS1_11comp_targetILNS1_3genE0ELNS1_11target_archE4294967295ELNS1_3gpuE0ELNS1_3repE0EEES8_NS0_14default_configES9_NS1_37merge_sort_block_sort_config_selectorIiNS0_10empty_typeEEENS1_38merge_sort_block_merge_config_selectorIiSB_EEEEvv.num_agpr, 0
	.set _ZN7rocprim17ROCPRIM_400000_NS6detail44device_merge_sort_compile_time_verifier_archINS1_11comp_targetILNS1_3genE0ELNS1_11target_archE4294967295ELNS1_3gpuE0ELNS1_3repE0EEES8_NS0_14default_configES9_NS1_37merge_sort_block_sort_config_selectorIiNS0_10empty_typeEEENS1_38merge_sort_block_merge_config_selectorIiSB_EEEEvv.numbered_sgpr, 0
	.set _ZN7rocprim17ROCPRIM_400000_NS6detail44device_merge_sort_compile_time_verifier_archINS1_11comp_targetILNS1_3genE0ELNS1_11target_archE4294967295ELNS1_3gpuE0ELNS1_3repE0EEES8_NS0_14default_configES9_NS1_37merge_sort_block_sort_config_selectorIiNS0_10empty_typeEEENS1_38merge_sort_block_merge_config_selectorIiSB_EEEEvv.num_named_barrier, 0
	.set _ZN7rocprim17ROCPRIM_400000_NS6detail44device_merge_sort_compile_time_verifier_archINS1_11comp_targetILNS1_3genE0ELNS1_11target_archE4294967295ELNS1_3gpuE0ELNS1_3repE0EEES8_NS0_14default_configES9_NS1_37merge_sort_block_sort_config_selectorIiNS0_10empty_typeEEENS1_38merge_sort_block_merge_config_selectorIiSB_EEEEvv.private_seg_size, 0
	.set _ZN7rocprim17ROCPRIM_400000_NS6detail44device_merge_sort_compile_time_verifier_archINS1_11comp_targetILNS1_3genE0ELNS1_11target_archE4294967295ELNS1_3gpuE0ELNS1_3repE0EEES8_NS0_14default_configES9_NS1_37merge_sort_block_sort_config_selectorIiNS0_10empty_typeEEENS1_38merge_sort_block_merge_config_selectorIiSB_EEEEvv.uses_vcc, 0
	.set _ZN7rocprim17ROCPRIM_400000_NS6detail44device_merge_sort_compile_time_verifier_archINS1_11comp_targetILNS1_3genE0ELNS1_11target_archE4294967295ELNS1_3gpuE0ELNS1_3repE0EEES8_NS0_14default_configES9_NS1_37merge_sort_block_sort_config_selectorIiNS0_10empty_typeEEENS1_38merge_sort_block_merge_config_selectorIiSB_EEEEvv.uses_flat_scratch, 0
	.set _ZN7rocprim17ROCPRIM_400000_NS6detail44device_merge_sort_compile_time_verifier_archINS1_11comp_targetILNS1_3genE0ELNS1_11target_archE4294967295ELNS1_3gpuE0ELNS1_3repE0EEES8_NS0_14default_configES9_NS1_37merge_sort_block_sort_config_selectorIiNS0_10empty_typeEEENS1_38merge_sort_block_merge_config_selectorIiSB_EEEEvv.has_dyn_sized_stack, 0
	.set _ZN7rocprim17ROCPRIM_400000_NS6detail44device_merge_sort_compile_time_verifier_archINS1_11comp_targetILNS1_3genE0ELNS1_11target_archE4294967295ELNS1_3gpuE0ELNS1_3repE0EEES8_NS0_14default_configES9_NS1_37merge_sort_block_sort_config_selectorIiNS0_10empty_typeEEENS1_38merge_sort_block_merge_config_selectorIiSB_EEEEvv.has_recursion, 0
	.set _ZN7rocprim17ROCPRIM_400000_NS6detail44device_merge_sort_compile_time_verifier_archINS1_11comp_targetILNS1_3genE0ELNS1_11target_archE4294967295ELNS1_3gpuE0ELNS1_3repE0EEES8_NS0_14default_configES9_NS1_37merge_sort_block_sort_config_selectorIiNS0_10empty_typeEEENS1_38merge_sort_block_merge_config_selectorIiSB_EEEEvv.has_indirect_call, 0
	.section	.AMDGPU.csdata,"",@progbits
; Kernel info:
; codeLenInByte = 4
; TotalNumSgprs: 6
; NumVgprs: 0
; NumAgprs: 0
; TotalNumVgprs: 0
; ScratchSize: 0
; MemoryBound: 0
; FloatMode: 240
; IeeeMode: 1
; LDSByteSize: 0 bytes/workgroup (compile time only)
; SGPRBlocks: 0
; VGPRBlocks: 0
; NumSGPRsForWavesPerEU: 6
; NumVGPRsForWavesPerEU: 1
; AccumOffset: 4
; Occupancy: 8
; WaveLimiterHint : 0
; COMPUTE_PGM_RSRC2:SCRATCH_EN: 0
; COMPUTE_PGM_RSRC2:USER_SGPR: 0
; COMPUTE_PGM_RSRC2:TRAP_HANDLER: 0
; COMPUTE_PGM_RSRC2:TGID_X_EN: 1
; COMPUTE_PGM_RSRC2:TGID_Y_EN: 0
; COMPUTE_PGM_RSRC2:TGID_Z_EN: 0
; COMPUTE_PGM_RSRC2:TIDIG_COMP_CNT: 0
; COMPUTE_PGM_RSRC3_GFX90A:ACCUM_OFFSET: 0
; COMPUTE_PGM_RSRC3_GFX90A:TG_SPLIT: 0
	.section	.text._ZN7rocprim17ROCPRIM_400000_NS6detail44device_merge_sort_compile_time_verifier_archINS1_11comp_targetILNS1_3genE5ELNS1_11target_archE942ELNS1_3gpuE9ELNS1_3repE0EEES8_NS0_14default_configES9_NS1_37merge_sort_block_sort_config_selectorIiNS0_10empty_typeEEENS1_38merge_sort_block_merge_config_selectorIiSB_EEEEvv,"axG",@progbits,_ZN7rocprim17ROCPRIM_400000_NS6detail44device_merge_sort_compile_time_verifier_archINS1_11comp_targetILNS1_3genE5ELNS1_11target_archE942ELNS1_3gpuE9ELNS1_3repE0EEES8_NS0_14default_configES9_NS1_37merge_sort_block_sort_config_selectorIiNS0_10empty_typeEEENS1_38merge_sort_block_merge_config_selectorIiSB_EEEEvv,comdat
	.protected	_ZN7rocprim17ROCPRIM_400000_NS6detail44device_merge_sort_compile_time_verifier_archINS1_11comp_targetILNS1_3genE5ELNS1_11target_archE942ELNS1_3gpuE9ELNS1_3repE0EEES8_NS0_14default_configES9_NS1_37merge_sort_block_sort_config_selectorIiNS0_10empty_typeEEENS1_38merge_sort_block_merge_config_selectorIiSB_EEEEvv ; -- Begin function _ZN7rocprim17ROCPRIM_400000_NS6detail44device_merge_sort_compile_time_verifier_archINS1_11comp_targetILNS1_3genE5ELNS1_11target_archE942ELNS1_3gpuE9ELNS1_3repE0EEES8_NS0_14default_configES9_NS1_37merge_sort_block_sort_config_selectorIiNS0_10empty_typeEEENS1_38merge_sort_block_merge_config_selectorIiSB_EEEEvv
	.globl	_ZN7rocprim17ROCPRIM_400000_NS6detail44device_merge_sort_compile_time_verifier_archINS1_11comp_targetILNS1_3genE5ELNS1_11target_archE942ELNS1_3gpuE9ELNS1_3repE0EEES8_NS0_14default_configES9_NS1_37merge_sort_block_sort_config_selectorIiNS0_10empty_typeEEENS1_38merge_sort_block_merge_config_selectorIiSB_EEEEvv
	.p2align	8
	.type	_ZN7rocprim17ROCPRIM_400000_NS6detail44device_merge_sort_compile_time_verifier_archINS1_11comp_targetILNS1_3genE5ELNS1_11target_archE942ELNS1_3gpuE9ELNS1_3repE0EEES8_NS0_14default_configES9_NS1_37merge_sort_block_sort_config_selectorIiNS0_10empty_typeEEENS1_38merge_sort_block_merge_config_selectorIiSB_EEEEvv,@function
_ZN7rocprim17ROCPRIM_400000_NS6detail44device_merge_sort_compile_time_verifier_archINS1_11comp_targetILNS1_3genE5ELNS1_11target_archE942ELNS1_3gpuE9ELNS1_3repE0EEES8_NS0_14default_configES9_NS1_37merge_sort_block_sort_config_selectorIiNS0_10empty_typeEEENS1_38merge_sort_block_merge_config_selectorIiSB_EEEEvv: ; @_ZN7rocprim17ROCPRIM_400000_NS6detail44device_merge_sort_compile_time_verifier_archINS1_11comp_targetILNS1_3genE5ELNS1_11target_archE942ELNS1_3gpuE9ELNS1_3repE0EEES8_NS0_14default_configES9_NS1_37merge_sort_block_sort_config_selectorIiNS0_10empty_typeEEENS1_38merge_sort_block_merge_config_selectorIiSB_EEEEvv
; %bb.0:
	s_endpgm
	.section	.rodata,"a",@progbits
	.p2align	6, 0x0
	.amdhsa_kernel _ZN7rocprim17ROCPRIM_400000_NS6detail44device_merge_sort_compile_time_verifier_archINS1_11comp_targetILNS1_3genE5ELNS1_11target_archE942ELNS1_3gpuE9ELNS1_3repE0EEES8_NS0_14default_configES9_NS1_37merge_sort_block_sort_config_selectorIiNS0_10empty_typeEEENS1_38merge_sort_block_merge_config_selectorIiSB_EEEEvv
		.amdhsa_group_segment_fixed_size 0
		.amdhsa_private_segment_fixed_size 0
		.amdhsa_kernarg_size 0
		.amdhsa_user_sgpr_count 0
		.amdhsa_user_sgpr_dispatch_ptr 0
		.amdhsa_user_sgpr_queue_ptr 0
		.amdhsa_user_sgpr_kernarg_segment_ptr 0
		.amdhsa_user_sgpr_dispatch_id 0
		.amdhsa_user_sgpr_kernarg_preload_length 0
		.amdhsa_user_sgpr_kernarg_preload_offset 0
		.amdhsa_user_sgpr_private_segment_size 0
		.amdhsa_uses_dynamic_stack 0
		.amdhsa_enable_private_segment 0
		.amdhsa_system_sgpr_workgroup_id_x 1
		.amdhsa_system_sgpr_workgroup_id_y 0
		.amdhsa_system_sgpr_workgroup_id_z 0
		.amdhsa_system_sgpr_workgroup_info 0
		.amdhsa_system_vgpr_workitem_id 0
		.amdhsa_next_free_vgpr 1
		.amdhsa_next_free_sgpr 0
		.amdhsa_accum_offset 4
		.amdhsa_reserve_vcc 0
		.amdhsa_float_round_mode_32 0
		.amdhsa_float_round_mode_16_64 0
		.amdhsa_float_denorm_mode_32 3
		.amdhsa_float_denorm_mode_16_64 3
		.amdhsa_dx10_clamp 1
		.amdhsa_ieee_mode 1
		.amdhsa_fp16_overflow 0
		.amdhsa_tg_split 0
		.amdhsa_exception_fp_ieee_invalid_op 0
		.amdhsa_exception_fp_denorm_src 0
		.amdhsa_exception_fp_ieee_div_zero 0
		.amdhsa_exception_fp_ieee_overflow 0
		.amdhsa_exception_fp_ieee_underflow 0
		.amdhsa_exception_fp_ieee_inexact 0
		.amdhsa_exception_int_div_zero 0
	.end_amdhsa_kernel
	.section	.text._ZN7rocprim17ROCPRIM_400000_NS6detail44device_merge_sort_compile_time_verifier_archINS1_11comp_targetILNS1_3genE5ELNS1_11target_archE942ELNS1_3gpuE9ELNS1_3repE0EEES8_NS0_14default_configES9_NS1_37merge_sort_block_sort_config_selectorIiNS0_10empty_typeEEENS1_38merge_sort_block_merge_config_selectorIiSB_EEEEvv,"axG",@progbits,_ZN7rocprim17ROCPRIM_400000_NS6detail44device_merge_sort_compile_time_verifier_archINS1_11comp_targetILNS1_3genE5ELNS1_11target_archE942ELNS1_3gpuE9ELNS1_3repE0EEES8_NS0_14default_configES9_NS1_37merge_sort_block_sort_config_selectorIiNS0_10empty_typeEEENS1_38merge_sort_block_merge_config_selectorIiSB_EEEEvv,comdat
.Lfunc_end391:
	.size	_ZN7rocprim17ROCPRIM_400000_NS6detail44device_merge_sort_compile_time_verifier_archINS1_11comp_targetILNS1_3genE5ELNS1_11target_archE942ELNS1_3gpuE9ELNS1_3repE0EEES8_NS0_14default_configES9_NS1_37merge_sort_block_sort_config_selectorIiNS0_10empty_typeEEENS1_38merge_sort_block_merge_config_selectorIiSB_EEEEvv, .Lfunc_end391-_ZN7rocprim17ROCPRIM_400000_NS6detail44device_merge_sort_compile_time_verifier_archINS1_11comp_targetILNS1_3genE5ELNS1_11target_archE942ELNS1_3gpuE9ELNS1_3repE0EEES8_NS0_14default_configES9_NS1_37merge_sort_block_sort_config_selectorIiNS0_10empty_typeEEENS1_38merge_sort_block_merge_config_selectorIiSB_EEEEvv
                                        ; -- End function
	.set _ZN7rocprim17ROCPRIM_400000_NS6detail44device_merge_sort_compile_time_verifier_archINS1_11comp_targetILNS1_3genE5ELNS1_11target_archE942ELNS1_3gpuE9ELNS1_3repE0EEES8_NS0_14default_configES9_NS1_37merge_sort_block_sort_config_selectorIiNS0_10empty_typeEEENS1_38merge_sort_block_merge_config_selectorIiSB_EEEEvv.num_vgpr, 0
	.set _ZN7rocprim17ROCPRIM_400000_NS6detail44device_merge_sort_compile_time_verifier_archINS1_11comp_targetILNS1_3genE5ELNS1_11target_archE942ELNS1_3gpuE9ELNS1_3repE0EEES8_NS0_14default_configES9_NS1_37merge_sort_block_sort_config_selectorIiNS0_10empty_typeEEENS1_38merge_sort_block_merge_config_selectorIiSB_EEEEvv.num_agpr, 0
	.set _ZN7rocprim17ROCPRIM_400000_NS6detail44device_merge_sort_compile_time_verifier_archINS1_11comp_targetILNS1_3genE5ELNS1_11target_archE942ELNS1_3gpuE9ELNS1_3repE0EEES8_NS0_14default_configES9_NS1_37merge_sort_block_sort_config_selectorIiNS0_10empty_typeEEENS1_38merge_sort_block_merge_config_selectorIiSB_EEEEvv.numbered_sgpr, 0
	.set _ZN7rocprim17ROCPRIM_400000_NS6detail44device_merge_sort_compile_time_verifier_archINS1_11comp_targetILNS1_3genE5ELNS1_11target_archE942ELNS1_3gpuE9ELNS1_3repE0EEES8_NS0_14default_configES9_NS1_37merge_sort_block_sort_config_selectorIiNS0_10empty_typeEEENS1_38merge_sort_block_merge_config_selectorIiSB_EEEEvv.num_named_barrier, 0
	.set _ZN7rocprim17ROCPRIM_400000_NS6detail44device_merge_sort_compile_time_verifier_archINS1_11comp_targetILNS1_3genE5ELNS1_11target_archE942ELNS1_3gpuE9ELNS1_3repE0EEES8_NS0_14default_configES9_NS1_37merge_sort_block_sort_config_selectorIiNS0_10empty_typeEEENS1_38merge_sort_block_merge_config_selectorIiSB_EEEEvv.private_seg_size, 0
	.set _ZN7rocprim17ROCPRIM_400000_NS6detail44device_merge_sort_compile_time_verifier_archINS1_11comp_targetILNS1_3genE5ELNS1_11target_archE942ELNS1_3gpuE9ELNS1_3repE0EEES8_NS0_14default_configES9_NS1_37merge_sort_block_sort_config_selectorIiNS0_10empty_typeEEENS1_38merge_sort_block_merge_config_selectorIiSB_EEEEvv.uses_vcc, 0
	.set _ZN7rocprim17ROCPRIM_400000_NS6detail44device_merge_sort_compile_time_verifier_archINS1_11comp_targetILNS1_3genE5ELNS1_11target_archE942ELNS1_3gpuE9ELNS1_3repE0EEES8_NS0_14default_configES9_NS1_37merge_sort_block_sort_config_selectorIiNS0_10empty_typeEEENS1_38merge_sort_block_merge_config_selectorIiSB_EEEEvv.uses_flat_scratch, 0
	.set _ZN7rocprim17ROCPRIM_400000_NS6detail44device_merge_sort_compile_time_verifier_archINS1_11comp_targetILNS1_3genE5ELNS1_11target_archE942ELNS1_3gpuE9ELNS1_3repE0EEES8_NS0_14default_configES9_NS1_37merge_sort_block_sort_config_selectorIiNS0_10empty_typeEEENS1_38merge_sort_block_merge_config_selectorIiSB_EEEEvv.has_dyn_sized_stack, 0
	.set _ZN7rocprim17ROCPRIM_400000_NS6detail44device_merge_sort_compile_time_verifier_archINS1_11comp_targetILNS1_3genE5ELNS1_11target_archE942ELNS1_3gpuE9ELNS1_3repE0EEES8_NS0_14default_configES9_NS1_37merge_sort_block_sort_config_selectorIiNS0_10empty_typeEEENS1_38merge_sort_block_merge_config_selectorIiSB_EEEEvv.has_recursion, 0
	.set _ZN7rocprim17ROCPRIM_400000_NS6detail44device_merge_sort_compile_time_verifier_archINS1_11comp_targetILNS1_3genE5ELNS1_11target_archE942ELNS1_3gpuE9ELNS1_3repE0EEES8_NS0_14default_configES9_NS1_37merge_sort_block_sort_config_selectorIiNS0_10empty_typeEEENS1_38merge_sort_block_merge_config_selectorIiSB_EEEEvv.has_indirect_call, 0
	.section	.AMDGPU.csdata,"",@progbits
; Kernel info:
; codeLenInByte = 4
; TotalNumSgprs: 6
; NumVgprs: 0
; NumAgprs: 0
; TotalNumVgprs: 0
; ScratchSize: 0
; MemoryBound: 0
; FloatMode: 240
; IeeeMode: 1
; LDSByteSize: 0 bytes/workgroup (compile time only)
; SGPRBlocks: 0
; VGPRBlocks: 0
; NumSGPRsForWavesPerEU: 6
; NumVGPRsForWavesPerEU: 1
; AccumOffset: 4
; Occupancy: 8
; WaveLimiterHint : 0
; COMPUTE_PGM_RSRC2:SCRATCH_EN: 0
; COMPUTE_PGM_RSRC2:USER_SGPR: 0
; COMPUTE_PGM_RSRC2:TRAP_HANDLER: 0
; COMPUTE_PGM_RSRC2:TGID_X_EN: 1
; COMPUTE_PGM_RSRC2:TGID_Y_EN: 0
; COMPUTE_PGM_RSRC2:TGID_Z_EN: 0
; COMPUTE_PGM_RSRC2:TIDIG_COMP_CNT: 0
; COMPUTE_PGM_RSRC3_GFX90A:ACCUM_OFFSET: 0
; COMPUTE_PGM_RSRC3_GFX90A:TG_SPLIT: 0
	.section	.text._ZN7rocprim17ROCPRIM_400000_NS6detail44device_merge_sort_compile_time_verifier_archINS1_11comp_targetILNS1_3genE4ELNS1_11target_archE910ELNS1_3gpuE8ELNS1_3repE0EEES8_NS0_14default_configES9_NS1_37merge_sort_block_sort_config_selectorIiNS0_10empty_typeEEENS1_38merge_sort_block_merge_config_selectorIiSB_EEEEvv,"axG",@progbits,_ZN7rocprim17ROCPRIM_400000_NS6detail44device_merge_sort_compile_time_verifier_archINS1_11comp_targetILNS1_3genE4ELNS1_11target_archE910ELNS1_3gpuE8ELNS1_3repE0EEES8_NS0_14default_configES9_NS1_37merge_sort_block_sort_config_selectorIiNS0_10empty_typeEEENS1_38merge_sort_block_merge_config_selectorIiSB_EEEEvv,comdat
	.protected	_ZN7rocprim17ROCPRIM_400000_NS6detail44device_merge_sort_compile_time_verifier_archINS1_11comp_targetILNS1_3genE4ELNS1_11target_archE910ELNS1_3gpuE8ELNS1_3repE0EEES8_NS0_14default_configES9_NS1_37merge_sort_block_sort_config_selectorIiNS0_10empty_typeEEENS1_38merge_sort_block_merge_config_selectorIiSB_EEEEvv ; -- Begin function _ZN7rocprim17ROCPRIM_400000_NS6detail44device_merge_sort_compile_time_verifier_archINS1_11comp_targetILNS1_3genE4ELNS1_11target_archE910ELNS1_3gpuE8ELNS1_3repE0EEES8_NS0_14default_configES9_NS1_37merge_sort_block_sort_config_selectorIiNS0_10empty_typeEEENS1_38merge_sort_block_merge_config_selectorIiSB_EEEEvv
	.globl	_ZN7rocprim17ROCPRIM_400000_NS6detail44device_merge_sort_compile_time_verifier_archINS1_11comp_targetILNS1_3genE4ELNS1_11target_archE910ELNS1_3gpuE8ELNS1_3repE0EEES8_NS0_14default_configES9_NS1_37merge_sort_block_sort_config_selectorIiNS0_10empty_typeEEENS1_38merge_sort_block_merge_config_selectorIiSB_EEEEvv
	.p2align	8
	.type	_ZN7rocprim17ROCPRIM_400000_NS6detail44device_merge_sort_compile_time_verifier_archINS1_11comp_targetILNS1_3genE4ELNS1_11target_archE910ELNS1_3gpuE8ELNS1_3repE0EEES8_NS0_14default_configES9_NS1_37merge_sort_block_sort_config_selectorIiNS0_10empty_typeEEENS1_38merge_sort_block_merge_config_selectorIiSB_EEEEvv,@function
_ZN7rocprim17ROCPRIM_400000_NS6detail44device_merge_sort_compile_time_verifier_archINS1_11comp_targetILNS1_3genE4ELNS1_11target_archE910ELNS1_3gpuE8ELNS1_3repE0EEES8_NS0_14default_configES9_NS1_37merge_sort_block_sort_config_selectorIiNS0_10empty_typeEEENS1_38merge_sort_block_merge_config_selectorIiSB_EEEEvv: ; @_ZN7rocprim17ROCPRIM_400000_NS6detail44device_merge_sort_compile_time_verifier_archINS1_11comp_targetILNS1_3genE4ELNS1_11target_archE910ELNS1_3gpuE8ELNS1_3repE0EEES8_NS0_14default_configES9_NS1_37merge_sort_block_sort_config_selectorIiNS0_10empty_typeEEENS1_38merge_sort_block_merge_config_selectorIiSB_EEEEvv
; %bb.0:
	s_endpgm
	.section	.rodata,"a",@progbits
	.p2align	6, 0x0
	.amdhsa_kernel _ZN7rocprim17ROCPRIM_400000_NS6detail44device_merge_sort_compile_time_verifier_archINS1_11comp_targetILNS1_3genE4ELNS1_11target_archE910ELNS1_3gpuE8ELNS1_3repE0EEES8_NS0_14default_configES9_NS1_37merge_sort_block_sort_config_selectorIiNS0_10empty_typeEEENS1_38merge_sort_block_merge_config_selectorIiSB_EEEEvv
		.amdhsa_group_segment_fixed_size 0
		.amdhsa_private_segment_fixed_size 0
		.amdhsa_kernarg_size 0
		.amdhsa_user_sgpr_count 0
		.amdhsa_user_sgpr_dispatch_ptr 0
		.amdhsa_user_sgpr_queue_ptr 0
		.amdhsa_user_sgpr_kernarg_segment_ptr 0
		.amdhsa_user_sgpr_dispatch_id 0
		.amdhsa_user_sgpr_kernarg_preload_length 0
		.amdhsa_user_sgpr_kernarg_preload_offset 0
		.amdhsa_user_sgpr_private_segment_size 0
		.amdhsa_uses_dynamic_stack 0
		.amdhsa_enable_private_segment 0
		.amdhsa_system_sgpr_workgroup_id_x 1
		.amdhsa_system_sgpr_workgroup_id_y 0
		.amdhsa_system_sgpr_workgroup_id_z 0
		.amdhsa_system_sgpr_workgroup_info 0
		.amdhsa_system_vgpr_workitem_id 0
		.amdhsa_next_free_vgpr 1
		.amdhsa_next_free_sgpr 0
		.amdhsa_accum_offset 4
		.amdhsa_reserve_vcc 0
		.amdhsa_float_round_mode_32 0
		.amdhsa_float_round_mode_16_64 0
		.amdhsa_float_denorm_mode_32 3
		.amdhsa_float_denorm_mode_16_64 3
		.amdhsa_dx10_clamp 1
		.amdhsa_ieee_mode 1
		.amdhsa_fp16_overflow 0
		.amdhsa_tg_split 0
		.amdhsa_exception_fp_ieee_invalid_op 0
		.amdhsa_exception_fp_denorm_src 0
		.amdhsa_exception_fp_ieee_div_zero 0
		.amdhsa_exception_fp_ieee_overflow 0
		.amdhsa_exception_fp_ieee_underflow 0
		.amdhsa_exception_fp_ieee_inexact 0
		.amdhsa_exception_int_div_zero 0
	.end_amdhsa_kernel
	.section	.text._ZN7rocprim17ROCPRIM_400000_NS6detail44device_merge_sort_compile_time_verifier_archINS1_11comp_targetILNS1_3genE4ELNS1_11target_archE910ELNS1_3gpuE8ELNS1_3repE0EEES8_NS0_14default_configES9_NS1_37merge_sort_block_sort_config_selectorIiNS0_10empty_typeEEENS1_38merge_sort_block_merge_config_selectorIiSB_EEEEvv,"axG",@progbits,_ZN7rocprim17ROCPRIM_400000_NS6detail44device_merge_sort_compile_time_verifier_archINS1_11comp_targetILNS1_3genE4ELNS1_11target_archE910ELNS1_3gpuE8ELNS1_3repE0EEES8_NS0_14default_configES9_NS1_37merge_sort_block_sort_config_selectorIiNS0_10empty_typeEEENS1_38merge_sort_block_merge_config_selectorIiSB_EEEEvv,comdat
.Lfunc_end392:
	.size	_ZN7rocprim17ROCPRIM_400000_NS6detail44device_merge_sort_compile_time_verifier_archINS1_11comp_targetILNS1_3genE4ELNS1_11target_archE910ELNS1_3gpuE8ELNS1_3repE0EEES8_NS0_14default_configES9_NS1_37merge_sort_block_sort_config_selectorIiNS0_10empty_typeEEENS1_38merge_sort_block_merge_config_selectorIiSB_EEEEvv, .Lfunc_end392-_ZN7rocprim17ROCPRIM_400000_NS6detail44device_merge_sort_compile_time_verifier_archINS1_11comp_targetILNS1_3genE4ELNS1_11target_archE910ELNS1_3gpuE8ELNS1_3repE0EEES8_NS0_14default_configES9_NS1_37merge_sort_block_sort_config_selectorIiNS0_10empty_typeEEENS1_38merge_sort_block_merge_config_selectorIiSB_EEEEvv
                                        ; -- End function
	.set _ZN7rocprim17ROCPRIM_400000_NS6detail44device_merge_sort_compile_time_verifier_archINS1_11comp_targetILNS1_3genE4ELNS1_11target_archE910ELNS1_3gpuE8ELNS1_3repE0EEES8_NS0_14default_configES9_NS1_37merge_sort_block_sort_config_selectorIiNS0_10empty_typeEEENS1_38merge_sort_block_merge_config_selectorIiSB_EEEEvv.num_vgpr, 0
	.set _ZN7rocprim17ROCPRIM_400000_NS6detail44device_merge_sort_compile_time_verifier_archINS1_11comp_targetILNS1_3genE4ELNS1_11target_archE910ELNS1_3gpuE8ELNS1_3repE0EEES8_NS0_14default_configES9_NS1_37merge_sort_block_sort_config_selectorIiNS0_10empty_typeEEENS1_38merge_sort_block_merge_config_selectorIiSB_EEEEvv.num_agpr, 0
	.set _ZN7rocprim17ROCPRIM_400000_NS6detail44device_merge_sort_compile_time_verifier_archINS1_11comp_targetILNS1_3genE4ELNS1_11target_archE910ELNS1_3gpuE8ELNS1_3repE0EEES8_NS0_14default_configES9_NS1_37merge_sort_block_sort_config_selectorIiNS0_10empty_typeEEENS1_38merge_sort_block_merge_config_selectorIiSB_EEEEvv.numbered_sgpr, 0
	.set _ZN7rocprim17ROCPRIM_400000_NS6detail44device_merge_sort_compile_time_verifier_archINS1_11comp_targetILNS1_3genE4ELNS1_11target_archE910ELNS1_3gpuE8ELNS1_3repE0EEES8_NS0_14default_configES9_NS1_37merge_sort_block_sort_config_selectorIiNS0_10empty_typeEEENS1_38merge_sort_block_merge_config_selectorIiSB_EEEEvv.num_named_barrier, 0
	.set _ZN7rocprim17ROCPRIM_400000_NS6detail44device_merge_sort_compile_time_verifier_archINS1_11comp_targetILNS1_3genE4ELNS1_11target_archE910ELNS1_3gpuE8ELNS1_3repE0EEES8_NS0_14default_configES9_NS1_37merge_sort_block_sort_config_selectorIiNS0_10empty_typeEEENS1_38merge_sort_block_merge_config_selectorIiSB_EEEEvv.private_seg_size, 0
	.set _ZN7rocprim17ROCPRIM_400000_NS6detail44device_merge_sort_compile_time_verifier_archINS1_11comp_targetILNS1_3genE4ELNS1_11target_archE910ELNS1_3gpuE8ELNS1_3repE0EEES8_NS0_14default_configES9_NS1_37merge_sort_block_sort_config_selectorIiNS0_10empty_typeEEENS1_38merge_sort_block_merge_config_selectorIiSB_EEEEvv.uses_vcc, 0
	.set _ZN7rocprim17ROCPRIM_400000_NS6detail44device_merge_sort_compile_time_verifier_archINS1_11comp_targetILNS1_3genE4ELNS1_11target_archE910ELNS1_3gpuE8ELNS1_3repE0EEES8_NS0_14default_configES9_NS1_37merge_sort_block_sort_config_selectorIiNS0_10empty_typeEEENS1_38merge_sort_block_merge_config_selectorIiSB_EEEEvv.uses_flat_scratch, 0
	.set _ZN7rocprim17ROCPRIM_400000_NS6detail44device_merge_sort_compile_time_verifier_archINS1_11comp_targetILNS1_3genE4ELNS1_11target_archE910ELNS1_3gpuE8ELNS1_3repE0EEES8_NS0_14default_configES9_NS1_37merge_sort_block_sort_config_selectorIiNS0_10empty_typeEEENS1_38merge_sort_block_merge_config_selectorIiSB_EEEEvv.has_dyn_sized_stack, 0
	.set _ZN7rocprim17ROCPRIM_400000_NS6detail44device_merge_sort_compile_time_verifier_archINS1_11comp_targetILNS1_3genE4ELNS1_11target_archE910ELNS1_3gpuE8ELNS1_3repE0EEES8_NS0_14default_configES9_NS1_37merge_sort_block_sort_config_selectorIiNS0_10empty_typeEEENS1_38merge_sort_block_merge_config_selectorIiSB_EEEEvv.has_recursion, 0
	.set _ZN7rocprim17ROCPRIM_400000_NS6detail44device_merge_sort_compile_time_verifier_archINS1_11comp_targetILNS1_3genE4ELNS1_11target_archE910ELNS1_3gpuE8ELNS1_3repE0EEES8_NS0_14default_configES9_NS1_37merge_sort_block_sort_config_selectorIiNS0_10empty_typeEEENS1_38merge_sort_block_merge_config_selectorIiSB_EEEEvv.has_indirect_call, 0
	.section	.AMDGPU.csdata,"",@progbits
; Kernel info:
; codeLenInByte = 4
; TotalNumSgprs: 6
; NumVgprs: 0
; NumAgprs: 0
; TotalNumVgprs: 0
; ScratchSize: 0
; MemoryBound: 0
; FloatMode: 240
; IeeeMode: 1
; LDSByteSize: 0 bytes/workgroup (compile time only)
; SGPRBlocks: 0
; VGPRBlocks: 0
; NumSGPRsForWavesPerEU: 6
; NumVGPRsForWavesPerEU: 1
; AccumOffset: 4
; Occupancy: 8
; WaveLimiterHint : 0
; COMPUTE_PGM_RSRC2:SCRATCH_EN: 0
; COMPUTE_PGM_RSRC2:USER_SGPR: 0
; COMPUTE_PGM_RSRC2:TRAP_HANDLER: 0
; COMPUTE_PGM_RSRC2:TGID_X_EN: 1
; COMPUTE_PGM_RSRC2:TGID_Y_EN: 0
; COMPUTE_PGM_RSRC2:TGID_Z_EN: 0
; COMPUTE_PGM_RSRC2:TIDIG_COMP_CNT: 0
; COMPUTE_PGM_RSRC3_GFX90A:ACCUM_OFFSET: 0
; COMPUTE_PGM_RSRC3_GFX90A:TG_SPLIT: 0
	.section	.text._ZN7rocprim17ROCPRIM_400000_NS6detail44device_merge_sort_compile_time_verifier_archINS1_11comp_targetILNS1_3genE3ELNS1_11target_archE908ELNS1_3gpuE7ELNS1_3repE0EEES8_NS0_14default_configES9_NS1_37merge_sort_block_sort_config_selectorIiNS0_10empty_typeEEENS1_38merge_sort_block_merge_config_selectorIiSB_EEEEvv,"axG",@progbits,_ZN7rocprim17ROCPRIM_400000_NS6detail44device_merge_sort_compile_time_verifier_archINS1_11comp_targetILNS1_3genE3ELNS1_11target_archE908ELNS1_3gpuE7ELNS1_3repE0EEES8_NS0_14default_configES9_NS1_37merge_sort_block_sort_config_selectorIiNS0_10empty_typeEEENS1_38merge_sort_block_merge_config_selectorIiSB_EEEEvv,comdat
	.protected	_ZN7rocprim17ROCPRIM_400000_NS6detail44device_merge_sort_compile_time_verifier_archINS1_11comp_targetILNS1_3genE3ELNS1_11target_archE908ELNS1_3gpuE7ELNS1_3repE0EEES8_NS0_14default_configES9_NS1_37merge_sort_block_sort_config_selectorIiNS0_10empty_typeEEENS1_38merge_sort_block_merge_config_selectorIiSB_EEEEvv ; -- Begin function _ZN7rocprim17ROCPRIM_400000_NS6detail44device_merge_sort_compile_time_verifier_archINS1_11comp_targetILNS1_3genE3ELNS1_11target_archE908ELNS1_3gpuE7ELNS1_3repE0EEES8_NS0_14default_configES9_NS1_37merge_sort_block_sort_config_selectorIiNS0_10empty_typeEEENS1_38merge_sort_block_merge_config_selectorIiSB_EEEEvv
	.globl	_ZN7rocprim17ROCPRIM_400000_NS6detail44device_merge_sort_compile_time_verifier_archINS1_11comp_targetILNS1_3genE3ELNS1_11target_archE908ELNS1_3gpuE7ELNS1_3repE0EEES8_NS0_14default_configES9_NS1_37merge_sort_block_sort_config_selectorIiNS0_10empty_typeEEENS1_38merge_sort_block_merge_config_selectorIiSB_EEEEvv
	.p2align	8
	.type	_ZN7rocprim17ROCPRIM_400000_NS6detail44device_merge_sort_compile_time_verifier_archINS1_11comp_targetILNS1_3genE3ELNS1_11target_archE908ELNS1_3gpuE7ELNS1_3repE0EEES8_NS0_14default_configES9_NS1_37merge_sort_block_sort_config_selectorIiNS0_10empty_typeEEENS1_38merge_sort_block_merge_config_selectorIiSB_EEEEvv,@function
_ZN7rocprim17ROCPRIM_400000_NS6detail44device_merge_sort_compile_time_verifier_archINS1_11comp_targetILNS1_3genE3ELNS1_11target_archE908ELNS1_3gpuE7ELNS1_3repE0EEES8_NS0_14default_configES9_NS1_37merge_sort_block_sort_config_selectorIiNS0_10empty_typeEEENS1_38merge_sort_block_merge_config_selectorIiSB_EEEEvv: ; @_ZN7rocprim17ROCPRIM_400000_NS6detail44device_merge_sort_compile_time_verifier_archINS1_11comp_targetILNS1_3genE3ELNS1_11target_archE908ELNS1_3gpuE7ELNS1_3repE0EEES8_NS0_14default_configES9_NS1_37merge_sort_block_sort_config_selectorIiNS0_10empty_typeEEENS1_38merge_sort_block_merge_config_selectorIiSB_EEEEvv
; %bb.0:
	s_endpgm
	.section	.rodata,"a",@progbits
	.p2align	6, 0x0
	.amdhsa_kernel _ZN7rocprim17ROCPRIM_400000_NS6detail44device_merge_sort_compile_time_verifier_archINS1_11comp_targetILNS1_3genE3ELNS1_11target_archE908ELNS1_3gpuE7ELNS1_3repE0EEES8_NS0_14default_configES9_NS1_37merge_sort_block_sort_config_selectorIiNS0_10empty_typeEEENS1_38merge_sort_block_merge_config_selectorIiSB_EEEEvv
		.amdhsa_group_segment_fixed_size 0
		.amdhsa_private_segment_fixed_size 0
		.amdhsa_kernarg_size 0
		.amdhsa_user_sgpr_count 0
		.amdhsa_user_sgpr_dispatch_ptr 0
		.amdhsa_user_sgpr_queue_ptr 0
		.amdhsa_user_sgpr_kernarg_segment_ptr 0
		.amdhsa_user_sgpr_dispatch_id 0
		.amdhsa_user_sgpr_kernarg_preload_length 0
		.amdhsa_user_sgpr_kernarg_preload_offset 0
		.amdhsa_user_sgpr_private_segment_size 0
		.amdhsa_uses_dynamic_stack 0
		.amdhsa_enable_private_segment 0
		.amdhsa_system_sgpr_workgroup_id_x 1
		.amdhsa_system_sgpr_workgroup_id_y 0
		.amdhsa_system_sgpr_workgroup_id_z 0
		.amdhsa_system_sgpr_workgroup_info 0
		.amdhsa_system_vgpr_workitem_id 0
		.amdhsa_next_free_vgpr 1
		.amdhsa_next_free_sgpr 0
		.amdhsa_accum_offset 4
		.amdhsa_reserve_vcc 0
		.amdhsa_float_round_mode_32 0
		.amdhsa_float_round_mode_16_64 0
		.amdhsa_float_denorm_mode_32 3
		.amdhsa_float_denorm_mode_16_64 3
		.amdhsa_dx10_clamp 1
		.amdhsa_ieee_mode 1
		.amdhsa_fp16_overflow 0
		.amdhsa_tg_split 0
		.amdhsa_exception_fp_ieee_invalid_op 0
		.amdhsa_exception_fp_denorm_src 0
		.amdhsa_exception_fp_ieee_div_zero 0
		.amdhsa_exception_fp_ieee_overflow 0
		.amdhsa_exception_fp_ieee_underflow 0
		.amdhsa_exception_fp_ieee_inexact 0
		.amdhsa_exception_int_div_zero 0
	.end_amdhsa_kernel
	.section	.text._ZN7rocprim17ROCPRIM_400000_NS6detail44device_merge_sort_compile_time_verifier_archINS1_11comp_targetILNS1_3genE3ELNS1_11target_archE908ELNS1_3gpuE7ELNS1_3repE0EEES8_NS0_14default_configES9_NS1_37merge_sort_block_sort_config_selectorIiNS0_10empty_typeEEENS1_38merge_sort_block_merge_config_selectorIiSB_EEEEvv,"axG",@progbits,_ZN7rocprim17ROCPRIM_400000_NS6detail44device_merge_sort_compile_time_verifier_archINS1_11comp_targetILNS1_3genE3ELNS1_11target_archE908ELNS1_3gpuE7ELNS1_3repE0EEES8_NS0_14default_configES9_NS1_37merge_sort_block_sort_config_selectorIiNS0_10empty_typeEEENS1_38merge_sort_block_merge_config_selectorIiSB_EEEEvv,comdat
.Lfunc_end393:
	.size	_ZN7rocprim17ROCPRIM_400000_NS6detail44device_merge_sort_compile_time_verifier_archINS1_11comp_targetILNS1_3genE3ELNS1_11target_archE908ELNS1_3gpuE7ELNS1_3repE0EEES8_NS0_14default_configES9_NS1_37merge_sort_block_sort_config_selectorIiNS0_10empty_typeEEENS1_38merge_sort_block_merge_config_selectorIiSB_EEEEvv, .Lfunc_end393-_ZN7rocprim17ROCPRIM_400000_NS6detail44device_merge_sort_compile_time_verifier_archINS1_11comp_targetILNS1_3genE3ELNS1_11target_archE908ELNS1_3gpuE7ELNS1_3repE0EEES8_NS0_14default_configES9_NS1_37merge_sort_block_sort_config_selectorIiNS0_10empty_typeEEENS1_38merge_sort_block_merge_config_selectorIiSB_EEEEvv
                                        ; -- End function
	.set _ZN7rocprim17ROCPRIM_400000_NS6detail44device_merge_sort_compile_time_verifier_archINS1_11comp_targetILNS1_3genE3ELNS1_11target_archE908ELNS1_3gpuE7ELNS1_3repE0EEES8_NS0_14default_configES9_NS1_37merge_sort_block_sort_config_selectorIiNS0_10empty_typeEEENS1_38merge_sort_block_merge_config_selectorIiSB_EEEEvv.num_vgpr, 0
	.set _ZN7rocprim17ROCPRIM_400000_NS6detail44device_merge_sort_compile_time_verifier_archINS1_11comp_targetILNS1_3genE3ELNS1_11target_archE908ELNS1_3gpuE7ELNS1_3repE0EEES8_NS0_14default_configES9_NS1_37merge_sort_block_sort_config_selectorIiNS0_10empty_typeEEENS1_38merge_sort_block_merge_config_selectorIiSB_EEEEvv.num_agpr, 0
	.set _ZN7rocprim17ROCPRIM_400000_NS6detail44device_merge_sort_compile_time_verifier_archINS1_11comp_targetILNS1_3genE3ELNS1_11target_archE908ELNS1_3gpuE7ELNS1_3repE0EEES8_NS0_14default_configES9_NS1_37merge_sort_block_sort_config_selectorIiNS0_10empty_typeEEENS1_38merge_sort_block_merge_config_selectorIiSB_EEEEvv.numbered_sgpr, 0
	.set _ZN7rocprim17ROCPRIM_400000_NS6detail44device_merge_sort_compile_time_verifier_archINS1_11comp_targetILNS1_3genE3ELNS1_11target_archE908ELNS1_3gpuE7ELNS1_3repE0EEES8_NS0_14default_configES9_NS1_37merge_sort_block_sort_config_selectorIiNS0_10empty_typeEEENS1_38merge_sort_block_merge_config_selectorIiSB_EEEEvv.num_named_barrier, 0
	.set _ZN7rocprim17ROCPRIM_400000_NS6detail44device_merge_sort_compile_time_verifier_archINS1_11comp_targetILNS1_3genE3ELNS1_11target_archE908ELNS1_3gpuE7ELNS1_3repE0EEES8_NS0_14default_configES9_NS1_37merge_sort_block_sort_config_selectorIiNS0_10empty_typeEEENS1_38merge_sort_block_merge_config_selectorIiSB_EEEEvv.private_seg_size, 0
	.set _ZN7rocprim17ROCPRIM_400000_NS6detail44device_merge_sort_compile_time_verifier_archINS1_11comp_targetILNS1_3genE3ELNS1_11target_archE908ELNS1_3gpuE7ELNS1_3repE0EEES8_NS0_14default_configES9_NS1_37merge_sort_block_sort_config_selectorIiNS0_10empty_typeEEENS1_38merge_sort_block_merge_config_selectorIiSB_EEEEvv.uses_vcc, 0
	.set _ZN7rocprim17ROCPRIM_400000_NS6detail44device_merge_sort_compile_time_verifier_archINS1_11comp_targetILNS1_3genE3ELNS1_11target_archE908ELNS1_3gpuE7ELNS1_3repE0EEES8_NS0_14default_configES9_NS1_37merge_sort_block_sort_config_selectorIiNS0_10empty_typeEEENS1_38merge_sort_block_merge_config_selectorIiSB_EEEEvv.uses_flat_scratch, 0
	.set _ZN7rocprim17ROCPRIM_400000_NS6detail44device_merge_sort_compile_time_verifier_archINS1_11comp_targetILNS1_3genE3ELNS1_11target_archE908ELNS1_3gpuE7ELNS1_3repE0EEES8_NS0_14default_configES9_NS1_37merge_sort_block_sort_config_selectorIiNS0_10empty_typeEEENS1_38merge_sort_block_merge_config_selectorIiSB_EEEEvv.has_dyn_sized_stack, 0
	.set _ZN7rocprim17ROCPRIM_400000_NS6detail44device_merge_sort_compile_time_verifier_archINS1_11comp_targetILNS1_3genE3ELNS1_11target_archE908ELNS1_3gpuE7ELNS1_3repE0EEES8_NS0_14default_configES9_NS1_37merge_sort_block_sort_config_selectorIiNS0_10empty_typeEEENS1_38merge_sort_block_merge_config_selectorIiSB_EEEEvv.has_recursion, 0
	.set _ZN7rocprim17ROCPRIM_400000_NS6detail44device_merge_sort_compile_time_verifier_archINS1_11comp_targetILNS1_3genE3ELNS1_11target_archE908ELNS1_3gpuE7ELNS1_3repE0EEES8_NS0_14default_configES9_NS1_37merge_sort_block_sort_config_selectorIiNS0_10empty_typeEEENS1_38merge_sort_block_merge_config_selectorIiSB_EEEEvv.has_indirect_call, 0
	.section	.AMDGPU.csdata,"",@progbits
; Kernel info:
; codeLenInByte = 4
; TotalNumSgprs: 6
; NumVgprs: 0
; NumAgprs: 0
; TotalNumVgprs: 0
; ScratchSize: 0
; MemoryBound: 0
; FloatMode: 240
; IeeeMode: 1
; LDSByteSize: 0 bytes/workgroup (compile time only)
; SGPRBlocks: 0
; VGPRBlocks: 0
; NumSGPRsForWavesPerEU: 6
; NumVGPRsForWavesPerEU: 1
; AccumOffset: 4
; Occupancy: 8
; WaveLimiterHint : 0
; COMPUTE_PGM_RSRC2:SCRATCH_EN: 0
; COMPUTE_PGM_RSRC2:USER_SGPR: 0
; COMPUTE_PGM_RSRC2:TRAP_HANDLER: 0
; COMPUTE_PGM_RSRC2:TGID_X_EN: 1
; COMPUTE_PGM_RSRC2:TGID_Y_EN: 0
; COMPUTE_PGM_RSRC2:TGID_Z_EN: 0
; COMPUTE_PGM_RSRC2:TIDIG_COMP_CNT: 0
; COMPUTE_PGM_RSRC3_GFX90A:ACCUM_OFFSET: 0
; COMPUTE_PGM_RSRC3_GFX90A:TG_SPLIT: 0
	.section	.text._ZN7rocprim17ROCPRIM_400000_NS6detail44device_merge_sort_compile_time_verifier_archINS1_11comp_targetILNS1_3genE2ELNS1_11target_archE906ELNS1_3gpuE6ELNS1_3repE0EEES8_NS0_14default_configES9_NS1_37merge_sort_block_sort_config_selectorIiNS0_10empty_typeEEENS1_38merge_sort_block_merge_config_selectorIiSB_EEEEvv,"axG",@progbits,_ZN7rocprim17ROCPRIM_400000_NS6detail44device_merge_sort_compile_time_verifier_archINS1_11comp_targetILNS1_3genE2ELNS1_11target_archE906ELNS1_3gpuE6ELNS1_3repE0EEES8_NS0_14default_configES9_NS1_37merge_sort_block_sort_config_selectorIiNS0_10empty_typeEEENS1_38merge_sort_block_merge_config_selectorIiSB_EEEEvv,comdat
	.protected	_ZN7rocprim17ROCPRIM_400000_NS6detail44device_merge_sort_compile_time_verifier_archINS1_11comp_targetILNS1_3genE2ELNS1_11target_archE906ELNS1_3gpuE6ELNS1_3repE0EEES8_NS0_14default_configES9_NS1_37merge_sort_block_sort_config_selectorIiNS0_10empty_typeEEENS1_38merge_sort_block_merge_config_selectorIiSB_EEEEvv ; -- Begin function _ZN7rocprim17ROCPRIM_400000_NS6detail44device_merge_sort_compile_time_verifier_archINS1_11comp_targetILNS1_3genE2ELNS1_11target_archE906ELNS1_3gpuE6ELNS1_3repE0EEES8_NS0_14default_configES9_NS1_37merge_sort_block_sort_config_selectorIiNS0_10empty_typeEEENS1_38merge_sort_block_merge_config_selectorIiSB_EEEEvv
	.globl	_ZN7rocprim17ROCPRIM_400000_NS6detail44device_merge_sort_compile_time_verifier_archINS1_11comp_targetILNS1_3genE2ELNS1_11target_archE906ELNS1_3gpuE6ELNS1_3repE0EEES8_NS0_14default_configES9_NS1_37merge_sort_block_sort_config_selectorIiNS0_10empty_typeEEENS1_38merge_sort_block_merge_config_selectorIiSB_EEEEvv
	.p2align	8
	.type	_ZN7rocprim17ROCPRIM_400000_NS6detail44device_merge_sort_compile_time_verifier_archINS1_11comp_targetILNS1_3genE2ELNS1_11target_archE906ELNS1_3gpuE6ELNS1_3repE0EEES8_NS0_14default_configES9_NS1_37merge_sort_block_sort_config_selectorIiNS0_10empty_typeEEENS1_38merge_sort_block_merge_config_selectorIiSB_EEEEvv,@function
_ZN7rocprim17ROCPRIM_400000_NS6detail44device_merge_sort_compile_time_verifier_archINS1_11comp_targetILNS1_3genE2ELNS1_11target_archE906ELNS1_3gpuE6ELNS1_3repE0EEES8_NS0_14default_configES9_NS1_37merge_sort_block_sort_config_selectorIiNS0_10empty_typeEEENS1_38merge_sort_block_merge_config_selectorIiSB_EEEEvv: ; @_ZN7rocprim17ROCPRIM_400000_NS6detail44device_merge_sort_compile_time_verifier_archINS1_11comp_targetILNS1_3genE2ELNS1_11target_archE906ELNS1_3gpuE6ELNS1_3repE0EEES8_NS0_14default_configES9_NS1_37merge_sort_block_sort_config_selectorIiNS0_10empty_typeEEENS1_38merge_sort_block_merge_config_selectorIiSB_EEEEvv
; %bb.0:
	s_endpgm
	.section	.rodata,"a",@progbits
	.p2align	6, 0x0
	.amdhsa_kernel _ZN7rocprim17ROCPRIM_400000_NS6detail44device_merge_sort_compile_time_verifier_archINS1_11comp_targetILNS1_3genE2ELNS1_11target_archE906ELNS1_3gpuE6ELNS1_3repE0EEES8_NS0_14default_configES9_NS1_37merge_sort_block_sort_config_selectorIiNS0_10empty_typeEEENS1_38merge_sort_block_merge_config_selectorIiSB_EEEEvv
		.amdhsa_group_segment_fixed_size 0
		.amdhsa_private_segment_fixed_size 0
		.amdhsa_kernarg_size 0
		.amdhsa_user_sgpr_count 0
		.amdhsa_user_sgpr_dispatch_ptr 0
		.amdhsa_user_sgpr_queue_ptr 0
		.amdhsa_user_sgpr_kernarg_segment_ptr 0
		.amdhsa_user_sgpr_dispatch_id 0
		.amdhsa_user_sgpr_kernarg_preload_length 0
		.amdhsa_user_sgpr_kernarg_preload_offset 0
		.amdhsa_user_sgpr_private_segment_size 0
		.amdhsa_uses_dynamic_stack 0
		.amdhsa_enable_private_segment 0
		.amdhsa_system_sgpr_workgroup_id_x 1
		.amdhsa_system_sgpr_workgroup_id_y 0
		.amdhsa_system_sgpr_workgroup_id_z 0
		.amdhsa_system_sgpr_workgroup_info 0
		.amdhsa_system_vgpr_workitem_id 0
		.amdhsa_next_free_vgpr 1
		.amdhsa_next_free_sgpr 0
		.amdhsa_accum_offset 4
		.amdhsa_reserve_vcc 0
		.amdhsa_float_round_mode_32 0
		.amdhsa_float_round_mode_16_64 0
		.amdhsa_float_denorm_mode_32 3
		.amdhsa_float_denorm_mode_16_64 3
		.amdhsa_dx10_clamp 1
		.amdhsa_ieee_mode 1
		.amdhsa_fp16_overflow 0
		.amdhsa_tg_split 0
		.amdhsa_exception_fp_ieee_invalid_op 0
		.amdhsa_exception_fp_denorm_src 0
		.amdhsa_exception_fp_ieee_div_zero 0
		.amdhsa_exception_fp_ieee_overflow 0
		.amdhsa_exception_fp_ieee_underflow 0
		.amdhsa_exception_fp_ieee_inexact 0
		.amdhsa_exception_int_div_zero 0
	.end_amdhsa_kernel
	.section	.text._ZN7rocprim17ROCPRIM_400000_NS6detail44device_merge_sort_compile_time_verifier_archINS1_11comp_targetILNS1_3genE2ELNS1_11target_archE906ELNS1_3gpuE6ELNS1_3repE0EEES8_NS0_14default_configES9_NS1_37merge_sort_block_sort_config_selectorIiNS0_10empty_typeEEENS1_38merge_sort_block_merge_config_selectorIiSB_EEEEvv,"axG",@progbits,_ZN7rocprim17ROCPRIM_400000_NS6detail44device_merge_sort_compile_time_verifier_archINS1_11comp_targetILNS1_3genE2ELNS1_11target_archE906ELNS1_3gpuE6ELNS1_3repE0EEES8_NS0_14default_configES9_NS1_37merge_sort_block_sort_config_selectorIiNS0_10empty_typeEEENS1_38merge_sort_block_merge_config_selectorIiSB_EEEEvv,comdat
.Lfunc_end394:
	.size	_ZN7rocprim17ROCPRIM_400000_NS6detail44device_merge_sort_compile_time_verifier_archINS1_11comp_targetILNS1_3genE2ELNS1_11target_archE906ELNS1_3gpuE6ELNS1_3repE0EEES8_NS0_14default_configES9_NS1_37merge_sort_block_sort_config_selectorIiNS0_10empty_typeEEENS1_38merge_sort_block_merge_config_selectorIiSB_EEEEvv, .Lfunc_end394-_ZN7rocprim17ROCPRIM_400000_NS6detail44device_merge_sort_compile_time_verifier_archINS1_11comp_targetILNS1_3genE2ELNS1_11target_archE906ELNS1_3gpuE6ELNS1_3repE0EEES8_NS0_14default_configES9_NS1_37merge_sort_block_sort_config_selectorIiNS0_10empty_typeEEENS1_38merge_sort_block_merge_config_selectorIiSB_EEEEvv
                                        ; -- End function
	.set _ZN7rocprim17ROCPRIM_400000_NS6detail44device_merge_sort_compile_time_verifier_archINS1_11comp_targetILNS1_3genE2ELNS1_11target_archE906ELNS1_3gpuE6ELNS1_3repE0EEES8_NS0_14default_configES9_NS1_37merge_sort_block_sort_config_selectorIiNS0_10empty_typeEEENS1_38merge_sort_block_merge_config_selectorIiSB_EEEEvv.num_vgpr, 0
	.set _ZN7rocprim17ROCPRIM_400000_NS6detail44device_merge_sort_compile_time_verifier_archINS1_11comp_targetILNS1_3genE2ELNS1_11target_archE906ELNS1_3gpuE6ELNS1_3repE0EEES8_NS0_14default_configES9_NS1_37merge_sort_block_sort_config_selectorIiNS0_10empty_typeEEENS1_38merge_sort_block_merge_config_selectorIiSB_EEEEvv.num_agpr, 0
	.set _ZN7rocprim17ROCPRIM_400000_NS6detail44device_merge_sort_compile_time_verifier_archINS1_11comp_targetILNS1_3genE2ELNS1_11target_archE906ELNS1_3gpuE6ELNS1_3repE0EEES8_NS0_14default_configES9_NS1_37merge_sort_block_sort_config_selectorIiNS0_10empty_typeEEENS1_38merge_sort_block_merge_config_selectorIiSB_EEEEvv.numbered_sgpr, 0
	.set _ZN7rocprim17ROCPRIM_400000_NS6detail44device_merge_sort_compile_time_verifier_archINS1_11comp_targetILNS1_3genE2ELNS1_11target_archE906ELNS1_3gpuE6ELNS1_3repE0EEES8_NS0_14default_configES9_NS1_37merge_sort_block_sort_config_selectorIiNS0_10empty_typeEEENS1_38merge_sort_block_merge_config_selectorIiSB_EEEEvv.num_named_barrier, 0
	.set _ZN7rocprim17ROCPRIM_400000_NS6detail44device_merge_sort_compile_time_verifier_archINS1_11comp_targetILNS1_3genE2ELNS1_11target_archE906ELNS1_3gpuE6ELNS1_3repE0EEES8_NS0_14default_configES9_NS1_37merge_sort_block_sort_config_selectorIiNS0_10empty_typeEEENS1_38merge_sort_block_merge_config_selectorIiSB_EEEEvv.private_seg_size, 0
	.set _ZN7rocprim17ROCPRIM_400000_NS6detail44device_merge_sort_compile_time_verifier_archINS1_11comp_targetILNS1_3genE2ELNS1_11target_archE906ELNS1_3gpuE6ELNS1_3repE0EEES8_NS0_14default_configES9_NS1_37merge_sort_block_sort_config_selectorIiNS0_10empty_typeEEENS1_38merge_sort_block_merge_config_selectorIiSB_EEEEvv.uses_vcc, 0
	.set _ZN7rocprim17ROCPRIM_400000_NS6detail44device_merge_sort_compile_time_verifier_archINS1_11comp_targetILNS1_3genE2ELNS1_11target_archE906ELNS1_3gpuE6ELNS1_3repE0EEES8_NS0_14default_configES9_NS1_37merge_sort_block_sort_config_selectorIiNS0_10empty_typeEEENS1_38merge_sort_block_merge_config_selectorIiSB_EEEEvv.uses_flat_scratch, 0
	.set _ZN7rocprim17ROCPRIM_400000_NS6detail44device_merge_sort_compile_time_verifier_archINS1_11comp_targetILNS1_3genE2ELNS1_11target_archE906ELNS1_3gpuE6ELNS1_3repE0EEES8_NS0_14default_configES9_NS1_37merge_sort_block_sort_config_selectorIiNS0_10empty_typeEEENS1_38merge_sort_block_merge_config_selectorIiSB_EEEEvv.has_dyn_sized_stack, 0
	.set _ZN7rocprim17ROCPRIM_400000_NS6detail44device_merge_sort_compile_time_verifier_archINS1_11comp_targetILNS1_3genE2ELNS1_11target_archE906ELNS1_3gpuE6ELNS1_3repE0EEES8_NS0_14default_configES9_NS1_37merge_sort_block_sort_config_selectorIiNS0_10empty_typeEEENS1_38merge_sort_block_merge_config_selectorIiSB_EEEEvv.has_recursion, 0
	.set _ZN7rocprim17ROCPRIM_400000_NS6detail44device_merge_sort_compile_time_verifier_archINS1_11comp_targetILNS1_3genE2ELNS1_11target_archE906ELNS1_3gpuE6ELNS1_3repE0EEES8_NS0_14default_configES9_NS1_37merge_sort_block_sort_config_selectorIiNS0_10empty_typeEEENS1_38merge_sort_block_merge_config_selectorIiSB_EEEEvv.has_indirect_call, 0
	.section	.AMDGPU.csdata,"",@progbits
; Kernel info:
; codeLenInByte = 4
; TotalNumSgprs: 6
; NumVgprs: 0
; NumAgprs: 0
; TotalNumVgprs: 0
; ScratchSize: 0
; MemoryBound: 0
; FloatMode: 240
; IeeeMode: 1
; LDSByteSize: 0 bytes/workgroup (compile time only)
; SGPRBlocks: 0
; VGPRBlocks: 0
; NumSGPRsForWavesPerEU: 6
; NumVGPRsForWavesPerEU: 1
; AccumOffset: 4
; Occupancy: 8
; WaveLimiterHint : 0
; COMPUTE_PGM_RSRC2:SCRATCH_EN: 0
; COMPUTE_PGM_RSRC2:USER_SGPR: 0
; COMPUTE_PGM_RSRC2:TRAP_HANDLER: 0
; COMPUTE_PGM_RSRC2:TGID_X_EN: 1
; COMPUTE_PGM_RSRC2:TGID_Y_EN: 0
; COMPUTE_PGM_RSRC2:TGID_Z_EN: 0
; COMPUTE_PGM_RSRC2:TIDIG_COMP_CNT: 0
; COMPUTE_PGM_RSRC3_GFX90A:ACCUM_OFFSET: 0
; COMPUTE_PGM_RSRC3_GFX90A:TG_SPLIT: 0
	.section	.text._ZN7rocprim17ROCPRIM_400000_NS6detail44device_merge_sort_compile_time_verifier_archINS1_11comp_targetILNS1_3genE10ELNS1_11target_archE1201ELNS1_3gpuE5ELNS1_3repE0EEES8_NS0_14default_configES9_NS1_37merge_sort_block_sort_config_selectorIiNS0_10empty_typeEEENS1_38merge_sort_block_merge_config_selectorIiSB_EEEEvv,"axG",@progbits,_ZN7rocprim17ROCPRIM_400000_NS6detail44device_merge_sort_compile_time_verifier_archINS1_11comp_targetILNS1_3genE10ELNS1_11target_archE1201ELNS1_3gpuE5ELNS1_3repE0EEES8_NS0_14default_configES9_NS1_37merge_sort_block_sort_config_selectorIiNS0_10empty_typeEEENS1_38merge_sort_block_merge_config_selectorIiSB_EEEEvv,comdat
	.protected	_ZN7rocprim17ROCPRIM_400000_NS6detail44device_merge_sort_compile_time_verifier_archINS1_11comp_targetILNS1_3genE10ELNS1_11target_archE1201ELNS1_3gpuE5ELNS1_3repE0EEES8_NS0_14default_configES9_NS1_37merge_sort_block_sort_config_selectorIiNS0_10empty_typeEEENS1_38merge_sort_block_merge_config_selectorIiSB_EEEEvv ; -- Begin function _ZN7rocprim17ROCPRIM_400000_NS6detail44device_merge_sort_compile_time_verifier_archINS1_11comp_targetILNS1_3genE10ELNS1_11target_archE1201ELNS1_3gpuE5ELNS1_3repE0EEES8_NS0_14default_configES9_NS1_37merge_sort_block_sort_config_selectorIiNS0_10empty_typeEEENS1_38merge_sort_block_merge_config_selectorIiSB_EEEEvv
	.globl	_ZN7rocprim17ROCPRIM_400000_NS6detail44device_merge_sort_compile_time_verifier_archINS1_11comp_targetILNS1_3genE10ELNS1_11target_archE1201ELNS1_3gpuE5ELNS1_3repE0EEES8_NS0_14default_configES9_NS1_37merge_sort_block_sort_config_selectorIiNS0_10empty_typeEEENS1_38merge_sort_block_merge_config_selectorIiSB_EEEEvv
	.p2align	8
	.type	_ZN7rocprim17ROCPRIM_400000_NS6detail44device_merge_sort_compile_time_verifier_archINS1_11comp_targetILNS1_3genE10ELNS1_11target_archE1201ELNS1_3gpuE5ELNS1_3repE0EEES8_NS0_14default_configES9_NS1_37merge_sort_block_sort_config_selectorIiNS0_10empty_typeEEENS1_38merge_sort_block_merge_config_selectorIiSB_EEEEvv,@function
_ZN7rocprim17ROCPRIM_400000_NS6detail44device_merge_sort_compile_time_verifier_archINS1_11comp_targetILNS1_3genE10ELNS1_11target_archE1201ELNS1_3gpuE5ELNS1_3repE0EEES8_NS0_14default_configES9_NS1_37merge_sort_block_sort_config_selectorIiNS0_10empty_typeEEENS1_38merge_sort_block_merge_config_selectorIiSB_EEEEvv: ; @_ZN7rocprim17ROCPRIM_400000_NS6detail44device_merge_sort_compile_time_verifier_archINS1_11comp_targetILNS1_3genE10ELNS1_11target_archE1201ELNS1_3gpuE5ELNS1_3repE0EEES8_NS0_14default_configES9_NS1_37merge_sort_block_sort_config_selectorIiNS0_10empty_typeEEENS1_38merge_sort_block_merge_config_selectorIiSB_EEEEvv
; %bb.0:
	s_endpgm
	.section	.rodata,"a",@progbits
	.p2align	6, 0x0
	.amdhsa_kernel _ZN7rocprim17ROCPRIM_400000_NS6detail44device_merge_sort_compile_time_verifier_archINS1_11comp_targetILNS1_3genE10ELNS1_11target_archE1201ELNS1_3gpuE5ELNS1_3repE0EEES8_NS0_14default_configES9_NS1_37merge_sort_block_sort_config_selectorIiNS0_10empty_typeEEENS1_38merge_sort_block_merge_config_selectorIiSB_EEEEvv
		.amdhsa_group_segment_fixed_size 0
		.amdhsa_private_segment_fixed_size 0
		.amdhsa_kernarg_size 0
		.amdhsa_user_sgpr_count 0
		.amdhsa_user_sgpr_dispatch_ptr 0
		.amdhsa_user_sgpr_queue_ptr 0
		.amdhsa_user_sgpr_kernarg_segment_ptr 0
		.amdhsa_user_sgpr_dispatch_id 0
		.amdhsa_user_sgpr_kernarg_preload_length 0
		.amdhsa_user_sgpr_kernarg_preload_offset 0
		.amdhsa_user_sgpr_private_segment_size 0
		.amdhsa_uses_dynamic_stack 0
		.amdhsa_enable_private_segment 0
		.amdhsa_system_sgpr_workgroup_id_x 1
		.amdhsa_system_sgpr_workgroup_id_y 0
		.amdhsa_system_sgpr_workgroup_id_z 0
		.amdhsa_system_sgpr_workgroup_info 0
		.amdhsa_system_vgpr_workitem_id 0
		.amdhsa_next_free_vgpr 1
		.amdhsa_next_free_sgpr 0
		.amdhsa_accum_offset 4
		.amdhsa_reserve_vcc 0
		.amdhsa_float_round_mode_32 0
		.amdhsa_float_round_mode_16_64 0
		.amdhsa_float_denorm_mode_32 3
		.amdhsa_float_denorm_mode_16_64 3
		.amdhsa_dx10_clamp 1
		.amdhsa_ieee_mode 1
		.amdhsa_fp16_overflow 0
		.amdhsa_tg_split 0
		.amdhsa_exception_fp_ieee_invalid_op 0
		.amdhsa_exception_fp_denorm_src 0
		.amdhsa_exception_fp_ieee_div_zero 0
		.amdhsa_exception_fp_ieee_overflow 0
		.amdhsa_exception_fp_ieee_underflow 0
		.amdhsa_exception_fp_ieee_inexact 0
		.amdhsa_exception_int_div_zero 0
	.end_amdhsa_kernel
	.section	.text._ZN7rocprim17ROCPRIM_400000_NS6detail44device_merge_sort_compile_time_verifier_archINS1_11comp_targetILNS1_3genE10ELNS1_11target_archE1201ELNS1_3gpuE5ELNS1_3repE0EEES8_NS0_14default_configES9_NS1_37merge_sort_block_sort_config_selectorIiNS0_10empty_typeEEENS1_38merge_sort_block_merge_config_selectorIiSB_EEEEvv,"axG",@progbits,_ZN7rocprim17ROCPRIM_400000_NS6detail44device_merge_sort_compile_time_verifier_archINS1_11comp_targetILNS1_3genE10ELNS1_11target_archE1201ELNS1_3gpuE5ELNS1_3repE0EEES8_NS0_14default_configES9_NS1_37merge_sort_block_sort_config_selectorIiNS0_10empty_typeEEENS1_38merge_sort_block_merge_config_selectorIiSB_EEEEvv,comdat
.Lfunc_end395:
	.size	_ZN7rocprim17ROCPRIM_400000_NS6detail44device_merge_sort_compile_time_verifier_archINS1_11comp_targetILNS1_3genE10ELNS1_11target_archE1201ELNS1_3gpuE5ELNS1_3repE0EEES8_NS0_14default_configES9_NS1_37merge_sort_block_sort_config_selectorIiNS0_10empty_typeEEENS1_38merge_sort_block_merge_config_selectorIiSB_EEEEvv, .Lfunc_end395-_ZN7rocprim17ROCPRIM_400000_NS6detail44device_merge_sort_compile_time_verifier_archINS1_11comp_targetILNS1_3genE10ELNS1_11target_archE1201ELNS1_3gpuE5ELNS1_3repE0EEES8_NS0_14default_configES9_NS1_37merge_sort_block_sort_config_selectorIiNS0_10empty_typeEEENS1_38merge_sort_block_merge_config_selectorIiSB_EEEEvv
                                        ; -- End function
	.set _ZN7rocprim17ROCPRIM_400000_NS6detail44device_merge_sort_compile_time_verifier_archINS1_11comp_targetILNS1_3genE10ELNS1_11target_archE1201ELNS1_3gpuE5ELNS1_3repE0EEES8_NS0_14default_configES9_NS1_37merge_sort_block_sort_config_selectorIiNS0_10empty_typeEEENS1_38merge_sort_block_merge_config_selectorIiSB_EEEEvv.num_vgpr, 0
	.set _ZN7rocprim17ROCPRIM_400000_NS6detail44device_merge_sort_compile_time_verifier_archINS1_11comp_targetILNS1_3genE10ELNS1_11target_archE1201ELNS1_3gpuE5ELNS1_3repE0EEES8_NS0_14default_configES9_NS1_37merge_sort_block_sort_config_selectorIiNS0_10empty_typeEEENS1_38merge_sort_block_merge_config_selectorIiSB_EEEEvv.num_agpr, 0
	.set _ZN7rocprim17ROCPRIM_400000_NS6detail44device_merge_sort_compile_time_verifier_archINS1_11comp_targetILNS1_3genE10ELNS1_11target_archE1201ELNS1_3gpuE5ELNS1_3repE0EEES8_NS0_14default_configES9_NS1_37merge_sort_block_sort_config_selectorIiNS0_10empty_typeEEENS1_38merge_sort_block_merge_config_selectorIiSB_EEEEvv.numbered_sgpr, 0
	.set _ZN7rocprim17ROCPRIM_400000_NS6detail44device_merge_sort_compile_time_verifier_archINS1_11comp_targetILNS1_3genE10ELNS1_11target_archE1201ELNS1_3gpuE5ELNS1_3repE0EEES8_NS0_14default_configES9_NS1_37merge_sort_block_sort_config_selectorIiNS0_10empty_typeEEENS1_38merge_sort_block_merge_config_selectorIiSB_EEEEvv.num_named_barrier, 0
	.set _ZN7rocprim17ROCPRIM_400000_NS6detail44device_merge_sort_compile_time_verifier_archINS1_11comp_targetILNS1_3genE10ELNS1_11target_archE1201ELNS1_3gpuE5ELNS1_3repE0EEES8_NS0_14default_configES9_NS1_37merge_sort_block_sort_config_selectorIiNS0_10empty_typeEEENS1_38merge_sort_block_merge_config_selectorIiSB_EEEEvv.private_seg_size, 0
	.set _ZN7rocprim17ROCPRIM_400000_NS6detail44device_merge_sort_compile_time_verifier_archINS1_11comp_targetILNS1_3genE10ELNS1_11target_archE1201ELNS1_3gpuE5ELNS1_3repE0EEES8_NS0_14default_configES9_NS1_37merge_sort_block_sort_config_selectorIiNS0_10empty_typeEEENS1_38merge_sort_block_merge_config_selectorIiSB_EEEEvv.uses_vcc, 0
	.set _ZN7rocprim17ROCPRIM_400000_NS6detail44device_merge_sort_compile_time_verifier_archINS1_11comp_targetILNS1_3genE10ELNS1_11target_archE1201ELNS1_3gpuE5ELNS1_3repE0EEES8_NS0_14default_configES9_NS1_37merge_sort_block_sort_config_selectorIiNS0_10empty_typeEEENS1_38merge_sort_block_merge_config_selectorIiSB_EEEEvv.uses_flat_scratch, 0
	.set _ZN7rocprim17ROCPRIM_400000_NS6detail44device_merge_sort_compile_time_verifier_archINS1_11comp_targetILNS1_3genE10ELNS1_11target_archE1201ELNS1_3gpuE5ELNS1_3repE0EEES8_NS0_14default_configES9_NS1_37merge_sort_block_sort_config_selectorIiNS0_10empty_typeEEENS1_38merge_sort_block_merge_config_selectorIiSB_EEEEvv.has_dyn_sized_stack, 0
	.set _ZN7rocprim17ROCPRIM_400000_NS6detail44device_merge_sort_compile_time_verifier_archINS1_11comp_targetILNS1_3genE10ELNS1_11target_archE1201ELNS1_3gpuE5ELNS1_3repE0EEES8_NS0_14default_configES9_NS1_37merge_sort_block_sort_config_selectorIiNS0_10empty_typeEEENS1_38merge_sort_block_merge_config_selectorIiSB_EEEEvv.has_recursion, 0
	.set _ZN7rocprim17ROCPRIM_400000_NS6detail44device_merge_sort_compile_time_verifier_archINS1_11comp_targetILNS1_3genE10ELNS1_11target_archE1201ELNS1_3gpuE5ELNS1_3repE0EEES8_NS0_14default_configES9_NS1_37merge_sort_block_sort_config_selectorIiNS0_10empty_typeEEENS1_38merge_sort_block_merge_config_selectorIiSB_EEEEvv.has_indirect_call, 0
	.section	.AMDGPU.csdata,"",@progbits
; Kernel info:
; codeLenInByte = 4
; TotalNumSgprs: 6
; NumVgprs: 0
; NumAgprs: 0
; TotalNumVgprs: 0
; ScratchSize: 0
; MemoryBound: 0
; FloatMode: 240
; IeeeMode: 1
; LDSByteSize: 0 bytes/workgroup (compile time only)
; SGPRBlocks: 0
; VGPRBlocks: 0
; NumSGPRsForWavesPerEU: 6
; NumVGPRsForWavesPerEU: 1
; AccumOffset: 4
; Occupancy: 8
; WaveLimiterHint : 0
; COMPUTE_PGM_RSRC2:SCRATCH_EN: 0
; COMPUTE_PGM_RSRC2:USER_SGPR: 0
; COMPUTE_PGM_RSRC2:TRAP_HANDLER: 0
; COMPUTE_PGM_RSRC2:TGID_X_EN: 1
; COMPUTE_PGM_RSRC2:TGID_Y_EN: 0
; COMPUTE_PGM_RSRC2:TGID_Z_EN: 0
; COMPUTE_PGM_RSRC2:TIDIG_COMP_CNT: 0
; COMPUTE_PGM_RSRC3_GFX90A:ACCUM_OFFSET: 0
; COMPUTE_PGM_RSRC3_GFX90A:TG_SPLIT: 0
	.section	.text._ZN7rocprim17ROCPRIM_400000_NS6detail44device_merge_sort_compile_time_verifier_archINS1_11comp_targetILNS1_3genE10ELNS1_11target_archE1200ELNS1_3gpuE4ELNS1_3repE0EEENS3_ILS4_10ELS5_1201ELS6_5ELS7_0EEENS0_14default_configESA_NS1_37merge_sort_block_sort_config_selectorIiNS0_10empty_typeEEENS1_38merge_sort_block_merge_config_selectorIiSC_EEEEvv,"axG",@progbits,_ZN7rocprim17ROCPRIM_400000_NS6detail44device_merge_sort_compile_time_verifier_archINS1_11comp_targetILNS1_3genE10ELNS1_11target_archE1200ELNS1_3gpuE4ELNS1_3repE0EEENS3_ILS4_10ELS5_1201ELS6_5ELS7_0EEENS0_14default_configESA_NS1_37merge_sort_block_sort_config_selectorIiNS0_10empty_typeEEENS1_38merge_sort_block_merge_config_selectorIiSC_EEEEvv,comdat
	.protected	_ZN7rocprim17ROCPRIM_400000_NS6detail44device_merge_sort_compile_time_verifier_archINS1_11comp_targetILNS1_3genE10ELNS1_11target_archE1200ELNS1_3gpuE4ELNS1_3repE0EEENS3_ILS4_10ELS5_1201ELS6_5ELS7_0EEENS0_14default_configESA_NS1_37merge_sort_block_sort_config_selectorIiNS0_10empty_typeEEENS1_38merge_sort_block_merge_config_selectorIiSC_EEEEvv ; -- Begin function _ZN7rocprim17ROCPRIM_400000_NS6detail44device_merge_sort_compile_time_verifier_archINS1_11comp_targetILNS1_3genE10ELNS1_11target_archE1200ELNS1_3gpuE4ELNS1_3repE0EEENS3_ILS4_10ELS5_1201ELS6_5ELS7_0EEENS0_14default_configESA_NS1_37merge_sort_block_sort_config_selectorIiNS0_10empty_typeEEENS1_38merge_sort_block_merge_config_selectorIiSC_EEEEvv
	.globl	_ZN7rocprim17ROCPRIM_400000_NS6detail44device_merge_sort_compile_time_verifier_archINS1_11comp_targetILNS1_3genE10ELNS1_11target_archE1200ELNS1_3gpuE4ELNS1_3repE0EEENS3_ILS4_10ELS5_1201ELS6_5ELS7_0EEENS0_14default_configESA_NS1_37merge_sort_block_sort_config_selectorIiNS0_10empty_typeEEENS1_38merge_sort_block_merge_config_selectorIiSC_EEEEvv
	.p2align	8
	.type	_ZN7rocprim17ROCPRIM_400000_NS6detail44device_merge_sort_compile_time_verifier_archINS1_11comp_targetILNS1_3genE10ELNS1_11target_archE1200ELNS1_3gpuE4ELNS1_3repE0EEENS3_ILS4_10ELS5_1201ELS6_5ELS7_0EEENS0_14default_configESA_NS1_37merge_sort_block_sort_config_selectorIiNS0_10empty_typeEEENS1_38merge_sort_block_merge_config_selectorIiSC_EEEEvv,@function
_ZN7rocprim17ROCPRIM_400000_NS6detail44device_merge_sort_compile_time_verifier_archINS1_11comp_targetILNS1_3genE10ELNS1_11target_archE1200ELNS1_3gpuE4ELNS1_3repE0EEENS3_ILS4_10ELS5_1201ELS6_5ELS7_0EEENS0_14default_configESA_NS1_37merge_sort_block_sort_config_selectorIiNS0_10empty_typeEEENS1_38merge_sort_block_merge_config_selectorIiSC_EEEEvv: ; @_ZN7rocprim17ROCPRIM_400000_NS6detail44device_merge_sort_compile_time_verifier_archINS1_11comp_targetILNS1_3genE10ELNS1_11target_archE1200ELNS1_3gpuE4ELNS1_3repE0EEENS3_ILS4_10ELS5_1201ELS6_5ELS7_0EEENS0_14default_configESA_NS1_37merge_sort_block_sort_config_selectorIiNS0_10empty_typeEEENS1_38merge_sort_block_merge_config_selectorIiSC_EEEEvv
; %bb.0:
	s_endpgm
	.section	.rodata,"a",@progbits
	.p2align	6, 0x0
	.amdhsa_kernel _ZN7rocprim17ROCPRIM_400000_NS6detail44device_merge_sort_compile_time_verifier_archINS1_11comp_targetILNS1_3genE10ELNS1_11target_archE1200ELNS1_3gpuE4ELNS1_3repE0EEENS3_ILS4_10ELS5_1201ELS6_5ELS7_0EEENS0_14default_configESA_NS1_37merge_sort_block_sort_config_selectorIiNS0_10empty_typeEEENS1_38merge_sort_block_merge_config_selectorIiSC_EEEEvv
		.amdhsa_group_segment_fixed_size 0
		.amdhsa_private_segment_fixed_size 0
		.amdhsa_kernarg_size 0
		.amdhsa_user_sgpr_count 0
		.amdhsa_user_sgpr_dispatch_ptr 0
		.amdhsa_user_sgpr_queue_ptr 0
		.amdhsa_user_sgpr_kernarg_segment_ptr 0
		.amdhsa_user_sgpr_dispatch_id 0
		.amdhsa_user_sgpr_kernarg_preload_length 0
		.amdhsa_user_sgpr_kernarg_preload_offset 0
		.amdhsa_user_sgpr_private_segment_size 0
		.amdhsa_uses_dynamic_stack 0
		.amdhsa_enable_private_segment 0
		.amdhsa_system_sgpr_workgroup_id_x 1
		.amdhsa_system_sgpr_workgroup_id_y 0
		.amdhsa_system_sgpr_workgroup_id_z 0
		.amdhsa_system_sgpr_workgroup_info 0
		.amdhsa_system_vgpr_workitem_id 0
		.amdhsa_next_free_vgpr 1
		.amdhsa_next_free_sgpr 0
		.amdhsa_accum_offset 4
		.amdhsa_reserve_vcc 0
		.amdhsa_float_round_mode_32 0
		.amdhsa_float_round_mode_16_64 0
		.amdhsa_float_denorm_mode_32 3
		.amdhsa_float_denorm_mode_16_64 3
		.amdhsa_dx10_clamp 1
		.amdhsa_ieee_mode 1
		.amdhsa_fp16_overflow 0
		.amdhsa_tg_split 0
		.amdhsa_exception_fp_ieee_invalid_op 0
		.amdhsa_exception_fp_denorm_src 0
		.amdhsa_exception_fp_ieee_div_zero 0
		.amdhsa_exception_fp_ieee_overflow 0
		.amdhsa_exception_fp_ieee_underflow 0
		.amdhsa_exception_fp_ieee_inexact 0
		.amdhsa_exception_int_div_zero 0
	.end_amdhsa_kernel
	.section	.text._ZN7rocprim17ROCPRIM_400000_NS6detail44device_merge_sort_compile_time_verifier_archINS1_11comp_targetILNS1_3genE10ELNS1_11target_archE1200ELNS1_3gpuE4ELNS1_3repE0EEENS3_ILS4_10ELS5_1201ELS6_5ELS7_0EEENS0_14default_configESA_NS1_37merge_sort_block_sort_config_selectorIiNS0_10empty_typeEEENS1_38merge_sort_block_merge_config_selectorIiSC_EEEEvv,"axG",@progbits,_ZN7rocprim17ROCPRIM_400000_NS6detail44device_merge_sort_compile_time_verifier_archINS1_11comp_targetILNS1_3genE10ELNS1_11target_archE1200ELNS1_3gpuE4ELNS1_3repE0EEENS3_ILS4_10ELS5_1201ELS6_5ELS7_0EEENS0_14default_configESA_NS1_37merge_sort_block_sort_config_selectorIiNS0_10empty_typeEEENS1_38merge_sort_block_merge_config_selectorIiSC_EEEEvv,comdat
.Lfunc_end396:
	.size	_ZN7rocprim17ROCPRIM_400000_NS6detail44device_merge_sort_compile_time_verifier_archINS1_11comp_targetILNS1_3genE10ELNS1_11target_archE1200ELNS1_3gpuE4ELNS1_3repE0EEENS3_ILS4_10ELS5_1201ELS6_5ELS7_0EEENS0_14default_configESA_NS1_37merge_sort_block_sort_config_selectorIiNS0_10empty_typeEEENS1_38merge_sort_block_merge_config_selectorIiSC_EEEEvv, .Lfunc_end396-_ZN7rocprim17ROCPRIM_400000_NS6detail44device_merge_sort_compile_time_verifier_archINS1_11comp_targetILNS1_3genE10ELNS1_11target_archE1200ELNS1_3gpuE4ELNS1_3repE0EEENS3_ILS4_10ELS5_1201ELS6_5ELS7_0EEENS0_14default_configESA_NS1_37merge_sort_block_sort_config_selectorIiNS0_10empty_typeEEENS1_38merge_sort_block_merge_config_selectorIiSC_EEEEvv
                                        ; -- End function
	.set _ZN7rocprim17ROCPRIM_400000_NS6detail44device_merge_sort_compile_time_verifier_archINS1_11comp_targetILNS1_3genE10ELNS1_11target_archE1200ELNS1_3gpuE4ELNS1_3repE0EEENS3_ILS4_10ELS5_1201ELS6_5ELS7_0EEENS0_14default_configESA_NS1_37merge_sort_block_sort_config_selectorIiNS0_10empty_typeEEENS1_38merge_sort_block_merge_config_selectorIiSC_EEEEvv.num_vgpr, 0
	.set _ZN7rocprim17ROCPRIM_400000_NS6detail44device_merge_sort_compile_time_verifier_archINS1_11comp_targetILNS1_3genE10ELNS1_11target_archE1200ELNS1_3gpuE4ELNS1_3repE0EEENS3_ILS4_10ELS5_1201ELS6_5ELS7_0EEENS0_14default_configESA_NS1_37merge_sort_block_sort_config_selectorIiNS0_10empty_typeEEENS1_38merge_sort_block_merge_config_selectorIiSC_EEEEvv.num_agpr, 0
	.set _ZN7rocprim17ROCPRIM_400000_NS6detail44device_merge_sort_compile_time_verifier_archINS1_11comp_targetILNS1_3genE10ELNS1_11target_archE1200ELNS1_3gpuE4ELNS1_3repE0EEENS3_ILS4_10ELS5_1201ELS6_5ELS7_0EEENS0_14default_configESA_NS1_37merge_sort_block_sort_config_selectorIiNS0_10empty_typeEEENS1_38merge_sort_block_merge_config_selectorIiSC_EEEEvv.numbered_sgpr, 0
	.set _ZN7rocprim17ROCPRIM_400000_NS6detail44device_merge_sort_compile_time_verifier_archINS1_11comp_targetILNS1_3genE10ELNS1_11target_archE1200ELNS1_3gpuE4ELNS1_3repE0EEENS3_ILS4_10ELS5_1201ELS6_5ELS7_0EEENS0_14default_configESA_NS1_37merge_sort_block_sort_config_selectorIiNS0_10empty_typeEEENS1_38merge_sort_block_merge_config_selectorIiSC_EEEEvv.num_named_barrier, 0
	.set _ZN7rocprim17ROCPRIM_400000_NS6detail44device_merge_sort_compile_time_verifier_archINS1_11comp_targetILNS1_3genE10ELNS1_11target_archE1200ELNS1_3gpuE4ELNS1_3repE0EEENS3_ILS4_10ELS5_1201ELS6_5ELS7_0EEENS0_14default_configESA_NS1_37merge_sort_block_sort_config_selectorIiNS0_10empty_typeEEENS1_38merge_sort_block_merge_config_selectorIiSC_EEEEvv.private_seg_size, 0
	.set _ZN7rocprim17ROCPRIM_400000_NS6detail44device_merge_sort_compile_time_verifier_archINS1_11comp_targetILNS1_3genE10ELNS1_11target_archE1200ELNS1_3gpuE4ELNS1_3repE0EEENS3_ILS4_10ELS5_1201ELS6_5ELS7_0EEENS0_14default_configESA_NS1_37merge_sort_block_sort_config_selectorIiNS0_10empty_typeEEENS1_38merge_sort_block_merge_config_selectorIiSC_EEEEvv.uses_vcc, 0
	.set _ZN7rocprim17ROCPRIM_400000_NS6detail44device_merge_sort_compile_time_verifier_archINS1_11comp_targetILNS1_3genE10ELNS1_11target_archE1200ELNS1_3gpuE4ELNS1_3repE0EEENS3_ILS4_10ELS5_1201ELS6_5ELS7_0EEENS0_14default_configESA_NS1_37merge_sort_block_sort_config_selectorIiNS0_10empty_typeEEENS1_38merge_sort_block_merge_config_selectorIiSC_EEEEvv.uses_flat_scratch, 0
	.set _ZN7rocprim17ROCPRIM_400000_NS6detail44device_merge_sort_compile_time_verifier_archINS1_11comp_targetILNS1_3genE10ELNS1_11target_archE1200ELNS1_3gpuE4ELNS1_3repE0EEENS3_ILS4_10ELS5_1201ELS6_5ELS7_0EEENS0_14default_configESA_NS1_37merge_sort_block_sort_config_selectorIiNS0_10empty_typeEEENS1_38merge_sort_block_merge_config_selectorIiSC_EEEEvv.has_dyn_sized_stack, 0
	.set _ZN7rocprim17ROCPRIM_400000_NS6detail44device_merge_sort_compile_time_verifier_archINS1_11comp_targetILNS1_3genE10ELNS1_11target_archE1200ELNS1_3gpuE4ELNS1_3repE0EEENS3_ILS4_10ELS5_1201ELS6_5ELS7_0EEENS0_14default_configESA_NS1_37merge_sort_block_sort_config_selectorIiNS0_10empty_typeEEENS1_38merge_sort_block_merge_config_selectorIiSC_EEEEvv.has_recursion, 0
	.set _ZN7rocprim17ROCPRIM_400000_NS6detail44device_merge_sort_compile_time_verifier_archINS1_11comp_targetILNS1_3genE10ELNS1_11target_archE1200ELNS1_3gpuE4ELNS1_3repE0EEENS3_ILS4_10ELS5_1201ELS6_5ELS7_0EEENS0_14default_configESA_NS1_37merge_sort_block_sort_config_selectorIiNS0_10empty_typeEEENS1_38merge_sort_block_merge_config_selectorIiSC_EEEEvv.has_indirect_call, 0
	.section	.AMDGPU.csdata,"",@progbits
; Kernel info:
; codeLenInByte = 4
; TotalNumSgprs: 6
; NumVgprs: 0
; NumAgprs: 0
; TotalNumVgprs: 0
; ScratchSize: 0
; MemoryBound: 0
; FloatMode: 240
; IeeeMode: 1
; LDSByteSize: 0 bytes/workgroup (compile time only)
; SGPRBlocks: 0
; VGPRBlocks: 0
; NumSGPRsForWavesPerEU: 6
; NumVGPRsForWavesPerEU: 1
; AccumOffset: 4
; Occupancy: 8
; WaveLimiterHint : 0
; COMPUTE_PGM_RSRC2:SCRATCH_EN: 0
; COMPUTE_PGM_RSRC2:USER_SGPR: 0
; COMPUTE_PGM_RSRC2:TRAP_HANDLER: 0
; COMPUTE_PGM_RSRC2:TGID_X_EN: 1
; COMPUTE_PGM_RSRC2:TGID_Y_EN: 0
; COMPUTE_PGM_RSRC2:TGID_Z_EN: 0
; COMPUTE_PGM_RSRC2:TIDIG_COMP_CNT: 0
; COMPUTE_PGM_RSRC3_GFX90A:ACCUM_OFFSET: 0
; COMPUTE_PGM_RSRC3_GFX90A:TG_SPLIT: 0
	.section	.text._ZN7rocprim17ROCPRIM_400000_NS6detail44device_merge_sort_compile_time_verifier_archINS1_11comp_targetILNS1_3genE9ELNS1_11target_archE1100ELNS1_3gpuE3ELNS1_3repE0EEES8_NS0_14default_configES9_NS1_37merge_sort_block_sort_config_selectorIiNS0_10empty_typeEEENS1_38merge_sort_block_merge_config_selectorIiSB_EEEEvv,"axG",@progbits,_ZN7rocprim17ROCPRIM_400000_NS6detail44device_merge_sort_compile_time_verifier_archINS1_11comp_targetILNS1_3genE9ELNS1_11target_archE1100ELNS1_3gpuE3ELNS1_3repE0EEES8_NS0_14default_configES9_NS1_37merge_sort_block_sort_config_selectorIiNS0_10empty_typeEEENS1_38merge_sort_block_merge_config_selectorIiSB_EEEEvv,comdat
	.protected	_ZN7rocprim17ROCPRIM_400000_NS6detail44device_merge_sort_compile_time_verifier_archINS1_11comp_targetILNS1_3genE9ELNS1_11target_archE1100ELNS1_3gpuE3ELNS1_3repE0EEES8_NS0_14default_configES9_NS1_37merge_sort_block_sort_config_selectorIiNS0_10empty_typeEEENS1_38merge_sort_block_merge_config_selectorIiSB_EEEEvv ; -- Begin function _ZN7rocprim17ROCPRIM_400000_NS6detail44device_merge_sort_compile_time_verifier_archINS1_11comp_targetILNS1_3genE9ELNS1_11target_archE1100ELNS1_3gpuE3ELNS1_3repE0EEES8_NS0_14default_configES9_NS1_37merge_sort_block_sort_config_selectorIiNS0_10empty_typeEEENS1_38merge_sort_block_merge_config_selectorIiSB_EEEEvv
	.globl	_ZN7rocprim17ROCPRIM_400000_NS6detail44device_merge_sort_compile_time_verifier_archINS1_11comp_targetILNS1_3genE9ELNS1_11target_archE1100ELNS1_3gpuE3ELNS1_3repE0EEES8_NS0_14default_configES9_NS1_37merge_sort_block_sort_config_selectorIiNS0_10empty_typeEEENS1_38merge_sort_block_merge_config_selectorIiSB_EEEEvv
	.p2align	8
	.type	_ZN7rocprim17ROCPRIM_400000_NS6detail44device_merge_sort_compile_time_verifier_archINS1_11comp_targetILNS1_3genE9ELNS1_11target_archE1100ELNS1_3gpuE3ELNS1_3repE0EEES8_NS0_14default_configES9_NS1_37merge_sort_block_sort_config_selectorIiNS0_10empty_typeEEENS1_38merge_sort_block_merge_config_selectorIiSB_EEEEvv,@function
_ZN7rocprim17ROCPRIM_400000_NS6detail44device_merge_sort_compile_time_verifier_archINS1_11comp_targetILNS1_3genE9ELNS1_11target_archE1100ELNS1_3gpuE3ELNS1_3repE0EEES8_NS0_14default_configES9_NS1_37merge_sort_block_sort_config_selectorIiNS0_10empty_typeEEENS1_38merge_sort_block_merge_config_selectorIiSB_EEEEvv: ; @_ZN7rocprim17ROCPRIM_400000_NS6detail44device_merge_sort_compile_time_verifier_archINS1_11comp_targetILNS1_3genE9ELNS1_11target_archE1100ELNS1_3gpuE3ELNS1_3repE0EEES8_NS0_14default_configES9_NS1_37merge_sort_block_sort_config_selectorIiNS0_10empty_typeEEENS1_38merge_sort_block_merge_config_selectorIiSB_EEEEvv
; %bb.0:
	s_endpgm
	.section	.rodata,"a",@progbits
	.p2align	6, 0x0
	.amdhsa_kernel _ZN7rocprim17ROCPRIM_400000_NS6detail44device_merge_sort_compile_time_verifier_archINS1_11comp_targetILNS1_3genE9ELNS1_11target_archE1100ELNS1_3gpuE3ELNS1_3repE0EEES8_NS0_14default_configES9_NS1_37merge_sort_block_sort_config_selectorIiNS0_10empty_typeEEENS1_38merge_sort_block_merge_config_selectorIiSB_EEEEvv
		.amdhsa_group_segment_fixed_size 0
		.amdhsa_private_segment_fixed_size 0
		.amdhsa_kernarg_size 0
		.amdhsa_user_sgpr_count 0
		.amdhsa_user_sgpr_dispatch_ptr 0
		.amdhsa_user_sgpr_queue_ptr 0
		.amdhsa_user_sgpr_kernarg_segment_ptr 0
		.amdhsa_user_sgpr_dispatch_id 0
		.amdhsa_user_sgpr_kernarg_preload_length 0
		.amdhsa_user_sgpr_kernarg_preload_offset 0
		.amdhsa_user_sgpr_private_segment_size 0
		.amdhsa_uses_dynamic_stack 0
		.amdhsa_enable_private_segment 0
		.amdhsa_system_sgpr_workgroup_id_x 1
		.amdhsa_system_sgpr_workgroup_id_y 0
		.amdhsa_system_sgpr_workgroup_id_z 0
		.amdhsa_system_sgpr_workgroup_info 0
		.amdhsa_system_vgpr_workitem_id 0
		.amdhsa_next_free_vgpr 1
		.amdhsa_next_free_sgpr 0
		.amdhsa_accum_offset 4
		.amdhsa_reserve_vcc 0
		.amdhsa_float_round_mode_32 0
		.amdhsa_float_round_mode_16_64 0
		.amdhsa_float_denorm_mode_32 3
		.amdhsa_float_denorm_mode_16_64 3
		.amdhsa_dx10_clamp 1
		.amdhsa_ieee_mode 1
		.amdhsa_fp16_overflow 0
		.amdhsa_tg_split 0
		.amdhsa_exception_fp_ieee_invalid_op 0
		.amdhsa_exception_fp_denorm_src 0
		.amdhsa_exception_fp_ieee_div_zero 0
		.amdhsa_exception_fp_ieee_overflow 0
		.amdhsa_exception_fp_ieee_underflow 0
		.amdhsa_exception_fp_ieee_inexact 0
		.amdhsa_exception_int_div_zero 0
	.end_amdhsa_kernel
	.section	.text._ZN7rocprim17ROCPRIM_400000_NS6detail44device_merge_sort_compile_time_verifier_archINS1_11comp_targetILNS1_3genE9ELNS1_11target_archE1100ELNS1_3gpuE3ELNS1_3repE0EEES8_NS0_14default_configES9_NS1_37merge_sort_block_sort_config_selectorIiNS0_10empty_typeEEENS1_38merge_sort_block_merge_config_selectorIiSB_EEEEvv,"axG",@progbits,_ZN7rocprim17ROCPRIM_400000_NS6detail44device_merge_sort_compile_time_verifier_archINS1_11comp_targetILNS1_3genE9ELNS1_11target_archE1100ELNS1_3gpuE3ELNS1_3repE0EEES8_NS0_14default_configES9_NS1_37merge_sort_block_sort_config_selectorIiNS0_10empty_typeEEENS1_38merge_sort_block_merge_config_selectorIiSB_EEEEvv,comdat
.Lfunc_end397:
	.size	_ZN7rocprim17ROCPRIM_400000_NS6detail44device_merge_sort_compile_time_verifier_archINS1_11comp_targetILNS1_3genE9ELNS1_11target_archE1100ELNS1_3gpuE3ELNS1_3repE0EEES8_NS0_14default_configES9_NS1_37merge_sort_block_sort_config_selectorIiNS0_10empty_typeEEENS1_38merge_sort_block_merge_config_selectorIiSB_EEEEvv, .Lfunc_end397-_ZN7rocprim17ROCPRIM_400000_NS6detail44device_merge_sort_compile_time_verifier_archINS1_11comp_targetILNS1_3genE9ELNS1_11target_archE1100ELNS1_3gpuE3ELNS1_3repE0EEES8_NS0_14default_configES9_NS1_37merge_sort_block_sort_config_selectorIiNS0_10empty_typeEEENS1_38merge_sort_block_merge_config_selectorIiSB_EEEEvv
                                        ; -- End function
	.set _ZN7rocprim17ROCPRIM_400000_NS6detail44device_merge_sort_compile_time_verifier_archINS1_11comp_targetILNS1_3genE9ELNS1_11target_archE1100ELNS1_3gpuE3ELNS1_3repE0EEES8_NS0_14default_configES9_NS1_37merge_sort_block_sort_config_selectorIiNS0_10empty_typeEEENS1_38merge_sort_block_merge_config_selectorIiSB_EEEEvv.num_vgpr, 0
	.set _ZN7rocprim17ROCPRIM_400000_NS6detail44device_merge_sort_compile_time_verifier_archINS1_11comp_targetILNS1_3genE9ELNS1_11target_archE1100ELNS1_3gpuE3ELNS1_3repE0EEES8_NS0_14default_configES9_NS1_37merge_sort_block_sort_config_selectorIiNS0_10empty_typeEEENS1_38merge_sort_block_merge_config_selectorIiSB_EEEEvv.num_agpr, 0
	.set _ZN7rocprim17ROCPRIM_400000_NS6detail44device_merge_sort_compile_time_verifier_archINS1_11comp_targetILNS1_3genE9ELNS1_11target_archE1100ELNS1_3gpuE3ELNS1_3repE0EEES8_NS0_14default_configES9_NS1_37merge_sort_block_sort_config_selectorIiNS0_10empty_typeEEENS1_38merge_sort_block_merge_config_selectorIiSB_EEEEvv.numbered_sgpr, 0
	.set _ZN7rocprim17ROCPRIM_400000_NS6detail44device_merge_sort_compile_time_verifier_archINS1_11comp_targetILNS1_3genE9ELNS1_11target_archE1100ELNS1_3gpuE3ELNS1_3repE0EEES8_NS0_14default_configES9_NS1_37merge_sort_block_sort_config_selectorIiNS0_10empty_typeEEENS1_38merge_sort_block_merge_config_selectorIiSB_EEEEvv.num_named_barrier, 0
	.set _ZN7rocprim17ROCPRIM_400000_NS6detail44device_merge_sort_compile_time_verifier_archINS1_11comp_targetILNS1_3genE9ELNS1_11target_archE1100ELNS1_3gpuE3ELNS1_3repE0EEES8_NS0_14default_configES9_NS1_37merge_sort_block_sort_config_selectorIiNS0_10empty_typeEEENS1_38merge_sort_block_merge_config_selectorIiSB_EEEEvv.private_seg_size, 0
	.set _ZN7rocprim17ROCPRIM_400000_NS6detail44device_merge_sort_compile_time_verifier_archINS1_11comp_targetILNS1_3genE9ELNS1_11target_archE1100ELNS1_3gpuE3ELNS1_3repE0EEES8_NS0_14default_configES9_NS1_37merge_sort_block_sort_config_selectorIiNS0_10empty_typeEEENS1_38merge_sort_block_merge_config_selectorIiSB_EEEEvv.uses_vcc, 0
	.set _ZN7rocprim17ROCPRIM_400000_NS6detail44device_merge_sort_compile_time_verifier_archINS1_11comp_targetILNS1_3genE9ELNS1_11target_archE1100ELNS1_3gpuE3ELNS1_3repE0EEES8_NS0_14default_configES9_NS1_37merge_sort_block_sort_config_selectorIiNS0_10empty_typeEEENS1_38merge_sort_block_merge_config_selectorIiSB_EEEEvv.uses_flat_scratch, 0
	.set _ZN7rocprim17ROCPRIM_400000_NS6detail44device_merge_sort_compile_time_verifier_archINS1_11comp_targetILNS1_3genE9ELNS1_11target_archE1100ELNS1_3gpuE3ELNS1_3repE0EEES8_NS0_14default_configES9_NS1_37merge_sort_block_sort_config_selectorIiNS0_10empty_typeEEENS1_38merge_sort_block_merge_config_selectorIiSB_EEEEvv.has_dyn_sized_stack, 0
	.set _ZN7rocprim17ROCPRIM_400000_NS6detail44device_merge_sort_compile_time_verifier_archINS1_11comp_targetILNS1_3genE9ELNS1_11target_archE1100ELNS1_3gpuE3ELNS1_3repE0EEES8_NS0_14default_configES9_NS1_37merge_sort_block_sort_config_selectorIiNS0_10empty_typeEEENS1_38merge_sort_block_merge_config_selectorIiSB_EEEEvv.has_recursion, 0
	.set _ZN7rocprim17ROCPRIM_400000_NS6detail44device_merge_sort_compile_time_verifier_archINS1_11comp_targetILNS1_3genE9ELNS1_11target_archE1100ELNS1_3gpuE3ELNS1_3repE0EEES8_NS0_14default_configES9_NS1_37merge_sort_block_sort_config_selectorIiNS0_10empty_typeEEENS1_38merge_sort_block_merge_config_selectorIiSB_EEEEvv.has_indirect_call, 0
	.section	.AMDGPU.csdata,"",@progbits
; Kernel info:
; codeLenInByte = 4
; TotalNumSgprs: 6
; NumVgprs: 0
; NumAgprs: 0
; TotalNumVgprs: 0
; ScratchSize: 0
; MemoryBound: 0
; FloatMode: 240
; IeeeMode: 1
; LDSByteSize: 0 bytes/workgroup (compile time only)
; SGPRBlocks: 0
; VGPRBlocks: 0
; NumSGPRsForWavesPerEU: 6
; NumVGPRsForWavesPerEU: 1
; AccumOffset: 4
; Occupancy: 8
; WaveLimiterHint : 0
; COMPUTE_PGM_RSRC2:SCRATCH_EN: 0
; COMPUTE_PGM_RSRC2:USER_SGPR: 0
; COMPUTE_PGM_RSRC2:TRAP_HANDLER: 0
; COMPUTE_PGM_RSRC2:TGID_X_EN: 1
; COMPUTE_PGM_RSRC2:TGID_Y_EN: 0
; COMPUTE_PGM_RSRC2:TGID_Z_EN: 0
; COMPUTE_PGM_RSRC2:TIDIG_COMP_CNT: 0
; COMPUTE_PGM_RSRC3_GFX90A:ACCUM_OFFSET: 0
; COMPUTE_PGM_RSRC3_GFX90A:TG_SPLIT: 0
	.section	.text._ZN7rocprim17ROCPRIM_400000_NS6detail44device_merge_sort_compile_time_verifier_archINS1_11comp_targetILNS1_3genE8ELNS1_11target_archE1030ELNS1_3gpuE2ELNS1_3repE0EEES8_NS0_14default_configES9_NS1_37merge_sort_block_sort_config_selectorIiNS0_10empty_typeEEENS1_38merge_sort_block_merge_config_selectorIiSB_EEEEvv,"axG",@progbits,_ZN7rocprim17ROCPRIM_400000_NS6detail44device_merge_sort_compile_time_verifier_archINS1_11comp_targetILNS1_3genE8ELNS1_11target_archE1030ELNS1_3gpuE2ELNS1_3repE0EEES8_NS0_14default_configES9_NS1_37merge_sort_block_sort_config_selectorIiNS0_10empty_typeEEENS1_38merge_sort_block_merge_config_selectorIiSB_EEEEvv,comdat
	.protected	_ZN7rocprim17ROCPRIM_400000_NS6detail44device_merge_sort_compile_time_verifier_archINS1_11comp_targetILNS1_3genE8ELNS1_11target_archE1030ELNS1_3gpuE2ELNS1_3repE0EEES8_NS0_14default_configES9_NS1_37merge_sort_block_sort_config_selectorIiNS0_10empty_typeEEENS1_38merge_sort_block_merge_config_selectorIiSB_EEEEvv ; -- Begin function _ZN7rocprim17ROCPRIM_400000_NS6detail44device_merge_sort_compile_time_verifier_archINS1_11comp_targetILNS1_3genE8ELNS1_11target_archE1030ELNS1_3gpuE2ELNS1_3repE0EEES8_NS0_14default_configES9_NS1_37merge_sort_block_sort_config_selectorIiNS0_10empty_typeEEENS1_38merge_sort_block_merge_config_selectorIiSB_EEEEvv
	.globl	_ZN7rocprim17ROCPRIM_400000_NS6detail44device_merge_sort_compile_time_verifier_archINS1_11comp_targetILNS1_3genE8ELNS1_11target_archE1030ELNS1_3gpuE2ELNS1_3repE0EEES8_NS0_14default_configES9_NS1_37merge_sort_block_sort_config_selectorIiNS0_10empty_typeEEENS1_38merge_sort_block_merge_config_selectorIiSB_EEEEvv
	.p2align	8
	.type	_ZN7rocprim17ROCPRIM_400000_NS6detail44device_merge_sort_compile_time_verifier_archINS1_11comp_targetILNS1_3genE8ELNS1_11target_archE1030ELNS1_3gpuE2ELNS1_3repE0EEES8_NS0_14default_configES9_NS1_37merge_sort_block_sort_config_selectorIiNS0_10empty_typeEEENS1_38merge_sort_block_merge_config_selectorIiSB_EEEEvv,@function
_ZN7rocprim17ROCPRIM_400000_NS6detail44device_merge_sort_compile_time_verifier_archINS1_11comp_targetILNS1_3genE8ELNS1_11target_archE1030ELNS1_3gpuE2ELNS1_3repE0EEES8_NS0_14default_configES9_NS1_37merge_sort_block_sort_config_selectorIiNS0_10empty_typeEEENS1_38merge_sort_block_merge_config_selectorIiSB_EEEEvv: ; @_ZN7rocprim17ROCPRIM_400000_NS6detail44device_merge_sort_compile_time_verifier_archINS1_11comp_targetILNS1_3genE8ELNS1_11target_archE1030ELNS1_3gpuE2ELNS1_3repE0EEES8_NS0_14default_configES9_NS1_37merge_sort_block_sort_config_selectorIiNS0_10empty_typeEEENS1_38merge_sort_block_merge_config_selectorIiSB_EEEEvv
; %bb.0:
	s_endpgm
	.section	.rodata,"a",@progbits
	.p2align	6, 0x0
	.amdhsa_kernel _ZN7rocprim17ROCPRIM_400000_NS6detail44device_merge_sort_compile_time_verifier_archINS1_11comp_targetILNS1_3genE8ELNS1_11target_archE1030ELNS1_3gpuE2ELNS1_3repE0EEES8_NS0_14default_configES9_NS1_37merge_sort_block_sort_config_selectorIiNS0_10empty_typeEEENS1_38merge_sort_block_merge_config_selectorIiSB_EEEEvv
		.amdhsa_group_segment_fixed_size 0
		.amdhsa_private_segment_fixed_size 0
		.amdhsa_kernarg_size 0
		.amdhsa_user_sgpr_count 0
		.amdhsa_user_sgpr_dispatch_ptr 0
		.amdhsa_user_sgpr_queue_ptr 0
		.amdhsa_user_sgpr_kernarg_segment_ptr 0
		.amdhsa_user_sgpr_dispatch_id 0
		.amdhsa_user_sgpr_kernarg_preload_length 0
		.amdhsa_user_sgpr_kernarg_preload_offset 0
		.amdhsa_user_sgpr_private_segment_size 0
		.amdhsa_uses_dynamic_stack 0
		.amdhsa_enable_private_segment 0
		.amdhsa_system_sgpr_workgroup_id_x 1
		.amdhsa_system_sgpr_workgroup_id_y 0
		.amdhsa_system_sgpr_workgroup_id_z 0
		.amdhsa_system_sgpr_workgroup_info 0
		.amdhsa_system_vgpr_workitem_id 0
		.amdhsa_next_free_vgpr 1
		.amdhsa_next_free_sgpr 0
		.amdhsa_accum_offset 4
		.amdhsa_reserve_vcc 0
		.amdhsa_float_round_mode_32 0
		.amdhsa_float_round_mode_16_64 0
		.amdhsa_float_denorm_mode_32 3
		.amdhsa_float_denorm_mode_16_64 3
		.amdhsa_dx10_clamp 1
		.amdhsa_ieee_mode 1
		.amdhsa_fp16_overflow 0
		.amdhsa_tg_split 0
		.amdhsa_exception_fp_ieee_invalid_op 0
		.amdhsa_exception_fp_denorm_src 0
		.amdhsa_exception_fp_ieee_div_zero 0
		.amdhsa_exception_fp_ieee_overflow 0
		.amdhsa_exception_fp_ieee_underflow 0
		.amdhsa_exception_fp_ieee_inexact 0
		.amdhsa_exception_int_div_zero 0
	.end_amdhsa_kernel
	.section	.text._ZN7rocprim17ROCPRIM_400000_NS6detail44device_merge_sort_compile_time_verifier_archINS1_11comp_targetILNS1_3genE8ELNS1_11target_archE1030ELNS1_3gpuE2ELNS1_3repE0EEES8_NS0_14default_configES9_NS1_37merge_sort_block_sort_config_selectorIiNS0_10empty_typeEEENS1_38merge_sort_block_merge_config_selectorIiSB_EEEEvv,"axG",@progbits,_ZN7rocprim17ROCPRIM_400000_NS6detail44device_merge_sort_compile_time_verifier_archINS1_11comp_targetILNS1_3genE8ELNS1_11target_archE1030ELNS1_3gpuE2ELNS1_3repE0EEES8_NS0_14default_configES9_NS1_37merge_sort_block_sort_config_selectorIiNS0_10empty_typeEEENS1_38merge_sort_block_merge_config_selectorIiSB_EEEEvv,comdat
.Lfunc_end398:
	.size	_ZN7rocprim17ROCPRIM_400000_NS6detail44device_merge_sort_compile_time_verifier_archINS1_11comp_targetILNS1_3genE8ELNS1_11target_archE1030ELNS1_3gpuE2ELNS1_3repE0EEES8_NS0_14default_configES9_NS1_37merge_sort_block_sort_config_selectorIiNS0_10empty_typeEEENS1_38merge_sort_block_merge_config_selectorIiSB_EEEEvv, .Lfunc_end398-_ZN7rocprim17ROCPRIM_400000_NS6detail44device_merge_sort_compile_time_verifier_archINS1_11comp_targetILNS1_3genE8ELNS1_11target_archE1030ELNS1_3gpuE2ELNS1_3repE0EEES8_NS0_14default_configES9_NS1_37merge_sort_block_sort_config_selectorIiNS0_10empty_typeEEENS1_38merge_sort_block_merge_config_selectorIiSB_EEEEvv
                                        ; -- End function
	.set _ZN7rocprim17ROCPRIM_400000_NS6detail44device_merge_sort_compile_time_verifier_archINS1_11comp_targetILNS1_3genE8ELNS1_11target_archE1030ELNS1_3gpuE2ELNS1_3repE0EEES8_NS0_14default_configES9_NS1_37merge_sort_block_sort_config_selectorIiNS0_10empty_typeEEENS1_38merge_sort_block_merge_config_selectorIiSB_EEEEvv.num_vgpr, 0
	.set _ZN7rocprim17ROCPRIM_400000_NS6detail44device_merge_sort_compile_time_verifier_archINS1_11comp_targetILNS1_3genE8ELNS1_11target_archE1030ELNS1_3gpuE2ELNS1_3repE0EEES8_NS0_14default_configES9_NS1_37merge_sort_block_sort_config_selectorIiNS0_10empty_typeEEENS1_38merge_sort_block_merge_config_selectorIiSB_EEEEvv.num_agpr, 0
	.set _ZN7rocprim17ROCPRIM_400000_NS6detail44device_merge_sort_compile_time_verifier_archINS1_11comp_targetILNS1_3genE8ELNS1_11target_archE1030ELNS1_3gpuE2ELNS1_3repE0EEES8_NS0_14default_configES9_NS1_37merge_sort_block_sort_config_selectorIiNS0_10empty_typeEEENS1_38merge_sort_block_merge_config_selectorIiSB_EEEEvv.numbered_sgpr, 0
	.set _ZN7rocprim17ROCPRIM_400000_NS6detail44device_merge_sort_compile_time_verifier_archINS1_11comp_targetILNS1_3genE8ELNS1_11target_archE1030ELNS1_3gpuE2ELNS1_3repE0EEES8_NS0_14default_configES9_NS1_37merge_sort_block_sort_config_selectorIiNS0_10empty_typeEEENS1_38merge_sort_block_merge_config_selectorIiSB_EEEEvv.num_named_barrier, 0
	.set _ZN7rocprim17ROCPRIM_400000_NS6detail44device_merge_sort_compile_time_verifier_archINS1_11comp_targetILNS1_3genE8ELNS1_11target_archE1030ELNS1_3gpuE2ELNS1_3repE0EEES8_NS0_14default_configES9_NS1_37merge_sort_block_sort_config_selectorIiNS0_10empty_typeEEENS1_38merge_sort_block_merge_config_selectorIiSB_EEEEvv.private_seg_size, 0
	.set _ZN7rocprim17ROCPRIM_400000_NS6detail44device_merge_sort_compile_time_verifier_archINS1_11comp_targetILNS1_3genE8ELNS1_11target_archE1030ELNS1_3gpuE2ELNS1_3repE0EEES8_NS0_14default_configES9_NS1_37merge_sort_block_sort_config_selectorIiNS0_10empty_typeEEENS1_38merge_sort_block_merge_config_selectorIiSB_EEEEvv.uses_vcc, 0
	.set _ZN7rocprim17ROCPRIM_400000_NS6detail44device_merge_sort_compile_time_verifier_archINS1_11comp_targetILNS1_3genE8ELNS1_11target_archE1030ELNS1_3gpuE2ELNS1_3repE0EEES8_NS0_14default_configES9_NS1_37merge_sort_block_sort_config_selectorIiNS0_10empty_typeEEENS1_38merge_sort_block_merge_config_selectorIiSB_EEEEvv.uses_flat_scratch, 0
	.set _ZN7rocprim17ROCPRIM_400000_NS6detail44device_merge_sort_compile_time_verifier_archINS1_11comp_targetILNS1_3genE8ELNS1_11target_archE1030ELNS1_3gpuE2ELNS1_3repE0EEES8_NS0_14default_configES9_NS1_37merge_sort_block_sort_config_selectorIiNS0_10empty_typeEEENS1_38merge_sort_block_merge_config_selectorIiSB_EEEEvv.has_dyn_sized_stack, 0
	.set _ZN7rocprim17ROCPRIM_400000_NS6detail44device_merge_sort_compile_time_verifier_archINS1_11comp_targetILNS1_3genE8ELNS1_11target_archE1030ELNS1_3gpuE2ELNS1_3repE0EEES8_NS0_14default_configES9_NS1_37merge_sort_block_sort_config_selectorIiNS0_10empty_typeEEENS1_38merge_sort_block_merge_config_selectorIiSB_EEEEvv.has_recursion, 0
	.set _ZN7rocprim17ROCPRIM_400000_NS6detail44device_merge_sort_compile_time_verifier_archINS1_11comp_targetILNS1_3genE8ELNS1_11target_archE1030ELNS1_3gpuE2ELNS1_3repE0EEES8_NS0_14default_configES9_NS1_37merge_sort_block_sort_config_selectorIiNS0_10empty_typeEEENS1_38merge_sort_block_merge_config_selectorIiSB_EEEEvv.has_indirect_call, 0
	.section	.AMDGPU.csdata,"",@progbits
; Kernel info:
; codeLenInByte = 4
; TotalNumSgprs: 6
; NumVgprs: 0
; NumAgprs: 0
; TotalNumVgprs: 0
; ScratchSize: 0
; MemoryBound: 0
; FloatMode: 240
; IeeeMode: 1
; LDSByteSize: 0 bytes/workgroup (compile time only)
; SGPRBlocks: 0
; VGPRBlocks: 0
; NumSGPRsForWavesPerEU: 6
; NumVGPRsForWavesPerEU: 1
; AccumOffset: 4
; Occupancy: 8
; WaveLimiterHint : 0
; COMPUTE_PGM_RSRC2:SCRATCH_EN: 0
; COMPUTE_PGM_RSRC2:USER_SGPR: 0
; COMPUTE_PGM_RSRC2:TRAP_HANDLER: 0
; COMPUTE_PGM_RSRC2:TGID_X_EN: 1
; COMPUTE_PGM_RSRC2:TGID_Y_EN: 0
; COMPUTE_PGM_RSRC2:TGID_Z_EN: 0
; COMPUTE_PGM_RSRC2:TIDIG_COMP_CNT: 0
; COMPUTE_PGM_RSRC3_GFX90A:ACCUM_OFFSET: 0
; COMPUTE_PGM_RSRC3_GFX90A:TG_SPLIT: 0
	.section	.text._ZN7rocprim17ROCPRIM_400000_NS6detail17trampoline_kernelINS0_14default_configENS1_37merge_sort_block_sort_config_selectorIiNS0_10empty_typeEEEZNS1_21merge_sort_block_sortIS3_N6thrust23THRUST_200600_302600_NS6detail15normal_iteratorINS9_10device_ptrIiEEEESE_PS5_SF_17evens_before_oddsEE10hipError_tT0_T1_T2_T3_mRjT4_P12ihipStream_tbNS1_7vsmem_tEEUlT_E_NS1_11comp_targetILNS1_3genE0ELNS1_11target_archE4294967295ELNS1_3gpuE0ELNS1_3repE0EEENS1_30default_config_static_selectorELNS0_4arch9wavefront6targetE1EEEvSJ_,"axG",@progbits,_ZN7rocprim17ROCPRIM_400000_NS6detail17trampoline_kernelINS0_14default_configENS1_37merge_sort_block_sort_config_selectorIiNS0_10empty_typeEEEZNS1_21merge_sort_block_sortIS3_N6thrust23THRUST_200600_302600_NS6detail15normal_iteratorINS9_10device_ptrIiEEEESE_PS5_SF_17evens_before_oddsEE10hipError_tT0_T1_T2_T3_mRjT4_P12ihipStream_tbNS1_7vsmem_tEEUlT_E_NS1_11comp_targetILNS1_3genE0ELNS1_11target_archE4294967295ELNS1_3gpuE0ELNS1_3repE0EEENS1_30default_config_static_selectorELNS0_4arch9wavefront6targetE1EEEvSJ_,comdat
	.protected	_ZN7rocprim17ROCPRIM_400000_NS6detail17trampoline_kernelINS0_14default_configENS1_37merge_sort_block_sort_config_selectorIiNS0_10empty_typeEEEZNS1_21merge_sort_block_sortIS3_N6thrust23THRUST_200600_302600_NS6detail15normal_iteratorINS9_10device_ptrIiEEEESE_PS5_SF_17evens_before_oddsEE10hipError_tT0_T1_T2_T3_mRjT4_P12ihipStream_tbNS1_7vsmem_tEEUlT_E_NS1_11comp_targetILNS1_3genE0ELNS1_11target_archE4294967295ELNS1_3gpuE0ELNS1_3repE0EEENS1_30default_config_static_selectorELNS0_4arch9wavefront6targetE1EEEvSJ_ ; -- Begin function _ZN7rocprim17ROCPRIM_400000_NS6detail17trampoline_kernelINS0_14default_configENS1_37merge_sort_block_sort_config_selectorIiNS0_10empty_typeEEEZNS1_21merge_sort_block_sortIS3_N6thrust23THRUST_200600_302600_NS6detail15normal_iteratorINS9_10device_ptrIiEEEESE_PS5_SF_17evens_before_oddsEE10hipError_tT0_T1_T2_T3_mRjT4_P12ihipStream_tbNS1_7vsmem_tEEUlT_E_NS1_11comp_targetILNS1_3genE0ELNS1_11target_archE4294967295ELNS1_3gpuE0ELNS1_3repE0EEENS1_30default_config_static_selectorELNS0_4arch9wavefront6targetE1EEEvSJ_
	.globl	_ZN7rocprim17ROCPRIM_400000_NS6detail17trampoline_kernelINS0_14default_configENS1_37merge_sort_block_sort_config_selectorIiNS0_10empty_typeEEEZNS1_21merge_sort_block_sortIS3_N6thrust23THRUST_200600_302600_NS6detail15normal_iteratorINS9_10device_ptrIiEEEESE_PS5_SF_17evens_before_oddsEE10hipError_tT0_T1_T2_T3_mRjT4_P12ihipStream_tbNS1_7vsmem_tEEUlT_E_NS1_11comp_targetILNS1_3genE0ELNS1_11target_archE4294967295ELNS1_3gpuE0ELNS1_3repE0EEENS1_30default_config_static_selectorELNS0_4arch9wavefront6targetE1EEEvSJ_
	.p2align	8
	.type	_ZN7rocprim17ROCPRIM_400000_NS6detail17trampoline_kernelINS0_14default_configENS1_37merge_sort_block_sort_config_selectorIiNS0_10empty_typeEEEZNS1_21merge_sort_block_sortIS3_N6thrust23THRUST_200600_302600_NS6detail15normal_iteratorINS9_10device_ptrIiEEEESE_PS5_SF_17evens_before_oddsEE10hipError_tT0_T1_T2_T3_mRjT4_P12ihipStream_tbNS1_7vsmem_tEEUlT_E_NS1_11comp_targetILNS1_3genE0ELNS1_11target_archE4294967295ELNS1_3gpuE0ELNS1_3repE0EEENS1_30default_config_static_selectorELNS0_4arch9wavefront6targetE1EEEvSJ_,@function
_ZN7rocprim17ROCPRIM_400000_NS6detail17trampoline_kernelINS0_14default_configENS1_37merge_sort_block_sort_config_selectorIiNS0_10empty_typeEEEZNS1_21merge_sort_block_sortIS3_N6thrust23THRUST_200600_302600_NS6detail15normal_iteratorINS9_10device_ptrIiEEEESE_PS5_SF_17evens_before_oddsEE10hipError_tT0_T1_T2_T3_mRjT4_P12ihipStream_tbNS1_7vsmem_tEEUlT_E_NS1_11comp_targetILNS1_3genE0ELNS1_11target_archE4294967295ELNS1_3gpuE0ELNS1_3repE0EEENS1_30default_config_static_selectorELNS0_4arch9wavefront6targetE1EEEvSJ_: ; @_ZN7rocprim17ROCPRIM_400000_NS6detail17trampoline_kernelINS0_14default_configENS1_37merge_sort_block_sort_config_selectorIiNS0_10empty_typeEEEZNS1_21merge_sort_block_sortIS3_N6thrust23THRUST_200600_302600_NS6detail15normal_iteratorINS9_10device_ptrIiEEEESE_PS5_SF_17evens_before_oddsEE10hipError_tT0_T1_T2_T3_mRjT4_P12ihipStream_tbNS1_7vsmem_tEEUlT_E_NS1_11comp_targetILNS1_3genE0ELNS1_11target_archE4294967295ELNS1_3gpuE0ELNS1_3repE0EEENS1_30default_config_static_selectorELNS0_4arch9wavefront6targetE1EEEvSJ_
; %bb.0:
	s_load_dwordx2 s[14:15], s[0:1], 0x40
	s_load_dword s5, s[0:1], 0x0
	s_add_u32 s12, s0, 64
	s_addc_u32 s13, s1, 0
	s_waitcnt lgkmcnt(0)
	s_mul_i32 s4, s15, s4
	s_add_i32 s3, s4, s3
	s_mul_i32 s3, s3, s14
	s_add_i32 s4, s3, s2
	s_cmp_ge_u32 s4, s5
	s_cbranch_scc1 .LBB399_673
; %bb.1:
	s_load_dwordx2 s[6:7], s[0:1], 0x8
	s_load_dwordx4 s[8:11], s[0:1], 0x18
	s_mov_b32 s5, 0
	s_lshl_b64 s[0:1], s[4:5], 13
	v_and_b32_e32 v28, 0x3ff, v0
	s_waitcnt lgkmcnt(0)
	s_lshr_b64 s[18:19], s[6:7], 11
	s_add_u32 s16, s8, s0
	s_addc_u32 s17, s9, s1
	s_add_u32 s28, s10, s0
	s_addc_u32 s29, s11, s1
	s_cmp_lg_u64 s[18:19], s[4:5]
	v_bfe_u32 v16, v0, 10, 10
	v_bfe_u32 v17, v0, 20, 10
	v_lshlrev_b32_e32 v30, 2, v28
	v_lshrrev_b32_e32 v18, 3, v28
	v_lshlrev_b32_e32 v32, 5, v28
	s_cbranch_scc0 .LBB399_327
; %bb.2:
	v_mov_b32_e32 v29, 0
	v_mov_b32_e32 v31, v29
	v_lshl_add_u64 v[0:1], s[16:17], 0, v[30:31]
	v_add_co_u32_e32 v2, vcc, 0x1000, v0
	v_or_b32_e32 v12, 0x400, v28
	s_nop 0
	v_addc_co_u32_e32 v3, vcc, 0, v1, vcc
	flat_load_dword v4, v[0:1]
	flat_load_dword v5, v[0:1] offset:1024
	flat_load_dword v6, v[0:1] offset:2048
	;; [unrolled: 1-line block ×3, first 2 shown]
	flat_load_dword v8, v[2:3]
	flat_load_dword v9, v[2:3] offset:1024
	flat_load_dword v10, v[2:3] offset:2048
	;; [unrolled: 1-line block ×3, first 2 shown]
	v_and_b32_e32 v0, 0x7c, v18
	v_add_u32_e32 v1, 0x100, v28
	v_add_u32_e32 v2, 0x200, v28
	;; [unrolled: 1-line block ×6, first 2 shown]
	v_and_b32_e32 v20, 0x3fc, v28
	v_add_u32_e32 v19, v0, v30
	v_lshrrev_b32_e32 v0, 3, v1
	v_lshrrev_b32_e32 v1, 3, v2
	;; [unrolled: 1-line block ×7, first 2 shown]
	v_add_u32_e32 v20, v20, v32
	v_and_b32_e32 v0, 0xfc, v0
	v_and_b32_e32 v1, 0xfc, v1
	;; [unrolled: 1-line block ×7, first 2 shown]
	v_add_u32_e32 v21, v0, v30
	v_add_u32_e32 v22, v1, v30
	;; [unrolled: 1-line block ×7, first 2 shown]
	s_movk_i32 s3, 0x800
	s_waitcnt vmcnt(0) lgkmcnt(0)
	ds_write_b32 v19, v4
	ds_write_b32 v21, v5 offset:1024
	ds_write_b32 v22, v6 offset:2048
	;; [unrolled: 1-line block ×7, first 2 shown]
	s_waitcnt lgkmcnt(0)
	s_barrier
	ds_read2_b32 v[0:1], v20 offset1:1
	ds_read2_b32 v[2:3], v20 offset0:2 offset1:3
	ds_read2_b32 v[4:5], v20 offset0:4 offset1:5
	ds_read2_b32 v[6:7], v20 offset0:6 offset1:7
	s_waitcnt lgkmcnt(0)
	s_barrier
	s_load_dword s0, s[12:13], 0xc
	s_waitcnt lgkmcnt(0)
	s_lshr_b32 s7, s0, 16
	s_cmp_lt_u32 s2, s14
	s_cselect_b32 s0, 12, 18
	s_add_u32 s0, s12, s0
	s_addc_u32 s1, s13, 0
	global_load_ushort v8, v29, s[0:1]
	v_mad_u32_u24 v9, v17, s7, v16
	s_waitcnt vmcnt(0)
	v_mul_lo_u32 v8, v9, v8
	v_add_lshl_u32 v31, v8, v28, 3
	v_cmp_gt_u32_e32 vcc, s3, v31
	v_mov_b32_e32 v8, v0
	s_and_saveexec_b64 s[0:1], vcc
	s_cbranch_execz .LBB399_6
; %bb.3:
	v_lshrrev_b32_e32 v8, 31, v1
	v_add_u32_e32 v8, v1, v8
	v_lshrrev_b32_e32 v9, 31, v0
	v_and_b32_e32 v8, -2, v8
	v_add_u32_e32 v9, v0, v9
	v_sub_u32_e32 v8, v1, v8
	v_and_b32_e32 v9, -2, v9
	v_cmp_lt_i32_e32 vcc, v1, v0
	v_sub_u32_e32 v9, v0, v9
	s_nop 0
	v_cndmask_b32_e64 v10, 0, 1, vcc
	v_cmp_eq_u32_e32 vcc, 0, v8
	s_nop 1
	v_cndmask_b32_e64 v11, 0, 1, vcc
	v_cmp_eq_u32_e32 vcc, v8, v9
	v_lshrrev_b32_e32 v9, 31, v2
	v_add_u32_e32 v9, v2, v9
	v_cndmask_b32_e32 v8, v11, v10, vcc
	v_and_b32_e32 v8, 1, v8
	v_cmp_eq_u32_e32 vcc, 1, v8
	v_and_b32_e32 v9, -2, v9
	v_sub_u32_e32 v9, v2, v9
	v_cndmask_b32_e32 v8, v0, v1, vcc
	v_cndmask_b32_e32 v0, v1, v0, vcc
	v_lshrrev_b32_e32 v1, 31, v3
	v_add_u32_e32 v1, v3, v1
	v_and_b32_e32 v1, -2, v1
	v_sub_u32_e32 v1, v3, v1
	v_cmp_lt_i32_e32 vcc, v3, v2
	s_nop 1
	v_cndmask_b32_e64 v10, 0, 1, vcc
	v_cmp_eq_u32_e32 vcc, 0, v1
	s_nop 1
	v_cndmask_b32_e64 v11, 0, 1, vcc
	v_cmp_eq_u32_e32 vcc, v1, v9
	v_lshrrev_b32_e32 v9, 31, v4
	v_add_u32_e32 v9, v4, v9
	v_cndmask_b32_e32 v1, v11, v10, vcc
	v_and_b32_e32 v1, 1, v1
	v_cmp_eq_u32_e32 vcc, 1, v1
	v_and_b32_e32 v9, -2, v9
	v_sub_u32_e32 v9, v4, v9
	v_cndmask_b32_e32 v1, v3, v2, vcc
	v_cndmask_b32_e32 v2, v2, v3, vcc
	v_lshrrev_b32_e32 v3, 31, v5
	v_add_u32_e32 v3, v5, v3
	v_and_b32_e32 v3, -2, v3
	v_sub_u32_e32 v3, v5, v3
	v_cmp_lt_i32_e32 vcc, v5, v4
	;; [unrolled: 20-line block ×6, first 2 shown]
	s_nop 1
	v_cndmask_b32_e64 v10, 0, 1, vcc
	v_cmp_eq_u32_e32 vcc, 0, v4
	s_nop 1
	v_cndmask_b32_e64 v11, 0, 1, vcc
	v_cmp_eq_u32_e32 vcc, v4, v9
	v_lshrrev_b32_e32 v9, 31, v8
	v_add_u32_e32 v9, v8, v9
	v_cndmask_b32_e32 v4, v11, v10, vcc
	v_and_b32_e32 v4, 1, v4
	v_cmp_eq_u32_e32 vcc, 1, v4
	v_and_b32_e32 v9, -2, v9
	v_sub_u32_e32 v9, v8, v9
	v_cndmask_b32_e32 v4, v6, v3, vcc
	v_cndmask_b32_e32 v3, v3, v6, vcc
	v_lshrrev_b32_e32 v6, 31, v0
	v_add_u32_e32 v6, v0, v6
	v_and_b32_e32 v6, -2, v6
	v_sub_u32_e32 v6, v0, v6
	v_cmp_eq_u32_e32 vcc, 0, v6
	s_nop 1
	v_cndmask_b32_e64 v10, 0, 1, vcc
	v_cmp_lt_i32_e32 vcc, v0, v8
	s_nop 1
	v_cndmask_b32_e64 v11, 0, 1, vcc
	v_cmp_eq_u32_e32 vcc, v6, v9
	v_lshrrev_b32_e32 v9, 31, v7
	v_add_u32_e32 v9, v7, v9
	v_cndmask_b32_e32 v6, v10, v11, vcc
	v_and_b32_e32 v6, 1, v6
	v_cmp_eq_u32_e32 vcc, 1, v6
	v_and_b32_e32 v9, -2, v9
	v_sub_u32_e32 v9, v7, v9
	v_cndmask_b32_e32 v6, v8, v0, vcc
	v_cndmask_b32_e32 v0, v0, v8, vcc
	v_lshrrev_b32_e32 v8, 31, v1
	v_add_u32_e32 v8, v1, v8
	v_and_b32_e32 v8, -2, v8
	v_sub_u32_e32 v8, v1, v8
	v_cmp_lt_i32_e32 vcc, v1, v7
	s_nop 1
	v_cndmask_b32_e64 v10, 0, 1, vcc
	v_cmp_eq_u32_e32 vcc, 0, v8
	s_nop 1
	v_cndmask_b32_e64 v11, 0, 1, vcc
	v_cmp_eq_u32_e32 vcc, v8, v9
	v_lshrrev_b32_e32 v9, 31, v2
	v_add_u32_e32 v9, v2, v9
	v_cndmask_b32_e32 v8, v11, v10, vcc
	v_and_b32_e32 v8, 1, v8
	v_cmp_eq_u32_e32 vcc, 1, v8
	v_and_b32_e32 v9, -2, v9
	v_sub_u32_e32 v9, v2, v9
	v_cndmask_b32_e32 v8, v1, v7, vcc
	v_cndmask_b32_e32 v1, v7, v1, vcc
	v_lshrrev_b32_e32 v7, 31, v3
	v_add_u32_e32 v7, v3, v7
	v_and_b32_e32 v7, -2, v7
	v_sub_u32_e32 v7, v3, v7
	v_cmp_lt_i32_e32 vcc, v3, v2
	s_nop 1
	v_cndmask_b32_e64 v10, 0, 1, vcc
	v_cmp_eq_u32_e32 vcc, 0, v7
	;; [unrolled: 20-line block ×6, first 2 shown]
	s_nop 1
	v_cndmask_b32_e64 v11, 0, 1, vcc
	v_cmp_eq_u32_e32 vcc, v8, v9
	v_lshrrev_b32_e32 v9, 31, v6
	v_add_u32_e32 v9, v6, v9
	v_cndmask_b32_e32 v8, v11, v10, vcc
	v_and_b32_e32 v8, 1, v8
	v_cmp_eq_u32_e32 vcc, 1, v8
	v_and_b32_e32 v9, -2, v9
	v_sub_u32_e32 v9, v6, v9
	v_cndmask_b32_e32 v8, v4, v7, vcc
	v_cndmask_b32_e32 v4, v7, v4, vcc
	v_lshrrev_b32_e32 v7, 31, v0
	v_add_u32_e32 v7, v0, v7
	v_and_b32_e32 v7, -2, v7
	v_sub_u32_e32 v7, v0, v7
	v_cmp_eq_u32_e32 vcc, 0, v7
	s_nop 1
	v_cndmask_b32_e64 v10, 0, 1, vcc
	v_cmp_lt_i32_e32 vcc, v0, v6
	s_nop 1
	v_cndmask_b32_e64 v11, 0, 1, vcc
	v_cmp_eq_u32_e32 vcc, v7, v9
	v_lshrrev_b32_e32 v9, 31, v5
	v_add_u32_e32 v9, v5, v9
	v_cndmask_b32_e32 v7, v10, v11, vcc
	v_and_b32_e32 v7, 1, v7
	v_cmp_eq_u32_e32 vcc, 1, v7
	v_and_b32_e32 v9, -2, v9
	v_sub_u32_e32 v9, v5, v9
	v_cndmask_b32_e32 v7, v6, v0, vcc
	v_cndmask_b32_e32 v0, v0, v6, vcc
	v_lshrrev_b32_e32 v6, 31, v2
	v_add_u32_e32 v6, v2, v6
	v_and_b32_e32 v6, -2, v6
	v_sub_u32_e32 v6, v2, v6
	v_cmp_lt_i32_e32 vcc, v2, v5
	s_nop 1
	v_cndmask_b32_e64 v10, 0, 1, vcc
	v_cmp_eq_u32_e32 vcc, 0, v6
	s_nop 1
	v_cndmask_b32_e64 v11, 0, 1, vcc
	v_cmp_eq_u32_e32 vcc, v6, v9
	v_lshrrev_b32_e32 v9, 31, v1
	v_add_u32_e32 v9, v1, v9
	v_cndmask_b32_e32 v6, v11, v10, vcc
	v_and_b32_e32 v6, 1, v6
	v_cmp_eq_u32_e32 vcc, 1, v6
	v_and_b32_e32 v9, -2, v9
	v_sub_u32_e32 v9, v1, v9
	v_cndmask_b32_e32 v6, v2, v5, vcc
	v_cndmask_b32_e32 v2, v5, v2, vcc
	v_lshrrev_b32_e32 v5, 31, v4
	v_add_u32_e32 v5, v4, v5
	v_and_b32_e32 v5, -2, v5
	v_sub_u32_e32 v5, v4, v5
	v_cmp_lt_i32_e32 vcc, v4, v1
	s_nop 1
	v_cndmask_b32_e64 v10, 0, 1, vcc
	v_cmp_eq_u32_e32 vcc, 0, v5
	;; [unrolled: 20-line block ×4, first 2 shown]
	s_nop 1
	v_cndmask_b32_e64 v11, 0, 1, vcc
	v_cmp_eq_u32_e32 vcc, v8, v9
	s_nop 1
	v_cndmask_b32_e32 v8, v11, v10, vcc
	v_and_b32_e32 v8, 1, v8
	v_cmp_eq_u32_e32 vcc, 1, v8
	v_lshrrev_b32_e32 v8, 31, v6
	v_add_u32_e32 v8, v6, v8
	v_cndmask_b32_e32 v9, v2, v0, vcc
	v_cndmask_b32_e32 v0, v0, v2, vcc
	v_lshrrev_b32_e32 v2, 31, v1
	v_add_u32_e32 v2, v1, v2
	v_and_b32_e32 v2, -2, v2
	v_sub_u32_e32 v2, v1, v2
	v_and_b32_e32 v8, -2, v8
	v_cmp_lt_i32_e32 vcc, v1, v6
	v_sub_u32_e32 v8, v6, v8
	s_nop 0
	v_cndmask_b32_e64 v10, 0, 1, vcc
	v_cmp_eq_u32_e32 vcc, 0, v2
	s_nop 1
	v_cndmask_b32_e64 v11, 0, 1, vcc
	v_cmp_eq_u32_e32 vcc, v2, v8
	v_lshrrev_b32_e32 v8, 31, v5
	v_add_u32_e32 v8, v5, v8
	v_cndmask_b32_e32 v2, v11, v10, vcc
	v_and_b32_e32 v2, 1, v2
	v_cmp_eq_u32_e32 vcc, 1, v2
	v_and_b32_e32 v8, -2, v8
	v_sub_u32_e32 v8, v5, v8
	v_cndmask_b32_e32 v2, v1, v6, vcc
	v_cndmask_b32_e32 v1, v6, v1, vcc
	v_lshrrev_b32_e32 v6, 31, v3
	v_add_u32_e32 v6, v3, v6
	v_and_b32_e32 v6, -2, v6
	v_sub_u32_e32 v6, v3, v6
	v_cmp_lt_i32_e32 vcc, v3, v5
	s_nop 1
	v_cndmask_b32_e64 v10, 0, 1, vcc
	v_cmp_eq_u32_e32 vcc, 0, v6
	s_nop 1
	v_cndmask_b32_e64 v11, 0, 1, vcc
	v_cmp_eq_u32_e32 vcc, v6, v8
	v_lshrrev_b32_e32 v8, 31, v7
	v_add_u32_e32 v8, v7, v8
	v_cndmask_b32_e32 v6, v11, v10, vcc
	v_and_b32_e32 v6, 1, v6
	v_cmp_eq_u32_e32 vcc, 1, v6
	v_and_b32_e32 v8, -2, v8
	v_sub_u32_e32 v8, v7, v8
	v_cndmask_b32_e32 v6, v3, v5, vcc
	v_cndmask_b32_e32 v3, v5, v3, vcc
	v_lshrrev_b32_e32 v5, 31, v0
	v_add_u32_e32 v5, v0, v5
	v_and_b32_e32 v5, -2, v5
	v_sub_u32_e32 v5, v0, v5
	v_cmp_eq_u32_e32 vcc, 0, v5
	s_nop 1
	v_cndmask_b32_e64 v10, 0, 1, vcc
	v_cmp_lt_i32_e32 vcc, v0, v7
	s_nop 1
	v_cndmask_b32_e64 v11, 0, 1, vcc
	v_cmp_eq_u32_e32 vcc, v5, v8
	s_nop 1
	v_cndmask_b32_e32 v5, v10, v11, vcc
	v_and_b32_e32 v5, 1, v5
	v_cmp_eq_u32_e32 vcc, 1, v5
	v_lshrrev_b32_e32 v5, 31, v1
	v_add_u32_e32 v5, v1, v5
	v_cndmask_b32_e32 v8, v7, v0, vcc
	v_cndmask_b32_e32 v0, v0, v7, vcc
	v_lshrrev_b32_e32 v7, 31, v9
	v_and_b32_e32 v5, -2, v5
	v_add_u32_e32 v7, v9, v7
	v_sub_u32_e32 v5, v1, v5
	v_and_b32_e32 v7, -2, v7
	v_cmp_lt_i32_e32 vcc, v1, v9
	v_sub_u32_e32 v7, v9, v7
	s_nop 0
	v_cndmask_b32_e64 v10, 0, 1, vcc
	v_cmp_eq_u32_e32 vcc, 0, v5
	s_nop 1
	v_cndmask_b32_e64 v11, 0, 1, vcc
	v_cmp_eq_u32_e32 vcc, v5, v7
	v_lshrrev_b32_e32 v7, 31, v3
	v_add_u32_e32 v7, v3, v7
	v_cndmask_b32_e32 v5, v11, v10, vcc
	v_and_b32_e32 v5, 1, v5
	v_cmp_eq_u32_e32 vcc, 1, v5
	v_and_b32_e32 v7, -2, v7
	v_sub_u32_e32 v7, v3, v7
	v_cndmask_b32_e32 v5, v1, v9, vcc
	v_cndmask_b32_e32 v1, v9, v1, vcc
	v_lshrrev_b32_e32 v9, 31, v2
	v_add_u32_e32 v9, v2, v9
	v_and_b32_e32 v9, -2, v9
	v_cmp_lt_i32_e32 vcc, v3, v2
	v_sub_u32_e32 v9, v2, v9
	s_nop 0
	v_cndmask_b32_e64 v10, 0, 1, vcc
	v_cmp_eq_u32_e32 vcc, 0, v7
	s_nop 1
	v_cndmask_b32_e64 v11, 0, 1, vcc
	v_cmp_eq_u32_e32 vcc, v7, v9
	s_nop 1
	v_cndmask_b32_e32 v7, v11, v10, vcc
	v_and_b32_e32 v7, 1, v7
	v_cmp_eq_u32_e32 vcc, 1, v7
	v_lshrrev_b32_e32 v7, 31, v6
	v_add_u32_e32 v7, v6, v7
	v_cndmask_b32_e32 v13, v3, v2, vcc
	v_cndmask_b32_e32 v2, v2, v3, vcc
	v_lshrrev_b32_e32 v3, 31, v4
	v_add_u32_e32 v3, v4, v3
	v_and_b32_e32 v3, -2, v3
	v_sub_u32_e32 v3, v4, v3
	v_and_b32_e32 v7, -2, v7
	v_cmp_lt_i32_e32 vcc, v4, v6
	v_sub_u32_e32 v7, v6, v7
	s_nop 0
	v_cndmask_b32_e64 v9, 0, 1, vcc
	v_cmp_eq_u32_e32 vcc, 0, v3
	s_nop 1
	v_cndmask_b32_e64 v10, 0, 1, vcc
	v_cmp_eq_u32_e32 vcc, v3, v7
	s_nop 1
	v_cndmask_b32_e32 v3, v10, v9, vcc
	v_and_b32_e32 v3, 1, v3
	v_cmp_eq_u32_e32 vcc, 1, v3
	v_lshrrev_b32_e32 v3, 31, v1
	v_add_u32_e32 v3, v1, v3
	v_cndmask_b32_e32 v14, v6, v4, vcc
	v_cndmask_b32_e32 v15, v4, v6, vcc
	v_lshrrev_b32_e32 v4, 31, v0
	v_and_b32_e32 v3, -2, v3
	v_add_u32_e32 v4, v0, v4
	v_sub_u32_e32 v3, v1, v3
	v_and_b32_e32 v4, -2, v4
	v_cmp_lt_i32_e32 vcc, v1, v0
	v_sub_u32_e32 v4, v0, v4
	s_nop 0
	v_cndmask_b32_e64 v6, 0, 1, vcc
	v_cmp_eq_u32_e32 vcc, 0, v3
	s_nop 1
	v_cndmask_b32_e64 v7, 0, 1, vcc
	v_cmp_eq_u32_e32 vcc, v3, v4
	s_nop 1
	v_cndmask_b32_e32 v3, v7, v6, vcc
	v_and_b32_e32 v3, 1, v3
	v_cmp_eq_u32_e32 vcc, 1, v3
	s_nop 1
	v_cndmask_b32_e32 v10, v1, v0, vcc
	v_cndmask_b32_e32 v9, v0, v1, vcc
	v_lshrrev_b32_e32 v0, 31, v2
	v_add_u32_e32 v0, v2, v0
	v_lshrrev_b32_e32 v1, 31, v5
	v_and_b32_e32 v0, -2, v0
	v_add_u32_e32 v1, v5, v1
	v_sub_u32_e32 v0, v2, v0
	v_and_b32_e32 v1, -2, v1
	v_cmp_lt_i32_e32 vcc, v2, v5
	v_sub_u32_e32 v1, v5, v1
	s_nop 0
	v_cndmask_b32_e64 v3, 0, 1, vcc
	v_cmp_eq_u32_e32 vcc, 0, v0
	s_nop 1
	v_cndmask_b32_e64 v4, 0, 1, vcc
	v_cmp_eq_u32_e32 vcc, v0, v1
	v_lshrrev_b32_e32 v1, 31, v13
	v_add_u32_e32 v1, v13, v1
	v_cndmask_b32_e32 v0, v4, v3, vcc
	v_and_b32_e32 v0, 1, v0
	v_cmp_eq_u32_e32 vcc, 1, v0
	v_lshrrev_b32_e32 v0, 31, v14
	v_add_u32_e32 v0, v14, v0
	v_and_b32_e32 v0, -2, v0
	v_cndmask_b32_e32 v12, v2, v5, vcc
	v_cndmask_b32_e32 v11, v5, v2, vcc
	v_sub_u32_e32 v0, v14, v0
	v_and_b32_e32 v1, -2, v1
	v_cmp_lt_i32_e32 vcc, v14, v13
	v_sub_u32_e32 v1, v13, v1
	s_nop 0
	v_cndmask_b32_e64 v2, 0, 1, vcc
	v_cmp_eq_u32_e32 vcc, 0, v0
	s_nop 1
	v_cndmask_b32_e64 v3, 0, 1, vcc
	v_cmp_eq_u32_e32 vcc, v0, v1
	s_nop 1
	v_cndmask_b32_e32 v0, v3, v2, vcc
	v_and_b32_e32 v0, 1, v0
	v_cmp_eq_u32_e32 vcc, 1, v0
	v_mov_b64_e32 v[0:1], v[8:9]
	v_mov_b64_e32 v[2:3], v[10:11]
	;; [unrolled: 1-line block ×4, first 2 shown]
	s_and_saveexec_b64 s[8:9], vcc
; %bb.4:
	v_mov_b64_e32 v[0:1], v[8:9]
	v_mov_b64_e32 v[4:5], v[12:13]
	;; [unrolled: 1-line block ×4, first 2 shown]
	v_mov_b32_e32 v5, v14
	v_mov_b32_e32 v6, v13
; %bb.5:
	s_or_b64 exec, exec, s[8:9]
.LBB399_6:
	s_or_b64 exec, exec, s[0:1]
	v_mbcnt_lo_u32_b32 v9, -1, 0
	v_mbcnt_hi_u32_b32 v14, -1, v9
	v_and_b32_e32 v9, 0xfffffe00, v31
	v_sub_u32_e64 v12, s3, v9 clamp
	v_lshlrev_b32_e32 v11, 2, v9
	v_lshlrev_b32_e32 v9, 5, v14
	v_add_u32_e32 v13, v11, v9
	v_mov_b32_e32 v9, v1
	v_mov_b32_e32 v10, v2
	ds_write_b96 v13, v[8:10]
	ds_write2_b32 v13, v3, v4 offset0:3 offset1:4
	ds_write2_b32 v13, v5, v6 offset0:5 offset1:6
	ds_write_b32 v13, v7 offset:28
	v_lshlrev_b32_e32 v8, 3, v14
	v_or_b32_e32 v9, 8, v8
	v_min_u32_e32 v9, v12, v9
	v_add_u32_e32 v10, 8, v9
	v_and_b32_e32 v31, 0x3f0, v8
	v_min_u32_e32 v10, v12, v10
	v_and_b32_e32 v14, 8, v8
	v_min_u32_e32 v33, v12, v14
	v_sub_u32_e32 v34, v9, v31
	v_sub_u32_e32 v15, v10, v9
	v_sub_u32_e64 v15, v33, v15 clamp
	v_min_u32_e32 v34, v33, v34
	v_lshl_add_u32 v14, v31, 2, v11
	v_cmp_lt_u32_e32 vcc, v15, v34
	; wave barrier
	s_and_saveexec_b64 s[0:1], vcc
	s_cbranch_execz .LBB399_10
; %bb.7:
	v_lshlrev_b32_e32 v35, 2, v9
	v_lshlrev_b32_e32 v36, 2, v33
	v_add3_u32 v35, v11, v35, v36
	s_mov_b64 s[8:9], 0
.LBB399_8:                              ; =>This Inner Loop Header: Depth=1
	v_add_u32_e32 v36, v34, v15
	v_lshrrev_b32_e32 v36, 1, v36
	v_not_b32_e32 v37, v36
	v_lshl_add_u32 v38, v36, 2, v14
	v_lshl_add_u32 v37, v37, 2, v35
	ds_read_b32 v38, v38
	ds_read_b32 v37, v37
	v_add_u32_e32 v39, 1, v36
	s_waitcnt lgkmcnt(1)
	v_lshrrev_b32_e32 v40, 31, v38
	s_waitcnt lgkmcnt(0)
	v_lshrrev_b32_e32 v41, 31, v37
	v_add_u32_e32 v41, v37, v41
	v_add_u32_e32 v40, v38, v40
	v_and_b32_e32 v41, -2, v41
	v_cmp_lt_i32_e32 vcc, v37, v38
	v_and_b32_e32 v40, -2, v40
	v_sub_u32_e32 v37, v37, v41
	v_cndmask_b32_e64 v42, 0, 1, vcc
	v_sub_u32_e32 v38, v38, v40
	v_cmp_eq_u32_e32 vcc, 0, v37
	s_nop 1
	v_cndmask_b32_e64 v40, 0, 1, vcc
	v_cmp_eq_u32_e32 vcc, v37, v38
	s_nop 1
	v_cndmask_b32_e32 v37, v40, v42, vcc
	v_and_b32_e32 v37, 1, v37
	v_cmp_eq_u32_e32 vcc, 1, v37
	s_nop 1
	v_cndmask_b32_e32 v34, v34, v36, vcc
	v_cndmask_b32_e32 v15, v39, v15, vcc
	v_cmp_ge_u32_e32 vcc, v15, v34
	s_or_b64 s[8:9], vcc, s[8:9]
	s_andn2_b64 exec, exec, s[8:9]
	s_cbranch_execnz .LBB399_8
; %bb.9:
	s_or_b64 exec, exec, s[8:9]
.LBB399_10:
	s_or_b64 exec, exec, s[0:1]
	v_add_u32_e32 v33, v9, v33
	v_add_u32_e32 v31, v15, v31
	v_sub_u32_e32 v33, v33, v15
	v_cmp_le_u32_e32 vcc, v31, v9
	v_cmp_le_u32_e64 s[0:1], v33, v10
	s_or_b64 s[0:1], vcc, s[0:1]
	s_and_saveexec_b64 s[8:9], s[0:1]
	s_xor_b64 s[8:9], exec, s[8:9]
	s_cbranch_execz .LBB399_46
; %bb.11:
	v_cmp_ge_u32_e32 vcc, v31, v9
	v_cmp_lt_u32_e64 s[0:1], v31, v9
                                        ; implicit-def: $vgpr0
	s_and_saveexec_b64 s[10:11], s[0:1]
; %bb.12:
	v_lshl_add_u32 v0, v15, 2, v14
	ds_read_b32 v0, v0
; %bb.13:
	s_or_b64 exec, exec, s[10:11]
	v_cmp_ge_u32_e64 s[10:11], v33, v10
	v_cmp_lt_u32_e64 s[0:1], v33, v10
                                        ; implicit-def: $vgpr1
	s_and_saveexec_b64 s[18:19], s[0:1]
; %bb.14:
	v_lshl_add_u32 v1, v33, 2, v11
	ds_read_b32 v1, v1
; %bb.15:
	s_or_b64 exec, exec, s[18:19]
	s_nor_b64 s[18:19], vcc, s[10:11]
	s_and_saveexec_b64 s[0:1], s[18:19]
	s_cbranch_execz .LBB399_17
; %bb.16:
	s_waitcnt lgkmcnt(0)
	v_lshrrev_b32_e32 v2, 31, v1
	v_add_u32_e32 v2, v1, v2
	v_lshrrev_b32_e32 v3, 31, v0
	v_and_b32_e32 v2, -2, v2
	v_add_u32_e32 v3, v0, v3
	v_sub_u32_e32 v2, v1, v2
	v_and_b32_e32 v3, -2, v3
	v_cmp_ge_i32_e32 vcc, v1, v0
	v_sub_u32_e32 v3, v0, v3
	s_andn2_b64 s[10:11], s[10:11], exec
	v_cndmask_b32_e64 v4, 0, 1, vcc
	v_cmp_ne_u32_e32 vcc, 0, v2
	s_nop 1
	v_cndmask_b32_e64 v5, 0, 1, vcc
	v_cmp_eq_u32_e32 vcc, v2, v3
	s_nop 1
	v_cndmask_b32_e32 v2, v5, v4, vcc
	v_and_b32_e32 v2, 1, v2
	v_cmp_eq_u32_e32 vcc, 1, v2
	s_and_b64 s[18:19], vcc, exec
	s_or_b64 s[10:11], s[10:11], s[18:19]
.LBB399_17:
	s_or_b64 exec, exec, s[0:1]
	v_cndmask_b32_e64 v2, v33, v31, s[10:11]
	v_cndmask_b32_e64 v3, v10, v9, s[10:11]
	v_add_u32_e32 v5, 1, v2
	v_add_u32_e32 v2, -1, v3
	v_min_u32_e32 v2, v5, v2
	v_lshl_add_u32 v2, v2, 2, v11
	ds_read_b32 v3, v2
	v_cndmask_b32_e64 v4, v5, v33, s[10:11]
	v_cndmask_b32_e64 v6, v31, v5, s[10:11]
	v_cmp_lt_u32_e32 vcc, v4, v10
	s_mov_b64 s[0:1], -1
	s_waitcnt lgkmcnt(0)
	v_cndmask_b32_e64 v2, v3, v1, s[10:11]
	v_cndmask_b32_e64 v3, v0, v3, s[10:11]
	s_mov_b64 s[18:19], -1
	s_and_saveexec_b64 s[20:21], vcc
	s_cbranch_execz .LBB399_21
; %bb.18:
	v_cmp_lt_u32_e32 vcc, v6, v9
	s_mov_b64 s[22:23], 0
	s_and_saveexec_b64 s[18:19], vcc
	s_cbranch_execz .LBB399_20
; %bb.19:
	v_lshrrev_b32_e32 v5, 31, v2
	v_add_u32_e32 v5, v2, v5
	v_lshrrev_b32_e32 v7, 31, v3
	v_and_b32_e32 v5, -2, v5
	v_add_u32_e32 v7, v3, v7
	v_sub_u32_e32 v5, v2, v5
	v_and_b32_e32 v7, -2, v7
	v_cmp_ge_i32_e32 vcc, v2, v3
	v_sub_u32_e32 v7, v3, v7
	s_nop 0
	v_cndmask_b32_e64 v14, 0, 1, vcc
	v_cmp_ne_u32_e32 vcc, 0, v5
	s_nop 1
	v_cndmask_b32_e64 v15, 0, 1, vcc
	v_cmp_eq_u32_e32 vcc, v5, v7
	s_nop 1
	v_cndmask_b32_e32 v5, v15, v14, vcc
	v_and_b32_e32 v5, 1, v5
	v_cmp_eq_u32_e32 vcc, 1, v5
	s_and_b64 s[22:23], vcc, exec
.LBB399_20:
	s_or_b64 exec, exec, s[18:19]
	s_orn2_b64 s[18:19], s[22:23], exec
.LBB399_21:
	s_or_b64 exec, exec, s[20:21]
	v_cndmask_b32_e64 v5, v4, v6, s[18:19]
	v_cndmask_b32_e64 v7, v10, v9, s[18:19]
	v_add_u32_e32 v14, 1, v5
	v_add_u32_e32 v5, -1, v7
	v_min_u32_e32 v5, v14, v5
	v_lshl_add_u32 v5, v5, 2, v11
	ds_read_b32 v5, v5
	v_cndmask_b32_e64 v7, v14, v4, s[18:19]
	v_cndmask_b32_e64 v15, v6, v14, s[18:19]
	v_cmp_lt_u32_e32 vcc, v7, v10
	s_waitcnt lgkmcnt(0)
	v_cndmask_b32_e64 v4, v5, v2, s[18:19]
	v_cndmask_b32_e64 v5, v3, v5, s[18:19]
	s_and_saveexec_b64 s[20:21], vcc
	s_cbranch_execz .LBB399_25
; %bb.22:
	v_cmp_lt_u32_e32 vcc, v15, v9
	s_mov_b64 s[22:23], 0
	s_and_saveexec_b64 s[0:1], vcc
	s_cbranch_execz .LBB399_24
; %bb.23:
	v_lshrrev_b32_e32 v6, 31, v4
	v_add_u32_e32 v6, v4, v6
	v_lshrrev_b32_e32 v14, 31, v5
	v_and_b32_e32 v6, -2, v6
	v_add_u32_e32 v14, v5, v14
	v_sub_u32_e32 v6, v4, v6
	v_and_b32_e32 v14, -2, v14
	v_cmp_ge_i32_e32 vcc, v4, v5
	v_sub_u32_e32 v14, v5, v14
	s_nop 0
	v_cndmask_b32_e64 v31, 0, 1, vcc
	v_cmp_ne_u32_e32 vcc, 0, v6
	s_nop 1
	v_cndmask_b32_e64 v33, 0, 1, vcc
	v_cmp_eq_u32_e32 vcc, v6, v14
	s_nop 1
	v_cndmask_b32_e32 v6, v33, v31, vcc
	v_and_b32_e32 v6, 1, v6
	v_cmp_eq_u32_e32 vcc, 1, v6
	s_and_b64 s[22:23], vcc, exec
.LBB399_24:
	s_or_b64 exec, exec, s[0:1]
	s_orn2_b64 s[0:1], s[22:23], exec
.LBB399_25:
	s_or_b64 exec, exec, s[20:21]
	v_cndmask_b32_e64 v6, v7, v15, s[0:1]
	v_cndmask_b32_e64 v14, v10, v9, s[0:1]
	v_add_u32_e32 v31, 1, v6
	v_add_u32_e32 v6, -1, v14
	v_min_u32_e32 v6, v31, v6
	v_lshl_add_u32 v6, v6, 2, v11
	ds_read_b32 v14, v6
	v_cndmask_b32_e64 v7, v31, v7, s[0:1]
	v_cndmask_b32_e64 v33, v15, v31, s[0:1]
	v_cmp_lt_u32_e32 vcc, v7, v10
	s_mov_b64 s[20:21], -1
	s_waitcnt lgkmcnt(0)
	v_cndmask_b32_e64 v6, v14, v4, s[0:1]
	v_cndmask_b32_e64 v14, v5, v14, s[0:1]
	s_mov_b64 s[22:23], -1
	s_and_saveexec_b64 s[24:25], vcc
	s_cbranch_execz .LBB399_29
; %bb.26:
	v_cmp_lt_u32_e32 vcc, v33, v9
	s_mov_b64 s[26:27], 0
	s_and_saveexec_b64 s[22:23], vcc
	s_cbranch_execz .LBB399_28
; %bb.27:
	v_lshrrev_b32_e32 v15, 31, v6
	v_add_u32_e32 v15, v6, v15
	v_lshrrev_b32_e32 v31, 31, v14
	v_and_b32_e32 v15, -2, v15
	v_add_u32_e32 v31, v14, v31
	v_sub_u32_e32 v15, v6, v15
	v_and_b32_e32 v31, -2, v31
	v_cmp_ge_i32_e32 vcc, v6, v14
	v_sub_u32_e32 v31, v14, v31
	s_nop 0
	v_cndmask_b32_e64 v34, 0, 1, vcc
	v_cmp_ne_u32_e32 vcc, 0, v15
	s_nop 1
	v_cndmask_b32_e64 v35, 0, 1, vcc
	v_cmp_eq_u32_e32 vcc, v15, v31
	s_nop 1
	v_cndmask_b32_e32 v15, v35, v34, vcc
	v_and_b32_e32 v15, 1, v15
	v_cmp_eq_u32_e32 vcc, 1, v15
	s_and_b64 s[26:27], vcc, exec
.LBB399_28:
	s_or_b64 exec, exec, s[22:23]
	s_orn2_b64 s[22:23], s[26:27], exec
.LBB399_29:
	s_or_b64 exec, exec, s[24:25]
	v_cndmask_b32_e64 v15, v7, v33, s[22:23]
	v_cndmask_b32_e64 v31, v10, v9, s[22:23]
	v_add_u32_e32 v34, 1, v15
	v_add_u32_e32 v15, -1, v31
	v_min_u32_e32 v15, v34, v15
	v_lshl_add_u32 v15, v15, 2, v11
	ds_read_b32 v31, v15
	v_cndmask_b32_e64 v7, v34, v7, s[22:23]
	v_cndmask_b32_e64 v35, v33, v34, s[22:23]
	v_cmp_lt_u32_e32 vcc, v7, v10
	s_waitcnt lgkmcnt(0)
	v_cndmask_b32_e64 v15, v31, v6, s[22:23]
	v_cndmask_b32_e64 v31, v14, v31, s[22:23]
	s_and_saveexec_b64 s[24:25], vcc
	s_cbranch_execz .LBB399_33
; %bb.30:
	v_cmp_lt_u32_e32 vcc, v35, v9
	s_mov_b64 s[26:27], 0
	s_and_saveexec_b64 s[20:21], vcc
	s_cbranch_execz .LBB399_32
; %bb.31:
	v_lshrrev_b32_e32 v33, 31, v15
	v_add_u32_e32 v33, v15, v33
	v_lshrrev_b32_e32 v34, 31, v31
	v_and_b32_e32 v33, -2, v33
	v_add_u32_e32 v34, v31, v34
	v_sub_u32_e32 v33, v15, v33
	v_and_b32_e32 v34, -2, v34
	v_cmp_ge_i32_e32 vcc, v15, v31
	v_sub_u32_e32 v34, v31, v34
	s_nop 0
	v_cndmask_b32_e64 v36, 0, 1, vcc
	v_cmp_ne_u32_e32 vcc, 0, v33
	s_nop 1
	v_cndmask_b32_e64 v37, 0, 1, vcc
	v_cmp_eq_u32_e32 vcc, v33, v34
	s_nop 1
	v_cndmask_b32_e32 v33, v37, v36, vcc
	v_and_b32_e32 v33, 1, v33
	v_cmp_eq_u32_e32 vcc, 1, v33
	s_and_b64 s[26:27], vcc, exec
.LBB399_32:
	s_or_b64 exec, exec, s[20:21]
	s_orn2_b64 s[20:21], s[26:27], exec
.LBB399_33:
	s_or_b64 exec, exec, s[24:25]
	v_cndmask_b32_e64 v33, v7, v35, s[20:21]
	v_cndmask_b32_e64 v34, v10, v9, s[20:21]
	v_add_u32_e32 v36, 1, v33
	v_add_u32_e32 v33, -1, v34
	v_min_u32_e32 v33, v36, v33
	v_lshl_add_u32 v33, v33, 2, v11
	ds_read_b32 v34, v33
	v_cndmask_b32_e64 v7, v36, v7, s[20:21]
	v_cndmask_b32_e64 v37, v35, v36, s[20:21]
	v_cmp_lt_u32_e32 vcc, v7, v10
	s_mov_b64 s[24:25], -1
	s_waitcnt lgkmcnt(0)
	v_cndmask_b32_e64 v33, v34, v15, s[20:21]
	v_cndmask_b32_e64 v34, v31, v34, s[20:21]
	s_mov_b64 s[26:27], -1
	s_and_saveexec_b64 s[30:31], vcc
	s_cbranch_execz .LBB399_37
; %bb.34:
	v_cmp_lt_u32_e32 vcc, v37, v9
	s_mov_b64 s[34:35], 0
	s_and_saveexec_b64 s[26:27], vcc
	s_cbranch_execz .LBB399_36
; %bb.35:
	v_lshrrev_b32_e32 v35, 31, v33
	v_add_u32_e32 v35, v33, v35
	v_lshrrev_b32_e32 v36, 31, v34
	v_and_b32_e32 v35, -2, v35
	v_add_u32_e32 v36, v34, v36
	v_sub_u32_e32 v35, v33, v35
	v_and_b32_e32 v36, -2, v36
	v_cmp_ge_i32_e32 vcc, v33, v34
	v_sub_u32_e32 v36, v34, v36
	s_nop 0
	v_cndmask_b32_e64 v38, 0, 1, vcc
	v_cmp_ne_u32_e32 vcc, 0, v35
	s_nop 1
	v_cndmask_b32_e64 v39, 0, 1, vcc
	v_cmp_eq_u32_e32 vcc, v35, v36
	s_nop 1
	v_cndmask_b32_e32 v35, v39, v38, vcc
	v_and_b32_e32 v35, 1, v35
	v_cmp_eq_u32_e32 vcc, 1, v35
	s_and_b64 s[34:35], vcc, exec
.LBB399_36:
	s_or_b64 exec, exec, s[26:27]
	s_orn2_b64 s[26:27], s[34:35], exec
.LBB399_37:
	s_or_b64 exec, exec, s[30:31]
	v_cndmask_b32_e64 v35, v7, v37, s[26:27]
	v_cndmask_b32_e64 v36, v10, v9, s[26:27]
	v_add_u32_e32 v38, 1, v35
	v_add_u32_e32 v35, -1, v36
	v_min_u32_e32 v35, v38, v35
	v_lshl_add_u32 v35, v35, 2, v11
	ds_read_b32 v36, v35
	v_cndmask_b32_e64 v7, v38, v7, s[26:27]
	v_cndmask_b32_e64 v37, v37, v38, s[26:27]
	v_cmp_lt_u32_e32 vcc, v7, v10
	s_waitcnt lgkmcnt(0)
	v_cndmask_b32_e64 v35, v36, v33, s[26:27]
	v_cndmask_b32_e64 v36, v34, v36, s[26:27]
	s_and_saveexec_b64 s[30:31], vcc
	s_cbranch_execz .LBB399_41
; %bb.38:
	v_cmp_lt_u32_e32 vcc, v37, v9
	s_mov_b64 s[34:35], 0
	s_and_saveexec_b64 s[24:25], vcc
	s_cbranch_execz .LBB399_40
; %bb.39:
	v_lshrrev_b32_e32 v38, 31, v35
	v_add_u32_e32 v38, v35, v38
	v_lshrrev_b32_e32 v39, 31, v36
	v_and_b32_e32 v38, -2, v38
	v_add_u32_e32 v39, v36, v39
	v_sub_u32_e32 v38, v35, v38
	v_and_b32_e32 v39, -2, v39
	v_cmp_ge_i32_e32 vcc, v35, v36
	v_sub_u32_e32 v39, v36, v39
	s_nop 0
	v_cndmask_b32_e64 v40, 0, 1, vcc
	v_cmp_ne_u32_e32 vcc, 0, v38
	s_nop 1
	v_cndmask_b32_e64 v41, 0, 1, vcc
	v_cmp_eq_u32_e32 vcc, v38, v39
	s_nop 1
	v_cndmask_b32_e32 v38, v41, v40, vcc
	v_and_b32_e32 v38, 1, v38
	v_cmp_eq_u32_e32 vcc, 1, v38
	s_and_b64 s[34:35], vcc, exec
.LBB399_40:
	s_or_b64 exec, exec, s[24:25]
	s_orn2_b64 s[24:25], s[34:35], exec
.LBB399_41:
	s_or_b64 exec, exec, s[30:31]
	v_cndmask_b32_e64 v38, v7, v37, s[24:25]
	v_cndmask_b32_e64 v39, v10, v9, s[24:25]
	v_add_u32_e32 v38, 1, v38
	v_add_u32_e32 v39, -1, v39
	v_min_u32_e32 v39, v38, v39
	v_lshl_add_u32 v39, v39, 2, v11
	ds_read_b32 v39, v39
	v_cndmask_b32_e64 v40, v38, v7, s[24:25]
	v_cmp_lt_u32_e32 vcc, v40, v10
	s_waitcnt lgkmcnt(0)
	v_cndmask_b32_e64 v7, v36, v39, s[24:25]
	s_and_saveexec_b64 s[30:31], vcc
	s_cbranch_execz .LBB399_45
; %bb.42:
	v_cndmask_b32_e64 v37, v37, v38, s[24:25]
	v_cndmask_b32_e64 v10, v39, v35, s[24:25]
	v_cmp_lt_u32_e32 vcc, v37, v9
	s_and_saveexec_b64 s[34:35], vcc
	s_cbranch_execz .LBB399_44
; %bb.43:
	v_lshrrev_b32_e32 v9, 31, v10
	v_add_u32_e32 v9, v10, v9
	v_lshrrev_b32_e32 v37, 31, v7
	v_and_b32_e32 v9, -2, v9
	v_add_u32_e32 v37, v7, v37
	v_sub_u32_e32 v9, v10, v9
	v_and_b32_e32 v37, -2, v37
	v_cmp_ge_i32_e32 vcc, v10, v7
	v_sub_u32_e32 v37, v7, v37
	s_nop 0
	v_cndmask_b32_e64 v38, 0, 1, vcc
	v_cmp_ne_u32_e32 vcc, 0, v9
	s_nop 1
	v_cndmask_b32_e64 v39, 0, 1, vcc
	v_cmp_eq_u32_e32 vcc, v9, v37
	s_nop 1
	v_cndmask_b32_e32 v9, v39, v38, vcc
	v_and_b32_e32 v9, 1, v9
	v_cmp_eq_u32_e32 vcc, 1, v9
	s_nop 1
	v_cndmask_b32_e32 v10, v10, v7, vcc
.LBB399_44:
	s_or_b64 exec, exec, s[34:35]
	v_mov_b32_e32 v7, v10
.LBB399_45:
	s_or_b64 exec, exec, s[30:31]
	v_cndmask_b32_e64 v0, v1, v0, s[10:11]
	v_cndmask_b32_e64 v1, v2, v3, s[18:19]
	v_cndmask_b32_e64 v2, v4, v5, s[0:1]
	v_cndmask_b32_e64 v3, v6, v14, s[22:23]
	v_cndmask_b32_e64 v4, v15, v31, s[20:21]
	v_cndmask_b32_e64 v5, v33, v34, s[26:27]
	v_cndmask_b32_e64 v6, v35, v36, s[24:25]
.LBB399_46:
	s_andn2_saveexec_b64 s[0:1], s[8:9]
	s_or_b64 exec, exec, s[0:1]
	v_and_b32_e32 v31, 0x3e0, v8
	v_or_b32_e32 v9, 16, v31
	v_min_u32_e32 v9, v12, v9
	v_add_u32_e32 v10, 16, v9
	v_min_u32_e32 v10, v12, v10
	v_and_b32_e32 v14, 24, v8
	v_min_u32_e32 v33, v12, v14
	v_sub_u32_e32 v34, v9, v31
	v_sub_u32_e32 v15, v10, v9
	v_sub_u32_e64 v15, v33, v15 clamp
	v_min_u32_e32 v34, v33, v34
	v_lshl_add_u32 v14, v31, 2, v11
	v_cmp_lt_u32_e32 vcc, v15, v34
	; wave barrier
	ds_write_b128 v13, v[0:3]
	ds_write_b128 v13, v[4:7] offset:16
	; wave barrier
	s_and_saveexec_b64 s[0:1], vcc
	s_cbranch_execz .LBB399_50
; %bb.47:
	v_lshlrev_b32_e32 v35, 2, v9
	v_lshlrev_b32_e32 v36, 2, v33
	v_add3_u32 v35, v11, v35, v36
	s_mov_b64 s[8:9], 0
.LBB399_48:                             ; =>This Inner Loop Header: Depth=1
	v_add_u32_e32 v36, v34, v15
	v_lshrrev_b32_e32 v36, 1, v36
	v_not_b32_e32 v37, v36
	v_lshl_add_u32 v38, v36, 2, v14
	v_lshl_add_u32 v37, v37, 2, v35
	ds_read_b32 v38, v38
	ds_read_b32 v37, v37
	v_add_u32_e32 v39, 1, v36
	s_waitcnt lgkmcnt(1)
	v_lshrrev_b32_e32 v40, 31, v38
	s_waitcnt lgkmcnt(0)
	v_lshrrev_b32_e32 v41, 31, v37
	v_add_u32_e32 v41, v37, v41
	v_add_u32_e32 v40, v38, v40
	v_and_b32_e32 v41, -2, v41
	v_cmp_lt_i32_e32 vcc, v37, v38
	v_and_b32_e32 v40, -2, v40
	v_sub_u32_e32 v37, v37, v41
	v_cndmask_b32_e64 v42, 0, 1, vcc
	v_sub_u32_e32 v38, v38, v40
	v_cmp_eq_u32_e32 vcc, 0, v37
	s_nop 1
	v_cndmask_b32_e64 v40, 0, 1, vcc
	v_cmp_eq_u32_e32 vcc, v37, v38
	s_nop 1
	v_cndmask_b32_e32 v37, v40, v42, vcc
	v_and_b32_e32 v37, 1, v37
	v_cmp_eq_u32_e32 vcc, 1, v37
	s_nop 1
	v_cndmask_b32_e32 v34, v34, v36, vcc
	v_cndmask_b32_e32 v15, v39, v15, vcc
	v_cmp_ge_u32_e32 vcc, v15, v34
	s_or_b64 s[8:9], vcc, s[8:9]
	s_andn2_b64 exec, exec, s[8:9]
	s_cbranch_execnz .LBB399_48
; %bb.49:
	s_or_b64 exec, exec, s[8:9]
.LBB399_50:
	s_or_b64 exec, exec, s[0:1]
	v_add_u32_e32 v33, v9, v33
	v_add_u32_e32 v31, v15, v31
	v_sub_u32_e32 v33, v33, v15
	v_cmp_le_u32_e32 vcc, v31, v9
	v_cmp_le_u32_e64 s[0:1], v33, v10
	s_or_b64 s[0:1], vcc, s[0:1]
	s_and_saveexec_b64 s[8:9], s[0:1]
	s_xor_b64 s[8:9], exec, s[8:9]
	s_cbranch_execz .LBB399_86
; %bb.51:
	v_cmp_ge_u32_e32 vcc, v31, v9
	v_cmp_lt_u32_e64 s[0:1], v31, v9
                                        ; implicit-def: $vgpr0
	s_and_saveexec_b64 s[10:11], s[0:1]
; %bb.52:
	v_lshl_add_u32 v0, v15, 2, v14
	ds_read_b32 v0, v0
; %bb.53:
	s_or_b64 exec, exec, s[10:11]
	v_cmp_ge_u32_e64 s[10:11], v33, v10
	v_cmp_lt_u32_e64 s[0:1], v33, v10
                                        ; implicit-def: $vgpr6
	s_and_saveexec_b64 s[18:19], s[0:1]
; %bb.54:
	v_lshl_add_u32 v1, v33, 2, v11
	ds_read_b32 v6, v1
; %bb.55:
	s_or_b64 exec, exec, s[18:19]
	s_nor_b64 s[18:19], vcc, s[10:11]
	s_and_saveexec_b64 s[0:1], s[18:19]
	s_cbranch_execz .LBB399_57
; %bb.56:
	s_waitcnt lgkmcnt(0)
	v_lshrrev_b32_e32 v1, 31, v6
	v_add_u32_e32 v1, v6, v1
	v_lshrrev_b32_e32 v2, 31, v0
	v_and_b32_e32 v1, -2, v1
	v_add_u32_e32 v2, v0, v2
	v_sub_u32_e32 v1, v6, v1
	v_and_b32_e32 v2, -2, v2
	v_cmp_ge_i32_e32 vcc, v6, v0
	v_sub_u32_e32 v2, v0, v2
	s_andn2_b64 s[10:11], s[10:11], exec
	v_cndmask_b32_e64 v3, 0, 1, vcc
	v_cmp_ne_u32_e32 vcc, 0, v1
	s_nop 1
	v_cndmask_b32_e64 v4, 0, 1, vcc
	v_cmp_eq_u32_e32 vcc, v1, v2
	s_nop 1
	v_cndmask_b32_e32 v1, v4, v3, vcc
	v_and_b32_e32 v1, 1, v1
	v_cmp_eq_u32_e32 vcc, 1, v1
	s_and_b64 s[18:19], vcc, exec
	s_or_b64 s[10:11], s[10:11], s[18:19]
.LBB399_57:
	s_or_b64 exec, exec, s[0:1]
	v_cndmask_b32_e64 v1, v33, v31, s[10:11]
	v_cndmask_b32_e64 v2, v10, v9, s[10:11]
	v_add_u32_e32 v3, 1, v1
	v_add_u32_e32 v1, -1, v2
	v_min_u32_e32 v1, v3, v1
	v_lshl_add_u32 v1, v1, 2, v11
	ds_read_b32 v4, v1
	v_cndmask_b32_e64 v2, v3, v33, s[10:11]
	v_cndmask_b32_e64 v3, v31, v3, s[10:11]
	v_cmp_lt_u32_e32 vcc, v2, v10
	s_mov_b64 s[18:19], -1
	s_waitcnt lgkmcnt(0)
	v_cndmask_b32_e64 v1, v4, v6, s[10:11]
	v_cndmask_b32_e64 v7, v0, v4, s[10:11]
	s_mov_b64 s[0:1], -1
	s_and_saveexec_b64 s[20:21], vcc
	s_cbranch_execz .LBB399_61
; %bb.58:
	v_cmp_lt_u32_e32 vcc, v3, v9
	s_mov_b64 s[22:23], 0
	s_and_saveexec_b64 s[0:1], vcc
	s_cbranch_execz .LBB399_60
; %bb.59:
	v_lshrrev_b32_e32 v4, 31, v1
	v_add_u32_e32 v4, v1, v4
	v_lshrrev_b32_e32 v5, 31, v7
	v_and_b32_e32 v4, -2, v4
	v_add_u32_e32 v5, v7, v5
	v_sub_u32_e32 v4, v1, v4
	v_and_b32_e32 v5, -2, v5
	v_cmp_ge_i32_e32 vcc, v1, v7
	v_sub_u32_e32 v5, v7, v5
	s_nop 0
	v_cndmask_b32_e64 v14, 0, 1, vcc
	v_cmp_ne_u32_e32 vcc, 0, v4
	s_nop 1
	v_cndmask_b32_e64 v15, 0, 1, vcc
	v_cmp_eq_u32_e32 vcc, v4, v5
	s_nop 1
	v_cndmask_b32_e32 v4, v15, v14, vcc
	v_and_b32_e32 v4, 1, v4
	v_cmp_eq_u32_e32 vcc, 1, v4
	s_and_b64 s[22:23], vcc, exec
.LBB399_60:
	s_or_b64 exec, exec, s[0:1]
	s_orn2_b64 s[0:1], s[22:23], exec
.LBB399_61:
	s_or_b64 exec, exec, s[20:21]
	v_cndmask_b32_e64 v4, v2, v3, s[0:1]
	v_cndmask_b32_e64 v5, v10, v9, s[0:1]
	v_add_u32_e32 v15, 1, v4
	v_add_u32_e32 v4, -1, v5
	v_min_u32_e32 v4, v15, v4
	v_lshl_add_u32 v4, v4, 2, v11
	ds_read_b32 v5, v4
	v_cndmask_b32_e64 v4, v15, v2, s[0:1]
	v_cmp_lt_u32_e32 vcc, v4, v10
	s_waitcnt lgkmcnt(0)
	v_cndmask_b32_e64 v2, v5, v1, s[0:1]
	v_cndmask_b32_e64 v14, v7, v5, s[0:1]
	v_cndmask_b32_e64 v5, v3, v15, s[0:1]
	s_and_saveexec_b64 s[20:21], vcc
	s_cbranch_execz .LBB399_65
; %bb.62:
	v_cmp_lt_u32_e32 vcc, v5, v9
	s_mov_b64 s[22:23], 0
	s_and_saveexec_b64 s[18:19], vcc
	s_cbranch_execz .LBB399_64
; %bb.63:
	v_lshrrev_b32_e32 v3, 31, v2
	v_add_u32_e32 v3, v2, v3
	v_lshrrev_b32_e32 v15, 31, v14
	v_and_b32_e32 v3, -2, v3
	v_add_u32_e32 v15, v14, v15
	v_sub_u32_e32 v3, v2, v3
	v_and_b32_e32 v15, -2, v15
	v_cmp_ge_i32_e32 vcc, v2, v14
	v_sub_u32_e32 v15, v14, v15
	s_nop 0
	v_cndmask_b32_e64 v31, 0, 1, vcc
	v_cmp_ne_u32_e32 vcc, 0, v3
	s_nop 1
	v_cndmask_b32_e64 v33, 0, 1, vcc
	v_cmp_eq_u32_e32 vcc, v3, v15
	s_nop 1
	v_cndmask_b32_e32 v3, v33, v31, vcc
	v_and_b32_e32 v3, 1, v3
	v_cmp_eq_u32_e32 vcc, 1, v3
	s_and_b64 s[22:23], vcc, exec
.LBB399_64:
	s_or_b64 exec, exec, s[18:19]
	s_orn2_b64 s[18:19], s[22:23], exec
.LBB399_65:
	s_or_b64 exec, exec, s[20:21]
	v_cndmask_b32_e64 v3, v4, v5, s[18:19]
	v_cndmask_b32_e64 v15, v10, v9, s[18:19]
	v_add_u32_e32 v31, 1, v3
	v_add_u32_e32 v3, -1, v15
	v_min_u32_e32 v3, v31, v3
	v_lshl_add_u32 v3, v3, 2, v11
	ds_read_b32 v15, v3
	v_cndmask_b32_e64 v4, v31, v4, s[18:19]
	v_cndmask_b32_e64 v5, v5, v31, s[18:19]
	v_cmp_lt_u32_e32 vcc, v4, v10
	s_mov_b64 s[22:23], -1
	s_waitcnt lgkmcnt(0)
	v_cndmask_b32_e64 v3, v15, v2, s[18:19]
	v_cndmask_b32_e64 v15, v14, v15, s[18:19]
	s_mov_b64 s[20:21], -1
	s_and_saveexec_b64 s[24:25], vcc
	s_cbranch_execz .LBB399_69
; %bb.66:
	v_cmp_lt_u32_e32 vcc, v5, v9
	s_mov_b64 s[26:27], 0
	s_and_saveexec_b64 s[20:21], vcc
	s_cbranch_execz .LBB399_68
; %bb.67:
	v_lshrrev_b32_e32 v31, 31, v3
	v_add_u32_e32 v31, v3, v31
	v_lshrrev_b32_e32 v33, 31, v15
	v_and_b32_e32 v31, -2, v31
	v_add_u32_e32 v33, v15, v33
	v_sub_u32_e32 v31, v3, v31
	v_and_b32_e32 v33, -2, v33
	v_cmp_ge_i32_e32 vcc, v3, v15
	v_sub_u32_e32 v33, v15, v33
	s_nop 0
	v_cndmask_b32_e64 v34, 0, 1, vcc
	v_cmp_ne_u32_e32 vcc, 0, v31
	s_nop 1
	v_cndmask_b32_e64 v35, 0, 1, vcc
	v_cmp_eq_u32_e32 vcc, v31, v33
	s_nop 1
	v_cndmask_b32_e32 v31, v35, v34, vcc
	v_and_b32_e32 v31, 1, v31
	v_cmp_eq_u32_e32 vcc, 1, v31
	s_and_b64 s[26:27], vcc, exec
.LBB399_68:
	s_or_b64 exec, exec, s[20:21]
	s_orn2_b64 s[20:21], s[26:27], exec
.LBB399_69:
	s_or_b64 exec, exec, s[24:25]
	v_cndmask_b32_e64 v31, v4, v5, s[20:21]
	v_cndmask_b32_e64 v33, v10, v9, s[20:21]
	v_add_u32_e32 v34, 1, v31
	v_add_u32_e32 v31, -1, v33
	v_min_u32_e32 v31, v34, v31
	v_lshl_add_u32 v31, v31, 2, v11
	ds_read_b32 v31, v31
	v_cndmask_b32_e64 v33, v34, v4, s[20:21]
	v_cndmask_b32_e64 v34, v5, v34, s[20:21]
	v_cmp_lt_u32_e32 vcc, v33, v10
	s_waitcnt lgkmcnt(0)
	v_cndmask_b32_e64 v4, v31, v3, s[20:21]
	v_cndmask_b32_e64 v31, v15, v31, s[20:21]
	s_and_saveexec_b64 s[24:25], vcc
	s_cbranch_execz .LBB399_73
; %bb.70:
	v_cmp_lt_u32_e32 vcc, v34, v9
	s_mov_b64 s[26:27], 0
	s_and_saveexec_b64 s[22:23], vcc
	s_cbranch_execz .LBB399_72
; %bb.71:
	v_lshrrev_b32_e32 v5, 31, v4
	v_add_u32_e32 v5, v4, v5
	v_lshrrev_b32_e32 v35, 31, v31
	v_and_b32_e32 v5, -2, v5
	v_add_u32_e32 v35, v31, v35
	v_sub_u32_e32 v5, v4, v5
	v_and_b32_e32 v35, -2, v35
	v_cmp_ge_i32_e32 vcc, v4, v31
	v_sub_u32_e32 v35, v31, v35
	s_nop 0
	v_cndmask_b32_e64 v36, 0, 1, vcc
	v_cmp_ne_u32_e32 vcc, 0, v5
	s_nop 1
	v_cndmask_b32_e64 v37, 0, 1, vcc
	v_cmp_eq_u32_e32 vcc, v5, v35
	s_nop 1
	v_cndmask_b32_e32 v5, v37, v36, vcc
	v_and_b32_e32 v5, 1, v5
	v_cmp_eq_u32_e32 vcc, 1, v5
	s_and_b64 s[26:27], vcc, exec
.LBB399_72:
	s_or_b64 exec, exec, s[22:23]
	s_orn2_b64 s[22:23], s[26:27], exec
.LBB399_73:
	s_or_b64 exec, exec, s[24:25]
	v_cndmask_b32_e64 v5, v33, v34, s[22:23]
	v_cndmask_b32_e64 v35, v10, v9, s[22:23]
	v_add_u32_e32 v36, 1, v5
	v_add_u32_e32 v5, -1, v35
	v_min_u32_e32 v5, v36, v5
	v_lshl_add_u32 v5, v5, 2, v11
	ds_read_b32 v35, v5
	v_cndmask_b32_e64 v33, v36, v33, s[22:23]
	v_cndmask_b32_e64 v36, v34, v36, s[22:23]
	v_cmp_lt_u32_e32 vcc, v33, v10
	s_mov_b64 s[24:25], -1
	s_waitcnt lgkmcnt(0)
	v_cndmask_b32_e64 v5, v35, v4, s[22:23]
	v_cndmask_b32_e64 v35, v31, v35, s[22:23]
	s_mov_b64 s[26:27], -1
	s_and_saveexec_b64 s[30:31], vcc
	s_cbranch_execz .LBB399_77
; %bb.74:
	v_cmp_lt_u32_e32 vcc, v36, v9
	s_mov_b64 s[34:35], 0
	s_and_saveexec_b64 s[26:27], vcc
	s_cbranch_execz .LBB399_76
; %bb.75:
	v_lshrrev_b32_e32 v34, 31, v5
	v_add_u32_e32 v34, v5, v34
	v_lshrrev_b32_e32 v37, 31, v35
	v_and_b32_e32 v34, -2, v34
	v_add_u32_e32 v37, v35, v37
	v_sub_u32_e32 v34, v5, v34
	v_and_b32_e32 v37, -2, v37
	v_cmp_ge_i32_e32 vcc, v5, v35
	v_sub_u32_e32 v37, v35, v37
	s_nop 0
	v_cndmask_b32_e64 v38, 0, 1, vcc
	v_cmp_ne_u32_e32 vcc, 0, v34
	s_nop 1
	v_cndmask_b32_e64 v39, 0, 1, vcc
	v_cmp_eq_u32_e32 vcc, v34, v37
	s_nop 1
	v_cndmask_b32_e32 v34, v39, v38, vcc
	v_and_b32_e32 v34, 1, v34
	v_cmp_eq_u32_e32 vcc, 1, v34
	s_and_b64 s[34:35], vcc, exec
.LBB399_76:
	s_or_b64 exec, exec, s[26:27]
	s_orn2_b64 s[26:27], s[34:35], exec
.LBB399_77:
	s_or_b64 exec, exec, s[30:31]
	v_cndmask_b32_e64 v34, v33, v36, s[26:27]
	v_cndmask_b32_e64 v37, v10, v9, s[26:27]
	v_add_u32_e32 v38, 1, v34
	v_add_u32_e32 v34, -1, v37
	v_min_u32_e32 v34, v38, v34
	v_lshl_add_u32 v34, v34, 2, v11
	ds_read_b32 v34, v34
	v_cndmask_b32_e64 v37, v38, v33, s[26:27]
	v_cndmask_b32_e64 v36, v36, v38, s[26:27]
	v_cmp_lt_u32_e32 vcc, v37, v10
	s_waitcnt lgkmcnt(0)
	v_cndmask_b32_e64 v33, v34, v5, s[26:27]
	v_cndmask_b32_e64 v34, v35, v34, s[26:27]
	s_and_saveexec_b64 s[30:31], vcc
	s_cbranch_execz .LBB399_81
; %bb.78:
	v_cmp_lt_u32_e32 vcc, v36, v9
	s_mov_b64 s[34:35], 0
	s_and_saveexec_b64 s[24:25], vcc
	s_cbranch_execz .LBB399_80
; %bb.79:
	v_lshrrev_b32_e32 v38, 31, v33
	v_add_u32_e32 v38, v33, v38
	v_lshrrev_b32_e32 v39, 31, v34
	v_and_b32_e32 v38, -2, v38
	v_add_u32_e32 v39, v34, v39
	v_sub_u32_e32 v38, v33, v38
	v_and_b32_e32 v39, -2, v39
	v_cmp_ge_i32_e32 vcc, v33, v34
	v_sub_u32_e32 v39, v34, v39
	s_nop 0
	v_cndmask_b32_e64 v40, 0, 1, vcc
	v_cmp_ne_u32_e32 vcc, 0, v38
	s_nop 1
	v_cndmask_b32_e64 v41, 0, 1, vcc
	v_cmp_eq_u32_e32 vcc, v38, v39
	s_nop 1
	v_cndmask_b32_e32 v38, v41, v40, vcc
	v_and_b32_e32 v38, 1, v38
	v_cmp_eq_u32_e32 vcc, 1, v38
	s_and_b64 s[34:35], vcc, exec
.LBB399_80:
	s_or_b64 exec, exec, s[24:25]
	s_orn2_b64 s[24:25], s[34:35], exec
.LBB399_81:
	s_or_b64 exec, exec, s[30:31]
	v_cndmask_b32_e64 v5, v5, v35, s[26:27]
	v_cndmask_b32_e64 v4, v4, v31, s[22:23]
	v_cndmask_b32_e64 v31, v37, v36, s[24:25]
	v_cndmask_b32_e64 v35, v10, v9, s[24:25]
	v_add_u32_e32 v31, 1, v31
	v_add_u32_e32 v35, -1, v35
	v_min_u32_e32 v35, v31, v35
	v_lshl_add_u32 v35, v35, 2, v11
	ds_read_b32 v35, v35
	v_cndmask_b32_e64 v0, v6, v0, s[10:11]
	v_cndmask_b32_e64 v6, v31, v37, s[24:25]
	;; [unrolled: 1-line block ×5, first 2 shown]
	s_waitcnt lgkmcnt(0)
	v_cndmask_b32_e64 v7, v34, v35, s[24:25]
	v_cmp_lt_u32_e32 vcc, v6, v10
	s_and_saveexec_b64 s[0:1], vcc
	s_cbranch_execz .LBB399_85
; %bb.82:
	v_cndmask_b32_e64 v10, v36, v31, s[24:25]
	v_cndmask_b32_e64 v6, v35, v33, s[24:25]
	v_cmp_lt_u32_e32 vcc, v10, v9
	s_and_saveexec_b64 s[10:11], vcc
	s_cbranch_execz .LBB399_84
; %bb.83:
	v_lshrrev_b32_e32 v9, 31, v6
	v_add_u32_e32 v9, v6, v9
	v_lshrrev_b32_e32 v10, 31, v7
	v_and_b32_e32 v9, -2, v9
	v_add_u32_e32 v10, v7, v10
	v_sub_u32_e32 v9, v6, v9
	v_and_b32_e32 v10, -2, v10
	v_cmp_ge_i32_e32 vcc, v6, v7
	v_sub_u32_e32 v10, v7, v10
	s_nop 0
	v_cndmask_b32_e64 v14, 0, 1, vcc
	v_cmp_ne_u32_e32 vcc, 0, v9
	s_nop 1
	v_cndmask_b32_e64 v15, 0, 1, vcc
	v_cmp_eq_u32_e32 vcc, v9, v10
	s_nop 1
	v_cndmask_b32_e32 v9, v15, v14, vcc
	v_and_b32_e32 v9, 1, v9
	v_cmp_eq_u32_e32 vcc, 1, v9
	s_nop 1
	v_cndmask_b32_e32 v6, v6, v7, vcc
.LBB399_84:
	s_or_b64 exec, exec, s[10:11]
	v_mov_b32_e32 v7, v6
.LBB399_85:
	s_or_b64 exec, exec, s[0:1]
	v_cndmask_b32_e64 v6, v33, v34, s[24:25]
.LBB399_86:
	s_andn2_saveexec_b64 s[0:1], s[8:9]
	s_or_b64 exec, exec, s[0:1]
	v_and_b32_e32 v31, 0x3c0, v8
	v_or_b32_e32 v9, 32, v31
	v_min_u32_e32 v9, v12, v9
	v_add_u32_e32 v10, 32, v9
	v_min_u32_e32 v10, v12, v10
	v_and_b32_e32 v14, 56, v8
	v_min_u32_e32 v33, v12, v14
	v_sub_u32_e32 v34, v9, v31
	v_sub_u32_e32 v15, v10, v9
	v_sub_u32_e64 v15, v33, v15 clamp
	v_min_u32_e32 v34, v33, v34
	v_lshl_add_u32 v14, v31, 2, v11
	v_cmp_lt_u32_e32 vcc, v15, v34
	; wave barrier
	ds_write_b128 v13, v[0:3]
	ds_write_b128 v13, v[4:7] offset:16
	; wave barrier
	s_and_saveexec_b64 s[0:1], vcc
	s_cbranch_execz .LBB399_90
; %bb.87:
	v_lshlrev_b32_e32 v35, 2, v9
	v_lshlrev_b32_e32 v36, 2, v33
	v_add3_u32 v35, v11, v35, v36
	s_mov_b64 s[8:9], 0
.LBB399_88:                             ; =>This Inner Loop Header: Depth=1
	v_add_u32_e32 v36, v34, v15
	v_lshrrev_b32_e32 v36, 1, v36
	v_not_b32_e32 v37, v36
	v_lshl_add_u32 v38, v36, 2, v14
	v_lshl_add_u32 v37, v37, 2, v35
	ds_read_b32 v38, v38
	ds_read_b32 v37, v37
	v_add_u32_e32 v39, 1, v36
	s_waitcnt lgkmcnt(1)
	v_lshrrev_b32_e32 v40, 31, v38
	s_waitcnt lgkmcnt(0)
	v_lshrrev_b32_e32 v41, 31, v37
	v_add_u32_e32 v41, v37, v41
	v_add_u32_e32 v40, v38, v40
	v_and_b32_e32 v41, -2, v41
	v_cmp_lt_i32_e32 vcc, v37, v38
	v_and_b32_e32 v40, -2, v40
	v_sub_u32_e32 v37, v37, v41
	v_cndmask_b32_e64 v42, 0, 1, vcc
	v_sub_u32_e32 v38, v38, v40
	v_cmp_eq_u32_e32 vcc, 0, v37
	s_nop 1
	v_cndmask_b32_e64 v40, 0, 1, vcc
	v_cmp_eq_u32_e32 vcc, v37, v38
	s_nop 1
	v_cndmask_b32_e32 v37, v40, v42, vcc
	v_and_b32_e32 v37, 1, v37
	v_cmp_eq_u32_e32 vcc, 1, v37
	s_nop 1
	v_cndmask_b32_e32 v34, v34, v36, vcc
	v_cndmask_b32_e32 v15, v39, v15, vcc
	v_cmp_ge_u32_e32 vcc, v15, v34
	s_or_b64 s[8:9], vcc, s[8:9]
	s_andn2_b64 exec, exec, s[8:9]
	s_cbranch_execnz .LBB399_88
; %bb.89:
	s_or_b64 exec, exec, s[8:9]
.LBB399_90:
	s_or_b64 exec, exec, s[0:1]
	v_add_u32_e32 v33, v9, v33
	v_add_u32_e32 v31, v15, v31
	v_sub_u32_e32 v33, v33, v15
	v_cmp_le_u32_e32 vcc, v31, v9
	v_cmp_le_u32_e64 s[0:1], v33, v10
	s_or_b64 s[0:1], vcc, s[0:1]
	s_and_saveexec_b64 s[8:9], s[0:1]
	s_cbranch_execz .LBB399_126
; %bb.91:
	v_cmp_ge_u32_e32 vcc, v31, v9
	v_cmp_lt_u32_e64 s[0:1], v31, v9
                                        ; implicit-def: $vgpr0
	s_and_saveexec_b64 s[10:11], s[0:1]
; %bb.92:
	v_lshl_add_u32 v0, v15, 2, v14
	ds_read_b32 v0, v0
; %bb.93:
	s_or_b64 exec, exec, s[10:11]
	v_cmp_ge_u32_e64 s[10:11], v33, v10
	v_cmp_lt_u32_e64 s[0:1], v33, v10
                                        ; implicit-def: $vgpr6
	s_and_saveexec_b64 s[18:19], s[0:1]
; %bb.94:
	v_lshl_add_u32 v1, v33, 2, v11
	ds_read_b32 v6, v1
; %bb.95:
	s_or_b64 exec, exec, s[18:19]
	s_nor_b64 s[18:19], vcc, s[10:11]
	s_and_saveexec_b64 s[0:1], s[18:19]
	s_cbranch_execz .LBB399_97
; %bb.96:
	s_waitcnt lgkmcnt(0)
	v_lshrrev_b32_e32 v1, 31, v6
	v_add_u32_e32 v1, v6, v1
	v_lshrrev_b32_e32 v2, 31, v0
	v_and_b32_e32 v1, -2, v1
	v_add_u32_e32 v2, v0, v2
	v_sub_u32_e32 v1, v6, v1
	v_and_b32_e32 v2, -2, v2
	v_cmp_ge_i32_e32 vcc, v6, v0
	v_sub_u32_e32 v2, v0, v2
	s_andn2_b64 s[10:11], s[10:11], exec
	v_cndmask_b32_e64 v3, 0, 1, vcc
	v_cmp_ne_u32_e32 vcc, 0, v1
	s_nop 1
	v_cndmask_b32_e64 v4, 0, 1, vcc
	v_cmp_eq_u32_e32 vcc, v1, v2
	s_nop 1
	v_cndmask_b32_e32 v1, v4, v3, vcc
	v_and_b32_e32 v1, 1, v1
	v_cmp_eq_u32_e32 vcc, 1, v1
	s_and_b64 s[18:19], vcc, exec
	s_or_b64 s[10:11], s[10:11], s[18:19]
.LBB399_97:
	s_or_b64 exec, exec, s[0:1]
	v_cndmask_b32_e64 v1, v33, v31, s[10:11]
	v_cndmask_b32_e64 v2, v10, v9, s[10:11]
	v_add_u32_e32 v3, 1, v1
	v_add_u32_e32 v1, -1, v2
	v_min_u32_e32 v1, v3, v1
	v_lshl_add_u32 v1, v1, 2, v11
	ds_read_b32 v4, v1
	v_cndmask_b32_e64 v2, v3, v33, s[10:11]
	v_cndmask_b32_e64 v3, v31, v3, s[10:11]
	v_cmp_lt_u32_e32 vcc, v2, v10
	s_mov_b64 s[18:19], -1
	s_waitcnt lgkmcnt(0)
	v_cndmask_b32_e64 v1, v4, v6, s[10:11]
	v_cndmask_b32_e64 v7, v0, v4, s[10:11]
	s_mov_b64 s[0:1], -1
	s_and_saveexec_b64 s[20:21], vcc
	s_cbranch_execz .LBB399_101
; %bb.98:
	v_cmp_lt_u32_e32 vcc, v3, v9
	s_mov_b64 s[22:23], 0
	s_and_saveexec_b64 s[0:1], vcc
	s_cbranch_execz .LBB399_100
; %bb.99:
	v_lshrrev_b32_e32 v4, 31, v1
	v_add_u32_e32 v4, v1, v4
	v_lshrrev_b32_e32 v5, 31, v7
	v_and_b32_e32 v4, -2, v4
	v_add_u32_e32 v5, v7, v5
	v_sub_u32_e32 v4, v1, v4
	v_and_b32_e32 v5, -2, v5
	v_cmp_ge_i32_e32 vcc, v1, v7
	v_sub_u32_e32 v5, v7, v5
	s_nop 0
	v_cndmask_b32_e64 v14, 0, 1, vcc
	v_cmp_ne_u32_e32 vcc, 0, v4
	s_nop 1
	v_cndmask_b32_e64 v15, 0, 1, vcc
	v_cmp_eq_u32_e32 vcc, v4, v5
	s_nop 1
	v_cndmask_b32_e32 v4, v15, v14, vcc
	v_and_b32_e32 v4, 1, v4
	v_cmp_eq_u32_e32 vcc, 1, v4
	s_and_b64 s[22:23], vcc, exec
.LBB399_100:
	s_or_b64 exec, exec, s[0:1]
	s_orn2_b64 s[0:1], s[22:23], exec
.LBB399_101:
	s_or_b64 exec, exec, s[20:21]
	v_cndmask_b32_e64 v4, v2, v3, s[0:1]
	v_cndmask_b32_e64 v5, v10, v9, s[0:1]
	v_add_u32_e32 v15, 1, v4
	v_add_u32_e32 v4, -1, v5
	v_min_u32_e32 v4, v15, v4
	v_lshl_add_u32 v4, v4, 2, v11
	ds_read_b32 v5, v4
	v_cndmask_b32_e64 v4, v15, v2, s[0:1]
	v_cmp_lt_u32_e32 vcc, v4, v10
	s_waitcnt lgkmcnt(0)
	v_cndmask_b32_e64 v2, v5, v1, s[0:1]
	v_cndmask_b32_e64 v14, v7, v5, s[0:1]
	;; [unrolled: 1-line block ×3, first 2 shown]
	s_and_saveexec_b64 s[20:21], vcc
	s_cbranch_execz .LBB399_105
; %bb.102:
	v_cmp_lt_u32_e32 vcc, v5, v9
	s_mov_b64 s[22:23], 0
	s_and_saveexec_b64 s[18:19], vcc
	s_cbranch_execz .LBB399_104
; %bb.103:
	v_lshrrev_b32_e32 v3, 31, v2
	v_add_u32_e32 v3, v2, v3
	v_lshrrev_b32_e32 v15, 31, v14
	v_and_b32_e32 v3, -2, v3
	v_add_u32_e32 v15, v14, v15
	v_sub_u32_e32 v3, v2, v3
	v_and_b32_e32 v15, -2, v15
	v_cmp_ge_i32_e32 vcc, v2, v14
	v_sub_u32_e32 v15, v14, v15
	s_nop 0
	v_cndmask_b32_e64 v31, 0, 1, vcc
	v_cmp_ne_u32_e32 vcc, 0, v3
	s_nop 1
	v_cndmask_b32_e64 v33, 0, 1, vcc
	v_cmp_eq_u32_e32 vcc, v3, v15
	s_nop 1
	v_cndmask_b32_e32 v3, v33, v31, vcc
	v_and_b32_e32 v3, 1, v3
	v_cmp_eq_u32_e32 vcc, 1, v3
	s_and_b64 s[22:23], vcc, exec
.LBB399_104:
	s_or_b64 exec, exec, s[18:19]
	s_orn2_b64 s[18:19], s[22:23], exec
.LBB399_105:
	s_or_b64 exec, exec, s[20:21]
	v_cndmask_b32_e64 v3, v4, v5, s[18:19]
	v_cndmask_b32_e64 v15, v10, v9, s[18:19]
	v_add_u32_e32 v31, 1, v3
	v_add_u32_e32 v3, -1, v15
	v_min_u32_e32 v3, v31, v3
	v_lshl_add_u32 v3, v3, 2, v11
	ds_read_b32 v15, v3
	v_cndmask_b32_e64 v4, v31, v4, s[18:19]
	v_cndmask_b32_e64 v5, v5, v31, s[18:19]
	v_cmp_lt_u32_e32 vcc, v4, v10
	s_mov_b64 s[22:23], -1
	s_waitcnt lgkmcnt(0)
	v_cndmask_b32_e64 v3, v15, v2, s[18:19]
	v_cndmask_b32_e64 v15, v14, v15, s[18:19]
	s_mov_b64 s[20:21], -1
	s_and_saveexec_b64 s[24:25], vcc
	s_cbranch_execz .LBB399_109
; %bb.106:
	v_cmp_lt_u32_e32 vcc, v5, v9
	s_mov_b64 s[26:27], 0
	s_and_saveexec_b64 s[20:21], vcc
	s_cbranch_execz .LBB399_108
; %bb.107:
	v_lshrrev_b32_e32 v31, 31, v3
	v_add_u32_e32 v31, v3, v31
	v_lshrrev_b32_e32 v33, 31, v15
	v_and_b32_e32 v31, -2, v31
	v_add_u32_e32 v33, v15, v33
	v_sub_u32_e32 v31, v3, v31
	v_and_b32_e32 v33, -2, v33
	v_cmp_ge_i32_e32 vcc, v3, v15
	v_sub_u32_e32 v33, v15, v33
	s_nop 0
	v_cndmask_b32_e64 v34, 0, 1, vcc
	v_cmp_ne_u32_e32 vcc, 0, v31
	s_nop 1
	v_cndmask_b32_e64 v35, 0, 1, vcc
	v_cmp_eq_u32_e32 vcc, v31, v33
	s_nop 1
	v_cndmask_b32_e32 v31, v35, v34, vcc
	v_and_b32_e32 v31, 1, v31
	v_cmp_eq_u32_e32 vcc, 1, v31
	s_and_b64 s[26:27], vcc, exec
.LBB399_108:
	s_or_b64 exec, exec, s[20:21]
	s_orn2_b64 s[20:21], s[26:27], exec
.LBB399_109:
	s_or_b64 exec, exec, s[24:25]
	v_cndmask_b32_e64 v31, v4, v5, s[20:21]
	v_cndmask_b32_e64 v33, v10, v9, s[20:21]
	v_add_u32_e32 v34, 1, v31
	v_add_u32_e32 v31, -1, v33
	v_min_u32_e32 v31, v34, v31
	v_lshl_add_u32 v31, v31, 2, v11
	ds_read_b32 v31, v31
	v_cndmask_b32_e64 v33, v34, v4, s[20:21]
	v_cndmask_b32_e64 v34, v5, v34, s[20:21]
	v_cmp_lt_u32_e32 vcc, v33, v10
	s_waitcnt lgkmcnt(0)
	v_cndmask_b32_e64 v4, v31, v3, s[20:21]
	v_cndmask_b32_e64 v31, v15, v31, s[20:21]
	s_and_saveexec_b64 s[24:25], vcc
	s_cbranch_execz .LBB399_113
; %bb.110:
	v_cmp_lt_u32_e32 vcc, v34, v9
	s_mov_b64 s[26:27], 0
	s_and_saveexec_b64 s[22:23], vcc
	s_cbranch_execz .LBB399_112
; %bb.111:
	v_lshrrev_b32_e32 v5, 31, v4
	v_add_u32_e32 v5, v4, v5
	v_lshrrev_b32_e32 v35, 31, v31
	v_and_b32_e32 v5, -2, v5
	v_add_u32_e32 v35, v31, v35
	v_sub_u32_e32 v5, v4, v5
	v_and_b32_e32 v35, -2, v35
	v_cmp_ge_i32_e32 vcc, v4, v31
	v_sub_u32_e32 v35, v31, v35
	s_nop 0
	v_cndmask_b32_e64 v36, 0, 1, vcc
	v_cmp_ne_u32_e32 vcc, 0, v5
	s_nop 1
	v_cndmask_b32_e64 v37, 0, 1, vcc
	v_cmp_eq_u32_e32 vcc, v5, v35
	s_nop 1
	v_cndmask_b32_e32 v5, v37, v36, vcc
	v_and_b32_e32 v5, 1, v5
	v_cmp_eq_u32_e32 vcc, 1, v5
	s_and_b64 s[26:27], vcc, exec
.LBB399_112:
	s_or_b64 exec, exec, s[22:23]
	s_orn2_b64 s[22:23], s[26:27], exec
.LBB399_113:
	s_or_b64 exec, exec, s[24:25]
	v_cndmask_b32_e64 v5, v33, v34, s[22:23]
	v_cndmask_b32_e64 v35, v10, v9, s[22:23]
	v_add_u32_e32 v36, 1, v5
	v_add_u32_e32 v5, -1, v35
	v_min_u32_e32 v5, v36, v5
	v_lshl_add_u32 v5, v5, 2, v11
	ds_read_b32 v35, v5
	v_cndmask_b32_e64 v33, v36, v33, s[22:23]
	v_cndmask_b32_e64 v36, v34, v36, s[22:23]
	v_cmp_lt_u32_e32 vcc, v33, v10
	s_mov_b64 s[24:25], -1
	s_waitcnt lgkmcnt(0)
	v_cndmask_b32_e64 v5, v35, v4, s[22:23]
	v_cndmask_b32_e64 v35, v31, v35, s[22:23]
	s_mov_b64 s[26:27], -1
	s_and_saveexec_b64 s[30:31], vcc
	s_cbranch_execz .LBB399_117
; %bb.114:
	v_cmp_lt_u32_e32 vcc, v36, v9
	s_mov_b64 s[34:35], 0
	s_and_saveexec_b64 s[26:27], vcc
	s_cbranch_execz .LBB399_116
; %bb.115:
	v_lshrrev_b32_e32 v34, 31, v5
	v_add_u32_e32 v34, v5, v34
	v_lshrrev_b32_e32 v37, 31, v35
	v_and_b32_e32 v34, -2, v34
	v_add_u32_e32 v37, v35, v37
	v_sub_u32_e32 v34, v5, v34
	v_and_b32_e32 v37, -2, v37
	v_cmp_ge_i32_e32 vcc, v5, v35
	v_sub_u32_e32 v37, v35, v37
	s_nop 0
	v_cndmask_b32_e64 v38, 0, 1, vcc
	v_cmp_ne_u32_e32 vcc, 0, v34
	s_nop 1
	v_cndmask_b32_e64 v39, 0, 1, vcc
	v_cmp_eq_u32_e32 vcc, v34, v37
	s_nop 1
	v_cndmask_b32_e32 v34, v39, v38, vcc
	v_and_b32_e32 v34, 1, v34
	v_cmp_eq_u32_e32 vcc, 1, v34
	s_and_b64 s[34:35], vcc, exec
.LBB399_116:
	s_or_b64 exec, exec, s[26:27]
	s_orn2_b64 s[26:27], s[34:35], exec
.LBB399_117:
	s_or_b64 exec, exec, s[30:31]
	v_cndmask_b32_e64 v34, v33, v36, s[26:27]
	v_cndmask_b32_e64 v37, v10, v9, s[26:27]
	v_add_u32_e32 v38, 1, v34
	v_add_u32_e32 v34, -1, v37
	v_min_u32_e32 v34, v38, v34
	v_lshl_add_u32 v34, v34, 2, v11
	ds_read_b32 v34, v34
	v_cndmask_b32_e64 v37, v38, v33, s[26:27]
	v_cndmask_b32_e64 v36, v36, v38, s[26:27]
	v_cmp_lt_u32_e32 vcc, v37, v10
	s_waitcnt lgkmcnt(0)
	v_cndmask_b32_e64 v33, v34, v5, s[26:27]
	v_cndmask_b32_e64 v34, v35, v34, s[26:27]
	s_and_saveexec_b64 s[30:31], vcc
	s_cbranch_execz .LBB399_121
; %bb.118:
	v_cmp_lt_u32_e32 vcc, v36, v9
	s_mov_b64 s[34:35], 0
	s_and_saveexec_b64 s[24:25], vcc
	s_cbranch_execz .LBB399_120
; %bb.119:
	v_lshrrev_b32_e32 v38, 31, v33
	v_add_u32_e32 v38, v33, v38
	v_lshrrev_b32_e32 v39, 31, v34
	v_and_b32_e32 v38, -2, v38
	v_add_u32_e32 v39, v34, v39
	v_sub_u32_e32 v38, v33, v38
	v_and_b32_e32 v39, -2, v39
	v_cmp_ge_i32_e32 vcc, v33, v34
	v_sub_u32_e32 v39, v34, v39
	s_nop 0
	v_cndmask_b32_e64 v40, 0, 1, vcc
	v_cmp_ne_u32_e32 vcc, 0, v38
	s_nop 1
	v_cndmask_b32_e64 v41, 0, 1, vcc
	v_cmp_eq_u32_e32 vcc, v38, v39
	s_nop 1
	v_cndmask_b32_e32 v38, v41, v40, vcc
	v_and_b32_e32 v38, 1, v38
	v_cmp_eq_u32_e32 vcc, 1, v38
	s_and_b64 s[34:35], vcc, exec
.LBB399_120:
	s_or_b64 exec, exec, s[24:25]
	s_orn2_b64 s[24:25], s[34:35], exec
.LBB399_121:
	s_or_b64 exec, exec, s[30:31]
	v_cndmask_b32_e64 v5, v5, v35, s[26:27]
	v_cndmask_b32_e64 v4, v4, v31, s[22:23]
	;; [unrolled: 1-line block ×4, first 2 shown]
	v_add_u32_e32 v31, 1, v31
	v_add_u32_e32 v35, -1, v35
	v_min_u32_e32 v35, v31, v35
	v_lshl_add_u32 v35, v35, 2, v11
	ds_read_b32 v35, v35
	v_cndmask_b32_e64 v0, v6, v0, s[10:11]
	v_cndmask_b32_e64 v6, v31, v37, s[24:25]
	;; [unrolled: 1-line block ×5, first 2 shown]
	s_waitcnt lgkmcnt(0)
	v_cndmask_b32_e64 v7, v34, v35, s[24:25]
	v_cmp_lt_u32_e32 vcc, v6, v10
	s_and_saveexec_b64 s[0:1], vcc
	s_cbranch_execz .LBB399_125
; %bb.122:
	v_cndmask_b32_e64 v10, v36, v31, s[24:25]
	v_cndmask_b32_e64 v6, v35, v33, s[24:25]
	v_cmp_lt_u32_e32 vcc, v10, v9
	s_and_saveexec_b64 s[10:11], vcc
	s_cbranch_execz .LBB399_124
; %bb.123:
	v_lshrrev_b32_e32 v9, 31, v6
	v_add_u32_e32 v9, v6, v9
	v_lshrrev_b32_e32 v10, 31, v7
	v_and_b32_e32 v9, -2, v9
	v_add_u32_e32 v10, v7, v10
	v_sub_u32_e32 v9, v6, v9
	v_and_b32_e32 v10, -2, v10
	v_cmp_ge_i32_e32 vcc, v6, v7
	v_sub_u32_e32 v10, v7, v10
	s_nop 0
	v_cndmask_b32_e64 v14, 0, 1, vcc
	v_cmp_ne_u32_e32 vcc, 0, v9
	s_nop 1
	v_cndmask_b32_e64 v15, 0, 1, vcc
	v_cmp_eq_u32_e32 vcc, v9, v10
	s_nop 1
	v_cndmask_b32_e32 v9, v15, v14, vcc
	v_and_b32_e32 v9, 1, v9
	v_cmp_eq_u32_e32 vcc, 1, v9
	s_nop 1
	v_cndmask_b32_e32 v6, v6, v7, vcc
.LBB399_124:
	s_or_b64 exec, exec, s[10:11]
	v_mov_b32_e32 v7, v6
.LBB399_125:
	s_or_b64 exec, exec, s[0:1]
	v_cndmask_b32_e64 v6, v33, v34, s[24:25]
.LBB399_126:
	s_or_b64 exec, exec, s[8:9]
	; wave barrier
	ds_write_b128 v13, v[0:3]
	ds_write_b128 v13, v[4:7] offset:16
	v_and_b32_e32 v13, 0x380, v8
	v_or_b32_e32 v9, 64, v13
	v_min_u32_e32 v9, v12, v9
	v_add_u32_e32 v10, 64, v9
	v_min_u32_e32 v10, v12, v10
	v_and_b32_e32 v8, 0x78, v8
	v_min_u32_e32 v14, v12, v8
	v_sub_u32_e32 v15, v9, v13
	v_sub_u32_e32 v12, v10, v9
	v_sub_u32_e64 v12, v14, v12 clamp
	v_min_u32_e32 v15, v14, v15
	v_lshl_add_u32 v8, v13, 2, v11
	v_cmp_lt_u32_e32 vcc, v12, v15
	; wave barrier
	s_and_saveexec_b64 s[0:1], vcc
	s_cbranch_execz .LBB399_130
; %bb.127:
	v_lshlrev_b32_e32 v31, 2, v9
	v_lshlrev_b32_e32 v33, 2, v14
	v_add3_u32 v31, v11, v31, v33
	s_mov_b64 s[8:9], 0
.LBB399_128:                            ; =>This Inner Loop Header: Depth=1
	v_add_u32_e32 v33, v15, v12
	v_lshrrev_b32_e32 v33, 1, v33
	v_not_b32_e32 v34, v33
	v_lshl_add_u32 v35, v33, 2, v8
	v_lshl_add_u32 v34, v34, 2, v31
	ds_read_b32 v35, v35
	ds_read_b32 v34, v34
	v_add_u32_e32 v36, 1, v33
	s_waitcnt lgkmcnt(1)
	v_lshrrev_b32_e32 v37, 31, v35
	s_waitcnt lgkmcnt(0)
	v_lshrrev_b32_e32 v38, 31, v34
	v_add_u32_e32 v38, v34, v38
	v_add_u32_e32 v37, v35, v37
	v_and_b32_e32 v38, -2, v38
	v_cmp_lt_i32_e32 vcc, v34, v35
	v_and_b32_e32 v37, -2, v37
	v_sub_u32_e32 v34, v34, v38
	v_cndmask_b32_e64 v39, 0, 1, vcc
	v_sub_u32_e32 v35, v35, v37
	v_cmp_eq_u32_e32 vcc, 0, v34
	s_nop 1
	v_cndmask_b32_e64 v37, 0, 1, vcc
	v_cmp_eq_u32_e32 vcc, v34, v35
	s_nop 1
	v_cndmask_b32_e32 v34, v37, v39, vcc
	v_and_b32_e32 v34, 1, v34
	v_cmp_eq_u32_e32 vcc, 1, v34
	s_nop 1
	v_cndmask_b32_e32 v15, v15, v33, vcc
	v_cndmask_b32_e32 v12, v36, v12, vcc
	v_cmp_ge_u32_e32 vcc, v12, v15
	s_or_b64 s[8:9], vcc, s[8:9]
	s_andn2_b64 exec, exec, s[8:9]
	s_cbranch_execnz .LBB399_128
; %bb.129:
	s_or_b64 exec, exec, s[8:9]
.LBB399_130:
	s_or_b64 exec, exec, s[0:1]
	v_add_u32_e32 v14, v9, v14
	v_add_u32_e32 v13, v12, v13
	v_sub_u32_e32 v14, v14, v12
	v_cmp_le_u32_e32 vcc, v13, v9
	v_cmp_le_u32_e64 s[0:1], v14, v10
	s_or_b64 s[0:1], vcc, s[0:1]
	s_and_saveexec_b64 s[8:9], s[0:1]
	s_cbranch_execz .LBB399_166
; %bb.131:
	v_cmp_ge_u32_e32 vcc, v13, v9
	v_cmp_lt_u32_e64 s[0:1], v13, v9
                                        ; implicit-def: $vgpr0
	s_and_saveexec_b64 s[10:11], s[0:1]
; %bb.132:
	v_lshl_add_u32 v0, v12, 2, v8
	ds_read_b32 v0, v0
; %bb.133:
	s_or_b64 exec, exec, s[10:11]
	v_cmp_ge_u32_e64 s[10:11], v14, v10
	v_cmp_lt_u32_e64 s[0:1], v14, v10
                                        ; implicit-def: $vgpr6
	s_and_saveexec_b64 s[18:19], s[0:1]
; %bb.134:
	v_lshl_add_u32 v1, v14, 2, v11
	ds_read_b32 v6, v1
; %bb.135:
	s_or_b64 exec, exec, s[18:19]
	s_nor_b64 s[18:19], vcc, s[10:11]
	s_and_saveexec_b64 s[0:1], s[18:19]
	s_cbranch_execz .LBB399_137
; %bb.136:
	s_waitcnt lgkmcnt(0)
	v_lshrrev_b32_e32 v1, 31, v6
	v_add_u32_e32 v1, v6, v1
	v_lshrrev_b32_e32 v2, 31, v0
	v_and_b32_e32 v1, -2, v1
	v_add_u32_e32 v2, v0, v2
	v_sub_u32_e32 v1, v6, v1
	v_and_b32_e32 v2, -2, v2
	v_cmp_ge_i32_e32 vcc, v6, v0
	v_sub_u32_e32 v2, v0, v2
	s_andn2_b64 s[10:11], s[10:11], exec
	v_cndmask_b32_e64 v3, 0, 1, vcc
	v_cmp_ne_u32_e32 vcc, 0, v1
	s_nop 1
	v_cndmask_b32_e64 v4, 0, 1, vcc
	v_cmp_eq_u32_e32 vcc, v1, v2
	s_nop 1
	v_cndmask_b32_e32 v1, v4, v3, vcc
	v_and_b32_e32 v1, 1, v1
	v_cmp_eq_u32_e32 vcc, 1, v1
	s_and_b64 s[18:19], vcc, exec
	s_or_b64 s[10:11], s[10:11], s[18:19]
.LBB399_137:
	s_or_b64 exec, exec, s[0:1]
	v_cndmask_b32_e64 v1, v14, v13, s[10:11]
	v_cndmask_b32_e64 v2, v10, v9, s[10:11]
	v_add_u32_e32 v3, 1, v1
	v_add_u32_e32 v1, -1, v2
	v_min_u32_e32 v1, v3, v1
	v_lshl_add_u32 v1, v1, 2, v11
	ds_read_b32 v4, v1
	v_cndmask_b32_e64 v2, v3, v14, s[10:11]
	v_cndmask_b32_e64 v3, v13, v3, s[10:11]
	v_cmp_lt_u32_e32 vcc, v2, v10
	s_mov_b64 s[18:19], -1
	s_waitcnt lgkmcnt(0)
	v_cndmask_b32_e64 v1, v4, v6, s[10:11]
	v_cndmask_b32_e64 v7, v0, v4, s[10:11]
	s_mov_b64 s[0:1], -1
	s_and_saveexec_b64 s[20:21], vcc
	s_cbranch_execz .LBB399_141
; %bb.138:
	v_cmp_lt_u32_e32 vcc, v3, v9
	s_mov_b64 s[22:23], 0
	s_and_saveexec_b64 s[0:1], vcc
	s_cbranch_execz .LBB399_140
; %bb.139:
	v_lshrrev_b32_e32 v4, 31, v1
	v_add_u32_e32 v4, v1, v4
	v_lshrrev_b32_e32 v5, 31, v7
	v_and_b32_e32 v4, -2, v4
	v_add_u32_e32 v5, v7, v5
	v_sub_u32_e32 v4, v1, v4
	v_and_b32_e32 v5, -2, v5
	v_cmp_ge_i32_e32 vcc, v1, v7
	v_sub_u32_e32 v5, v7, v5
	s_nop 0
	v_cndmask_b32_e64 v8, 0, 1, vcc
	v_cmp_ne_u32_e32 vcc, 0, v4
	s_nop 1
	v_cndmask_b32_e64 v12, 0, 1, vcc
	v_cmp_eq_u32_e32 vcc, v4, v5
	s_nop 1
	v_cndmask_b32_e32 v4, v12, v8, vcc
	v_and_b32_e32 v4, 1, v4
	v_cmp_eq_u32_e32 vcc, 1, v4
	s_and_b64 s[22:23], vcc, exec
.LBB399_140:
	s_or_b64 exec, exec, s[0:1]
	s_orn2_b64 s[0:1], s[22:23], exec
.LBB399_141:
	s_or_b64 exec, exec, s[20:21]
	v_cndmask_b32_e64 v4, v2, v3, s[0:1]
	v_cndmask_b32_e64 v5, v10, v9, s[0:1]
	v_add_u32_e32 v12, 1, v4
	v_add_u32_e32 v4, -1, v5
	v_min_u32_e32 v4, v12, v4
	v_lshl_add_u32 v4, v4, 2, v11
	ds_read_b32 v5, v4
	v_cndmask_b32_e64 v4, v12, v2, s[0:1]
	v_cmp_lt_u32_e32 vcc, v4, v10
	s_waitcnt lgkmcnt(0)
	v_cndmask_b32_e64 v2, v5, v1, s[0:1]
	v_cndmask_b32_e64 v8, v7, v5, s[0:1]
	;; [unrolled: 1-line block ×3, first 2 shown]
	s_and_saveexec_b64 s[20:21], vcc
	s_cbranch_execz .LBB399_145
; %bb.142:
	v_cmp_lt_u32_e32 vcc, v5, v9
	s_mov_b64 s[22:23], 0
	s_and_saveexec_b64 s[18:19], vcc
	s_cbranch_execz .LBB399_144
; %bb.143:
	v_lshrrev_b32_e32 v3, 31, v2
	v_add_u32_e32 v3, v2, v3
	v_lshrrev_b32_e32 v12, 31, v8
	v_and_b32_e32 v3, -2, v3
	v_add_u32_e32 v12, v8, v12
	v_sub_u32_e32 v3, v2, v3
	v_and_b32_e32 v12, -2, v12
	v_cmp_ge_i32_e32 vcc, v2, v8
	v_sub_u32_e32 v12, v8, v12
	s_nop 0
	v_cndmask_b32_e64 v13, 0, 1, vcc
	v_cmp_ne_u32_e32 vcc, 0, v3
	s_nop 1
	v_cndmask_b32_e64 v14, 0, 1, vcc
	v_cmp_eq_u32_e32 vcc, v3, v12
	s_nop 1
	v_cndmask_b32_e32 v3, v14, v13, vcc
	v_and_b32_e32 v3, 1, v3
	v_cmp_eq_u32_e32 vcc, 1, v3
	s_and_b64 s[22:23], vcc, exec
.LBB399_144:
	s_or_b64 exec, exec, s[18:19]
	s_orn2_b64 s[18:19], s[22:23], exec
.LBB399_145:
	s_or_b64 exec, exec, s[20:21]
	v_cndmask_b32_e64 v3, v4, v5, s[18:19]
	v_cndmask_b32_e64 v12, v10, v9, s[18:19]
	v_add_u32_e32 v13, 1, v3
	v_add_u32_e32 v3, -1, v12
	v_min_u32_e32 v3, v13, v3
	v_lshl_add_u32 v3, v3, 2, v11
	ds_read_b32 v12, v3
	v_cndmask_b32_e64 v4, v13, v4, s[18:19]
	v_cndmask_b32_e64 v5, v5, v13, s[18:19]
	v_cmp_lt_u32_e32 vcc, v4, v10
	s_mov_b64 s[22:23], -1
	s_waitcnt lgkmcnt(0)
	v_cndmask_b32_e64 v3, v12, v2, s[18:19]
	v_cndmask_b32_e64 v12, v8, v12, s[18:19]
	s_mov_b64 s[20:21], -1
	s_and_saveexec_b64 s[24:25], vcc
	s_cbranch_execz .LBB399_149
; %bb.146:
	v_cmp_lt_u32_e32 vcc, v5, v9
	s_mov_b64 s[26:27], 0
	s_and_saveexec_b64 s[20:21], vcc
	s_cbranch_execz .LBB399_148
; %bb.147:
	v_lshrrev_b32_e32 v13, 31, v3
	v_add_u32_e32 v13, v3, v13
	v_lshrrev_b32_e32 v14, 31, v12
	v_and_b32_e32 v13, -2, v13
	v_add_u32_e32 v14, v12, v14
	v_sub_u32_e32 v13, v3, v13
	v_and_b32_e32 v14, -2, v14
	v_cmp_ge_i32_e32 vcc, v3, v12
	v_sub_u32_e32 v14, v12, v14
	s_nop 0
	v_cndmask_b32_e64 v15, 0, 1, vcc
	v_cmp_ne_u32_e32 vcc, 0, v13
	s_nop 1
	v_cndmask_b32_e64 v31, 0, 1, vcc
	v_cmp_eq_u32_e32 vcc, v13, v14
	s_nop 1
	v_cndmask_b32_e32 v13, v31, v15, vcc
	v_and_b32_e32 v13, 1, v13
	v_cmp_eq_u32_e32 vcc, 1, v13
	s_and_b64 s[26:27], vcc, exec
.LBB399_148:
	s_or_b64 exec, exec, s[20:21]
	s_orn2_b64 s[20:21], s[26:27], exec
.LBB399_149:
	s_or_b64 exec, exec, s[24:25]
	v_cndmask_b32_e64 v13, v4, v5, s[20:21]
	v_cndmask_b32_e64 v14, v10, v9, s[20:21]
	v_add_u32_e32 v15, 1, v13
	v_add_u32_e32 v13, -1, v14
	v_min_u32_e32 v13, v15, v13
	v_lshl_add_u32 v13, v13, 2, v11
	ds_read_b32 v13, v13
	v_cndmask_b32_e64 v14, v15, v4, s[20:21]
	v_cndmask_b32_e64 v15, v5, v15, s[20:21]
	v_cmp_lt_u32_e32 vcc, v14, v10
	s_waitcnt lgkmcnt(0)
	v_cndmask_b32_e64 v4, v13, v3, s[20:21]
	v_cndmask_b32_e64 v13, v12, v13, s[20:21]
	s_and_saveexec_b64 s[24:25], vcc
	s_cbranch_execz .LBB399_153
; %bb.150:
	v_cmp_lt_u32_e32 vcc, v15, v9
	s_mov_b64 s[26:27], 0
	s_and_saveexec_b64 s[22:23], vcc
	s_cbranch_execz .LBB399_152
; %bb.151:
	v_lshrrev_b32_e32 v5, 31, v4
	v_add_u32_e32 v5, v4, v5
	v_lshrrev_b32_e32 v31, 31, v13
	v_and_b32_e32 v5, -2, v5
	v_add_u32_e32 v31, v13, v31
	v_sub_u32_e32 v5, v4, v5
	v_and_b32_e32 v31, -2, v31
	v_cmp_ge_i32_e32 vcc, v4, v13
	v_sub_u32_e32 v31, v13, v31
	s_nop 0
	v_cndmask_b32_e64 v33, 0, 1, vcc
	v_cmp_ne_u32_e32 vcc, 0, v5
	s_nop 1
	v_cndmask_b32_e64 v34, 0, 1, vcc
	v_cmp_eq_u32_e32 vcc, v5, v31
	s_nop 1
	v_cndmask_b32_e32 v5, v34, v33, vcc
	v_and_b32_e32 v5, 1, v5
	v_cmp_eq_u32_e32 vcc, 1, v5
	s_and_b64 s[26:27], vcc, exec
.LBB399_152:
	s_or_b64 exec, exec, s[22:23]
	s_orn2_b64 s[22:23], s[26:27], exec
.LBB399_153:
	s_or_b64 exec, exec, s[24:25]
	v_cndmask_b32_e64 v5, v14, v15, s[22:23]
	v_cndmask_b32_e64 v31, v10, v9, s[22:23]
	v_add_u32_e32 v33, 1, v5
	v_add_u32_e32 v5, -1, v31
	v_min_u32_e32 v5, v33, v5
	v_lshl_add_u32 v5, v5, 2, v11
	ds_read_b32 v31, v5
	v_cndmask_b32_e64 v14, v33, v14, s[22:23]
	v_cndmask_b32_e64 v33, v15, v33, s[22:23]
	v_cmp_lt_u32_e32 vcc, v14, v10
	s_mov_b64 s[24:25], -1
	s_waitcnt lgkmcnt(0)
	v_cndmask_b32_e64 v5, v31, v4, s[22:23]
	v_cndmask_b32_e64 v31, v13, v31, s[22:23]
	s_mov_b64 s[26:27], -1
	s_and_saveexec_b64 s[30:31], vcc
	s_cbranch_execz .LBB399_157
; %bb.154:
	v_cmp_lt_u32_e32 vcc, v33, v9
	s_mov_b64 s[34:35], 0
	s_and_saveexec_b64 s[26:27], vcc
	s_cbranch_execz .LBB399_156
; %bb.155:
	v_lshrrev_b32_e32 v15, 31, v5
	v_add_u32_e32 v15, v5, v15
	v_lshrrev_b32_e32 v34, 31, v31
	v_and_b32_e32 v15, -2, v15
	v_add_u32_e32 v34, v31, v34
	v_sub_u32_e32 v15, v5, v15
	v_and_b32_e32 v34, -2, v34
	v_cmp_ge_i32_e32 vcc, v5, v31
	v_sub_u32_e32 v34, v31, v34
	s_nop 0
	v_cndmask_b32_e64 v35, 0, 1, vcc
	v_cmp_ne_u32_e32 vcc, 0, v15
	s_nop 1
	v_cndmask_b32_e64 v36, 0, 1, vcc
	v_cmp_eq_u32_e32 vcc, v15, v34
	s_nop 1
	v_cndmask_b32_e32 v15, v36, v35, vcc
	v_and_b32_e32 v15, 1, v15
	v_cmp_eq_u32_e32 vcc, 1, v15
	s_and_b64 s[34:35], vcc, exec
.LBB399_156:
	s_or_b64 exec, exec, s[26:27]
	s_orn2_b64 s[26:27], s[34:35], exec
.LBB399_157:
	s_or_b64 exec, exec, s[30:31]
	v_cndmask_b32_e64 v15, v14, v33, s[26:27]
	v_cndmask_b32_e64 v34, v10, v9, s[26:27]
	v_add_u32_e32 v35, 1, v15
	v_add_u32_e32 v15, -1, v34
	v_min_u32_e32 v15, v35, v15
	v_lshl_add_u32 v15, v15, 2, v11
	ds_read_b32 v15, v15
	v_cndmask_b32_e64 v34, v35, v14, s[26:27]
	v_cndmask_b32_e64 v33, v33, v35, s[26:27]
	v_cmp_lt_u32_e32 vcc, v34, v10
	s_waitcnt lgkmcnt(0)
	v_cndmask_b32_e64 v14, v15, v5, s[26:27]
	v_cndmask_b32_e64 v15, v31, v15, s[26:27]
	s_and_saveexec_b64 s[30:31], vcc
	s_cbranch_execz .LBB399_161
; %bb.158:
	v_cmp_lt_u32_e32 vcc, v33, v9
	s_mov_b64 s[34:35], 0
	s_and_saveexec_b64 s[24:25], vcc
	s_cbranch_execz .LBB399_160
; %bb.159:
	v_lshrrev_b32_e32 v35, 31, v14
	v_add_u32_e32 v35, v14, v35
	v_lshrrev_b32_e32 v36, 31, v15
	v_and_b32_e32 v35, -2, v35
	v_add_u32_e32 v36, v15, v36
	v_sub_u32_e32 v35, v14, v35
	v_and_b32_e32 v36, -2, v36
	v_cmp_ge_i32_e32 vcc, v14, v15
	v_sub_u32_e32 v36, v15, v36
	s_nop 0
	v_cndmask_b32_e64 v37, 0, 1, vcc
	v_cmp_ne_u32_e32 vcc, 0, v35
	s_nop 1
	v_cndmask_b32_e64 v38, 0, 1, vcc
	v_cmp_eq_u32_e32 vcc, v35, v36
	s_nop 1
	v_cndmask_b32_e32 v35, v38, v37, vcc
	v_and_b32_e32 v35, 1, v35
	v_cmp_eq_u32_e32 vcc, 1, v35
	s_and_b64 s[34:35], vcc, exec
.LBB399_160:
	s_or_b64 exec, exec, s[24:25]
	s_orn2_b64 s[24:25], s[34:35], exec
.LBB399_161:
	s_or_b64 exec, exec, s[30:31]
	v_cndmask_b32_e64 v5, v5, v31, s[26:27]
	v_cndmask_b32_e64 v4, v4, v13, s[22:23]
	;; [unrolled: 1-line block ×4, first 2 shown]
	v_add_u32_e32 v13, 1, v13
	v_add_u32_e32 v31, -1, v31
	v_min_u32_e32 v31, v13, v31
	v_lshl_add_u32 v11, v31, 2, v11
	ds_read_b32 v11, v11
	v_cndmask_b32_e64 v0, v6, v0, s[10:11]
	v_cndmask_b32_e64 v6, v13, v34, s[24:25]
	;; [unrolled: 1-line block ×5, first 2 shown]
	s_waitcnt lgkmcnt(0)
	v_cndmask_b32_e64 v7, v15, v11, s[24:25]
	v_cmp_lt_u32_e32 vcc, v6, v10
	s_and_saveexec_b64 s[0:1], vcc
	s_cbranch_execz .LBB399_165
; %bb.162:
	v_cndmask_b32_e64 v8, v33, v13, s[24:25]
	v_cndmask_b32_e64 v6, v11, v14, s[24:25]
	v_cmp_lt_u32_e32 vcc, v8, v9
	s_and_saveexec_b64 s[10:11], vcc
	s_cbranch_execz .LBB399_164
; %bb.163:
	v_lshrrev_b32_e32 v8, 31, v6
	v_add_u32_e32 v8, v6, v8
	v_lshrrev_b32_e32 v9, 31, v7
	v_and_b32_e32 v8, -2, v8
	v_add_u32_e32 v9, v7, v9
	v_sub_u32_e32 v8, v6, v8
	v_and_b32_e32 v9, -2, v9
	v_cmp_ge_i32_e32 vcc, v6, v7
	v_sub_u32_e32 v9, v7, v9
	s_nop 0
	v_cndmask_b32_e64 v10, 0, 1, vcc
	v_cmp_ne_u32_e32 vcc, 0, v8
	s_nop 1
	v_cndmask_b32_e64 v11, 0, 1, vcc
	v_cmp_eq_u32_e32 vcc, v8, v9
	s_nop 1
	v_cndmask_b32_e32 v8, v11, v10, vcc
	v_and_b32_e32 v8, 1, v8
	v_cmp_eq_u32_e32 vcc, 1, v8
	s_nop 1
	v_cndmask_b32_e32 v6, v6, v7, vcc
.LBB399_164:
	s_or_b64 exec, exec, s[10:11]
	v_mov_b32_e32 v7, v6
.LBB399_165:
	s_or_b64 exec, exec, s[0:1]
	v_cndmask_b32_e64 v6, v14, v15, s[24:25]
.LBB399_166:
	s_or_b64 exec, exec, s[8:9]
	v_lshlrev_b32_e32 v8, 3, v28
	v_and_b32_e32 v13, 0x1f00, v8
	v_or_b32_e32 v10, 0x80, v13
	v_min_u32_e32 v9, 0x800, v10
	v_min_u32_e32 v10, 0x780, v10
	v_add_u32_e32 v10, 0x80, v10
	v_and_b32_e32 v14, 0xf8, v8
	v_sub_u32_e32 v15, v9, v13
	v_sub_u32_e32 v12, v10, v9
	v_sub_u32_e64 v12, v14, v12 clamp
	v_min_u32_e32 v15, v14, v15
	v_lshlrev_b32_e32 v11, 2, v13
	v_cmp_lt_u32_e32 vcc, v12, v15
	; wave barrier
	s_waitcnt lgkmcnt(0)
	s_barrier
	ds_write_b128 v32, v[0:3]
	ds_write_b128 v32, v[4:7] offset:16
	s_waitcnt lgkmcnt(0)
	s_barrier
	s_and_saveexec_b64 s[0:1], vcc
	s_cbranch_execz .LBB399_170
; %bb.167:
	v_lshlrev_b32_e32 v31, 2, v14
	v_lshl_add_u32 v31, v9, 2, v31
	s_mov_b64 s[8:9], 0
.LBB399_168:                            ; =>This Inner Loop Header: Depth=1
	v_add_u32_e32 v33, v15, v12
	v_lshrrev_b32_e32 v33, 1, v33
	v_not_b32_e32 v34, v33
	v_lshl_add_u32 v35, v33, 2, v11
	v_lshl_add_u32 v34, v34, 2, v31
	ds_read_b32 v35, v35
	ds_read_b32 v34, v34
	v_add_u32_e32 v36, 1, v33
	s_waitcnt lgkmcnt(1)
	v_lshrrev_b32_e32 v37, 31, v35
	s_waitcnt lgkmcnt(0)
	v_lshrrev_b32_e32 v38, 31, v34
	v_add_u32_e32 v38, v34, v38
	v_add_u32_e32 v37, v35, v37
	v_and_b32_e32 v38, -2, v38
	v_cmp_lt_i32_e32 vcc, v34, v35
	v_and_b32_e32 v37, -2, v37
	v_sub_u32_e32 v34, v34, v38
	v_cndmask_b32_e64 v39, 0, 1, vcc
	v_sub_u32_e32 v35, v35, v37
	v_cmp_eq_u32_e32 vcc, 0, v34
	s_nop 1
	v_cndmask_b32_e64 v37, 0, 1, vcc
	v_cmp_eq_u32_e32 vcc, v34, v35
	s_nop 1
	v_cndmask_b32_e32 v34, v37, v39, vcc
	v_and_b32_e32 v34, 1, v34
	v_cmp_eq_u32_e32 vcc, 1, v34
	s_nop 1
	v_cndmask_b32_e32 v15, v15, v33, vcc
	v_cndmask_b32_e32 v12, v36, v12, vcc
	v_cmp_ge_u32_e32 vcc, v12, v15
	s_or_b64 s[8:9], vcc, s[8:9]
	s_andn2_b64 exec, exec, s[8:9]
	s_cbranch_execnz .LBB399_168
; %bb.169:
	s_or_b64 exec, exec, s[8:9]
.LBB399_170:
	s_or_b64 exec, exec, s[0:1]
	v_sub_u32_e32 v14, v14, v12
	v_add_u32_e32 v13, v12, v13
	v_add_u32_e32 v14, v14, v9
	v_cmp_le_u32_e32 vcc, v13, v9
	v_cmp_le_u32_e64 s[0:1], v14, v10
	s_or_b64 s[0:1], vcc, s[0:1]
	s_and_saveexec_b64 s[8:9], s[0:1]
	s_cbranch_execz .LBB399_206
; %bb.171:
	v_cmp_ge_u32_e32 vcc, v13, v9
	v_cmp_lt_u32_e64 s[0:1], v13, v9
                                        ; implicit-def: $vgpr0
	s_and_saveexec_b64 s[10:11], s[0:1]
; %bb.172:
	v_lshl_add_u32 v0, v12, 2, v11
	ds_read_b32 v0, v0
; %bb.173:
	s_or_b64 exec, exec, s[10:11]
	v_cmp_ge_u32_e64 s[10:11], v14, v10
	v_cmp_lt_u32_e64 s[0:1], v14, v10
                                        ; implicit-def: $vgpr6
	s_and_saveexec_b64 s[18:19], s[0:1]
; %bb.174:
	v_lshlrev_b32_e32 v1, 2, v14
	ds_read_b32 v6, v1
; %bb.175:
	s_or_b64 exec, exec, s[18:19]
	s_nor_b64 s[18:19], vcc, s[10:11]
	s_and_saveexec_b64 s[0:1], s[18:19]
	s_cbranch_execz .LBB399_177
; %bb.176:
	s_waitcnt lgkmcnt(0)
	v_lshrrev_b32_e32 v1, 31, v6
	v_add_u32_e32 v1, v6, v1
	v_lshrrev_b32_e32 v2, 31, v0
	v_and_b32_e32 v1, -2, v1
	v_add_u32_e32 v2, v0, v2
	v_sub_u32_e32 v1, v6, v1
	v_and_b32_e32 v2, -2, v2
	v_cmp_ge_i32_e32 vcc, v6, v0
	v_sub_u32_e32 v2, v0, v2
	s_andn2_b64 s[10:11], s[10:11], exec
	v_cndmask_b32_e64 v3, 0, 1, vcc
	v_cmp_ne_u32_e32 vcc, 0, v1
	s_nop 1
	v_cndmask_b32_e64 v4, 0, 1, vcc
	v_cmp_eq_u32_e32 vcc, v1, v2
	s_nop 1
	v_cndmask_b32_e32 v1, v4, v3, vcc
	v_and_b32_e32 v1, 1, v1
	v_cmp_eq_u32_e32 vcc, 1, v1
	s_and_b64 s[18:19], vcc, exec
	s_or_b64 s[10:11], s[10:11], s[18:19]
.LBB399_177:
	s_or_b64 exec, exec, s[0:1]
	v_cndmask_b32_e64 v1, v14, v13, s[10:11]
	v_cndmask_b32_e64 v2, v10, v9, s[10:11]
	v_add_u32_e32 v3, 1, v1
	v_add_u32_e32 v1, -1, v2
	v_min_u32_e32 v1, v3, v1
	v_lshlrev_b32_e32 v1, 2, v1
	ds_read_b32 v4, v1
	v_cndmask_b32_e64 v2, v3, v14, s[10:11]
	v_cndmask_b32_e64 v3, v13, v3, s[10:11]
	v_cmp_lt_u32_e32 vcc, v2, v10
	s_mov_b64 s[18:19], -1
	s_waitcnt lgkmcnt(0)
	v_cndmask_b32_e64 v1, v4, v6, s[10:11]
	v_cndmask_b32_e64 v7, v0, v4, s[10:11]
	s_mov_b64 s[0:1], -1
	s_and_saveexec_b64 s[20:21], vcc
	s_cbranch_execz .LBB399_181
; %bb.178:
	v_cmp_lt_u32_e32 vcc, v3, v9
	s_mov_b64 s[22:23], 0
	s_and_saveexec_b64 s[0:1], vcc
	s_cbranch_execz .LBB399_180
; %bb.179:
	v_lshrrev_b32_e32 v4, 31, v1
	v_add_u32_e32 v4, v1, v4
	v_lshrrev_b32_e32 v5, 31, v7
	v_and_b32_e32 v4, -2, v4
	v_add_u32_e32 v5, v7, v5
	v_sub_u32_e32 v4, v1, v4
	v_and_b32_e32 v5, -2, v5
	v_cmp_ge_i32_e32 vcc, v1, v7
	v_sub_u32_e32 v5, v7, v5
	s_nop 0
	v_cndmask_b32_e64 v11, 0, 1, vcc
	v_cmp_ne_u32_e32 vcc, 0, v4
	s_nop 1
	v_cndmask_b32_e64 v12, 0, 1, vcc
	v_cmp_eq_u32_e32 vcc, v4, v5
	s_nop 1
	v_cndmask_b32_e32 v4, v12, v11, vcc
	v_and_b32_e32 v4, 1, v4
	v_cmp_eq_u32_e32 vcc, 1, v4
	s_and_b64 s[22:23], vcc, exec
.LBB399_180:
	s_or_b64 exec, exec, s[0:1]
	s_orn2_b64 s[0:1], s[22:23], exec
.LBB399_181:
	s_or_b64 exec, exec, s[20:21]
	v_cndmask_b32_e64 v4, v2, v3, s[0:1]
	v_cndmask_b32_e64 v5, v10, v9, s[0:1]
	v_add_u32_e32 v12, 1, v4
	v_add_u32_e32 v4, -1, v5
	v_min_u32_e32 v4, v12, v4
	v_lshlrev_b32_e32 v4, 2, v4
	ds_read_b32 v5, v4
	v_cndmask_b32_e64 v4, v12, v2, s[0:1]
	v_cmp_lt_u32_e32 vcc, v4, v10
	s_waitcnt lgkmcnt(0)
	v_cndmask_b32_e64 v2, v5, v1, s[0:1]
	v_cndmask_b32_e64 v11, v7, v5, s[0:1]
	;; [unrolled: 1-line block ×3, first 2 shown]
	s_and_saveexec_b64 s[20:21], vcc
	s_cbranch_execz .LBB399_185
; %bb.182:
	v_cmp_lt_u32_e32 vcc, v5, v9
	s_mov_b64 s[22:23], 0
	s_and_saveexec_b64 s[18:19], vcc
	s_cbranch_execz .LBB399_184
; %bb.183:
	v_lshrrev_b32_e32 v3, 31, v2
	v_add_u32_e32 v3, v2, v3
	v_lshrrev_b32_e32 v12, 31, v11
	v_and_b32_e32 v3, -2, v3
	v_add_u32_e32 v12, v11, v12
	v_sub_u32_e32 v3, v2, v3
	v_and_b32_e32 v12, -2, v12
	v_cmp_ge_i32_e32 vcc, v2, v11
	v_sub_u32_e32 v12, v11, v12
	s_nop 0
	v_cndmask_b32_e64 v13, 0, 1, vcc
	v_cmp_ne_u32_e32 vcc, 0, v3
	s_nop 1
	v_cndmask_b32_e64 v14, 0, 1, vcc
	v_cmp_eq_u32_e32 vcc, v3, v12
	s_nop 1
	v_cndmask_b32_e32 v3, v14, v13, vcc
	v_and_b32_e32 v3, 1, v3
	v_cmp_eq_u32_e32 vcc, 1, v3
	s_and_b64 s[22:23], vcc, exec
.LBB399_184:
	s_or_b64 exec, exec, s[18:19]
	s_orn2_b64 s[18:19], s[22:23], exec
.LBB399_185:
	s_or_b64 exec, exec, s[20:21]
	v_cndmask_b32_e64 v3, v4, v5, s[18:19]
	v_cndmask_b32_e64 v12, v10, v9, s[18:19]
	v_add_u32_e32 v13, 1, v3
	v_add_u32_e32 v3, -1, v12
	v_min_u32_e32 v3, v13, v3
	v_lshlrev_b32_e32 v3, 2, v3
	ds_read_b32 v12, v3
	v_cndmask_b32_e64 v4, v13, v4, s[18:19]
	v_cndmask_b32_e64 v5, v5, v13, s[18:19]
	v_cmp_lt_u32_e32 vcc, v4, v10
	s_mov_b64 s[22:23], -1
	s_waitcnt lgkmcnt(0)
	v_cndmask_b32_e64 v3, v12, v2, s[18:19]
	v_cndmask_b32_e64 v12, v11, v12, s[18:19]
	s_mov_b64 s[20:21], -1
	s_and_saveexec_b64 s[24:25], vcc
	s_cbranch_execz .LBB399_189
; %bb.186:
	v_cmp_lt_u32_e32 vcc, v5, v9
	s_mov_b64 s[26:27], 0
	s_and_saveexec_b64 s[20:21], vcc
	s_cbranch_execz .LBB399_188
; %bb.187:
	v_lshrrev_b32_e32 v13, 31, v3
	v_add_u32_e32 v13, v3, v13
	v_lshrrev_b32_e32 v14, 31, v12
	v_and_b32_e32 v13, -2, v13
	v_add_u32_e32 v14, v12, v14
	v_sub_u32_e32 v13, v3, v13
	v_and_b32_e32 v14, -2, v14
	v_cmp_ge_i32_e32 vcc, v3, v12
	v_sub_u32_e32 v14, v12, v14
	s_nop 0
	v_cndmask_b32_e64 v15, 0, 1, vcc
	v_cmp_ne_u32_e32 vcc, 0, v13
	s_nop 1
	v_cndmask_b32_e64 v31, 0, 1, vcc
	v_cmp_eq_u32_e32 vcc, v13, v14
	s_nop 1
	v_cndmask_b32_e32 v13, v31, v15, vcc
	v_and_b32_e32 v13, 1, v13
	v_cmp_eq_u32_e32 vcc, 1, v13
	s_and_b64 s[26:27], vcc, exec
.LBB399_188:
	s_or_b64 exec, exec, s[20:21]
	s_orn2_b64 s[20:21], s[26:27], exec
.LBB399_189:
	s_or_b64 exec, exec, s[24:25]
	v_cndmask_b32_e64 v13, v4, v5, s[20:21]
	v_cndmask_b32_e64 v14, v10, v9, s[20:21]
	v_add_u32_e32 v15, 1, v13
	v_add_u32_e32 v13, -1, v14
	v_min_u32_e32 v13, v15, v13
	v_lshlrev_b32_e32 v13, 2, v13
	ds_read_b32 v13, v13
	v_cndmask_b32_e64 v14, v15, v4, s[20:21]
	v_cndmask_b32_e64 v15, v5, v15, s[20:21]
	v_cmp_lt_u32_e32 vcc, v14, v10
	s_waitcnt lgkmcnt(0)
	v_cndmask_b32_e64 v4, v13, v3, s[20:21]
	v_cndmask_b32_e64 v13, v12, v13, s[20:21]
	s_and_saveexec_b64 s[24:25], vcc
	s_cbranch_execz .LBB399_193
; %bb.190:
	v_cmp_lt_u32_e32 vcc, v15, v9
	s_mov_b64 s[26:27], 0
	s_and_saveexec_b64 s[22:23], vcc
	s_cbranch_execz .LBB399_192
; %bb.191:
	v_lshrrev_b32_e32 v5, 31, v4
	v_add_u32_e32 v5, v4, v5
	v_lshrrev_b32_e32 v31, 31, v13
	v_and_b32_e32 v5, -2, v5
	v_add_u32_e32 v31, v13, v31
	v_sub_u32_e32 v5, v4, v5
	v_and_b32_e32 v31, -2, v31
	v_cmp_ge_i32_e32 vcc, v4, v13
	v_sub_u32_e32 v31, v13, v31
	s_nop 0
	v_cndmask_b32_e64 v33, 0, 1, vcc
	v_cmp_ne_u32_e32 vcc, 0, v5
	s_nop 1
	v_cndmask_b32_e64 v34, 0, 1, vcc
	v_cmp_eq_u32_e32 vcc, v5, v31
	s_nop 1
	v_cndmask_b32_e32 v5, v34, v33, vcc
	v_and_b32_e32 v5, 1, v5
	v_cmp_eq_u32_e32 vcc, 1, v5
	s_and_b64 s[26:27], vcc, exec
.LBB399_192:
	s_or_b64 exec, exec, s[22:23]
	s_orn2_b64 s[22:23], s[26:27], exec
.LBB399_193:
	s_or_b64 exec, exec, s[24:25]
	v_cndmask_b32_e64 v5, v14, v15, s[22:23]
	v_cndmask_b32_e64 v31, v10, v9, s[22:23]
	v_add_u32_e32 v33, 1, v5
	v_add_u32_e32 v5, -1, v31
	v_min_u32_e32 v5, v33, v5
	v_lshlrev_b32_e32 v5, 2, v5
	ds_read_b32 v31, v5
	v_cndmask_b32_e64 v14, v33, v14, s[22:23]
	v_cndmask_b32_e64 v33, v15, v33, s[22:23]
	v_cmp_lt_u32_e32 vcc, v14, v10
	s_mov_b64 s[24:25], -1
	s_waitcnt lgkmcnt(0)
	v_cndmask_b32_e64 v5, v31, v4, s[22:23]
	v_cndmask_b32_e64 v31, v13, v31, s[22:23]
	s_mov_b64 s[26:27], -1
	s_and_saveexec_b64 s[30:31], vcc
	s_cbranch_execz .LBB399_197
; %bb.194:
	v_cmp_lt_u32_e32 vcc, v33, v9
	s_mov_b64 s[34:35], 0
	s_and_saveexec_b64 s[26:27], vcc
	s_cbranch_execz .LBB399_196
; %bb.195:
	v_lshrrev_b32_e32 v15, 31, v5
	v_add_u32_e32 v15, v5, v15
	v_lshrrev_b32_e32 v34, 31, v31
	v_and_b32_e32 v15, -2, v15
	v_add_u32_e32 v34, v31, v34
	v_sub_u32_e32 v15, v5, v15
	v_and_b32_e32 v34, -2, v34
	v_cmp_ge_i32_e32 vcc, v5, v31
	v_sub_u32_e32 v34, v31, v34
	s_nop 0
	v_cndmask_b32_e64 v35, 0, 1, vcc
	v_cmp_ne_u32_e32 vcc, 0, v15
	s_nop 1
	v_cndmask_b32_e64 v36, 0, 1, vcc
	v_cmp_eq_u32_e32 vcc, v15, v34
	s_nop 1
	v_cndmask_b32_e32 v15, v36, v35, vcc
	v_and_b32_e32 v15, 1, v15
	v_cmp_eq_u32_e32 vcc, 1, v15
	s_and_b64 s[34:35], vcc, exec
.LBB399_196:
	s_or_b64 exec, exec, s[26:27]
	s_orn2_b64 s[26:27], s[34:35], exec
.LBB399_197:
	s_or_b64 exec, exec, s[30:31]
	v_cndmask_b32_e64 v15, v14, v33, s[26:27]
	v_cndmask_b32_e64 v34, v10, v9, s[26:27]
	v_add_u32_e32 v35, 1, v15
	v_add_u32_e32 v15, -1, v34
	v_min_u32_e32 v15, v35, v15
	v_lshlrev_b32_e32 v15, 2, v15
	ds_read_b32 v15, v15
	v_cndmask_b32_e64 v34, v35, v14, s[26:27]
	v_cndmask_b32_e64 v33, v33, v35, s[26:27]
	v_cmp_lt_u32_e32 vcc, v34, v10
	s_waitcnt lgkmcnt(0)
	v_cndmask_b32_e64 v14, v15, v5, s[26:27]
	v_cndmask_b32_e64 v15, v31, v15, s[26:27]
	s_and_saveexec_b64 s[30:31], vcc
	s_cbranch_execz .LBB399_201
; %bb.198:
	v_cmp_lt_u32_e32 vcc, v33, v9
	s_mov_b64 s[34:35], 0
	s_and_saveexec_b64 s[24:25], vcc
	s_cbranch_execz .LBB399_200
; %bb.199:
	v_lshrrev_b32_e32 v35, 31, v14
	v_add_u32_e32 v35, v14, v35
	v_lshrrev_b32_e32 v36, 31, v15
	v_and_b32_e32 v35, -2, v35
	v_add_u32_e32 v36, v15, v36
	v_sub_u32_e32 v35, v14, v35
	v_and_b32_e32 v36, -2, v36
	v_cmp_ge_i32_e32 vcc, v14, v15
	v_sub_u32_e32 v36, v15, v36
	s_nop 0
	v_cndmask_b32_e64 v37, 0, 1, vcc
	v_cmp_ne_u32_e32 vcc, 0, v35
	s_nop 1
	v_cndmask_b32_e64 v38, 0, 1, vcc
	v_cmp_eq_u32_e32 vcc, v35, v36
	s_nop 1
	v_cndmask_b32_e32 v35, v38, v37, vcc
	v_and_b32_e32 v35, 1, v35
	v_cmp_eq_u32_e32 vcc, 1, v35
	s_and_b64 s[34:35], vcc, exec
.LBB399_200:
	s_or_b64 exec, exec, s[24:25]
	s_orn2_b64 s[24:25], s[34:35], exec
.LBB399_201:
	s_or_b64 exec, exec, s[30:31]
	v_cndmask_b32_e64 v5, v5, v31, s[26:27]
	v_cndmask_b32_e64 v4, v4, v13, s[22:23]
	;; [unrolled: 1-line block ×4, first 2 shown]
	v_add_u32_e32 v13, 1, v13
	v_add_u32_e32 v31, -1, v31
	v_min_u32_e32 v31, v13, v31
	v_lshlrev_b32_e32 v31, 2, v31
	ds_read_b32 v31, v31
	v_cndmask_b32_e64 v0, v6, v0, s[10:11]
	v_cndmask_b32_e64 v6, v13, v34, s[24:25]
	;; [unrolled: 1-line block ×5, first 2 shown]
	s_waitcnt lgkmcnt(0)
	v_cndmask_b32_e64 v7, v15, v31, s[24:25]
	v_cmp_lt_u32_e32 vcc, v6, v10
	s_and_saveexec_b64 s[0:1], vcc
	s_cbranch_execz .LBB399_205
; %bb.202:
	v_cndmask_b32_e64 v10, v33, v13, s[24:25]
	v_cndmask_b32_e64 v6, v31, v14, s[24:25]
	v_cmp_lt_u32_e32 vcc, v10, v9
	s_and_saveexec_b64 s[10:11], vcc
	s_cbranch_execz .LBB399_204
; %bb.203:
	v_lshrrev_b32_e32 v9, 31, v6
	v_add_u32_e32 v9, v6, v9
	v_lshrrev_b32_e32 v10, 31, v7
	v_and_b32_e32 v9, -2, v9
	v_add_u32_e32 v10, v7, v10
	v_sub_u32_e32 v9, v6, v9
	v_and_b32_e32 v10, -2, v10
	v_cmp_ge_i32_e32 vcc, v6, v7
	v_sub_u32_e32 v10, v7, v10
	s_nop 0
	v_cndmask_b32_e64 v11, 0, 1, vcc
	v_cmp_ne_u32_e32 vcc, 0, v9
	s_nop 1
	v_cndmask_b32_e64 v12, 0, 1, vcc
	v_cmp_eq_u32_e32 vcc, v9, v10
	s_nop 1
	v_cndmask_b32_e32 v9, v12, v11, vcc
	v_and_b32_e32 v9, 1, v9
	v_cmp_eq_u32_e32 vcc, 1, v9
	s_nop 1
	v_cndmask_b32_e32 v6, v6, v7, vcc
.LBB399_204:
	s_or_b64 exec, exec, s[10:11]
	v_mov_b32_e32 v7, v6
.LBB399_205:
	s_or_b64 exec, exec, s[0:1]
	v_cndmask_b32_e64 v6, v14, v15, s[24:25]
.LBB399_206:
	s_or_b64 exec, exec, s[8:9]
	v_and_b32_e32 v13, 0x1e00, v8
	v_or_b32_e32 v10, 0x100, v13
	v_min_u32_e32 v9, 0x800, v10
	v_min_u32_e32 v10, 0x700, v10
	v_add_u32_e32 v10, 0x100, v10
	v_and_b32_e32 v14, 0x1f8, v8
	v_sub_u32_e32 v15, v9, v13
	v_sub_u32_e32 v12, v10, v9
	v_sub_u32_e64 v12, v14, v12 clamp
	v_min_u32_e32 v15, v14, v15
	v_lshlrev_b32_e32 v11, 2, v13
	v_cmp_lt_u32_e32 vcc, v12, v15
	s_barrier
	ds_write_b128 v32, v[0:3]
	ds_write_b128 v32, v[4:7] offset:16
	s_waitcnt lgkmcnt(0)
	s_barrier
	s_and_saveexec_b64 s[0:1], vcc
	s_cbranch_execz .LBB399_210
; %bb.207:
	v_lshlrev_b32_e32 v31, 2, v14
	v_lshl_add_u32 v31, v9, 2, v31
	s_mov_b64 s[8:9], 0
.LBB399_208:                            ; =>This Inner Loop Header: Depth=1
	v_add_u32_e32 v33, v15, v12
	v_lshrrev_b32_e32 v33, 1, v33
	v_not_b32_e32 v34, v33
	v_lshl_add_u32 v35, v33, 2, v11
	v_lshl_add_u32 v34, v34, 2, v31
	ds_read_b32 v35, v35
	ds_read_b32 v34, v34
	v_add_u32_e32 v36, 1, v33
	s_waitcnt lgkmcnt(1)
	v_lshrrev_b32_e32 v37, 31, v35
	s_waitcnt lgkmcnt(0)
	v_lshrrev_b32_e32 v38, 31, v34
	v_add_u32_e32 v38, v34, v38
	v_add_u32_e32 v37, v35, v37
	v_and_b32_e32 v38, -2, v38
	v_cmp_lt_i32_e32 vcc, v34, v35
	v_and_b32_e32 v37, -2, v37
	v_sub_u32_e32 v34, v34, v38
	v_cndmask_b32_e64 v39, 0, 1, vcc
	v_sub_u32_e32 v35, v35, v37
	v_cmp_eq_u32_e32 vcc, 0, v34
	s_nop 1
	v_cndmask_b32_e64 v37, 0, 1, vcc
	v_cmp_eq_u32_e32 vcc, v34, v35
	s_nop 1
	v_cndmask_b32_e32 v34, v37, v39, vcc
	v_and_b32_e32 v34, 1, v34
	v_cmp_eq_u32_e32 vcc, 1, v34
	s_nop 1
	v_cndmask_b32_e32 v15, v15, v33, vcc
	v_cndmask_b32_e32 v12, v36, v12, vcc
	v_cmp_ge_u32_e32 vcc, v12, v15
	s_or_b64 s[8:9], vcc, s[8:9]
	s_andn2_b64 exec, exec, s[8:9]
	s_cbranch_execnz .LBB399_208
; %bb.209:
	s_or_b64 exec, exec, s[8:9]
.LBB399_210:
	s_or_b64 exec, exec, s[0:1]
	v_sub_u32_e32 v14, v14, v12
	v_add_u32_e32 v13, v12, v13
	v_add_u32_e32 v14, v14, v9
	v_cmp_le_u32_e32 vcc, v13, v9
	v_cmp_le_u32_e64 s[0:1], v14, v10
	s_or_b64 s[0:1], vcc, s[0:1]
	s_and_saveexec_b64 s[8:9], s[0:1]
	s_cbranch_execz .LBB399_246
; %bb.211:
	v_cmp_ge_u32_e32 vcc, v13, v9
	v_cmp_lt_u32_e64 s[0:1], v13, v9
                                        ; implicit-def: $vgpr0
	s_and_saveexec_b64 s[10:11], s[0:1]
; %bb.212:
	v_lshl_add_u32 v0, v12, 2, v11
	ds_read_b32 v0, v0
; %bb.213:
	s_or_b64 exec, exec, s[10:11]
	v_cmp_ge_u32_e64 s[10:11], v14, v10
	v_cmp_lt_u32_e64 s[0:1], v14, v10
                                        ; implicit-def: $vgpr6
	s_and_saveexec_b64 s[18:19], s[0:1]
; %bb.214:
	v_lshlrev_b32_e32 v1, 2, v14
	ds_read_b32 v6, v1
; %bb.215:
	s_or_b64 exec, exec, s[18:19]
	s_nor_b64 s[18:19], vcc, s[10:11]
	s_and_saveexec_b64 s[0:1], s[18:19]
	s_cbranch_execz .LBB399_217
; %bb.216:
	s_waitcnt lgkmcnt(0)
	v_lshrrev_b32_e32 v1, 31, v6
	v_add_u32_e32 v1, v6, v1
	v_lshrrev_b32_e32 v2, 31, v0
	v_and_b32_e32 v1, -2, v1
	v_add_u32_e32 v2, v0, v2
	v_sub_u32_e32 v1, v6, v1
	v_and_b32_e32 v2, -2, v2
	v_cmp_ge_i32_e32 vcc, v6, v0
	v_sub_u32_e32 v2, v0, v2
	s_andn2_b64 s[10:11], s[10:11], exec
	v_cndmask_b32_e64 v3, 0, 1, vcc
	v_cmp_ne_u32_e32 vcc, 0, v1
	s_nop 1
	v_cndmask_b32_e64 v4, 0, 1, vcc
	v_cmp_eq_u32_e32 vcc, v1, v2
	s_nop 1
	v_cndmask_b32_e32 v1, v4, v3, vcc
	v_and_b32_e32 v1, 1, v1
	v_cmp_eq_u32_e32 vcc, 1, v1
	s_and_b64 s[18:19], vcc, exec
	s_or_b64 s[10:11], s[10:11], s[18:19]
.LBB399_217:
	s_or_b64 exec, exec, s[0:1]
	v_cndmask_b32_e64 v1, v14, v13, s[10:11]
	v_cndmask_b32_e64 v2, v10, v9, s[10:11]
	v_add_u32_e32 v3, 1, v1
	v_add_u32_e32 v1, -1, v2
	v_min_u32_e32 v1, v3, v1
	v_lshlrev_b32_e32 v1, 2, v1
	ds_read_b32 v4, v1
	v_cndmask_b32_e64 v2, v3, v14, s[10:11]
	v_cndmask_b32_e64 v3, v13, v3, s[10:11]
	v_cmp_lt_u32_e32 vcc, v2, v10
	s_mov_b64 s[18:19], -1
	s_waitcnt lgkmcnt(0)
	v_cndmask_b32_e64 v1, v4, v6, s[10:11]
	v_cndmask_b32_e64 v7, v0, v4, s[10:11]
	s_mov_b64 s[0:1], -1
	s_and_saveexec_b64 s[20:21], vcc
	s_cbranch_execz .LBB399_221
; %bb.218:
	v_cmp_lt_u32_e32 vcc, v3, v9
	s_mov_b64 s[22:23], 0
	s_and_saveexec_b64 s[0:1], vcc
	s_cbranch_execz .LBB399_220
; %bb.219:
	v_lshrrev_b32_e32 v4, 31, v1
	v_add_u32_e32 v4, v1, v4
	v_lshrrev_b32_e32 v5, 31, v7
	v_and_b32_e32 v4, -2, v4
	v_add_u32_e32 v5, v7, v5
	v_sub_u32_e32 v4, v1, v4
	v_and_b32_e32 v5, -2, v5
	v_cmp_ge_i32_e32 vcc, v1, v7
	v_sub_u32_e32 v5, v7, v5
	s_nop 0
	v_cndmask_b32_e64 v11, 0, 1, vcc
	v_cmp_ne_u32_e32 vcc, 0, v4
	s_nop 1
	v_cndmask_b32_e64 v12, 0, 1, vcc
	v_cmp_eq_u32_e32 vcc, v4, v5
	s_nop 1
	v_cndmask_b32_e32 v4, v12, v11, vcc
	v_and_b32_e32 v4, 1, v4
	v_cmp_eq_u32_e32 vcc, 1, v4
	s_and_b64 s[22:23], vcc, exec
.LBB399_220:
	s_or_b64 exec, exec, s[0:1]
	s_orn2_b64 s[0:1], s[22:23], exec
.LBB399_221:
	s_or_b64 exec, exec, s[20:21]
	v_cndmask_b32_e64 v4, v2, v3, s[0:1]
	v_cndmask_b32_e64 v5, v10, v9, s[0:1]
	v_add_u32_e32 v12, 1, v4
	v_add_u32_e32 v4, -1, v5
	v_min_u32_e32 v4, v12, v4
	v_lshlrev_b32_e32 v4, 2, v4
	ds_read_b32 v5, v4
	v_cndmask_b32_e64 v4, v12, v2, s[0:1]
	v_cmp_lt_u32_e32 vcc, v4, v10
	s_waitcnt lgkmcnt(0)
	v_cndmask_b32_e64 v2, v5, v1, s[0:1]
	v_cndmask_b32_e64 v11, v7, v5, s[0:1]
	;; [unrolled: 1-line block ×3, first 2 shown]
	s_and_saveexec_b64 s[20:21], vcc
	s_cbranch_execz .LBB399_225
; %bb.222:
	v_cmp_lt_u32_e32 vcc, v5, v9
	s_mov_b64 s[22:23], 0
	s_and_saveexec_b64 s[18:19], vcc
	s_cbranch_execz .LBB399_224
; %bb.223:
	v_lshrrev_b32_e32 v3, 31, v2
	v_add_u32_e32 v3, v2, v3
	v_lshrrev_b32_e32 v12, 31, v11
	v_and_b32_e32 v3, -2, v3
	v_add_u32_e32 v12, v11, v12
	v_sub_u32_e32 v3, v2, v3
	v_and_b32_e32 v12, -2, v12
	v_cmp_ge_i32_e32 vcc, v2, v11
	v_sub_u32_e32 v12, v11, v12
	s_nop 0
	v_cndmask_b32_e64 v13, 0, 1, vcc
	v_cmp_ne_u32_e32 vcc, 0, v3
	s_nop 1
	v_cndmask_b32_e64 v14, 0, 1, vcc
	v_cmp_eq_u32_e32 vcc, v3, v12
	s_nop 1
	v_cndmask_b32_e32 v3, v14, v13, vcc
	v_and_b32_e32 v3, 1, v3
	v_cmp_eq_u32_e32 vcc, 1, v3
	s_and_b64 s[22:23], vcc, exec
.LBB399_224:
	s_or_b64 exec, exec, s[18:19]
	s_orn2_b64 s[18:19], s[22:23], exec
.LBB399_225:
	s_or_b64 exec, exec, s[20:21]
	v_cndmask_b32_e64 v3, v4, v5, s[18:19]
	v_cndmask_b32_e64 v12, v10, v9, s[18:19]
	v_add_u32_e32 v13, 1, v3
	v_add_u32_e32 v3, -1, v12
	v_min_u32_e32 v3, v13, v3
	v_lshlrev_b32_e32 v3, 2, v3
	ds_read_b32 v12, v3
	v_cndmask_b32_e64 v4, v13, v4, s[18:19]
	v_cndmask_b32_e64 v5, v5, v13, s[18:19]
	v_cmp_lt_u32_e32 vcc, v4, v10
	s_mov_b64 s[22:23], -1
	s_waitcnt lgkmcnt(0)
	v_cndmask_b32_e64 v3, v12, v2, s[18:19]
	v_cndmask_b32_e64 v12, v11, v12, s[18:19]
	s_mov_b64 s[20:21], -1
	s_and_saveexec_b64 s[24:25], vcc
	s_cbranch_execz .LBB399_229
; %bb.226:
	v_cmp_lt_u32_e32 vcc, v5, v9
	s_mov_b64 s[26:27], 0
	s_and_saveexec_b64 s[20:21], vcc
	s_cbranch_execz .LBB399_228
; %bb.227:
	v_lshrrev_b32_e32 v13, 31, v3
	v_add_u32_e32 v13, v3, v13
	v_lshrrev_b32_e32 v14, 31, v12
	v_and_b32_e32 v13, -2, v13
	v_add_u32_e32 v14, v12, v14
	v_sub_u32_e32 v13, v3, v13
	v_and_b32_e32 v14, -2, v14
	v_cmp_ge_i32_e32 vcc, v3, v12
	v_sub_u32_e32 v14, v12, v14
	s_nop 0
	v_cndmask_b32_e64 v15, 0, 1, vcc
	v_cmp_ne_u32_e32 vcc, 0, v13
	s_nop 1
	v_cndmask_b32_e64 v31, 0, 1, vcc
	v_cmp_eq_u32_e32 vcc, v13, v14
	s_nop 1
	v_cndmask_b32_e32 v13, v31, v15, vcc
	v_and_b32_e32 v13, 1, v13
	v_cmp_eq_u32_e32 vcc, 1, v13
	s_and_b64 s[26:27], vcc, exec
.LBB399_228:
	s_or_b64 exec, exec, s[20:21]
	s_orn2_b64 s[20:21], s[26:27], exec
.LBB399_229:
	s_or_b64 exec, exec, s[24:25]
	v_cndmask_b32_e64 v13, v4, v5, s[20:21]
	v_cndmask_b32_e64 v14, v10, v9, s[20:21]
	v_add_u32_e32 v15, 1, v13
	v_add_u32_e32 v13, -1, v14
	v_min_u32_e32 v13, v15, v13
	v_lshlrev_b32_e32 v13, 2, v13
	ds_read_b32 v13, v13
	v_cndmask_b32_e64 v14, v15, v4, s[20:21]
	v_cndmask_b32_e64 v15, v5, v15, s[20:21]
	v_cmp_lt_u32_e32 vcc, v14, v10
	s_waitcnt lgkmcnt(0)
	v_cndmask_b32_e64 v4, v13, v3, s[20:21]
	v_cndmask_b32_e64 v13, v12, v13, s[20:21]
	s_and_saveexec_b64 s[24:25], vcc
	s_cbranch_execz .LBB399_233
; %bb.230:
	v_cmp_lt_u32_e32 vcc, v15, v9
	s_mov_b64 s[26:27], 0
	s_and_saveexec_b64 s[22:23], vcc
	s_cbranch_execz .LBB399_232
; %bb.231:
	v_lshrrev_b32_e32 v5, 31, v4
	v_add_u32_e32 v5, v4, v5
	v_lshrrev_b32_e32 v31, 31, v13
	v_and_b32_e32 v5, -2, v5
	v_add_u32_e32 v31, v13, v31
	v_sub_u32_e32 v5, v4, v5
	v_and_b32_e32 v31, -2, v31
	v_cmp_ge_i32_e32 vcc, v4, v13
	v_sub_u32_e32 v31, v13, v31
	s_nop 0
	v_cndmask_b32_e64 v33, 0, 1, vcc
	v_cmp_ne_u32_e32 vcc, 0, v5
	s_nop 1
	v_cndmask_b32_e64 v34, 0, 1, vcc
	v_cmp_eq_u32_e32 vcc, v5, v31
	s_nop 1
	v_cndmask_b32_e32 v5, v34, v33, vcc
	v_and_b32_e32 v5, 1, v5
	v_cmp_eq_u32_e32 vcc, 1, v5
	s_and_b64 s[26:27], vcc, exec
.LBB399_232:
	s_or_b64 exec, exec, s[22:23]
	s_orn2_b64 s[22:23], s[26:27], exec
.LBB399_233:
	s_or_b64 exec, exec, s[24:25]
	v_cndmask_b32_e64 v5, v14, v15, s[22:23]
	v_cndmask_b32_e64 v31, v10, v9, s[22:23]
	v_add_u32_e32 v33, 1, v5
	v_add_u32_e32 v5, -1, v31
	v_min_u32_e32 v5, v33, v5
	v_lshlrev_b32_e32 v5, 2, v5
	ds_read_b32 v31, v5
	v_cndmask_b32_e64 v14, v33, v14, s[22:23]
	v_cndmask_b32_e64 v33, v15, v33, s[22:23]
	v_cmp_lt_u32_e32 vcc, v14, v10
	s_mov_b64 s[24:25], -1
	s_waitcnt lgkmcnt(0)
	v_cndmask_b32_e64 v5, v31, v4, s[22:23]
	v_cndmask_b32_e64 v31, v13, v31, s[22:23]
	s_mov_b64 s[26:27], -1
	s_and_saveexec_b64 s[30:31], vcc
	s_cbranch_execz .LBB399_237
; %bb.234:
	v_cmp_lt_u32_e32 vcc, v33, v9
	s_mov_b64 s[34:35], 0
	s_and_saveexec_b64 s[26:27], vcc
	s_cbranch_execz .LBB399_236
; %bb.235:
	v_lshrrev_b32_e32 v15, 31, v5
	v_add_u32_e32 v15, v5, v15
	v_lshrrev_b32_e32 v34, 31, v31
	v_and_b32_e32 v15, -2, v15
	v_add_u32_e32 v34, v31, v34
	v_sub_u32_e32 v15, v5, v15
	v_and_b32_e32 v34, -2, v34
	v_cmp_ge_i32_e32 vcc, v5, v31
	v_sub_u32_e32 v34, v31, v34
	s_nop 0
	v_cndmask_b32_e64 v35, 0, 1, vcc
	v_cmp_ne_u32_e32 vcc, 0, v15
	s_nop 1
	v_cndmask_b32_e64 v36, 0, 1, vcc
	v_cmp_eq_u32_e32 vcc, v15, v34
	s_nop 1
	v_cndmask_b32_e32 v15, v36, v35, vcc
	v_and_b32_e32 v15, 1, v15
	v_cmp_eq_u32_e32 vcc, 1, v15
	s_and_b64 s[34:35], vcc, exec
.LBB399_236:
	s_or_b64 exec, exec, s[26:27]
	s_orn2_b64 s[26:27], s[34:35], exec
.LBB399_237:
	s_or_b64 exec, exec, s[30:31]
	v_cndmask_b32_e64 v15, v14, v33, s[26:27]
	v_cndmask_b32_e64 v34, v10, v9, s[26:27]
	v_add_u32_e32 v35, 1, v15
	v_add_u32_e32 v15, -1, v34
	v_min_u32_e32 v15, v35, v15
	v_lshlrev_b32_e32 v15, 2, v15
	ds_read_b32 v15, v15
	v_cndmask_b32_e64 v34, v35, v14, s[26:27]
	v_cndmask_b32_e64 v33, v33, v35, s[26:27]
	v_cmp_lt_u32_e32 vcc, v34, v10
	s_waitcnt lgkmcnt(0)
	v_cndmask_b32_e64 v14, v15, v5, s[26:27]
	v_cndmask_b32_e64 v15, v31, v15, s[26:27]
	s_and_saveexec_b64 s[30:31], vcc
	s_cbranch_execz .LBB399_241
; %bb.238:
	v_cmp_lt_u32_e32 vcc, v33, v9
	s_mov_b64 s[34:35], 0
	s_and_saveexec_b64 s[24:25], vcc
	s_cbranch_execz .LBB399_240
; %bb.239:
	v_lshrrev_b32_e32 v35, 31, v14
	v_add_u32_e32 v35, v14, v35
	v_lshrrev_b32_e32 v36, 31, v15
	v_and_b32_e32 v35, -2, v35
	v_add_u32_e32 v36, v15, v36
	v_sub_u32_e32 v35, v14, v35
	v_and_b32_e32 v36, -2, v36
	v_cmp_ge_i32_e32 vcc, v14, v15
	v_sub_u32_e32 v36, v15, v36
	s_nop 0
	v_cndmask_b32_e64 v37, 0, 1, vcc
	v_cmp_ne_u32_e32 vcc, 0, v35
	s_nop 1
	v_cndmask_b32_e64 v38, 0, 1, vcc
	v_cmp_eq_u32_e32 vcc, v35, v36
	s_nop 1
	v_cndmask_b32_e32 v35, v38, v37, vcc
	v_and_b32_e32 v35, 1, v35
	v_cmp_eq_u32_e32 vcc, 1, v35
	s_and_b64 s[34:35], vcc, exec
.LBB399_240:
	s_or_b64 exec, exec, s[24:25]
	s_orn2_b64 s[24:25], s[34:35], exec
.LBB399_241:
	s_or_b64 exec, exec, s[30:31]
	v_cndmask_b32_e64 v5, v5, v31, s[26:27]
	v_cndmask_b32_e64 v4, v4, v13, s[22:23]
	;; [unrolled: 1-line block ×4, first 2 shown]
	v_add_u32_e32 v13, 1, v13
	v_add_u32_e32 v31, -1, v31
	v_min_u32_e32 v31, v13, v31
	v_lshlrev_b32_e32 v31, 2, v31
	ds_read_b32 v31, v31
	v_cndmask_b32_e64 v0, v6, v0, s[10:11]
	v_cndmask_b32_e64 v6, v13, v34, s[24:25]
	;; [unrolled: 1-line block ×5, first 2 shown]
	s_waitcnt lgkmcnt(0)
	v_cndmask_b32_e64 v7, v15, v31, s[24:25]
	v_cmp_lt_u32_e32 vcc, v6, v10
	s_and_saveexec_b64 s[0:1], vcc
	s_cbranch_execz .LBB399_245
; %bb.242:
	v_cndmask_b32_e64 v10, v33, v13, s[24:25]
	v_cndmask_b32_e64 v6, v31, v14, s[24:25]
	v_cmp_lt_u32_e32 vcc, v10, v9
	s_and_saveexec_b64 s[10:11], vcc
	s_cbranch_execz .LBB399_244
; %bb.243:
	v_lshrrev_b32_e32 v9, 31, v6
	v_add_u32_e32 v9, v6, v9
	v_lshrrev_b32_e32 v10, 31, v7
	v_and_b32_e32 v9, -2, v9
	v_add_u32_e32 v10, v7, v10
	v_sub_u32_e32 v9, v6, v9
	v_and_b32_e32 v10, -2, v10
	v_cmp_ge_i32_e32 vcc, v6, v7
	v_sub_u32_e32 v10, v7, v10
	s_nop 0
	v_cndmask_b32_e64 v11, 0, 1, vcc
	v_cmp_ne_u32_e32 vcc, 0, v9
	s_nop 1
	v_cndmask_b32_e64 v12, 0, 1, vcc
	v_cmp_eq_u32_e32 vcc, v9, v10
	s_nop 1
	v_cndmask_b32_e32 v9, v12, v11, vcc
	v_and_b32_e32 v9, 1, v9
	v_cmp_eq_u32_e32 vcc, 1, v9
	s_nop 1
	v_cndmask_b32_e32 v6, v6, v7, vcc
.LBB399_244:
	s_or_b64 exec, exec, s[10:11]
	v_mov_b32_e32 v7, v6
.LBB399_245:
	s_or_b64 exec, exec, s[0:1]
	v_cndmask_b32_e64 v6, v14, v15, s[24:25]
.LBB399_246:
	s_or_b64 exec, exec, s[8:9]
	v_and_b32_e32 v13, 0x1c00, v8
	v_or_b32_e32 v10, 0x200, v13
	v_min_u32_e32 v9, 0x800, v10
	v_min_u32_e32 v10, 0x600, v10
	v_add_u32_e32 v10, 0x200, v10
	v_and_b32_e32 v14, 0x3f8, v8
	v_sub_u32_e32 v15, v9, v13
	v_sub_u32_e32 v12, v10, v9
	v_sub_u32_e64 v12, v14, v12 clamp
	v_min_u32_e32 v15, v14, v15
	v_lshlrev_b32_e32 v11, 2, v13
	v_cmp_lt_u32_e32 vcc, v12, v15
	s_barrier
	ds_write_b128 v32, v[0:3]
	ds_write_b128 v32, v[4:7] offset:16
	s_waitcnt lgkmcnt(0)
	s_barrier
	s_and_saveexec_b64 s[0:1], vcc
	s_cbranch_execz .LBB399_250
; %bb.247:
	v_lshlrev_b32_e32 v31, 2, v14
	v_lshl_add_u32 v31, v9, 2, v31
	s_mov_b64 s[8:9], 0
.LBB399_248:                            ; =>This Inner Loop Header: Depth=1
	v_add_u32_e32 v33, v15, v12
	v_lshrrev_b32_e32 v33, 1, v33
	v_not_b32_e32 v34, v33
	v_lshl_add_u32 v35, v33, 2, v11
	v_lshl_add_u32 v34, v34, 2, v31
	ds_read_b32 v35, v35
	ds_read_b32 v34, v34
	v_add_u32_e32 v36, 1, v33
	s_waitcnt lgkmcnt(1)
	v_lshrrev_b32_e32 v37, 31, v35
	s_waitcnt lgkmcnt(0)
	v_lshrrev_b32_e32 v38, 31, v34
	v_add_u32_e32 v38, v34, v38
	v_add_u32_e32 v37, v35, v37
	v_and_b32_e32 v38, -2, v38
	v_cmp_lt_i32_e32 vcc, v34, v35
	v_and_b32_e32 v37, -2, v37
	v_sub_u32_e32 v34, v34, v38
	v_cndmask_b32_e64 v39, 0, 1, vcc
	v_sub_u32_e32 v35, v35, v37
	v_cmp_eq_u32_e32 vcc, 0, v34
	s_nop 1
	v_cndmask_b32_e64 v37, 0, 1, vcc
	v_cmp_eq_u32_e32 vcc, v34, v35
	s_nop 1
	v_cndmask_b32_e32 v34, v37, v39, vcc
	v_and_b32_e32 v34, 1, v34
	v_cmp_eq_u32_e32 vcc, 1, v34
	s_nop 1
	v_cndmask_b32_e32 v15, v15, v33, vcc
	v_cndmask_b32_e32 v12, v36, v12, vcc
	v_cmp_ge_u32_e32 vcc, v12, v15
	s_or_b64 s[8:9], vcc, s[8:9]
	s_andn2_b64 exec, exec, s[8:9]
	s_cbranch_execnz .LBB399_248
; %bb.249:
	s_or_b64 exec, exec, s[8:9]
.LBB399_250:
	s_or_b64 exec, exec, s[0:1]
	v_sub_u32_e32 v14, v14, v12
	v_add_u32_e32 v13, v12, v13
	v_add_u32_e32 v14, v14, v9
	v_cmp_le_u32_e32 vcc, v13, v9
	v_cmp_le_u32_e64 s[0:1], v14, v10
	s_or_b64 s[0:1], vcc, s[0:1]
	s_and_saveexec_b64 s[8:9], s[0:1]
	s_cbranch_execz .LBB399_286
; %bb.251:
	v_cmp_ge_u32_e32 vcc, v13, v9
	v_cmp_lt_u32_e64 s[0:1], v13, v9
                                        ; implicit-def: $vgpr0
	s_and_saveexec_b64 s[10:11], s[0:1]
; %bb.252:
	v_lshl_add_u32 v0, v12, 2, v11
	ds_read_b32 v0, v0
; %bb.253:
	s_or_b64 exec, exec, s[10:11]
	v_cmp_ge_u32_e64 s[10:11], v14, v10
	v_cmp_lt_u32_e64 s[0:1], v14, v10
                                        ; implicit-def: $vgpr6
	s_and_saveexec_b64 s[18:19], s[0:1]
; %bb.254:
	v_lshlrev_b32_e32 v1, 2, v14
	ds_read_b32 v6, v1
; %bb.255:
	s_or_b64 exec, exec, s[18:19]
	s_nor_b64 s[18:19], vcc, s[10:11]
	s_and_saveexec_b64 s[0:1], s[18:19]
	s_cbranch_execz .LBB399_257
; %bb.256:
	s_waitcnt lgkmcnt(0)
	v_lshrrev_b32_e32 v1, 31, v6
	v_add_u32_e32 v1, v6, v1
	v_lshrrev_b32_e32 v2, 31, v0
	v_and_b32_e32 v1, -2, v1
	v_add_u32_e32 v2, v0, v2
	v_sub_u32_e32 v1, v6, v1
	v_and_b32_e32 v2, -2, v2
	v_cmp_ge_i32_e32 vcc, v6, v0
	v_sub_u32_e32 v2, v0, v2
	s_andn2_b64 s[10:11], s[10:11], exec
	v_cndmask_b32_e64 v3, 0, 1, vcc
	v_cmp_ne_u32_e32 vcc, 0, v1
	s_nop 1
	v_cndmask_b32_e64 v4, 0, 1, vcc
	v_cmp_eq_u32_e32 vcc, v1, v2
	s_nop 1
	v_cndmask_b32_e32 v1, v4, v3, vcc
	v_and_b32_e32 v1, 1, v1
	v_cmp_eq_u32_e32 vcc, 1, v1
	s_and_b64 s[18:19], vcc, exec
	s_or_b64 s[10:11], s[10:11], s[18:19]
.LBB399_257:
	s_or_b64 exec, exec, s[0:1]
	v_cndmask_b32_e64 v1, v14, v13, s[10:11]
	v_cndmask_b32_e64 v2, v10, v9, s[10:11]
	v_add_u32_e32 v3, 1, v1
	v_add_u32_e32 v1, -1, v2
	v_min_u32_e32 v1, v3, v1
	v_lshlrev_b32_e32 v1, 2, v1
	ds_read_b32 v4, v1
	v_cndmask_b32_e64 v2, v3, v14, s[10:11]
	v_cndmask_b32_e64 v3, v13, v3, s[10:11]
	v_cmp_lt_u32_e32 vcc, v2, v10
	s_mov_b64 s[18:19], -1
	s_waitcnt lgkmcnt(0)
	v_cndmask_b32_e64 v1, v4, v6, s[10:11]
	v_cndmask_b32_e64 v7, v0, v4, s[10:11]
	s_mov_b64 s[0:1], -1
	s_and_saveexec_b64 s[20:21], vcc
	s_cbranch_execz .LBB399_261
; %bb.258:
	v_cmp_lt_u32_e32 vcc, v3, v9
	s_mov_b64 s[22:23], 0
	s_and_saveexec_b64 s[0:1], vcc
	s_cbranch_execz .LBB399_260
; %bb.259:
	v_lshrrev_b32_e32 v4, 31, v1
	v_add_u32_e32 v4, v1, v4
	v_lshrrev_b32_e32 v5, 31, v7
	v_and_b32_e32 v4, -2, v4
	v_add_u32_e32 v5, v7, v5
	v_sub_u32_e32 v4, v1, v4
	v_and_b32_e32 v5, -2, v5
	v_cmp_ge_i32_e32 vcc, v1, v7
	v_sub_u32_e32 v5, v7, v5
	s_nop 0
	v_cndmask_b32_e64 v11, 0, 1, vcc
	v_cmp_ne_u32_e32 vcc, 0, v4
	s_nop 1
	v_cndmask_b32_e64 v12, 0, 1, vcc
	v_cmp_eq_u32_e32 vcc, v4, v5
	s_nop 1
	v_cndmask_b32_e32 v4, v12, v11, vcc
	v_and_b32_e32 v4, 1, v4
	v_cmp_eq_u32_e32 vcc, 1, v4
	s_and_b64 s[22:23], vcc, exec
.LBB399_260:
	s_or_b64 exec, exec, s[0:1]
	s_orn2_b64 s[0:1], s[22:23], exec
.LBB399_261:
	s_or_b64 exec, exec, s[20:21]
	v_cndmask_b32_e64 v4, v2, v3, s[0:1]
	v_cndmask_b32_e64 v5, v10, v9, s[0:1]
	v_add_u32_e32 v12, 1, v4
	v_add_u32_e32 v4, -1, v5
	v_min_u32_e32 v4, v12, v4
	v_lshlrev_b32_e32 v4, 2, v4
	ds_read_b32 v5, v4
	v_cndmask_b32_e64 v4, v12, v2, s[0:1]
	v_cmp_lt_u32_e32 vcc, v4, v10
	s_waitcnt lgkmcnt(0)
	v_cndmask_b32_e64 v2, v5, v1, s[0:1]
	v_cndmask_b32_e64 v11, v7, v5, s[0:1]
	;; [unrolled: 1-line block ×3, first 2 shown]
	s_and_saveexec_b64 s[20:21], vcc
	s_cbranch_execz .LBB399_265
; %bb.262:
	v_cmp_lt_u32_e32 vcc, v5, v9
	s_mov_b64 s[22:23], 0
	s_and_saveexec_b64 s[18:19], vcc
	s_cbranch_execz .LBB399_264
; %bb.263:
	v_lshrrev_b32_e32 v3, 31, v2
	v_add_u32_e32 v3, v2, v3
	v_lshrrev_b32_e32 v12, 31, v11
	v_and_b32_e32 v3, -2, v3
	v_add_u32_e32 v12, v11, v12
	v_sub_u32_e32 v3, v2, v3
	v_and_b32_e32 v12, -2, v12
	v_cmp_ge_i32_e32 vcc, v2, v11
	v_sub_u32_e32 v12, v11, v12
	s_nop 0
	v_cndmask_b32_e64 v13, 0, 1, vcc
	v_cmp_ne_u32_e32 vcc, 0, v3
	s_nop 1
	v_cndmask_b32_e64 v14, 0, 1, vcc
	v_cmp_eq_u32_e32 vcc, v3, v12
	s_nop 1
	v_cndmask_b32_e32 v3, v14, v13, vcc
	v_and_b32_e32 v3, 1, v3
	v_cmp_eq_u32_e32 vcc, 1, v3
	s_and_b64 s[22:23], vcc, exec
.LBB399_264:
	s_or_b64 exec, exec, s[18:19]
	s_orn2_b64 s[18:19], s[22:23], exec
.LBB399_265:
	s_or_b64 exec, exec, s[20:21]
	v_cndmask_b32_e64 v3, v4, v5, s[18:19]
	v_cndmask_b32_e64 v12, v10, v9, s[18:19]
	v_add_u32_e32 v13, 1, v3
	v_add_u32_e32 v3, -1, v12
	v_min_u32_e32 v3, v13, v3
	v_lshlrev_b32_e32 v3, 2, v3
	ds_read_b32 v12, v3
	v_cndmask_b32_e64 v4, v13, v4, s[18:19]
	v_cndmask_b32_e64 v5, v5, v13, s[18:19]
	v_cmp_lt_u32_e32 vcc, v4, v10
	s_mov_b64 s[22:23], -1
	s_waitcnt lgkmcnt(0)
	v_cndmask_b32_e64 v3, v12, v2, s[18:19]
	v_cndmask_b32_e64 v12, v11, v12, s[18:19]
	s_mov_b64 s[20:21], -1
	s_and_saveexec_b64 s[24:25], vcc
	s_cbranch_execz .LBB399_269
; %bb.266:
	v_cmp_lt_u32_e32 vcc, v5, v9
	s_mov_b64 s[26:27], 0
	s_and_saveexec_b64 s[20:21], vcc
	s_cbranch_execz .LBB399_268
; %bb.267:
	v_lshrrev_b32_e32 v13, 31, v3
	v_add_u32_e32 v13, v3, v13
	v_lshrrev_b32_e32 v14, 31, v12
	v_and_b32_e32 v13, -2, v13
	v_add_u32_e32 v14, v12, v14
	v_sub_u32_e32 v13, v3, v13
	v_and_b32_e32 v14, -2, v14
	v_cmp_ge_i32_e32 vcc, v3, v12
	v_sub_u32_e32 v14, v12, v14
	s_nop 0
	v_cndmask_b32_e64 v15, 0, 1, vcc
	v_cmp_ne_u32_e32 vcc, 0, v13
	s_nop 1
	v_cndmask_b32_e64 v31, 0, 1, vcc
	v_cmp_eq_u32_e32 vcc, v13, v14
	s_nop 1
	v_cndmask_b32_e32 v13, v31, v15, vcc
	v_and_b32_e32 v13, 1, v13
	v_cmp_eq_u32_e32 vcc, 1, v13
	s_and_b64 s[26:27], vcc, exec
.LBB399_268:
	s_or_b64 exec, exec, s[20:21]
	s_orn2_b64 s[20:21], s[26:27], exec
.LBB399_269:
	s_or_b64 exec, exec, s[24:25]
	v_cndmask_b32_e64 v13, v4, v5, s[20:21]
	v_cndmask_b32_e64 v14, v10, v9, s[20:21]
	v_add_u32_e32 v15, 1, v13
	v_add_u32_e32 v13, -1, v14
	v_min_u32_e32 v13, v15, v13
	v_lshlrev_b32_e32 v13, 2, v13
	ds_read_b32 v13, v13
	v_cndmask_b32_e64 v14, v15, v4, s[20:21]
	v_cndmask_b32_e64 v15, v5, v15, s[20:21]
	v_cmp_lt_u32_e32 vcc, v14, v10
	s_waitcnt lgkmcnt(0)
	v_cndmask_b32_e64 v4, v13, v3, s[20:21]
	v_cndmask_b32_e64 v13, v12, v13, s[20:21]
	s_and_saveexec_b64 s[24:25], vcc
	s_cbranch_execz .LBB399_273
; %bb.270:
	v_cmp_lt_u32_e32 vcc, v15, v9
	s_mov_b64 s[26:27], 0
	s_and_saveexec_b64 s[22:23], vcc
	s_cbranch_execz .LBB399_272
; %bb.271:
	v_lshrrev_b32_e32 v5, 31, v4
	v_add_u32_e32 v5, v4, v5
	v_lshrrev_b32_e32 v31, 31, v13
	v_and_b32_e32 v5, -2, v5
	v_add_u32_e32 v31, v13, v31
	v_sub_u32_e32 v5, v4, v5
	v_and_b32_e32 v31, -2, v31
	v_cmp_ge_i32_e32 vcc, v4, v13
	v_sub_u32_e32 v31, v13, v31
	s_nop 0
	v_cndmask_b32_e64 v33, 0, 1, vcc
	v_cmp_ne_u32_e32 vcc, 0, v5
	s_nop 1
	v_cndmask_b32_e64 v34, 0, 1, vcc
	v_cmp_eq_u32_e32 vcc, v5, v31
	s_nop 1
	v_cndmask_b32_e32 v5, v34, v33, vcc
	v_and_b32_e32 v5, 1, v5
	v_cmp_eq_u32_e32 vcc, 1, v5
	s_and_b64 s[26:27], vcc, exec
.LBB399_272:
	s_or_b64 exec, exec, s[22:23]
	s_orn2_b64 s[22:23], s[26:27], exec
.LBB399_273:
	s_or_b64 exec, exec, s[24:25]
	v_cndmask_b32_e64 v5, v14, v15, s[22:23]
	v_cndmask_b32_e64 v31, v10, v9, s[22:23]
	v_add_u32_e32 v33, 1, v5
	v_add_u32_e32 v5, -1, v31
	v_min_u32_e32 v5, v33, v5
	v_lshlrev_b32_e32 v5, 2, v5
	ds_read_b32 v31, v5
	v_cndmask_b32_e64 v14, v33, v14, s[22:23]
	v_cndmask_b32_e64 v33, v15, v33, s[22:23]
	v_cmp_lt_u32_e32 vcc, v14, v10
	s_mov_b64 s[24:25], -1
	s_waitcnt lgkmcnt(0)
	v_cndmask_b32_e64 v5, v31, v4, s[22:23]
	v_cndmask_b32_e64 v31, v13, v31, s[22:23]
	s_mov_b64 s[26:27], -1
	s_and_saveexec_b64 s[30:31], vcc
	s_cbranch_execz .LBB399_277
; %bb.274:
	v_cmp_lt_u32_e32 vcc, v33, v9
	s_mov_b64 s[34:35], 0
	s_and_saveexec_b64 s[26:27], vcc
	s_cbranch_execz .LBB399_276
; %bb.275:
	v_lshrrev_b32_e32 v15, 31, v5
	v_add_u32_e32 v15, v5, v15
	v_lshrrev_b32_e32 v34, 31, v31
	v_and_b32_e32 v15, -2, v15
	v_add_u32_e32 v34, v31, v34
	v_sub_u32_e32 v15, v5, v15
	v_and_b32_e32 v34, -2, v34
	v_cmp_ge_i32_e32 vcc, v5, v31
	v_sub_u32_e32 v34, v31, v34
	s_nop 0
	v_cndmask_b32_e64 v35, 0, 1, vcc
	v_cmp_ne_u32_e32 vcc, 0, v15
	s_nop 1
	v_cndmask_b32_e64 v36, 0, 1, vcc
	v_cmp_eq_u32_e32 vcc, v15, v34
	s_nop 1
	v_cndmask_b32_e32 v15, v36, v35, vcc
	v_and_b32_e32 v15, 1, v15
	v_cmp_eq_u32_e32 vcc, 1, v15
	s_and_b64 s[34:35], vcc, exec
.LBB399_276:
	s_or_b64 exec, exec, s[26:27]
	s_orn2_b64 s[26:27], s[34:35], exec
.LBB399_277:
	s_or_b64 exec, exec, s[30:31]
	v_cndmask_b32_e64 v15, v14, v33, s[26:27]
	v_cndmask_b32_e64 v34, v10, v9, s[26:27]
	v_add_u32_e32 v35, 1, v15
	v_add_u32_e32 v15, -1, v34
	v_min_u32_e32 v15, v35, v15
	v_lshlrev_b32_e32 v15, 2, v15
	ds_read_b32 v15, v15
	v_cndmask_b32_e64 v34, v35, v14, s[26:27]
	v_cndmask_b32_e64 v33, v33, v35, s[26:27]
	v_cmp_lt_u32_e32 vcc, v34, v10
	s_waitcnt lgkmcnt(0)
	v_cndmask_b32_e64 v14, v15, v5, s[26:27]
	v_cndmask_b32_e64 v15, v31, v15, s[26:27]
	s_and_saveexec_b64 s[30:31], vcc
	s_cbranch_execz .LBB399_281
; %bb.278:
	v_cmp_lt_u32_e32 vcc, v33, v9
	s_mov_b64 s[34:35], 0
	s_and_saveexec_b64 s[24:25], vcc
	s_cbranch_execz .LBB399_280
; %bb.279:
	v_lshrrev_b32_e32 v35, 31, v14
	v_add_u32_e32 v35, v14, v35
	v_lshrrev_b32_e32 v36, 31, v15
	v_and_b32_e32 v35, -2, v35
	v_add_u32_e32 v36, v15, v36
	v_sub_u32_e32 v35, v14, v35
	v_and_b32_e32 v36, -2, v36
	v_cmp_ge_i32_e32 vcc, v14, v15
	v_sub_u32_e32 v36, v15, v36
	s_nop 0
	v_cndmask_b32_e64 v37, 0, 1, vcc
	v_cmp_ne_u32_e32 vcc, 0, v35
	s_nop 1
	v_cndmask_b32_e64 v38, 0, 1, vcc
	v_cmp_eq_u32_e32 vcc, v35, v36
	s_nop 1
	v_cndmask_b32_e32 v35, v38, v37, vcc
	v_and_b32_e32 v35, 1, v35
	v_cmp_eq_u32_e32 vcc, 1, v35
	s_and_b64 s[34:35], vcc, exec
.LBB399_280:
	s_or_b64 exec, exec, s[24:25]
	s_orn2_b64 s[24:25], s[34:35], exec
.LBB399_281:
	s_or_b64 exec, exec, s[30:31]
	v_cndmask_b32_e64 v5, v5, v31, s[26:27]
	v_cndmask_b32_e64 v4, v4, v13, s[22:23]
	;; [unrolled: 1-line block ×4, first 2 shown]
	v_add_u32_e32 v13, 1, v13
	v_add_u32_e32 v31, -1, v31
	v_min_u32_e32 v31, v13, v31
	v_lshlrev_b32_e32 v31, 2, v31
	ds_read_b32 v31, v31
	v_cndmask_b32_e64 v0, v6, v0, s[10:11]
	v_cndmask_b32_e64 v6, v13, v34, s[24:25]
	;; [unrolled: 1-line block ×5, first 2 shown]
	s_waitcnt lgkmcnt(0)
	v_cndmask_b32_e64 v7, v15, v31, s[24:25]
	v_cmp_lt_u32_e32 vcc, v6, v10
	s_and_saveexec_b64 s[0:1], vcc
	s_cbranch_execz .LBB399_285
; %bb.282:
	v_cndmask_b32_e64 v10, v33, v13, s[24:25]
	v_cndmask_b32_e64 v6, v31, v14, s[24:25]
	v_cmp_lt_u32_e32 vcc, v10, v9
	s_and_saveexec_b64 s[10:11], vcc
	s_cbranch_execz .LBB399_284
; %bb.283:
	v_lshrrev_b32_e32 v9, 31, v6
	v_add_u32_e32 v9, v6, v9
	v_lshrrev_b32_e32 v10, 31, v7
	v_and_b32_e32 v9, -2, v9
	v_add_u32_e32 v10, v7, v10
	v_sub_u32_e32 v9, v6, v9
	v_and_b32_e32 v10, -2, v10
	v_cmp_ge_i32_e32 vcc, v6, v7
	v_sub_u32_e32 v10, v7, v10
	s_nop 0
	v_cndmask_b32_e64 v11, 0, 1, vcc
	v_cmp_ne_u32_e32 vcc, 0, v9
	s_nop 1
	v_cndmask_b32_e64 v12, 0, 1, vcc
	v_cmp_eq_u32_e32 vcc, v9, v10
	s_nop 1
	v_cndmask_b32_e32 v9, v12, v11, vcc
	v_and_b32_e32 v9, 1, v9
	v_cmp_eq_u32_e32 vcc, 1, v9
	s_nop 1
	v_cndmask_b32_e32 v6, v6, v7, vcc
.LBB399_284:
	s_or_b64 exec, exec, s[10:11]
	v_mov_b32_e32 v7, v6
.LBB399_285:
	s_or_b64 exec, exec, s[0:1]
	v_cndmask_b32_e64 v6, v14, v15, s[24:25]
.LBB399_286:
	s_or_b64 exec, exec, s[8:9]
	v_and_b32_e32 v11, 0x1800, v8
	v_or_b32_e32 v9, 0x400, v11
	v_min_u32_e32 v9, 0x800, v9
	v_and_b32_e32 v12, 0x7f8, v8
	v_sub_u32_e32 v13, v9, v11
	v_sub_u32_e32 v10, 0x800, v9
	v_sub_u32_e64 v10, v12, v10 clamp
	v_min_u32_e32 v13, v12, v13
	v_lshlrev_b32_e32 v8, 2, v11
	v_cmp_lt_u32_e32 vcc, v10, v13
	s_barrier
	ds_write_b128 v32, v[0:3]
	ds_write_b128 v32, v[4:7] offset:16
	s_waitcnt lgkmcnt(0)
	s_barrier
	s_and_saveexec_b64 s[0:1], vcc
	s_cbranch_execz .LBB399_290
; %bb.287:
	v_lshlrev_b32_e32 v14, 2, v12
	v_lshl_add_u32 v14, v9, 2, v14
	s_mov_b64 s[8:9], 0
.LBB399_288:                            ; =>This Inner Loop Header: Depth=1
	v_add_u32_e32 v15, v13, v10
	v_lshrrev_b32_e32 v15, 1, v15
	v_not_b32_e32 v31, v15
	v_lshl_add_u32 v33, v15, 2, v8
	v_lshl_add_u32 v31, v31, 2, v14
	ds_read_b32 v33, v33
	ds_read_b32 v31, v31
	v_add_u32_e32 v34, 1, v15
	s_waitcnt lgkmcnt(1)
	v_lshrrev_b32_e32 v35, 31, v33
	s_waitcnt lgkmcnt(0)
	v_lshrrev_b32_e32 v36, 31, v31
	v_add_u32_e32 v36, v31, v36
	v_add_u32_e32 v35, v33, v35
	v_and_b32_e32 v36, -2, v36
	v_cmp_lt_i32_e32 vcc, v31, v33
	v_and_b32_e32 v35, -2, v35
	v_sub_u32_e32 v31, v31, v36
	v_cndmask_b32_e64 v37, 0, 1, vcc
	v_sub_u32_e32 v33, v33, v35
	v_cmp_eq_u32_e32 vcc, 0, v31
	s_nop 1
	v_cndmask_b32_e64 v35, 0, 1, vcc
	v_cmp_eq_u32_e32 vcc, v31, v33
	s_nop 1
	v_cndmask_b32_e32 v31, v35, v37, vcc
	v_and_b32_e32 v31, 1, v31
	v_cmp_eq_u32_e32 vcc, 1, v31
	s_nop 1
	v_cndmask_b32_e32 v13, v13, v15, vcc
	v_cndmask_b32_e32 v10, v34, v10, vcc
	v_cmp_ge_u32_e32 vcc, v10, v13
	s_or_b64 s[8:9], vcc, s[8:9]
	s_andn2_b64 exec, exec, s[8:9]
	s_cbranch_execnz .LBB399_288
; %bb.289:
	s_or_b64 exec, exec, s[8:9]
.LBB399_290:
	s_or_b64 exec, exec, s[0:1]
	v_sub_u32_e32 v12, v12, v10
	v_add_u32_e32 v11, v10, v11
	v_add_u32_e32 v12, v12, v9
	s_movk_i32 s0, 0x801
	v_cmp_le_u32_e32 vcc, v11, v9
	v_cmp_gt_u32_e64 s[0:1], s0, v12
	s_or_b64 s[0:1], vcc, s[0:1]
	s_and_saveexec_b64 s[8:9], s[0:1]
	s_cbranch_execz .LBB399_326
; %bb.291:
	v_cmp_ge_u32_e32 vcc, v11, v9
	v_cmp_lt_u32_e64 s[0:1], v11, v9
                                        ; implicit-def: $vgpr0
	s_and_saveexec_b64 s[10:11], s[0:1]
; %bb.292:
	v_lshl_add_u32 v0, v10, 2, v8
	ds_read_b32 v0, v0
; %bb.293:
	s_or_b64 exec, exec, s[10:11]
	s_movk_i32 s0, 0x7ff
	v_cmp_lt_u32_e64 s[10:11], s0, v12
	s_movk_i32 s0, 0x800
	v_cmp_gt_u32_e64 s[0:1], s0, v12
                                        ; implicit-def: $vgpr6
	s_and_saveexec_b64 s[18:19], s[0:1]
; %bb.294:
	v_lshlrev_b32_e32 v1, 2, v12
	ds_read_b32 v6, v1
; %bb.295:
	s_or_b64 exec, exec, s[18:19]
	s_nor_b64 s[18:19], vcc, s[10:11]
	s_and_saveexec_b64 s[0:1], s[18:19]
	s_cbranch_execz .LBB399_297
; %bb.296:
	s_waitcnt lgkmcnt(0)
	v_lshrrev_b32_e32 v1, 31, v6
	v_add_u32_e32 v1, v6, v1
	v_lshrrev_b32_e32 v2, 31, v0
	v_and_b32_e32 v1, -2, v1
	v_add_u32_e32 v2, v0, v2
	v_sub_u32_e32 v1, v6, v1
	v_and_b32_e32 v2, -2, v2
	v_cmp_ge_i32_e32 vcc, v6, v0
	v_sub_u32_e32 v2, v0, v2
	s_andn2_b64 s[10:11], s[10:11], exec
	v_cndmask_b32_e64 v3, 0, 1, vcc
	v_cmp_ne_u32_e32 vcc, 0, v1
	s_nop 1
	v_cndmask_b32_e64 v4, 0, 1, vcc
	v_cmp_eq_u32_e32 vcc, v1, v2
	s_nop 1
	v_cndmask_b32_e32 v1, v4, v3, vcc
	v_and_b32_e32 v1, 1, v1
	v_cmp_eq_u32_e32 vcc, 1, v1
	s_and_b64 s[18:19], vcc, exec
	s_or_b64 s[10:11], s[10:11], s[18:19]
.LBB399_297:
	s_or_b64 exec, exec, s[0:1]
	v_cndmask_b32_e64 v1, v12, v11, s[10:11]
	v_add_u32_e32 v4, 1, v1
	v_add_u32_e32 v1, -1, v9
	v_mov_b32_e32 v2, 0x7ff
	v_cndmask_b32_e64 v3, v2, v1, s[10:11]
	v_min_u32_e32 v3, v4, v3
	v_lshlrev_b32_e32 v3, 2, v3
	ds_read_b32 v3, v3
	s_movk_i32 s3, 0x800
	s_mov_b64 s[18:19], -1
	s_mov_b64 s[0:1], -1
	s_waitcnt lgkmcnt(0)
	v_cndmask_b32_e64 v7, v3, v6, s[10:11]
	v_cndmask_b32_e64 v8, v0, v3, s[10:11]
	;; [unrolled: 1-line block ×4, first 2 shown]
	v_cmp_gt_u32_e32 vcc, s3, v3
	s_and_saveexec_b64 s[20:21], vcc
	s_cbranch_execz .LBB399_301
; %bb.298:
	v_cmp_lt_u32_e32 vcc, v4, v9
	s_mov_b64 s[22:23], 0
	s_and_saveexec_b64 s[0:1], vcc
	s_cbranch_execz .LBB399_300
; %bb.299:
	v_lshrrev_b32_e32 v5, 31, v7
	v_add_u32_e32 v5, v7, v5
	v_lshrrev_b32_e32 v10, 31, v8
	v_and_b32_e32 v5, -2, v5
	v_add_u32_e32 v10, v8, v10
	v_sub_u32_e32 v5, v7, v5
	v_and_b32_e32 v10, -2, v10
	v_cmp_ge_i32_e32 vcc, v7, v8
	v_sub_u32_e32 v10, v8, v10
	s_nop 0
	v_cndmask_b32_e64 v11, 0, 1, vcc
	v_cmp_ne_u32_e32 vcc, 0, v5
	s_nop 1
	v_cndmask_b32_e64 v12, 0, 1, vcc
	v_cmp_eq_u32_e32 vcc, v5, v10
	s_nop 1
	v_cndmask_b32_e32 v5, v12, v11, vcc
	v_and_b32_e32 v5, 1, v5
	v_cmp_eq_u32_e32 vcc, 1, v5
	s_and_b64 s[22:23], vcc, exec
.LBB399_300:
	s_or_b64 exec, exec, s[0:1]
	s_orn2_b64 s[0:1], s[22:23], exec
.LBB399_301:
	s_or_b64 exec, exec, s[20:21]
	v_cndmask_b32_e64 v5, v3, v4, s[0:1]
	v_add_u32_e32 v5, 1, v5
	v_cndmask_b32_e64 v2, v2, v1, s[0:1]
	v_min_u32_e32 v2, v5, v2
	v_lshlrev_b32_e32 v2, 2, v2
	ds_read_b32 v10, v2
	v_cndmask_b32_e64 v3, v5, v3, s[0:1]
	v_cndmask_b32_e64 v4, v4, v5, s[0:1]
	v_cmp_gt_u32_e32 vcc, s3, v3
	s_waitcnt lgkmcnt(0)
	v_cndmask_b32_e64 v2, v10, v7, s[0:1]
	v_cndmask_b32_e64 v10, v8, v10, s[0:1]
	s_and_saveexec_b64 s[20:21], vcc
	s_cbranch_execz .LBB399_305
; %bb.302:
	v_cmp_lt_u32_e32 vcc, v4, v9
	s_mov_b64 s[22:23], 0
	s_and_saveexec_b64 s[18:19], vcc
	s_cbranch_execz .LBB399_304
; %bb.303:
	v_lshrrev_b32_e32 v5, 31, v2
	v_add_u32_e32 v5, v2, v5
	v_lshrrev_b32_e32 v11, 31, v10
	v_and_b32_e32 v5, -2, v5
	v_add_u32_e32 v11, v10, v11
	v_sub_u32_e32 v5, v2, v5
	v_and_b32_e32 v11, -2, v11
	v_cmp_ge_i32_e32 vcc, v2, v10
	v_sub_u32_e32 v11, v10, v11
	s_nop 0
	v_cndmask_b32_e64 v12, 0, 1, vcc
	v_cmp_ne_u32_e32 vcc, 0, v5
	s_nop 1
	v_cndmask_b32_e64 v13, 0, 1, vcc
	v_cmp_eq_u32_e32 vcc, v5, v11
	s_nop 1
	v_cndmask_b32_e32 v5, v13, v12, vcc
	v_and_b32_e32 v5, 1, v5
	v_cmp_eq_u32_e32 vcc, 1, v5
	s_and_b64 s[22:23], vcc, exec
.LBB399_304:
	s_or_b64 exec, exec, s[18:19]
	s_orn2_b64 s[18:19], s[22:23], exec
.LBB399_305:
	s_or_b64 exec, exec, s[20:21]
	v_cndmask_b32_e64 v5, v3, v4, s[18:19]
	v_add_u32_e32 v13, 1, v5
	v_mov_b32_e32 v5, 0x7ff
	v_cndmask_b32_e64 v11, v5, v1, s[18:19]
	v_min_u32_e32 v11, v13, v11
	v_lshlrev_b32_e32 v11, 2, v11
	ds_read_b32 v11, v11
	v_cndmask_b32_e64 v12, v13, v3, s[18:19]
	v_cndmask_b32_e64 v4, v4, v13, s[18:19]
	v_cmp_gt_u32_e32 vcc, s3, v12
	s_mov_b64 s[22:23], -1
	s_waitcnt lgkmcnt(0)
	v_cndmask_b32_e64 v3, v11, v2, s[18:19]
	v_cndmask_b32_e64 v11, v10, v11, s[18:19]
	s_mov_b64 s[20:21], -1
	s_and_saveexec_b64 s[24:25], vcc
	s_cbranch_execz .LBB399_309
; %bb.306:
	v_cmp_lt_u32_e32 vcc, v4, v9
	s_mov_b64 s[26:27], 0
	s_and_saveexec_b64 s[20:21], vcc
	s_cbranch_execz .LBB399_308
; %bb.307:
	v_lshrrev_b32_e32 v13, 31, v3
	v_add_u32_e32 v13, v3, v13
	v_lshrrev_b32_e32 v14, 31, v11
	v_and_b32_e32 v13, -2, v13
	v_add_u32_e32 v14, v11, v14
	v_sub_u32_e32 v13, v3, v13
	v_and_b32_e32 v14, -2, v14
	v_cmp_ge_i32_e32 vcc, v3, v11
	v_sub_u32_e32 v14, v11, v14
	s_nop 0
	v_cndmask_b32_e64 v15, 0, 1, vcc
	v_cmp_ne_u32_e32 vcc, 0, v13
	s_nop 1
	v_cndmask_b32_e64 v31, 0, 1, vcc
	v_cmp_eq_u32_e32 vcc, v13, v14
	s_nop 1
	v_cndmask_b32_e32 v13, v31, v15, vcc
	v_and_b32_e32 v13, 1, v13
	v_cmp_eq_u32_e32 vcc, 1, v13
	s_and_b64 s[26:27], vcc, exec
.LBB399_308:
	s_or_b64 exec, exec, s[20:21]
	s_orn2_b64 s[20:21], s[26:27], exec
.LBB399_309:
	s_or_b64 exec, exec, s[24:25]
	v_cndmask_b32_e64 v13, v12, v4, s[20:21]
	v_add_u32_e32 v13, 1, v13
	v_cndmask_b32_e64 v5, v5, v1, s[20:21]
	v_min_u32_e32 v5, v13, v5
	v_lshlrev_b32_e32 v5, 2, v5
	ds_read_b32 v14, v5
	v_cndmask_b32_e64 v5, v13, v12, s[20:21]
	v_cndmask_b32_e64 v13, v4, v13, s[20:21]
	v_cmp_gt_u32_e32 vcc, s3, v5
	s_waitcnt lgkmcnt(0)
	v_cndmask_b32_e64 v4, v14, v3, s[20:21]
	v_cndmask_b32_e64 v12, v11, v14, s[20:21]
	s_and_saveexec_b64 s[24:25], vcc
	s_cbranch_execz .LBB399_313
; %bb.310:
	v_cmp_lt_u32_e32 vcc, v13, v9
	s_mov_b64 s[26:27], 0
	s_and_saveexec_b64 s[22:23], vcc
	s_cbranch_execz .LBB399_312
; %bb.311:
	v_lshrrev_b32_e32 v14, 31, v4
	v_add_u32_e32 v14, v4, v14
	v_lshrrev_b32_e32 v15, 31, v12
	v_and_b32_e32 v14, -2, v14
	v_add_u32_e32 v15, v12, v15
	v_sub_u32_e32 v14, v4, v14
	v_and_b32_e32 v15, -2, v15
	v_cmp_ge_i32_e32 vcc, v4, v12
	v_sub_u32_e32 v15, v12, v15
	s_nop 0
	v_cndmask_b32_e64 v31, 0, 1, vcc
	v_cmp_ne_u32_e32 vcc, 0, v14
	s_nop 1
	v_cndmask_b32_e64 v33, 0, 1, vcc
	v_cmp_eq_u32_e32 vcc, v14, v15
	s_nop 1
	v_cndmask_b32_e32 v14, v33, v31, vcc
	v_and_b32_e32 v14, 1, v14
	v_cmp_eq_u32_e32 vcc, 1, v14
	s_and_b64 s[26:27], vcc, exec
.LBB399_312:
	s_or_b64 exec, exec, s[22:23]
	s_orn2_b64 s[22:23], s[26:27], exec
.LBB399_313:
	s_or_b64 exec, exec, s[24:25]
	v_cndmask_b32_e64 v14, v5, v13, s[22:23]
	v_add_u32_e32 v33, 1, v14
	v_mov_b32_e32 v14, 0x7ff
	v_cndmask_b32_e64 v15, v14, v1, s[22:23]
	v_min_u32_e32 v15, v33, v15
	v_lshlrev_b32_e32 v15, 2, v15
	ds_read_b32 v15, v15
	v_cndmask_b32_e64 v31, v33, v5, s[22:23]
	v_cndmask_b32_e64 v13, v13, v33, s[22:23]
	v_cmp_gt_u32_e32 vcc, s3, v31
	s_mov_b64 s[24:25], -1
	s_waitcnt lgkmcnt(0)
	v_cndmask_b32_e64 v5, v15, v4, s[22:23]
	v_cndmask_b32_e64 v15, v12, v15, s[22:23]
	s_mov_b64 s[26:27], -1
	s_and_saveexec_b64 s[30:31], vcc
	s_cbranch_execz .LBB399_317
; %bb.314:
	v_cmp_lt_u32_e32 vcc, v13, v9
	s_mov_b64 s[34:35], 0
	s_and_saveexec_b64 s[26:27], vcc
	s_cbranch_execz .LBB399_316
; %bb.315:
	v_lshrrev_b32_e32 v33, 31, v5
	v_add_u32_e32 v33, v5, v33
	v_lshrrev_b32_e32 v34, 31, v15
	v_and_b32_e32 v33, -2, v33
	v_add_u32_e32 v34, v15, v34
	v_sub_u32_e32 v33, v5, v33
	v_and_b32_e32 v34, -2, v34
	v_cmp_ge_i32_e32 vcc, v5, v15
	v_sub_u32_e32 v34, v15, v34
	s_nop 0
	v_cndmask_b32_e64 v35, 0, 1, vcc
	v_cmp_ne_u32_e32 vcc, 0, v33
	s_nop 1
	v_cndmask_b32_e64 v36, 0, 1, vcc
	v_cmp_eq_u32_e32 vcc, v33, v34
	s_nop 1
	v_cndmask_b32_e32 v33, v36, v35, vcc
	v_and_b32_e32 v33, 1, v33
	v_cmp_eq_u32_e32 vcc, 1, v33
	s_and_b64 s[34:35], vcc, exec
.LBB399_316:
	s_or_b64 exec, exec, s[26:27]
	s_orn2_b64 s[26:27], s[34:35], exec
.LBB399_317:
	s_or_b64 exec, exec, s[30:31]
	v_cndmask_b32_e64 v33, v31, v13, s[26:27]
	v_add_u32_e32 v34, 1, v33
	v_cndmask_b32_e64 v14, v14, v1, s[26:27]
	v_min_u32_e32 v14, v34, v14
	v_lshlrev_b32_e32 v14, 2, v14
	ds_read_b32 v14, v14
	v_cndmask_b32_e64 v33, v34, v31, s[26:27]
	v_cndmask_b32_e64 v31, v13, v34, s[26:27]
	v_cmp_gt_u32_e32 vcc, s3, v33
	s_waitcnt lgkmcnt(0)
	v_cndmask_b32_e64 v13, v14, v5, s[26:27]
	v_cndmask_b32_e64 v14, v15, v14, s[26:27]
	s_and_saveexec_b64 s[30:31], vcc
	s_cbranch_execz .LBB399_321
; %bb.318:
	v_cmp_lt_u32_e32 vcc, v31, v9
	s_mov_b64 s[34:35], 0
	s_and_saveexec_b64 s[24:25], vcc
	s_cbranch_execz .LBB399_320
; %bb.319:
	v_lshrrev_b32_e32 v34, 31, v13
	v_add_u32_e32 v34, v13, v34
	v_lshrrev_b32_e32 v35, 31, v14
	v_and_b32_e32 v34, -2, v34
	v_add_u32_e32 v35, v14, v35
	v_sub_u32_e32 v34, v13, v34
	v_and_b32_e32 v35, -2, v35
	v_cmp_ge_i32_e32 vcc, v13, v14
	v_sub_u32_e32 v35, v14, v35
	s_nop 0
	v_cndmask_b32_e64 v36, 0, 1, vcc
	v_cmp_ne_u32_e32 vcc, 0, v34
	s_nop 1
	v_cndmask_b32_e64 v37, 0, 1, vcc
	v_cmp_eq_u32_e32 vcc, v34, v35
	s_nop 1
	v_cndmask_b32_e32 v34, v37, v36, vcc
	v_and_b32_e32 v34, 1, v34
	v_cmp_eq_u32_e32 vcc, 1, v34
	s_and_b64 s[34:35], vcc, exec
.LBB399_320:
	s_or_b64 exec, exec, s[24:25]
	s_orn2_b64 s[24:25], s[34:35], exec
.LBB399_321:
	s_or_b64 exec, exec, s[30:31]
	v_cndmask_b32_e64 v5, v5, v15, s[26:27]
	v_cndmask_b32_e64 v4, v4, v12, s[22:23]
	v_cndmask_b32_e64 v12, v33, v31, s[24:25]
	v_mov_b32_e32 v15, 0x7ff
	v_add_u32_e32 v12, 1, v12
	v_cndmask_b32_e64 v1, v15, v1, s[24:25]
	v_min_u32_e32 v1, v12, v1
	v_lshlrev_b32_e32 v1, 2, v1
	ds_read_b32 v15, v1
	v_cndmask_b32_e64 v1, v7, v8, s[0:1]
	v_cndmask_b32_e64 v0, v6, v0, s[10:11]
	;; [unrolled: 1-line block ×3, first 2 shown]
	s_movk_i32 s0, 0x800
	v_cndmask_b32_e64 v3, v3, v11, s[20:21]
	v_cndmask_b32_e64 v2, v2, v10, s[18:19]
	s_waitcnt lgkmcnt(0)
	v_cndmask_b32_e64 v7, v14, v15, s[24:25]
	v_cmp_gt_u32_e32 vcc, s0, v6
	s_and_saveexec_b64 s[0:1], vcc
	s_cbranch_execz .LBB399_325
; %bb.322:
	v_cndmask_b32_e64 v8, v31, v12, s[24:25]
	v_cndmask_b32_e64 v6, v15, v13, s[24:25]
	v_cmp_lt_u32_e32 vcc, v8, v9
	s_and_saveexec_b64 s[10:11], vcc
	s_cbranch_execz .LBB399_324
; %bb.323:
	v_lshrrev_b32_e32 v8, 31, v6
	v_add_u32_e32 v8, v6, v8
	v_lshrrev_b32_e32 v9, 31, v7
	v_and_b32_e32 v8, -2, v8
	v_add_u32_e32 v9, v7, v9
	v_sub_u32_e32 v8, v6, v8
	v_and_b32_e32 v9, -2, v9
	v_cmp_ge_i32_e32 vcc, v6, v7
	v_sub_u32_e32 v9, v7, v9
	s_nop 0
	v_cndmask_b32_e64 v10, 0, 1, vcc
	v_cmp_ne_u32_e32 vcc, 0, v8
	s_nop 1
	v_cndmask_b32_e64 v11, 0, 1, vcc
	v_cmp_eq_u32_e32 vcc, v8, v9
	s_nop 1
	v_cndmask_b32_e32 v8, v11, v10, vcc
	v_and_b32_e32 v8, 1, v8
	v_cmp_eq_u32_e32 vcc, 1, v8
	s_nop 1
	v_cndmask_b32_e32 v6, v6, v7, vcc
.LBB399_324:
	s_or_b64 exec, exec, s[10:11]
	v_mov_b32_e32 v7, v6
.LBB399_325:
	s_or_b64 exec, exec, s[0:1]
	v_cndmask_b32_e64 v6, v13, v14, s[24:25]
.LBB399_326:
	s_or_b64 exec, exec, s[8:9]
	s_barrier
	s_barrier
	ds_write2_b32 v20, v0, v1 offset1:1
	ds_write2_b32 v20, v2, v3 offset0:2 offset1:3
	ds_write2_b32 v20, v4, v5 offset0:4 offset1:5
	;; [unrolled: 1-line block ×3, first 2 shown]
	s_waitcnt lgkmcnt(0)
	s_barrier
	ds_read_b32 v2, v19
	ds_read_b32 v3, v21 offset:1024
	ds_read_b32 v4, v22 offset:2048
	;; [unrolled: 1-line block ×7, first 2 shown]
	v_mov_b32_e32 v31, 0
	v_lshl_add_u64 v[0:1], s[28:29], 0, v[30:31]
	s_waitcnt lgkmcnt(7)
	flat_store_dword v[0:1], v2
	s_waitcnt lgkmcnt(0)
	flat_store_dword v[0:1], v3 offset:1024
	flat_store_dword v[0:1], v4 offset:2048
	;; [unrolled: 1-line block ×3, first 2 shown]
	v_add_co_u32_e32 v0, vcc, 0x1000, v0
	s_nop 1
	v_addc_co_u32_e32 v1, vcc, 0, v1, vcc
	flat_store_dword v[0:1], v6
	flat_store_dword v[0:1], v7 offset:1024
	flat_store_dword v[0:1], v9 offset:2048
	s_mov_b64 s[30:31], -1
	s_branch .LBB399_671
.LBB399_327:
	s_mov_b64 s[30:31], 0
                                        ; implicit-def: $vgpr8
	s_cbranch_execz .LBB399_671
; %bb.328:
	s_lshl_b64 s[0:1], s[4:5], 11
	s_sub_i32 s33, s6, s0
	v_mov_b32_e32 v8, 0
	v_cmp_gt_u32_e32 vcc, s33, v28
	v_mov_b32_e32 v9, v8
	v_mov_b32_e32 v10, v8
	;; [unrolled: 1-line block ×7, first 2 shown]
	s_and_saveexec_b64 s[0:1], vcc
	s_cbranch_execz .LBB399_330
; %bb.329:
	v_mov_b32_e32 v31, v8
	v_lshl_add_u64 v[0:1], s[16:17], 0, v[30:31]
	flat_load_dword v0, v[0:1]
	v_mov_b32_e32 v6, v8
	v_mov_b32_e32 v7, v8
	;; [unrolled: 1-line block ×7, first 2 shown]
	s_waitcnt vmcnt(0) lgkmcnt(0)
	v_mov_b64_e32 v[14:15], v[6:7]
	v_mov_b64_e32 v[12:13], v[4:5]
	;; [unrolled: 1-line block ×4, first 2 shown]
.LBB399_330:
	s_or_b64 exec, exec, s[0:1]
	v_add_u32_e32 v0, 0x100, v28
	v_cmp_gt_u32_e64 s[0:1], s33, v0
	s_and_saveexec_b64 s[4:5], s[0:1]
	s_cbranch_execz .LBB399_332
; %bb.331:
	v_mov_b32_e32 v31, 0
	v_lshl_add_u64 v[2:3], s[16:17], 0, v[30:31]
	flat_load_dword v9, v[2:3] offset:1024
.LBB399_332:
	s_or_b64 exec, exec, s[4:5]
	v_add_u32_e32 v1, 0x200, v28
	v_cmp_gt_u32_e64 s[26:27], s33, v1
	s_and_saveexec_b64 s[4:5], s[26:27]
	s_cbranch_execz .LBB399_334
; %bb.333:
	v_mov_b32_e32 v31, 0
	v_lshl_add_u64 v[2:3], s[16:17], 0, v[30:31]
	flat_load_dword v10, v[2:3] offset:2048
.LBB399_334:
	;; [unrolled: 10-line block ×3, first 2 shown]
	s_or_b64 exec, exec, s[6:7]
	v_or_b32_e32 v3, 0x400, v28
	v_cmp_gt_u32_e64 s[6:7], s33, v3
	s_and_saveexec_b64 s[8:9], s[6:7]
	s_cbranch_execz .LBB399_338
; %bb.337:
	v_lshlrev_b32_e32 v4, 2, v3
	v_mov_b32_e32 v5, 0
	v_lshl_add_u64 v[4:5], s[16:17], 0, v[4:5]
	flat_load_dword v12, v[4:5]
.LBB399_338:
	s_or_b64 exec, exec, s[8:9]
	v_add_u32_e32 v4, 0x500, v28
	v_cmp_gt_u32_e64 s[8:9], s33, v4
	s_and_saveexec_b64 s[10:11], s[8:9]
	s_cbranch_execz .LBB399_340
; %bb.339:
	v_lshlrev_b32_e32 v6, 2, v4
	v_mov_b32_e32 v7, 0
	v_lshl_add_u64 v[6:7], s[16:17], 0, v[6:7]
	flat_load_dword v13, v[6:7]
.LBB399_340:
	s_or_b64 exec, exec, s[10:11]
	v_add_u32_e32 v5, 0x600, v28
	v_cmp_gt_u32_e64 s[10:11], s33, v5
	s_and_saveexec_b64 s[18:19], s[10:11]
	s_cbranch_execz .LBB399_342
; %bb.341:
	v_lshlrev_b32_e32 v6, 2, v5
	v_mov_b32_e32 v7, 0
	v_lshl_add_u64 v[6:7], s[16:17], 0, v[6:7]
	flat_load_dword v14, v[6:7]
.LBB399_342:
	s_or_b64 exec, exec, s[18:19]
	v_add_u32_e32 v6, 0x700, v28
	v_cmp_gt_u32_e64 s[30:31], s33, v6
	s_and_saveexec_b64 s[18:19], s[30:31]
	s_cbranch_execz .LBB399_344
; %bb.343:
	v_lshlrev_b32_e32 v20, 2, v6
	v_mov_b32_e32 v21, 0
	v_lshl_add_u64 v[20:21], s[16:17], 0, v[20:21]
	flat_load_dword v15, v[20:21]
.LBB399_344:
	s_or_b64 exec, exec, s[18:19]
	v_lshrrev_b32_e32 v0, 3, v0
	v_and_b32_e32 v0, 0xfc, v0
	v_add_u32_e32 v31, v0, v30
	v_lshrrev_b32_e32 v0, 3, v1
	v_and_b32_e32 v0, 0xfc, v0
	v_add_u32_e32 v33, v0, v30
	;; [unrolled: 3-line block ×6, first 2 shown]
	v_lshrrev_b32_e32 v0, 3, v6
	v_and_b32_e32 v0, 0x1fc, v0
	v_and_b32_e32 v7, 0x7c, v18
	v_add_u32_e32 v38, v0, v30
	v_and_b32_e32 v0, 0x3fc, v28
	v_add_u32_e32 v29, v7, v30
	v_add_u32_e32 v39, v0, v32
	ds_write_b32 v29, v8
	s_waitcnt vmcnt(0) lgkmcnt(0)
	ds_write_b32 v31, v9 offset:1024
	ds_write_b32 v33, v10 offset:2048
	ds_write_b32 v34, v11 offset:3072
	ds_write_b32 v35, v12 offset:4096
	ds_write_b32 v36, v13 offset:5120
	ds_write_b32 v37, v14 offset:6144
	ds_write_b32 v38, v15 offset:7168
	s_waitcnt lgkmcnt(0)
	s_barrier
	ds_read2_b32 v[24:25], v39 offset1:1
	ds_read2_b32 v[18:19], v39 offset0:2 offset1:3
	ds_read2_b32 v[20:21], v39 offset0:4 offset1:5
	;; [unrolled: 1-line block ×3, first 2 shown]
	s_waitcnt lgkmcnt(0)
	s_barrier
	s_load_dword s3, s[12:13], 0xc
	v_mov_b32_e32 v0, 0
	s_waitcnt lgkmcnt(0)
	s_lshr_b32 s15, s3, 16
	s_cmp_lt_u32 s2, s14
	s_cselect_b32 s2, 12, 18
	s_add_u32 s2, s12, s2
	s_addc_u32 s3, s13, 0
	global_load_ushort v0, v0, s[2:3]
	v_mad_u32_u24 v1, v17, s15, v16
	s_waitcnt vmcnt(0)
	v_mul_lo_u32 v0, v1, v0
	v_add_lshl_u32 v26, v0, v28, 3
	v_sub_u32_e64 v0, s33, v26 clamp
	v_cmp_lt_u32_e64 s[12:13], 1, v0
	s_and_saveexec_b64 s[14:15], s[12:13]
	s_cbranch_execz .LBB399_348
; %bb.345:
	v_lshrrev_b32_e32 v1, 31, v25
	v_add_u32_e32 v1, v25, v1
	v_lshrrev_b32_e32 v2, 31, v24
	v_and_b32_e32 v1, -2, v1
	v_add_u32_e32 v2, v24, v2
	v_sub_u32_e32 v1, v25, v1
	v_and_b32_e32 v2, -2, v2
	v_cmp_lt_i32_e64 s[2:3], v25, v24
	v_sub_u32_e32 v2, v24, v2
	s_nop 0
	v_cndmask_b32_e64 v3, 0, 1, s[2:3]
	v_cmp_eq_u32_e64 s[2:3], 0, v1
	s_nop 1
	v_cndmask_b32_e64 v4, 0, 1, s[2:3]
	v_cmp_eq_u32_e64 s[2:3], v1, v2
	s_nop 1
	v_cndmask_b32_e64 v1, v4, v3, s[2:3]
	v_and_b32_e32 v1, 1, v1
	v_cmp_eq_u32_e64 s[2:3], 1, v1
	s_and_saveexec_b64 s[16:17], s[2:3]
; %bb.346:
	v_mov_b32_e32 v1, v25
	v_swap_b32 v25, v24
; %bb.347:
	s_or_b64 exec, exec, s[16:17]
.LBB399_348:
	s_or_b64 exec, exec, s[14:15]
	v_mov_b32_e32 v16, v24
	v_mov_b32_e32 v17, v25
	;; [unrolled: 1-line block ×3, first 2 shown]
	v_mov_b64_e32 v[8:9], v[16:17]
	v_mov_b64_e32 v[14:15], v[22:23]
	;; [unrolled: 1-line block ×8, first 2 shown]
	v_mov_b32_e32 v15, v7
	v_cmp_lt_u32_e64 s[14:15], 3, v0
	v_mov_b64_e32 v[60:61], v[20:21]
	v_mov_b64_e32 v[58:59], v[18:19]
	;; [unrolled: 1-line block ×12, first 2 shown]
	s_and_saveexec_b64 s[16:17], s[14:15]
	s_cbranch_execz .LBB399_352
; %bb.349:
	v_lshrrev_b32_e32 v1, 31, v19
	v_add_u32_e32 v1, v19, v1
	v_lshrrev_b32_e32 v2, 31, v18
	v_and_b32_e32 v1, -2, v1
	v_add_u32_e32 v2, v18, v2
	v_sub_u32_e32 v1, v19, v1
	v_and_b32_e32 v2, -2, v2
	v_cmp_lt_i32_e64 s[2:3], v19, v18
	v_sub_u32_e32 v2, v18, v2
	v_mov_b64_e32 v[54:55], v[22:23]
	v_cndmask_b32_e64 v3, 0, 1, s[2:3]
	v_cmp_eq_u32_e64 s[2:3], 0, v1
	v_mov_b64_e32 v[70:71], v[22:23]
	v_mov_b64_e32 v[46:47], v[22:23]
	v_cndmask_b32_e64 v4, 0, 1, s[2:3]
	v_cmp_eq_u32_e64 s[2:3], v1, v2
	v_mov_b64_e32 v[62:63], v[22:23]
	v_mov_b64_e32 v[52:53], v[20:21]
	v_cndmask_b32_e64 v1, v4, v3, s[2:3]
	v_and_b32_e32 v1, 1, v1
	v_cmp_eq_u32_e64 s[2:3], 1, v1
	v_mov_b32_e32 v1, v19
	v_mov_b64_e32 v[50:51], v[18:19]
	v_mov_b64_e32 v[48:49], v[16:17]
	;; [unrolled: 1-line block ×11, first 2 shown]
	s_and_saveexec_b64 s[18:19], s[2:3]
	s_cbranch_execz .LBB399_351
; %bb.350:
	v_mov_b64_e32 v[54:55], v[22:23]
	v_mov_b64_e32 v[50:51], v[18:19]
	v_mov_b64_e32 v[52:53], v[20:21]
	v_mov_b64_e32 v[48:49], v[16:17]
	v_mov_b32_e32 v50, v19
	v_mov_b64_e32 v[70:71], v[54:55]
	v_mov_b64_e32 v[66:67], v[50:51]
	v_mov_b64_e32 v[64:65], v[48:49]
	v_mov_b64_e32 v[68:69], v[52:53]
	v_mov_b32_e32 v67, v18
	;; [unrolled: 5-line block ×5, first 2 shown]
	v_mov_b32_e32 v15, v7
	v_mov_b32_e32 v1, v18
	;; [unrolled: 1-line block ×3, first 2 shown]
.LBB399_351:
	s_or_b64 exec, exec, s[18:19]
	v_mov_b32_e32 v19, v1
.LBB399_352:
	s_or_b64 exec, exec, s[16:17]
	v_mov_b32_e32 v3, v19
	v_cmp_lt_u32_e64 s[16:17], 5, v0
	s_and_saveexec_b64 s[18:19], s[16:17]
	s_cbranch_execz .LBB399_356
; %bb.353:
	v_lshrrev_b32_e32 v1, 31, v21
	v_add_u32_e32 v1, v21, v1
	v_lshrrev_b32_e32 v2, 31, v20
	v_and_b32_e32 v1, -2, v1
	v_add_u32_e32 v2, v20, v2
	v_sub_u32_e32 v1, v21, v1
	v_and_b32_e32 v2, -2, v2
	v_cmp_lt_i32_e64 s[2:3], v21, v20
	v_sub_u32_e32 v2, v20, v2
	s_nop 0
	v_cndmask_b32_e64 v4, 0, 1, s[2:3]
	v_cmp_eq_u32_e64 s[2:3], 0, v1
	s_nop 1
	v_cndmask_b32_e64 v5, 0, 1, s[2:3]
	v_cmp_eq_u32_e64 s[2:3], v1, v2
	s_nop 1
	v_cndmask_b32_e64 v1, v5, v4, s[2:3]
	v_and_b32_e32 v1, 1, v1
	v_cmp_eq_u32_e64 s[2:3], 1, v1
	v_mov_b32_e32 v1, v21
	s_and_saveexec_b64 s[20:21], s[2:3]
	s_cbranch_execz .LBB399_355
; %bb.354:
	v_mov_b64_e32 v[40:41], v[64:65]
	v_mov_b64_e32 v[44:45], v[68:69]
	v_mov_b64_e32 v[46:47], v[70:71]
	v_mov_b64_e32 v[42:43], v[66:67]
	v_mov_b32_e32 v44, v21
	v_mov_b64_e32 v[62:63], v[46:47]
	v_mov_b64_e32 v[60:61], v[44:45]
	v_mov_b64_e32 v[56:57], v[40:41]
	v_mov_b64_e32 v[58:59], v[42:43]
	v_mov_b32_e32 v61, v20
	;; [unrolled: 5-line block ×3, first 2 shown]
	v_mov_b32_e32 v15, v7
	v_mov_b32_e32 v1, v20
	;; [unrolled: 1-line block ×3, first 2 shown]
.LBB399_355:
	s_or_b64 exec, exec, s[20:21]
	v_mov_b32_e32 v21, v1
.LBB399_356:
	s_or_b64 exec, exec, s[18:19]
	v_mov_b32_e32 v5, v21
	v_mov_b32_e32 v4, v20
	v_cmp_lt_u32_e64 s[20:21], 7, v0
	s_and_saveexec_b64 s[18:19], s[20:21]
	s_cbranch_execz .LBB399_360
; %bb.357:
	v_lshrrev_b32_e32 v1, 31, v7
	v_add_u32_e32 v1, v7, v1
	v_lshrrev_b32_e32 v2, 31, v6
	v_and_b32_e32 v1, -2, v1
	v_add_u32_e32 v2, v6, v2
	v_sub_u32_e32 v1, v7, v1
	v_and_b32_e32 v2, -2, v2
	v_cmp_lt_i32_e64 s[2:3], v7, v6
	v_sub_u32_e32 v2, v6, v2
	s_nop 0
	v_cndmask_b32_e64 v19, 0, 1, s[2:3]
	v_cmp_eq_u32_e64 s[2:3], 0, v1
	s_nop 1
	v_cndmask_b32_e64 v20, 0, 1, s[2:3]
	v_cmp_eq_u32_e64 s[2:3], v1, v2
	s_nop 1
	v_cndmask_b32_e64 v1, v20, v19, s[2:3]
	v_and_b32_e32 v1, 1, v1
	v_cmp_eq_u32_e64 s[2:3], 1, v1
	v_mov_b32_e32 v1, v7
	s_and_saveexec_b64 s[22:23], s[2:3]
; %bb.358:
	v_mov_b64_e32 v[8:9], v[56:57]
	v_mov_b64_e32 v[14:15], v[62:63]
	;; [unrolled: 1-line block ×4, first 2 shown]
	v_mov_b32_e32 v14, v7
	v_mov_b32_e32 v15, v6
	;; [unrolled: 1-line block ×4, first 2 shown]
; %bb.359:
	s_or_b64 exec, exec, s[22:23]
	v_mov_b32_e32 v7, v1
.LBB399_360:
	s_or_b64 exec, exec, s[18:19]
	v_mov_b64_e32 v[78:79], v[22:23]
	v_cmp_lt_u32_e64 s[18:19], 2, v0
	v_mov_b64_e32 v[76:77], v[20:21]
	v_mov_b64_e32 v[74:75], v[18:19]
	;; [unrolled: 1-line block ×3, first 2 shown]
	v_mov_b32_e32 v2, v18
	s_and_saveexec_b64 s[2:3], s[18:19]
	s_xor_b64 s[22:23], exec, s[2:3]
	s_cbranch_execz .LBB399_408
; %bb.361:
	v_lshrrev_b32_e32 v1, 31, v18
	v_add_u32_e32 v1, v18, v1
	v_lshrrev_b32_e32 v2, 31, v25
	v_and_b32_e32 v1, -2, v1
	v_add_u32_e32 v2, v25, v2
	v_sub_u32_e32 v1, v18, v1
	v_and_b32_e32 v2, -2, v2
	v_cmp_lt_i32_e64 s[2:3], v18, v25
	v_sub_u32_e32 v2, v25, v2
	s_nop 0
	v_cndmask_b32_e64 v19, 0, 1, s[2:3]
	v_cmp_eq_u32_e64 s[2:3], 0, v1
	s_nop 1
	v_cndmask_b32_e64 v20, 0, 1, s[2:3]
	v_cmp_eq_u32_e64 s[2:3], v1, v2
	v_mov_b64_e32 v[78:79], v[22:23]
	v_mov_b32_e32 v2, v18
	v_cndmask_b32_e64 v1, v20, v19, s[2:3]
	v_and_b32_e32 v1, 1, v1
	v_cmp_eq_u32_e64 s[2:3], 1, v1
	v_mov_b64_e32 v[76:77], v[20:21]
	v_mov_b64_e32 v[74:75], v[18:19]
	;; [unrolled: 1-line block ×3, first 2 shown]
	s_and_saveexec_b64 s[24:25], s[2:3]
	s_cbranch_execz .LBB399_363
; %bb.362:
	v_mov_b32_e32 v17, v18
	v_mov_b64_e32 v[54:55], v[22:23]
	v_mov_b64_e32 v[50:51], v[18:19]
	v_mov_b64_e32 v[52:53], v[20:21]
	v_mov_b64_e32 v[48:49], v[16:17]
	v_mov_b32_e32 v50, v25
	v_mov_b64_e32 v[70:71], v[54:55]
	v_mov_b64_e32 v[66:67], v[50:51]
	v_mov_b64_e32 v[64:65], v[48:49]
	v_mov_b64_e32 v[68:69], v[52:53]
	;; [unrolled: 5-line block ×5, first 2 shown]
	v_mov_b64_e32 v[12:13], v[60:61]
	v_mov_b32_e32 v14, v6
	v_mov_b32_e32 v15, v7
	;; [unrolled: 1-line block ×4, first 2 shown]
	v_mov_b64_e32 v[76:77], v[20:21]
	v_mov_b64_e32 v[74:75], v[18:19]
	;; [unrolled: 1-line block ×3, first 2 shown]
.LBB399_363:
	s_or_b64 exec, exec, s[24:25]
	s_or_b64 exec, exec, s[22:23]
	v_cmp_lt_u32_e64 s[22:23], 4, v0
	s_and_saveexec_b64 s[24:25], s[22:23]
	s_cbranch_execnz .LBB399_409
.LBB399_364:
	s_or_b64 exec, exec, s[24:25]
	v_cmp_lt_u32_e64 s[24:25], 6, v0
	s_and_saveexec_b64 s[34:35], s[24:25]
	s_cbranch_execz .LBB399_412
.LBB399_365:
	v_lshrrev_b32_e32 v0, 31, v6
	v_add_u32_e32 v0, v6, v0
	v_lshrrev_b32_e32 v1, 31, v5
	v_and_b32_e32 v0, -2, v0
	v_add_u32_e32 v1, v5, v1
	v_sub_u32_e32 v0, v6, v0
	v_and_b32_e32 v1, -2, v1
	v_cmp_lt_i32_e64 s[2:3], v6, v5
	v_sub_u32_e32 v1, v5, v1
	s_nop 0
	v_cndmask_b32_e64 v17, 0, 1, s[2:3]
	v_cmp_eq_u32_e64 s[2:3], 0, v0
	s_nop 1
	v_cndmask_b32_e64 v18, 0, 1, s[2:3]
	v_cmp_eq_u32_e64 s[2:3], v0, v1
	s_nop 1
	v_cndmask_b32_e64 v0, v18, v17, s[2:3]
	v_and_b32_e32 v0, 1, v0
	v_cmp_eq_u32_e64 s[2:3], 1, v0
	v_mov_b32_e32 v0, v6
	s_and_saveexec_b64 s[36:37], s[2:3]
	s_cbranch_execz .LBB399_367
; %bb.366:
	v_mov_b64_e32 v[62:63], v[46:47]
	v_mov_b64_e32 v[60:61], v[44:45]
	;; [unrolled: 1-line block ×4, first 2 shown]
	v_mov_b32_e32 v61, v6
	v_mov_b64_e32 v[8:9], v[56:57]
	v_mov_b64_e32 v[14:15], v[62:63]
	;; [unrolled: 1-line block ×4, first 2 shown]
	v_mov_b32_e32 v14, v5
	v_mov_b32_e32 v15, v7
	;; [unrolled: 1-line block ×4, first 2 shown]
.LBB399_367:
	s_or_b64 exec, exec, s[36:37]
	v_mov_b32_e32 v6, v0
	s_or_b64 exec, exec, s[34:35]
	s_and_saveexec_b64 s[34:35], s[12:13]
	s_cbranch_execnz .LBB399_413
.LBB399_368:
	s_or_b64 exec, exec, s[34:35]
	s_and_saveexec_b64 s[34:35], s[14:15]
	s_cbranch_execz .LBB399_416
.LBB399_369:
	v_lshrrev_b32_e32 v0, 31, v3
	v_add_u32_e32 v0, v3, v0
	v_lshrrev_b32_e32 v1, 31, v2
	v_and_b32_e32 v0, -2, v0
	v_add_u32_e32 v1, v2, v1
	v_sub_u32_e32 v0, v3, v0
	v_and_b32_e32 v1, -2, v1
	v_cmp_lt_i32_e64 s[2:3], v3, v2
	v_sub_u32_e32 v1, v2, v1
	s_nop 0
	v_cndmask_b32_e64 v27, 0, 1, s[2:3]
	v_cmp_eq_u32_e64 s[2:3], 0, v0
	s_nop 1
	v_cndmask_b32_e64 v80, 0, 1, s[2:3]
	v_cmp_eq_u32_e64 s[2:3], v0, v1
	s_nop 1
	v_cndmask_b32_e64 v0, v80, v27, s[2:3]
	v_and_b32_e32 v0, 1, v0
	v_cmp_eq_u32_e64 s[2:3], 1, v0
	s_and_saveexec_b64 s[36:37], s[2:3]
	s_cbranch_execz .LBB399_371
; %bb.370:
	v_mov_b64_e32 v[48:49], v[72:73]
	v_mov_b64_e32 v[50:51], v[74:75]
	v_mov_b64_e32 v[54:55], v[78:79]
	v_mov_b64_e32 v[52:53], v[76:77]
	v_mov_b32_e32 v50, v3
	v_mov_b64_e32 v[70:71], v[54:55]
	v_mov_b64_e32 v[66:67], v[50:51]
	v_mov_b64_e32 v[64:65], v[48:49]
	v_mov_b64_e32 v[68:69], v[52:53]
	v_mov_b32_e32 v67, v2
	;; [unrolled: 5-line block ×5, first 2 shown]
	v_mov_b32_e32 v15, v7
	v_mov_b32_e32 v0, v2
	v_swap_b32 v2, v3
.LBB399_371:
	s_or_b64 exec, exec, s[36:37]
	s_or_b64 exec, exec, s[34:35]
	s_and_saveexec_b64 s[34:35], s[16:17]
	s_cbranch_execnz .LBB399_417
.LBB399_372:
	s_or_b64 exec, exec, s[34:35]
	s_and_saveexec_b64 s[34:35], s[20:21]
	s_cbranch_execz .LBB399_420
.LBB399_373:
	v_lshrrev_b32_e32 v0, 31, v7
	v_add_u32_e32 v0, v7, v0
	v_lshrrev_b32_e32 v1, 31, v6
	v_and_b32_e32 v0, -2, v0
	v_add_u32_e32 v1, v6, v1
	v_sub_u32_e32 v0, v7, v0
	v_and_b32_e32 v1, -2, v1
	v_cmp_lt_i32_e64 s[2:3], v7, v6
	v_sub_u32_e32 v1, v6, v1
	s_nop 0
	v_cndmask_b32_e64 v27, 0, 1, s[2:3]
	v_cmp_eq_u32_e64 s[2:3], 0, v0
	s_nop 1
	v_cndmask_b32_e64 v80, 0, 1, s[2:3]
	v_cmp_eq_u32_e64 s[2:3], v0, v1
	s_nop 1
	v_cndmask_b32_e64 v0, v80, v27, s[2:3]
	v_and_b32_e32 v0, 1, v0
	v_cmp_eq_u32_e64 s[2:3], 1, v0
	v_mov_b32_e32 v0, v7
	s_and_saveexec_b64 s[36:37], s[2:3]
; %bb.374:
	v_mov_b64_e32 v[8:9], v[56:57]
	v_mov_b64_e32 v[14:15], v[62:63]
	;; [unrolled: 1-line block ×4, first 2 shown]
	v_mov_b32_e32 v14, v7
	v_mov_b32_e32 v15, v6
	;; [unrolled: 1-line block ×4, first 2 shown]
; %bb.375:
	s_or_b64 exec, exec, s[36:37]
	v_mov_b32_e32 v7, v0
	s_or_b64 exec, exec, s[34:35]
	s_and_saveexec_b64 s[34:35], s[18:19]
	s_cbranch_execnz .LBB399_421
.LBB399_376:
	s_or_b64 exec, exec, s[34:35]
	s_and_saveexec_b64 s[34:35], s[22:23]
	s_cbranch_execz .LBB399_424
.LBB399_377:
	v_lshrrev_b32_e32 v0, 31, v4
	v_add_u32_e32 v0, v4, v0
	v_lshrrev_b32_e32 v1, 31, v3
	v_and_b32_e32 v0, -2, v0
	v_add_u32_e32 v1, v3, v1
	v_sub_u32_e32 v0, v4, v0
	v_and_b32_e32 v1, -2, v1
	v_cmp_lt_i32_e64 s[2:3], v4, v3
	v_sub_u32_e32 v1, v3, v1
	s_nop 0
	v_cndmask_b32_e64 v27, 0, 1, s[2:3]
	v_cmp_eq_u32_e64 s[2:3], 0, v0
	s_nop 1
	v_cndmask_b32_e64 v80, 0, 1, s[2:3]
	v_cmp_eq_u32_e64 s[2:3], v0, v1
	s_nop 1
	v_cndmask_b32_e64 v0, v80, v27, s[2:3]
	v_and_b32_e32 v0, 1, v0
	v_cmp_eq_u32_e64 s[2:3], 1, v0
	s_and_saveexec_b64 s[36:37], s[2:3]
	s_cbranch_execz .LBB399_379
; %bb.378:
	v_mov_b64_e32 v[70:71], v[54:55]
	v_mov_b64_e32 v[66:67], v[50:51]
	v_mov_b64_e32 v[64:65], v[48:49]
	v_mov_b64_e32 v[68:69], v[52:53]
	v_mov_b32_e32 v67, v4
	v_mov_b64_e32 v[40:41], v[64:65]
	v_mov_b64_e32 v[44:45], v[68:69]
	v_mov_b64_e32 v[46:47], v[70:71]
	v_mov_b64_e32 v[42:43], v[66:67]
	v_mov_b32_e32 v44, v3
	;; [unrolled: 5-line block ×4, first 2 shown]
	v_mov_b32_e32 v15, v7
	v_mov_b32_e32 v0, v3
	v_swap_b32 v3, v4
.LBB399_379:
	s_or_b64 exec, exec, s[36:37]
	s_or_b64 exec, exec, s[34:35]
	s_and_saveexec_b64 s[34:35], s[24:25]
	s_cbranch_execnz .LBB399_425
.LBB399_380:
	s_or_b64 exec, exec, s[34:35]
	s_and_saveexec_b64 s[34:35], s[12:13]
	s_cbranch_execz .LBB399_428
.LBB399_381:
	v_lshrrev_b32_e32 v0, 31, v25
	v_add_u32_e32 v0, v25, v0
	v_lshrrev_b32_e32 v1, 31, v24
	v_and_b32_e32 v0, -2, v0
	v_add_u32_e32 v1, v24, v1
	v_sub_u32_e32 v0, v25, v0
	v_and_b32_e32 v1, -2, v1
	v_cmp_lt_i32_e64 s[2:3], v25, v24
	v_sub_u32_e32 v1, v24, v1
	s_nop 0
	v_cndmask_b32_e64 v27, 0, 1, s[2:3]
	v_cmp_eq_u32_e64 s[2:3], 0, v0
	s_nop 1
	v_cndmask_b32_e64 v80, 0, 1, s[2:3]
	v_cmp_eq_u32_e64 s[2:3], v0, v1
	s_nop 1
	v_cndmask_b32_e64 v0, v80, v27, s[2:3]
	v_and_b32_e32 v0, 1, v0
	v_cmp_eq_u32_e64 s[2:3], 1, v0
	v_mov_b32_e32 v27, v25
	s_and_saveexec_b64 s[36:37], s[2:3]
	s_cbranch_execz .LBB399_383
; %bb.382:
	v_mov_b32_e32 v0, v25
	v_mov_b32_e32 v1, v24
	v_mov_b64_e32 v[22:23], v[6:7]
	v_mov_b64_e32 v[78:79], v[6:7]
	;; [unrolled: 1-line block ×7, first 2 shown]
	v_mov_b32_e32 v27, v24
	v_mov_b32_e32 v24, v25
	v_mov_b64_e32 v[20:21], v[4:5]
	v_mov_b64_e32 v[18:19], v[2:3]
	;; [unrolled: 1-line block ×21, first 2 shown]
.LBB399_383:
	s_or_b64 exec, exec, s[36:37]
	v_mov_b32_e32 v25, v27
	s_or_b64 exec, exec, s[34:35]
	s_and_saveexec_b64 s[34:35], s[14:15]
	s_cbranch_execnz .LBB399_429
.LBB399_384:
	s_or_b64 exec, exec, s[34:35]
	s_and_saveexec_b64 s[34:35], s[16:17]
	s_cbranch_execz .LBB399_432
.LBB399_385:
	v_lshrrev_b32_e32 v0, 31, v5
	v_add_u32_e32 v0, v5, v0
	v_lshrrev_b32_e32 v1, 31, v4
	v_and_b32_e32 v0, -2, v0
	v_add_u32_e32 v1, v4, v1
	v_sub_u32_e32 v0, v5, v0
	v_and_b32_e32 v1, -2, v1
	v_cmp_lt_i32_e64 s[2:3], v5, v4
	v_sub_u32_e32 v1, v4, v1
	s_nop 0
	v_cndmask_b32_e64 v27, 0, 1, s[2:3]
	v_cmp_eq_u32_e64 s[2:3], 0, v0
	s_nop 1
	v_cndmask_b32_e64 v74, 0, 1, s[2:3]
	v_cmp_eq_u32_e64 s[2:3], v0, v1
	s_nop 1
	v_cndmask_b32_e64 v0, v74, v27, s[2:3]
	v_and_b32_e32 v0, 1, v0
	v_cmp_eq_u32_e64 s[2:3], 1, v0
	s_and_saveexec_b64 s[36:37], s[2:3]
	s_cbranch_execz .LBB399_387
; %bb.386:
	v_mov_b64_e32 v[40:41], v[64:65]
	v_mov_b64_e32 v[44:45], v[68:69]
	v_mov_b64_e32 v[46:47], v[70:71]
	v_mov_b64_e32 v[42:43], v[66:67]
	v_mov_b32_e32 v44, v5
	v_mov_b64_e32 v[62:63], v[46:47]
	v_mov_b64_e32 v[60:61], v[44:45]
	v_mov_b64_e32 v[56:57], v[40:41]
	v_mov_b64_e32 v[58:59], v[42:43]
	v_mov_b32_e32 v61, v4
	;; [unrolled: 5-line block ×3, first 2 shown]
	v_mov_b32_e32 v15, v7
	v_mov_b32_e32 v0, v4
	v_swap_b32 v4, v5
.LBB399_387:
	s_or_b64 exec, exec, s[36:37]
	s_or_b64 exec, exec, s[34:35]
	s_and_saveexec_b64 s[34:35], s[20:21]
	s_cbranch_execnz .LBB399_433
.LBB399_388:
	s_or_b64 exec, exec, s[34:35]
	s_and_saveexec_b64 s[34:35], s[18:19]
	s_cbranch_execz .LBB399_436
.LBB399_389:
	v_lshrrev_b32_e32 v0, 31, v2
	v_add_u32_e32 v0, v2, v0
	v_lshrrev_b32_e32 v1, 31, v25
	v_and_b32_e32 v0, -2, v0
	v_add_u32_e32 v1, v25, v1
	v_sub_u32_e32 v0, v2, v0
	v_and_b32_e32 v1, -2, v1
	v_cmp_lt_i32_e64 s[2:3], v2, v25
	v_sub_u32_e32 v1, v25, v1
	s_nop 0
	v_cndmask_b32_e64 v27, 0, 1, s[2:3]
	v_cmp_eq_u32_e64 s[2:3], 0, v0
	s_nop 1
	v_cndmask_b32_e64 v62, 0, 1, s[2:3]
	v_cmp_eq_u32_e64 s[2:3], v0, v1
	s_nop 1
	v_cndmask_b32_e64 v0, v62, v27, s[2:3]
	v_and_b32_e32 v0, 1, v0
	v_cmp_eq_u32_e64 s[2:3], 1, v0
	s_and_saveexec_b64 s[36:37], s[2:3]
	s_cbranch_execz .LBB399_391
; %bb.390:
	v_mov_b64_e32 v[78:79], v[22:23]
	v_mov_b64_e32 v[72:73], v[16:17]
	v_mov_b32_e32 v73, v2
	v_mov_b64_e32 v[76:77], v[20:21]
	v_mov_b64_e32 v[74:75], v[18:19]
	;; [unrolled: 1-line block ×6, first 2 shown]
	v_mov_b32_e32 v50, v25
	v_mov_b64_e32 v[70:71], v[54:55]
	v_mov_b64_e32 v[66:67], v[50:51]
	v_mov_b64_e32 v[64:65], v[48:49]
	v_mov_b64_e32 v[68:69], v[52:53]
	v_mov_b32_e32 v67, v3
	v_mov_b64_e32 v[40:41], v[64:65]
	v_mov_b64_e32 v[44:45], v[68:69]
	v_mov_b64_e32 v[46:47], v[70:71]
	v_mov_b64_e32 v[42:43], v[66:67]
	;; [unrolled: 5-line block ×4, first 2 shown]
	v_mov_b32_e32 v14, v6
	v_mov_b32_e32 v15, v7
	;; [unrolled: 1-line block ×3, first 2 shown]
	v_swap_b32 v25, v2
.LBB399_391:
	s_or_b64 exec, exec, s[36:37]
	s_or_b64 exec, exec, s[34:35]
	s_and_saveexec_b64 s[34:35], s[22:23]
	s_cbranch_execnz .LBB399_437
.LBB399_392:
	s_or_b64 exec, exec, s[34:35]
	s_and_saveexec_b64 s[34:35], s[24:25]
	s_cbranch_execz .LBB399_440
.LBB399_393:
	v_lshrrev_b32_e32 v0, 31, v6
	v_add_u32_e32 v0, v6, v0
	v_lshrrev_b32_e32 v1, 31, v5
	v_and_b32_e32 v0, -2, v0
	v_add_u32_e32 v1, v5, v1
	v_sub_u32_e32 v0, v6, v0
	v_and_b32_e32 v1, -2, v1
	v_cmp_lt_i32_e64 s[2:3], v6, v5
	v_sub_u32_e32 v1, v5, v1
	s_nop 0
	v_cndmask_b32_e64 v17, 0, 1, s[2:3]
	v_cmp_eq_u32_e64 s[2:3], 0, v0
	s_nop 1
	v_cndmask_b32_e64 v18, 0, 1, s[2:3]
	v_cmp_eq_u32_e64 s[2:3], v0, v1
	s_nop 1
	v_cndmask_b32_e64 v0, v18, v17, s[2:3]
	v_and_b32_e32 v0, 1, v0
	v_cmp_eq_u32_e64 s[2:3], 1, v0
	v_mov_b32_e32 v0, v6
	s_and_saveexec_b64 s[36:37], s[2:3]
	s_cbranch_execz .LBB399_395
; %bb.394:
	v_mov_b64_e32 v[62:63], v[46:47]
	v_mov_b64_e32 v[60:61], v[44:45]
	;; [unrolled: 1-line block ×4, first 2 shown]
	v_mov_b32_e32 v61, v6
	v_mov_b64_e32 v[8:9], v[56:57]
	v_mov_b64_e32 v[14:15], v[62:63]
	;; [unrolled: 1-line block ×4, first 2 shown]
	v_mov_b32_e32 v14, v5
	v_mov_b32_e32 v15, v7
	;; [unrolled: 1-line block ×4, first 2 shown]
.LBB399_395:
	s_or_b64 exec, exec, s[36:37]
	v_mov_b32_e32 v6, v0
	s_or_b64 exec, exec, s[34:35]
	s_and_saveexec_b64 s[34:35], s[12:13]
	s_cbranch_execnz .LBB399_441
.LBB399_396:
	s_or_b64 exec, exec, s[34:35]
	s_and_saveexec_b64 s[12:13], s[14:15]
	s_cbranch_execz .LBB399_444
.LBB399_397:
	v_lshrrev_b32_e32 v0, 31, v3
	v_add_u32_e32 v0, v3, v0
	v_lshrrev_b32_e32 v1, 31, v2
	v_and_b32_e32 v0, -2, v0
	v_add_u32_e32 v1, v2, v1
	v_sub_u32_e32 v0, v3, v0
	v_and_b32_e32 v1, -2, v1
	v_cmp_lt_i32_e64 s[2:3], v3, v2
	v_sub_u32_e32 v1, v2, v1
	s_nop 0
	v_cndmask_b32_e64 v17, 0, 1, s[2:3]
	v_cmp_eq_u32_e64 s[2:3], 0, v0
	s_nop 1
	v_cndmask_b32_e64 v18, 0, 1, s[2:3]
	v_cmp_eq_u32_e64 s[2:3], v0, v1
	s_nop 1
	v_cndmask_b32_e64 v0, v18, v17, s[2:3]
	v_and_b32_e32 v0, 1, v0
	v_cmp_eq_u32_e64 s[2:3], 1, v0
	s_and_saveexec_b64 s[14:15], s[2:3]
	s_cbranch_execz .LBB399_399
; %bb.398:
	v_mov_b32_e32 v74, v3
	v_mov_b64_e32 v[64:65], v[72:73]
	v_mov_b64_e32 v[66:67], v[74:75]
	v_mov_b64_e32 v[68:69], v[76:77]
	v_mov_b64_e32 v[70:71], v[78:79]
	v_mov_b32_e32 v67, v2
	v_mov_b64_e32 v[40:41], v[64:65]
	v_mov_b64_e32 v[44:45], v[68:69]
	v_mov_b64_e32 v[46:47], v[70:71]
	v_mov_b64_e32 v[42:43], v[66:67]
	;; [unrolled: 5-line block ×4, first 2 shown]
	v_mov_b64_e32 v[12:13], v[60:61]
	v_mov_b32_e32 v14, v6
	v_mov_b32_e32 v15, v7
	;; [unrolled: 1-line block ×3, first 2 shown]
	v_swap_b32 v2, v3
	v_mov_b64_e32 v[50:51], v[74:75]
	v_mov_b64_e32 v[52:53], v[76:77]
	;; [unrolled: 1-line block ×3, first 2 shown]
.LBB399_399:
	s_or_b64 exec, exec, s[14:15]
	s_or_b64 exec, exec, s[12:13]
	s_and_saveexec_b64 s[12:13], s[16:17]
	s_cbranch_execnz .LBB399_445
.LBB399_400:
	s_or_b64 exec, exec, s[12:13]
	s_and_saveexec_b64 s[12:13], s[20:21]
	s_cbranch_execz .LBB399_448
.LBB399_401:
	v_lshrrev_b32_e32 v0, 31, v7
	v_add_u32_e32 v0, v7, v0
	v_lshrrev_b32_e32 v1, 31, v6
	v_and_b32_e32 v0, -2, v0
	v_add_u32_e32 v1, v6, v1
	v_sub_u32_e32 v0, v7, v0
	v_and_b32_e32 v1, -2, v1
	v_cmp_lt_i32_e64 s[2:3], v7, v6
	v_sub_u32_e32 v1, v6, v1
	s_nop 0
	v_cndmask_b32_e64 v17, 0, 1, s[2:3]
	v_cmp_eq_u32_e64 s[2:3], 0, v0
	s_nop 1
	v_cndmask_b32_e64 v18, 0, 1, s[2:3]
	v_cmp_eq_u32_e64 s[2:3], v0, v1
	s_nop 1
	v_cndmask_b32_e64 v0, v18, v17, s[2:3]
	v_and_b32_e32 v0, 1, v0
	v_cmp_eq_u32_e64 s[2:3], 1, v0
	v_mov_b32_e32 v0, v7
	s_and_saveexec_b64 s[14:15], s[2:3]
; %bb.402:
	v_mov_b32_e32 v62, v7
	v_mov_b32_e32 v63, v6
	v_mov_b64_e32 v[8:9], v[56:57]
	v_mov_b32_e32 v0, v6
	v_mov_b32_e32 v6, v7
	v_mov_b64_e32 v[10:11], v[58:59]
	v_mov_b64_e32 v[12:13], v[60:61]
	;; [unrolled: 1-line block ×3, first 2 shown]
; %bb.403:
	s_or_b64 exec, exec, s[14:15]
	v_mov_b32_e32 v7, v0
	s_or_b64 exec, exec, s[12:13]
	s_and_saveexec_b64 s[12:13], s[18:19]
	s_cbranch_execnz .LBB399_449
.LBB399_404:
	s_or_b64 exec, exec, s[12:13]
	s_and_saveexec_b64 s[12:13], s[22:23]
	s_cbranch_execz .LBB399_452
.LBB399_405:
	v_lshrrev_b32_e32 v0, 31, v4
	v_add_u32_e32 v0, v4, v0
	v_lshrrev_b32_e32 v1, 31, v3
	v_and_b32_e32 v0, -2, v0
	v_add_u32_e32 v1, v3, v1
	v_sub_u32_e32 v0, v4, v0
	v_and_b32_e32 v1, -2, v1
	v_cmp_lt_i32_e64 s[2:3], v4, v3
	v_sub_u32_e32 v1, v3, v1
	s_nop 0
	v_cndmask_b32_e64 v16, 0, 1, s[2:3]
	v_cmp_eq_u32_e64 s[2:3], 0, v0
	s_nop 1
	v_cndmask_b32_e64 v17, 0, 1, s[2:3]
	v_cmp_eq_u32_e64 s[2:3], v0, v1
	s_nop 1
	v_cndmask_b32_e64 v0, v17, v16, s[2:3]
	v_and_b32_e32 v0, 1, v0
	v_cmp_eq_u32_e64 s[2:3], 1, v0
	s_and_saveexec_b64 s[14:15], s[2:3]
	s_cbranch_execz .LBB399_407
; %bb.406:
	v_mov_b32_e32 v51, v4
	v_mov_b32_e32 v52, v3
	v_mov_b64_e32 v[8:9], v[48:49]
	v_mov_b64_e32 v[12:13], v[52:53]
	;; [unrolled: 1-line block ×5, first 2 shown]
	v_mov_b32_e32 v13, v5
	v_mov_b32_e32 v14, v6
	;; [unrolled: 1-line block ×4, first 2 shown]
	v_swap_b32 v3, v4
	v_mov_b64_e32 v[42:43], v[50:51]
	v_mov_b64_e32 v[44:45], v[52:53]
	;; [unrolled: 1-line block ×3, first 2 shown]
.LBB399_407:
	s_or_b64 exec, exec, s[14:15]
	s_or_b64 exec, exec, s[12:13]
	s_and_saveexec_b64 s[12:13], s[24:25]
	s_cbranch_execz .LBB399_456
	s_branch .LBB399_453
.LBB399_408:
	s_or_b64 exec, exec, s[22:23]
	v_cmp_lt_u32_e64 s[22:23], 4, v0
	s_and_saveexec_b64 s[24:25], s[22:23]
	s_cbranch_execz .LBB399_364
.LBB399_409:
	v_lshrrev_b32_e32 v1, 31, v4
	v_add_u32_e32 v1, v4, v1
	v_lshrrev_b32_e32 v17, 31, v3
	v_and_b32_e32 v1, -2, v1
	v_add_u32_e32 v17, v3, v17
	v_sub_u32_e32 v1, v4, v1
	v_and_b32_e32 v17, -2, v17
	v_cmp_lt_i32_e64 s[2:3], v4, v3
	v_sub_u32_e32 v17, v3, v17
	s_nop 0
	v_cndmask_b32_e64 v18, 0, 1, s[2:3]
	v_cmp_eq_u32_e64 s[2:3], 0, v1
	s_nop 1
	v_cndmask_b32_e64 v19, 0, 1, s[2:3]
	v_cmp_eq_u32_e64 s[2:3], v1, v17
	s_nop 1
	v_cndmask_b32_e64 v1, v19, v18, s[2:3]
	v_and_b32_e32 v1, 1, v1
	v_cmp_eq_u32_e64 s[2:3], 1, v1
	s_and_saveexec_b64 s[34:35], s[2:3]
	s_cbranch_execz .LBB399_411
; %bb.410:
	v_mov_b64_e32 v[70:71], v[54:55]
	v_mov_b64_e32 v[66:67], v[50:51]
	v_mov_b64_e32 v[64:65], v[48:49]
	v_mov_b64_e32 v[68:69], v[52:53]
	v_mov_b32_e32 v67, v4
	v_mov_b64_e32 v[40:41], v[64:65]
	v_mov_b64_e32 v[44:45], v[68:69]
	v_mov_b64_e32 v[46:47], v[70:71]
	v_mov_b64_e32 v[42:43], v[66:67]
	v_mov_b32_e32 v44, v3
	;; [unrolled: 5-line block ×4, first 2 shown]
	v_mov_b32_e32 v15, v7
	v_mov_b32_e32 v1, v3
	v_swap_b32 v3, v4
.LBB399_411:
	s_or_b64 exec, exec, s[34:35]
	s_or_b64 exec, exec, s[24:25]
	v_cmp_lt_u32_e64 s[24:25], 6, v0
	s_and_saveexec_b64 s[34:35], s[24:25]
	s_cbranch_execnz .LBB399_365
.LBB399_412:
	s_or_b64 exec, exec, s[34:35]
	s_and_saveexec_b64 s[34:35], s[12:13]
	s_cbranch_execz .LBB399_368
.LBB399_413:
	v_lshrrev_b32_e32 v0, 31, v25
	v_add_u32_e32 v0, v25, v0
	v_lshrrev_b32_e32 v1, 31, v24
	v_and_b32_e32 v0, -2, v0
	v_add_u32_e32 v1, v24, v1
	v_sub_u32_e32 v0, v25, v0
	v_and_b32_e32 v1, -2, v1
	v_cmp_lt_i32_e64 s[2:3], v25, v24
	v_sub_u32_e32 v1, v24, v1
	v_mov_b32_e32 v27, v25
	v_cndmask_b32_e64 v17, 0, 1, s[2:3]
	v_cmp_eq_u32_e64 s[2:3], 0, v0
	s_nop 1
	v_cndmask_b32_e64 v18, 0, 1, s[2:3]
	v_cmp_eq_u32_e64 s[2:3], v0, v1
	s_nop 1
	v_cndmask_b32_e64 v0, v18, v17, s[2:3]
	v_and_b32_e32 v0, 1, v0
	v_cmp_eq_u32_e64 s[2:3], 1, v0
	s_and_saveexec_b64 s[36:37], s[2:3]
	s_cbranch_execz .LBB399_415
; %bb.414:
	v_mov_b32_e32 v0, v25
	v_mov_b32_e32 v1, v24
	v_mov_b64_e32 v[22:23], v[6:7]
	v_mov_b64_e32 v[78:79], v[6:7]
	;; [unrolled: 1-line block ×7, first 2 shown]
	v_mov_b32_e32 v27, v24
	v_mov_b32_e32 v24, v25
	v_mov_b64_e32 v[20:21], v[4:5]
	v_mov_b64_e32 v[18:19], v[2:3]
	;; [unrolled: 1-line block ×21, first 2 shown]
.LBB399_415:
	s_or_b64 exec, exec, s[36:37]
	v_mov_b32_e32 v25, v27
	s_or_b64 exec, exec, s[34:35]
	s_and_saveexec_b64 s[34:35], s[14:15]
	s_cbranch_execnz .LBB399_369
.LBB399_416:
	s_or_b64 exec, exec, s[34:35]
	s_and_saveexec_b64 s[34:35], s[16:17]
	s_cbranch_execz .LBB399_372
.LBB399_417:
	v_lshrrev_b32_e32 v0, 31, v5
	v_add_u32_e32 v0, v5, v0
	v_lshrrev_b32_e32 v1, 31, v4
	v_and_b32_e32 v0, -2, v0
	v_add_u32_e32 v1, v4, v1
	v_sub_u32_e32 v0, v5, v0
	v_and_b32_e32 v1, -2, v1
	v_cmp_lt_i32_e64 s[2:3], v5, v4
	v_sub_u32_e32 v1, v4, v1
	s_nop 0
	v_cndmask_b32_e64 v27, 0, 1, s[2:3]
	v_cmp_eq_u32_e64 s[2:3], 0, v0
	s_nop 1
	v_cndmask_b32_e64 v80, 0, 1, s[2:3]
	v_cmp_eq_u32_e64 s[2:3], v0, v1
	s_nop 1
	v_cndmask_b32_e64 v0, v80, v27, s[2:3]
	v_and_b32_e32 v0, 1, v0
	v_cmp_eq_u32_e64 s[2:3], 1, v0
	s_and_saveexec_b64 s[36:37], s[2:3]
	s_cbranch_execz .LBB399_419
; %bb.418:
	v_mov_b64_e32 v[40:41], v[64:65]
	v_mov_b64_e32 v[44:45], v[68:69]
	v_mov_b64_e32 v[46:47], v[70:71]
	v_mov_b64_e32 v[42:43], v[66:67]
	v_mov_b32_e32 v44, v5
	v_mov_b64_e32 v[62:63], v[46:47]
	v_mov_b64_e32 v[60:61], v[44:45]
	v_mov_b64_e32 v[56:57], v[40:41]
	v_mov_b64_e32 v[58:59], v[42:43]
	v_mov_b32_e32 v61, v4
	;; [unrolled: 5-line block ×3, first 2 shown]
	v_mov_b32_e32 v15, v7
	v_mov_b32_e32 v0, v4
	v_swap_b32 v4, v5
.LBB399_419:
	s_or_b64 exec, exec, s[36:37]
	s_or_b64 exec, exec, s[34:35]
	s_and_saveexec_b64 s[34:35], s[20:21]
	s_cbranch_execnz .LBB399_373
.LBB399_420:
	s_or_b64 exec, exec, s[34:35]
	s_and_saveexec_b64 s[34:35], s[18:19]
	s_cbranch_execz .LBB399_376
.LBB399_421:
	v_lshrrev_b32_e32 v0, 31, v2
	v_add_u32_e32 v0, v2, v0
	v_lshrrev_b32_e32 v1, 31, v25
	v_and_b32_e32 v0, -2, v0
	v_add_u32_e32 v1, v25, v1
	v_sub_u32_e32 v0, v2, v0
	v_and_b32_e32 v1, -2, v1
	v_cmp_lt_i32_e64 s[2:3], v2, v25
	v_sub_u32_e32 v1, v25, v1
	s_nop 0
	v_cndmask_b32_e64 v27, 0, 1, s[2:3]
	v_cmp_eq_u32_e64 s[2:3], 0, v0
	s_nop 1
	v_cndmask_b32_e64 v80, 0, 1, s[2:3]
	v_cmp_eq_u32_e64 s[2:3], v0, v1
	s_nop 1
	v_cndmask_b32_e64 v0, v80, v27, s[2:3]
	v_and_b32_e32 v0, 1, v0
	v_cmp_eq_u32_e64 s[2:3], 1, v0
	s_and_saveexec_b64 s[36:37], s[2:3]
	s_cbranch_execz .LBB399_423
; %bb.422:
	v_mov_b64_e32 v[78:79], v[22:23]
	v_mov_b64_e32 v[72:73], v[16:17]
	v_mov_b32_e32 v73, v2
	v_mov_b64_e32 v[76:77], v[20:21]
	v_mov_b64_e32 v[74:75], v[18:19]
	;; [unrolled: 1-line block ×6, first 2 shown]
	v_mov_b32_e32 v50, v25
	v_mov_b64_e32 v[70:71], v[54:55]
	v_mov_b64_e32 v[66:67], v[50:51]
	v_mov_b64_e32 v[64:65], v[48:49]
	v_mov_b64_e32 v[68:69], v[52:53]
	v_mov_b32_e32 v67, v3
	v_mov_b64_e32 v[40:41], v[64:65]
	v_mov_b64_e32 v[44:45], v[68:69]
	v_mov_b64_e32 v[46:47], v[70:71]
	v_mov_b64_e32 v[42:43], v[66:67]
	;; [unrolled: 5-line block ×4, first 2 shown]
	v_mov_b32_e32 v14, v6
	v_mov_b32_e32 v15, v7
	;; [unrolled: 1-line block ×3, first 2 shown]
	v_swap_b32 v25, v2
.LBB399_423:
	s_or_b64 exec, exec, s[36:37]
	s_or_b64 exec, exec, s[34:35]
	s_and_saveexec_b64 s[34:35], s[22:23]
	s_cbranch_execnz .LBB399_377
.LBB399_424:
	s_or_b64 exec, exec, s[34:35]
	s_and_saveexec_b64 s[34:35], s[24:25]
	s_cbranch_execz .LBB399_380
.LBB399_425:
	v_lshrrev_b32_e32 v0, 31, v6
	v_add_u32_e32 v0, v6, v0
	v_lshrrev_b32_e32 v1, 31, v5
	v_and_b32_e32 v0, -2, v0
	v_add_u32_e32 v1, v5, v1
	v_sub_u32_e32 v0, v6, v0
	v_and_b32_e32 v1, -2, v1
	v_cmp_lt_i32_e64 s[2:3], v6, v5
	v_sub_u32_e32 v1, v5, v1
	s_nop 0
	v_cndmask_b32_e64 v27, 0, 1, s[2:3]
	v_cmp_eq_u32_e64 s[2:3], 0, v0
	s_nop 1
	v_cndmask_b32_e64 v80, 0, 1, s[2:3]
	v_cmp_eq_u32_e64 s[2:3], v0, v1
	s_nop 1
	v_cndmask_b32_e64 v0, v80, v27, s[2:3]
	v_and_b32_e32 v0, 1, v0
	v_cmp_eq_u32_e64 s[2:3], 1, v0
	v_mov_b32_e32 v0, v6
	s_and_saveexec_b64 s[36:37], s[2:3]
	s_cbranch_execz .LBB399_427
; %bb.426:
	v_mov_b64_e32 v[62:63], v[46:47]
	v_mov_b64_e32 v[60:61], v[44:45]
	;; [unrolled: 1-line block ×4, first 2 shown]
	v_mov_b32_e32 v61, v6
	v_mov_b64_e32 v[8:9], v[56:57]
	v_mov_b64_e32 v[14:15], v[62:63]
	;; [unrolled: 1-line block ×4, first 2 shown]
	v_mov_b32_e32 v14, v5
	v_mov_b32_e32 v15, v7
	;; [unrolled: 1-line block ×4, first 2 shown]
.LBB399_427:
	s_or_b64 exec, exec, s[36:37]
	v_mov_b32_e32 v6, v0
	s_or_b64 exec, exec, s[34:35]
	s_and_saveexec_b64 s[34:35], s[12:13]
	s_cbranch_execnz .LBB399_381
.LBB399_428:
	s_or_b64 exec, exec, s[34:35]
	s_and_saveexec_b64 s[34:35], s[14:15]
	s_cbranch_execz .LBB399_384
.LBB399_429:
	v_lshrrev_b32_e32 v0, 31, v3
	v_add_u32_e32 v0, v3, v0
	v_lshrrev_b32_e32 v1, 31, v2
	v_and_b32_e32 v0, -2, v0
	v_add_u32_e32 v1, v2, v1
	v_sub_u32_e32 v0, v3, v0
	v_and_b32_e32 v1, -2, v1
	v_cmp_lt_i32_e64 s[2:3], v3, v2
	v_sub_u32_e32 v1, v2, v1
	s_nop 0
	v_cndmask_b32_e64 v27, 0, 1, s[2:3]
	v_cmp_eq_u32_e64 s[2:3], 0, v0
	s_nop 1
	v_cndmask_b32_e64 v80, 0, 1, s[2:3]
	v_cmp_eq_u32_e64 s[2:3], v0, v1
	s_nop 1
	v_cndmask_b32_e64 v0, v80, v27, s[2:3]
	v_and_b32_e32 v0, 1, v0
	v_cmp_eq_u32_e64 s[2:3], 1, v0
	s_and_saveexec_b64 s[36:37], s[2:3]
	s_cbranch_execz .LBB399_431
; %bb.430:
	v_mov_b64_e32 v[48:49], v[72:73]
	v_mov_b64_e32 v[50:51], v[74:75]
	v_mov_b64_e32 v[54:55], v[78:79]
	v_mov_b64_e32 v[52:53], v[76:77]
	v_mov_b32_e32 v50, v3
	v_mov_b64_e32 v[70:71], v[54:55]
	v_mov_b64_e32 v[66:67], v[50:51]
	v_mov_b64_e32 v[64:65], v[48:49]
	v_mov_b64_e32 v[68:69], v[52:53]
	v_mov_b32_e32 v67, v2
	;; [unrolled: 5-line block ×5, first 2 shown]
	v_mov_b32_e32 v15, v7
	v_mov_b32_e32 v0, v2
	v_swap_b32 v2, v3
.LBB399_431:
	s_or_b64 exec, exec, s[36:37]
	s_or_b64 exec, exec, s[34:35]
	s_and_saveexec_b64 s[34:35], s[16:17]
	s_cbranch_execnz .LBB399_385
.LBB399_432:
	s_or_b64 exec, exec, s[34:35]
	s_and_saveexec_b64 s[34:35], s[20:21]
	s_cbranch_execz .LBB399_388
.LBB399_433:
	v_lshrrev_b32_e32 v0, 31, v7
	v_add_u32_e32 v0, v7, v0
	v_lshrrev_b32_e32 v1, 31, v6
	v_and_b32_e32 v0, -2, v0
	v_add_u32_e32 v1, v6, v1
	v_sub_u32_e32 v0, v7, v0
	v_and_b32_e32 v1, -2, v1
	v_cmp_lt_i32_e64 s[2:3], v7, v6
	v_sub_u32_e32 v1, v6, v1
	s_nop 0
	v_cndmask_b32_e64 v27, 0, 1, s[2:3]
	v_cmp_eq_u32_e64 s[2:3], 0, v0
	s_nop 1
	v_cndmask_b32_e64 v68, 0, 1, s[2:3]
	v_cmp_eq_u32_e64 s[2:3], v0, v1
	s_nop 1
	v_cndmask_b32_e64 v0, v68, v27, s[2:3]
	v_and_b32_e32 v0, 1, v0
	v_cmp_eq_u32_e64 s[2:3], 1, v0
	v_mov_b32_e32 v0, v7
	s_and_saveexec_b64 s[36:37], s[2:3]
; %bb.434:
	v_mov_b64_e32 v[8:9], v[56:57]
	v_mov_b64_e32 v[14:15], v[62:63]
	;; [unrolled: 1-line block ×4, first 2 shown]
	v_mov_b32_e32 v14, v7
	v_mov_b32_e32 v15, v6
	;; [unrolled: 1-line block ×4, first 2 shown]
; %bb.435:
	s_or_b64 exec, exec, s[36:37]
	v_mov_b32_e32 v7, v0
	s_or_b64 exec, exec, s[34:35]
	s_and_saveexec_b64 s[34:35], s[18:19]
	s_cbranch_execnz .LBB399_389
.LBB399_436:
	s_or_b64 exec, exec, s[34:35]
	s_and_saveexec_b64 s[34:35], s[22:23]
	s_cbranch_execz .LBB399_392
.LBB399_437:
	v_lshrrev_b32_e32 v0, 31, v4
	v_add_u32_e32 v0, v4, v0
	v_lshrrev_b32_e32 v1, 31, v3
	v_and_b32_e32 v0, -2, v0
	v_add_u32_e32 v1, v3, v1
	v_sub_u32_e32 v0, v4, v0
	v_and_b32_e32 v1, -2, v1
	v_cmp_lt_i32_e64 s[2:3], v4, v3
	v_sub_u32_e32 v1, v3, v1
	s_nop 0
	v_cndmask_b32_e64 v17, 0, 1, s[2:3]
	v_cmp_eq_u32_e64 s[2:3], 0, v0
	s_nop 1
	v_cndmask_b32_e64 v18, 0, 1, s[2:3]
	v_cmp_eq_u32_e64 s[2:3], v0, v1
	s_nop 1
	v_cndmask_b32_e64 v0, v18, v17, s[2:3]
	v_and_b32_e32 v0, 1, v0
	v_cmp_eq_u32_e64 s[2:3], 1, v0
	s_and_saveexec_b64 s[36:37], s[2:3]
	s_cbranch_execz .LBB399_439
; %bb.438:
	v_mov_b64_e32 v[70:71], v[54:55]
	v_mov_b64_e32 v[66:67], v[50:51]
	v_mov_b64_e32 v[64:65], v[48:49]
	v_mov_b64_e32 v[68:69], v[52:53]
	v_mov_b32_e32 v67, v4
	v_mov_b64_e32 v[40:41], v[64:65]
	v_mov_b64_e32 v[44:45], v[68:69]
	v_mov_b64_e32 v[46:47], v[70:71]
	v_mov_b64_e32 v[42:43], v[66:67]
	v_mov_b32_e32 v44, v3
	;; [unrolled: 5-line block ×4, first 2 shown]
	v_mov_b32_e32 v15, v7
	v_mov_b32_e32 v0, v3
	v_swap_b32 v3, v4
.LBB399_439:
	s_or_b64 exec, exec, s[36:37]
	s_or_b64 exec, exec, s[34:35]
	s_and_saveexec_b64 s[34:35], s[24:25]
	s_cbranch_execnz .LBB399_393
.LBB399_440:
	s_or_b64 exec, exec, s[34:35]
	s_and_saveexec_b64 s[34:35], s[12:13]
	s_cbranch_execz .LBB399_396
.LBB399_441:
	v_lshrrev_b32_e32 v0, 31, v25
	v_add_u32_e32 v0, v25, v0
	v_lshrrev_b32_e32 v1, 31, v24
	v_and_b32_e32 v0, -2, v0
	v_add_u32_e32 v1, v24, v1
	v_sub_u32_e32 v0, v25, v0
	v_and_b32_e32 v1, -2, v1
	v_cmp_lt_i32_e64 s[2:3], v25, v24
	v_sub_u32_e32 v1, v24, v1
	v_mov_b32_e32 v27, v25
	v_cndmask_b32_e64 v17, 0, 1, s[2:3]
	v_cmp_eq_u32_e64 s[2:3], 0, v0
	s_nop 1
	v_cndmask_b32_e64 v18, 0, 1, s[2:3]
	v_cmp_eq_u32_e64 s[2:3], v0, v1
	s_nop 1
	v_cndmask_b32_e64 v0, v18, v17, s[2:3]
	v_and_b32_e32 v0, 1, v0
	v_cmp_eq_u32_e64 s[2:3], 1, v0
	s_and_saveexec_b64 s[12:13], s[2:3]
	s_cbranch_execz .LBB399_443
; %bb.442:
	v_mov_b32_e32 v0, v25
	v_mov_b32_e32 v1, v24
	v_mov_b64_e32 v[22:23], v[6:7]
	v_mov_b64_e32 v[78:79], v[6:7]
	;; [unrolled: 1-line block ×7, first 2 shown]
	v_mov_b32_e32 v27, v24
	v_mov_b32_e32 v24, v25
	v_mov_b64_e32 v[20:21], v[4:5]
	v_mov_b64_e32 v[18:19], v[2:3]
	;; [unrolled: 1-line block ×21, first 2 shown]
.LBB399_443:
	s_or_b64 exec, exec, s[12:13]
	v_mov_b32_e32 v25, v27
	s_or_b64 exec, exec, s[34:35]
	s_and_saveexec_b64 s[12:13], s[14:15]
	s_cbranch_execnz .LBB399_397
.LBB399_444:
	s_or_b64 exec, exec, s[12:13]
	s_and_saveexec_b64 s[12:13], s[16:17]
	s_cbranch_execz .LBB399_400
.LBB399_445:
	v_lshrrev_b32_e32 v0, 31, v5
	v_add_u32_e32 v0, v5, v0
	v_lshrrev_b32_e32 v1, 31, v4
	v_and_b32_e32 v0, -2, v0
	v_add_u32_e32 v1, v4, v1
	v_sub_u32_e32 v0, v5, v0
	v_and_b32_e32 v1, -2, v1
	v_cmp_lt_i32_e64 s[2:3], v5, v4
	v_sub_u32_e32 v1, v4, v1
	s_nop 0
	v_cndmask_b32_e64 v17, 0, 1, s[2:3]
	v_cmp_eq_u32_e64 s[2:3], 0, v0
	s_nop 1
	v_cndmask_b32_e64 v18, 0, 1, s[2:3]
	v_cmp_eq_u32_e64 s[2:3], v0, v1
	s_nop 1
	v_cndmask_b32_e64 v0, v18, v17, s[2:3]
	v_and_b32_e32 v0, 1, v0
	v_cmp_eq_u32_e64 s[2:3], 1, v0
	s_and_saveexec_b64 s[14:15], s[2:3]
	s_cbranch_execz .LBB399_447
; %bb.446:
	v_mov_b32_e32 v68, v5
	v_mov_b64_e32 v[56:57], v[64:65]
	v_mov_b64_e32 v[60:61], v[68:69]
	;; [unrolled: 1-line block ×4, first 2 shown]
	v_mov_b32_e32 v61, v4
	v_mov_b64_e32 v[8:9], v[56:57]
	v_mov_b64_e32 v[14:15], v[62:63]
	;; [unrolled: 1-line block ×5, first 2 shown]
	v_mov_b32_e32 v14, v6
	v_mov_b32_e32 v15, v7
	;; [unrolled: 1-line block ×3, first 2 shown]
	v_swap_b32 v4, v5
	v_mov_b64_e32 v[42:43], v[66:67]
	v_mov_b64_e32 v[44:45], v[68:69]
	;; [unrolled: 1-line block ×3, first 2 shown]
.LBB399_447:
	s_or_b64 exec, exec, s[14:15]
	s_or_b64 exec, exec, s[12:13]
	s_and_saveexec_b64 s[12:13], s[20:21]
	s_cbranch_execnz .LBB399_401
.LBB399_448:
	s_or_b64 exec, exec, s[12:13]
	s_and_saveexec_b64 s[12:13], s[18:19]
	s_cbranch_execz .LBB399_404
.LBB399_449:
	v_lshrrev_b32_e32 v0, 31, v2
	v_add_u32_e32 v0, v2, v0
	v_lshrrev_b32_e32 v1, 31, v25
	v_and_b32_e32 v0, -2, v0
	v_add_u32_e32 v1, v25, v1
	v_sub_u32_e32 v0, v2, v0
	v_and_b32_e32 v1, -2, v1
	v_cmp_lt_i32_e64 s[2:3], v2, v25
	v_sub_u32_e32 v1, v25, v1
	s_nop 0
	v_cndmask_b32_e64 v17, 0, 1, s[2:3]
	v_cmp_eq_u32_e64 s[2:3], 0, v0
	s_nop 1
	v_cndmask_b32_e64 v18, 0, 1, s[2:3]
	v_cmp_eq_u32_e64 s[2:3], v0, v1
	s_nop 1
	v_cndmask_b32_e64 v0, v18, v17, s[2:3]
	v_and_b32_e32 v0, 1, v0
	v_cmp_eq_u32_e64 s[2:3], 1, v0
	s_and_saveexec_b64 s[14:15], s[2:3]
	s_cbranch_execz .LBB399_451
; %bb.450:
	v_mov_b32_e32 v17, v2
	v_mov_b32_e32 v18, v25
	v_mov_b64_e32 v[46:47], v[22:23]
	v_mov_b64_e32 v[44:45], v[20:21]
	;; [unrolled: 1-line block ×4, first 2 shown]
	v_mov_b32_e32 v43, v3
	v_mov_b32_e32 v44, v4
	v_mov_b64_e32 v[8:9], v[40:41]
	v_mov_b64_e32 v[12:13], v[44:45]
	;; [unrolled: 1-line block ×5, first 2 shown]
	v_mov_b32_e32 v13, v5
	v_mov_b32_e32 v14, v6
	;; [unrolled: 1-line block ×4, first 2 shown]
	v_swap_b32 v25, v2
	v_mov_b64_e32 v[52:53], v[20:21]
	v_mov_b64_e32 v[50:51], v[18:19]
	;; [unrolled: 1-line block ×3, first 2 shown]
.LBB399_451:
	s_or_b64 exec, exec, s[14:15]
	s_or_b64 exec, exec, s[12:13]
	s_and_saveexec_b64 s[12:13], s[22:23]
	s_cbranch_execnz .LBB399_405
.LBB399_452:
	s_or_b64 exec, exec, s[12:13]
	s_and_saveexec_b64 s[12:13], s[24:25]
	s_cbranch_execz .LBB399_456
.LBB399_453:
	v_lshrrev_b32_e32 v0, 31, v6
	v_add_u32_e32 v0, v6, v0
	v_lshrrev_b32_e32 v1, 31, v5
	v_and_b32_e32 v0, -2, v0
	v_add_u32_e32 v1, v5, v1
	v_sub_u32_e32 v0, v6, v0
	v_and_b32_e32 v1, -2, v1
	v_cmp_lt_i32_e64 s[2:3], v6, v5
	v_sub_u32_e32 v1, v5, v1
	s_nop 0
	v_cndmask_b32_e64 v16, 0, 1, s[2:3]
	v_cmp_eq_u32_e64 s[2:3], 0, v0
	s_nop 1
	v_cndmask_b32_e64 v17, 0, 1, s[2:3]
	v_cmp_eq_u32_e64 s[2:3], v0, v1
	s_nop 1
	v_cndmask_b32_e64 v0, v17, v16, s[2:3]
	v_and_b32_e32 v0, 1, v0
	v_cmp_eq_u32_e64 s[2:3], 1, v0
	v_mov_b32_e32 v0, v6
	s_and_saveexec_b64 s[14:15], s[2:3]
; %bb.454:
	v_mov_b32_e32 v45, v6
	v_mov_b32_e32 v46, v5
	;; [unrolled: 1-line block ×3, first 2 shown]
	v_mov_b64_e32 v[8:9], v[40:41]
	v_mov_b32_e32 v0, v5
	v_mov_b32_e32 v5, v6
	v_mov_b64_e32 v[10:11], v[42:43]
	v_mov_b64_e32 v[12:13], v[44:45]
	;; [unrolled: 1-line block ×3, first 2 shown]
; %bb.455:
	s_or_b64 exec, exec, s[14:15]
	v_mov_b32_e32 v6, v0
.LBB399_456:
	s_or_b64 exec, exec, s[12:13]
	v_mbcnt_lo_u32_b32 v0, -1, 0
	v_mbcnt_hi_u32_b32 v0, -1, v0
	v_and_b32_e32 v1, 0xfffffe00, v26
	v_lshlrev_b32_e32 v19, 3, v0
	v_sub_u32_e64 v17, s33, v1 clamp
	v_lshlrev_b32_e32 v16, 2, v1
	v_lshlrev_b32_e32 v1, 5, v0
	v_or_b32_e32 v0, 8, v19
	v_min_u32_e32 v0, v17, v0
	v_add_u32_e32 v18, v16, v1
	v_add_u32_e32 v1, 8, v0
	v_and_b32_e32 v22, 0x3f0, v19
	v_min_u32_e32 v1, v17, v1
	v_and_b32_e32 v20, 8, v19
	v_min_u32_e32 v23, v17, v20
	v_sub_u32_e32 v26, v0, v22
	v_sub_u32_e32 v21, v1, v0
	v_sub_u32_e64 v21, v23, v21 clamp
	v_min_u32_e32 v26, v23, v26
	v_lshl_add_u32 v20, v22, 2, v16
	v_cmp_lt_u32_e64 s[2:3], v21, v26
	ds_write_b128 v18, v[8:11]
	ds_write_b128 v18, v[12:15] offset:16
	; wave barrier
	s_and_saveexec_b64 s[12:13], s[2:3]
	s_cbranch_execz .LBB399_460
; %bb.457:
	v_lshlrev_b32_e32 v27, 2, v0
	v_lshlrev_b32_e32 v40, 2, v23
	v_add3_u32 v27, v16, v27, v40
	s_mov_b64 s[14:15], 0
.LBB399_458:                            ; =>This Inner Loop Header: Depth=1
	v_add_u32_e32 v40, v26, v21
	v_lshrrev_b32_e32 v40, 1, v40
	v_not_b32_e32 v41, v40
	v_lshl_add_u32 v42, v40, 2, v20
	v_lshl_add_u32 v41, v41, 2, v27
	ds_read_b32 v42, v42
	ds_read_b32 v41, v41
	v_add_u32_e32 v43, 1, v40
	s_waitcnt lgkmcnt(1)
	v_lshrrev_b32_e32 v44, 31, v42
	s_waitcnt lgkmcnt(0)
	v_lshrrev_b32_e32 v45, 31, v41
	v_add_u32_e32 v45, v41, v45
	v_add_u32_e32 v44, v42, v44
	v_and_b32_e32 v45, -2, v45
	v_cmp_lt_i32_e64 s[2:3], v41, v42
	v_and_b32_e32 v44, -2, v44
	v_sub_u32_e32 v41, v41, v45
	v_cndmask_b32_e64 v46, 0, 1, s[2:3]
	v_sub_u32_e32 v42, v42, v44
	v_cmp_eq_u32_e64 s[2:3], 0, v41
	s_nop 1
	v_cndmask_b32_e64 v44, 0, 1, s[2:3]
	v_cmp_eq_u32_e64 s[2:3], v41, v42
	s_nop 1
	v_cndmask_b32_e64 v41, v44, v46, s[2:3]
	v_and_b32_e32 v41, 1, v41
	v_cmp_eq_u32_e64 s[2:3], 1, v41
	s_nop 1
	v_cndmask_b32_e64 v26, v26, v40, s[2:3]
	v_cndmask_b32_e64 v21, v43, v21, s[2:3]
	v_cmp_ge_u32_e64 s[2:3], v21, v26
	s_or_b64 s[14:15], s[2:3], s[14:15]
	s_andn2_b64 exec, exec, s[14:15]
	s_cbranch_execnz .LBB399_458
; %bb.459:
	s_or_b64 exec, exec, s[14:15]
.LBB399_460:
	s_or_b64 exec, exec, s[12:13]
	v_add_u32_e32 v23, v0, v23
	v_add_u32_e32 v22, v21, v22
	v_sub_u32_e32 v23, v23, v21
	v_cmp_le_u32_e64 s[2:3], v22, v0
	v_cmp_le_u32_e64 s[12:13], v23, v1
	s_or_b64 s[2:3], s[2:3], s[12:13]
	s_and_saveexec_b64 s[12:13], s[2:3]
	s_xor_b64 s[14:15], exec, s[12:13]
	s_cbranch_execz .LBB399_496
; %bb.461:
	v_cmp_ge_u32_e64 s[12:13], v22, v0
	v_cmp_lt_u32_e64 s[2:3], v22, v0
                                        ; implicit-def: $vgpr2
	s_and_saveexec_b64 s[16:17], s[2:3]
; %bb.462:
	v_lshl_add_u32 v2, v21, 2, v20
	ds_read_b32 v2, v2
; %bb.463:
	s_or_b64 exec, exec, s[16:17]
	v_cmp_ge_u32_e64 s[16:17], v23, v1
	v_cmp_lt_u32_e64 s[2:3], v23, v1
                                        ; implicit-def: $vgpr3
	s_and_saveexec_b64 s[18:19], s[2:3]
; %bb.464:
	v_lshl_add_u32 v3, v23, 2, v16
	ds_read_b32 v3, v3
; %bb.465:
	s_or_b64 exec, exec, s[18:19]
	s_nor_b64 s[2:3], s[12:13], s[16:17]
	s_and_saveexec_b64 s[12:13], s[2:3]
	s_cbranch_execz .LBB399_467
; %bb.466:
	s_waitcnt lgkmcnt(0)
	v_lshrrev_b32_e32 v4, 31, v3
	v_add_u32_e32 v4, v3, v4
	v_lshrrev_b32_e32 v5, 31, v2
	v_and_b32_e32 v4, -2, v4
	v_add_u32_e32 v5, v2, v5
	v_sub_u32_e32 v4, v3, v4
	v_and_b32_e32 v5, -2, v5
	v_cmp_ge_i32_e64 s[2:3], v3, v2
	v_sub_u32_e32 v5, v2, v5
	s_andn2_b64 s[16:17], s[16:17], exec
	v_cndmask_b32_e64 v6, 0, 1, s[2:3]
	v_cmp_ne_u32_e64 s[2:3], 0, v4
	s_nop 1
	v_cndmask_b32_e64 v7, 0, 1, s[2:3]
	v_cmp_eq_u32_e64 s[2:3], v4, v5
	s_nop 1
	v_cndmask_b32_e64 v4, v7, v6, s[2:3]
	v_and_b32_e32 v4, 1, v4
	v_cmp_eq_u32_e64 s[2:3], 1, v4
	s_and_b64 s[2:3], s[2:3], exec
	s_or_b64 s[16:17], s[16:17], s[2:3]
.LBB399_467:
	s_or_b64 exec, exec, s[12:13]
	v_cndmask_b32_e64 v4, v23, v22, s[16:17]
	v_cndmask_b32_e64 v5, v1, v0, s[16:17]
	v_add_u32_e32 v7, 1, v4
	v_add_u32_e32 v4, -1, v5
	v_min_u32_e32 v4, v7, v4
	v_lshl_add_u32 v4, v4, 2, v16
	ds_read_b32 v5, v4
	v_cndmask_b32_e64 v6, v7, v23, s[16:17]
	v_cndmask_b32_e64 v7, v22, v7, s[16:17]
	v_cmp_lt_u32_e64 s[2:3], v6, v1
	s_mov_b64 s[12:13], -1
	s_waitcnt lgkmcnt(0)
	v_cndmask_b32_e64 v4, v5, v3, s[16:17]
	v_cndmask_b32_e64 v5, v2, v5, s[16:17]
	s_mov_b64 s[18:19], -1
	s_and_saveexec_b64 s[20:21], s[2:3]
	s_cbranch_execz .LBB399_471
; %bb.468:
	v_cmp_lt_u32_e64 s[2:3], v7, v0
	s_mov_b64 s[22:23], 0
	s_and_saveexec_b64 s[18:19], s[2:3]
	s_cbranch_execz .LBB399_470
; %bb.469:
	v_lshrrev_b32_e32 v8, 31, v4
	v_add_u32_e32 v8, v4, v8
	v_lshrrev_b32_e32 v9, 31, v5
	v_and_b32_e32 v8, -2, v8
	v_add_u32_e32 v9, v5, v9
	v_sub_u32_e32 v8, v4, v8
	v_and_b32_e32 v9, -2, v9
	v_cmp_ge_i32_e64 s[2:3], v4, v5
	v_sub_u32_e32 v9, v5, v9
	s_nop 0
	v_cndmask_b32_e64 v10, 0, 1, s[2:3]
	v_cmp_ne_u32_e64 s[2:3], 0, v8
	s_nop 1
	v_cndmask_b32_e64 v11, 0, 1, s[2:3]
	v_cmp_eq_u32_e64 s[2:3], v8, v9
	s_nop 1
	v_cndmask_b32_e64 v8, v11, v10, s[2:3]
	v_and_b32_e32 v8, 1, v8
	v_cmp_eq_u32_e64 s[2:3], 1, v8
	s_and_b64 s[22:23], s[2:3], exec
.LBB399_470:
	s_or_b64 exec, exec, s[18:19]
	s_orn2_b64 s[18:19], s[22:23], exec
.LBB399_471:
	s_or_b64 exec, exec, s[20:21]
	v_cndmask_b32_e64 v8, v6, v7, s[18:19]
	v_cndmask_b32_e64 v9, v1, v0, s[18:19]
	v_add_u32_e32 v10, 1, v8
	v_add_u32_e32 v8, -1, v9
	v_min_u32_e32 v8, v10, v8
	v_lshl_add_u32 v8, v8, 2, v16
	ds_read_b32 v8, v8
	v_cndmask_b32_e64 v9, v10, v6, s[18:19]
	v_cndmask_b32_e64 v11, v7, v10, s[18:19]
	v_cmp_lt_u32_e64 s[2:3], v9, v1
	s_waitcnt lgkmcnt(0)
	v_cndmask_b32_e64 v6, v8, v4, s[18:19]
	v_cndmask_b32_e64 v8, v5, v8, s[18:19]
	s_and_saveexec_b64 s[20:21], s[2:3]
	s_cbranch_execz .LBB399_475
; %bb.472:
	v_cmp_lt_u32_e64 s[2:3], v11, v0
	s_mov_b64 s[22:23], 0
	s_and_saveexec_b64 s[12:13], s[2:3]
	s_cbranch_execz .LBB399_474
; %bb.473:
	v_lshrrev_b32_e32 v7, 31, v6
	v_add_u32_e32 v7, v6, v7
	v_lshrrev_b32_e32 v10, 31, v8
	v_and_b32_e32 v7, -2, v7
	v_add_u32_e32 v10, v8, v10
	v_sub_u32_e32 v7, v6, v7
	v_and_b32_e32 v10, -2, v10
	v_cmp_ge_i32_e64 s[2:3], v6, v8
	v_sub_u32_e32 v10, v8, v10
	s_nop 0
	v_cndmask_b32_e64 v12, 0, 1, s[2:3]
	v_cmp_ne_u32_e64 s[2:3], 0, v7
	s_nop 1
	v_cndmask_b32_e64 v13, 0, 1, s[2:3]
	v_cmp_eq_u32_e64 s[2:3], v7, v10
	s_nop 1
	v_cndmask_b32_e64 v7, v13, v12, s[2:3]
	v_and_b32_e32 v7, 1, v7
	v_cmp_eq_u32_e64 s[2:3], 1, v7
	s_and_b64 s[22:23], s[2:3], exec
.LBB399_474:
	s_or_b64 exec, exec, s[12:13]
	s_orn2_b64 s[12:13], s[22:23], exec
.LBB399_475:
	s_or_b64 exec, exec, s[20:21]
	v_cndmask_b32_e64 v7, v9, v11, s[12:13]
	v_cndmask_b32_e64 v10, v1, v0, s[12:13]
	v_add_u32_e32 v12, 1, v7
	v_add_u32_e32 v7, -1, v10
	v_min_u32_e32 v7, v12, v7
	v_lshl_add_u32 v7, v7, 2, v16
	ds_read_b32 v10, v7
	v_cndmask_b32_e64 v7, v12, v9, s[12:13]
	v_cndmask_b32_e64 v13, v11, v12, s[12:13]
	v_cmp_lt_u32_e64 s[2:3], v7, v1
	s_mov_b64 s[20:21], -1
	s_waitcnt lgkmcnt(0)
	v_cndmask_b32_e64 v9, v10, v6, s[12:13]
	v_cndmask_b32_e64 v10, v8, v10, s[12:13]
	s_mov_b64 s[22:23], -1
	s_and_saveexec_b64 s[24:25], s[2:3]
	s_cbranch_execz .LBB399_479
; %bb.476:
	v_cmp_lt_u32_e64 s[2:3], v13, v0
	s_mov_b64 s[34:35], 0
	s_and_saveexec_b64 s[22:23], s[2:3]
	s_cbranch_execz .LBB399_478
; %bb.477:
	v_lshrrev_b32_e32 v11, 31, v9
	v_add_u32_e32 v11, v9, v11
	v_lshrrev_b32_e32 v12, 31, v10
	v_and_b32_e32 v11, -2, v11
	v_add_u32_e32 v12, v10, v12
	v_sub_u32_e32 v11, v9, v11
	v_and_b32_e32 v12, -2, v12
	v_cmp_ge_i32_e64 s[2:3], v9, v10
	v_sub_u32_e32 v12, v10, v12
	s_nop 0
	v_cndmask_b32_e64 v14, 0, 1, s[2:3]
	v_cmp_ne_u32_e64 s[2:3], 0, v11
	s_nop 1
	v_cndmask_b32_e64 v15, 0, 1, s[2:3]
	v_cmp_eq_u32_e64 s[2:3], v11, v12
	s_nop 1
	v_cndmask_b32_e64 v11, v15, v14, s[2:3]
	v_and_b32_e32 v11, 1, v11
	v_cmp_eq_u32_e64 s[2:3], 1, v11
	s_and_b64 s[34:35], s[2:3], exec
.LBB399_478:
	s_or_b64 exec, exec, s[22:23]
	s_orn2_b64 s[22:23], s[34:35], exec
.LBB399_479:
	s_or_b64 exec, exec, s[24:25]
	v_cndmask_b32_e64 v11, v7, v13, s[22:23]
	v_cndmask_b32_e64 v12, v1, v0, s[22:23]
	v_add_u32_e32 v14, 1, v11
	v_add_u32_e32 v11, -1, v12
	v_min_u32_e32 v11, v14, v11
	v_lshl_add_u32 v11, v11, 2, v16
	ds_read_b32 v12, v11
	v_cndmask_b32_e64 v7, v14, v7, s[22:23]
	v_cndmask_b32_e64 v15, v13, v14, s[22:23]
	v_cmp_lt_u32_e64 s[2:3], v7, v1
	s_waitcnt lgkmcnt(0)
	v_cndmask_b32_e64 v11, v12, v9, s[22:23]
	v_cndmask_b32_e64 v12, v10, v12, s[22:23]
	s_and_saveexec_b64 s[24:25], s[2:3]
	s_cbranch_execz .LBB399_483
; %bb.480:
	v_cmp_lt_u32_e64 s[2:3], v15, v0
	s_mov_b64 s[34:35], 0
	s_and_saveexec_b64 s[20:21], s[2:3]
	s_cbranch_execz .LBB399_482
; %bb.481:
	v_lshrrev_b32_e32 v13, 31, v11
	v_add_u32_e32 v13, v11, v13
	v_lshrrev_b32_e32 v14, 31, v12
	v_and_b32_e32 v13, -2, v13
	v_add_u32_e32 v14, v12, v14
	v_sub_u32_e32 v13, v11, v13
	v_and_b32_e32 v14, -2, v14
	v_cmp_ge_i32_e64 s[2:3], v11, v12
	v_sub_u32_e32 v14, v12, v14
	s_nop 0
	v_cndmask_b32_e64 v20, 0, 1, s[2:3]
	v_cmp_ne_u32_e64 s[2:3], 0, v13
	s_nop 1
	v_cndmask_b32_e64 v21, 0, 1, s[2:3]
	v_cmp_eq_u32_e64 s[2:3], v13, v14
	s_nop 1
	v_cndmask_b32_e64 v13, v21, v20, s[2:3]
	v_and_b32_e32 v13, 1, v13
	v_cmp_eq_u32_e64 s[2:3], 1, v13
	s_and_b64 s[34:35], s[2:3], exec
.LBB399_482:
	s_or_b64 exec, exec, s[20:21]
	s_orn2_b64 s[20:21], s[34:35], exec
.LBB399_483:
	s_or_b64 exec, exec, s[24:25]
	v_cndmask_b32_e64 v13, v7, v15, s[20:21]
	v_cndmask_b32_e64 v14, v1, v0, s[20:21]
	v_add_u32_e32 v20, 1, v13
	v_add_u32_e32 v13, -1, v14
	v_min_u32_e32 v13, v20, v13
	v_lshl_add_u32 v13, v13, 2, v16
	ds_read_b32 v14, v13
	v_cndmask_b32_e64 v7, v20, v7, s[20:21]
	v_cndmask_b32_e64 v21, v15, v20, s[20:21]
	v_cmp_lt_u32_e64 s[2:3], v7, v1
	s_mov_b64 s[24:25], -1
	s_waitcnt lgkmcnt(0)
	v_cndmask_b32_e64 v13, v14, v11, s[20:21]
	v_cndmask_b32_e64 v14, v12, v14, s[20:21]
	s_mov_b64 s[34:35], -1
	s_and_saveexec_b64 s[36:37], s[2:3]
	s_cbranch_execz .LBB399_487
; %bb.484:
	v_cmp_lt_u32_e64 s[2:3], v21, v0
	s_mov_b64 s[38:39], 0
	s_and_saveexec_b64 s[34:35], s[2:3]
	s_cbranch_execz .LBB399_486
; %bb.485:
	v_lshrrev_b32_e32 v15, 31, v13
	v_add_u32_e32 v15, v13, v15
	v_lshrrev_b32_e32 v20, 31, v14
	v_and_b32_e32 v15, -2, v15
	v_add_u32_e32 v20, v14, v20
	v_sub_u32_e32 v15, v13, v15
	v_and_b32_e32 v20, -2, v20
	v_cmp_ge_i32_e64 s[2:3], v13, v14
	v_sub_u32_e32 v20, v14, v20
	s_nop 0
	v_cndmask_b32_e64 v22, 0, 1, s[2:3]
	v_cmp_ne_u32_e64 s[2:3], 0, v15
	s_nop 1
	v_cndmask_b32_e64 v23, 0, 1, s[2:3]
	v_cmp_eq_u32_e64 s[2:3], v15, v20
	s_nop 1
	v_cndmask_b32_e64 v15, v23, v22, s[2:3]
	v_and_b32_e32 v15, 1, v15
	v_cmp_eq_u32_e64 s[2:3], 1, v15
	s_and_b64 s[38:39], s[2:3], exec
.LBB399_486:
	s_or_b64 exec, exec, s[34:35]
	s_orn2_b64 s[34:35], s[38:39], exec
.LBB399_487:
	s_or_b64 exec, exec, s[36:37]
	v_cndmask_b32_e64 v15, v7, v21, s[34:35]
	v_cndmask_b32_e64 v20, v1, v0, s[34:35]
	v_add_u32_e32 v22, 1, v15
	v_add_u32_e32 v15, -1, v20
	v_min_u32_e32 v15, v22, v15
	v_lshl_add_u32 v15, v15, 2, v16
	ds_read_b32 v20, v15
	v_cndmask_b32_e64 v7, v22, v7, s[34:35]
	v_cndmask_b32_e64 v21, v21, v22, s[34:35]
	v_cmp_lt_u32_e64 s[2:3], v7, v1
	s_waitcnt lgkmcnt(0)
	v_cndmask_b32_e64 v15, v20, v13, s[34:35]
	v_cndmask_b32_e64 v20, v14, v20, s[34:35]
	s_and_saveexec_b64 s[36:37], s[2:3]
	s_cbranch_execz .LBB399_491
; %bb.488:
	v_cmp_lt_u32_e64 s[2:3], v21, v0
	s_mov_b64 s[38:39], 0
	s_and_saveexec_b64 s[24:25], s[2:3]
	s_cbranch_execz .LBB399_490
; %bb.489:
	v_lshrrev_b32_e32 v22, 31, v15
	v_add_u32_e32 v22, v15, v22
	v_lshrrev_b32_e32 v23, 31, v20
	v_and_b32_e32 v22, -2, v22
	v_add_u32_e32 v23, v20, v23
	v_sub_u32_e32 v22, v15, v22
	v_and_b32_e32 v23, -2, v23
	v_cmp_ge_i32_e64 s[2:3], v15, v20
	v_sub_u32_e32 v23, v20, v23
	s_nop 0
	v_cndmask_b32_e64 v24, 0, 1, s[2:3]
	v_cmp_ne_u32_e64 s[2:3], 0, v22
	s_nop 1
	v_cndmask_b32_e64 v25, 0, 1, s[2:3]
	v_cmp_eq_u32_e64 s[2:3], v22, v23
	s_nop 1
	v_cndmask_b32_e64 v22, v25, v24, s[2:3]
	v_and_b32_e32 v22, 1, v22
	v_cmp_eq_u32_e64 s[2:3], 1, v22
	s_and_b64 s[38:39], s[2:3], exec
.LBB399_490:
	s_or_b64 exec, exec, s[24:25]
	s_orn2_b64 s[24:25], s[38:39], exec
.LBB399_491:
	s_or_b64 exec, exec, s[36:37]
	v_cndmask_b32_e64 v22, v7, v21, s[24:25]
	v_cndmask_b32_e64 v23, v1, v0, s[24:25]
	v_add_u32_e32 v22, 1, v22
	v_add_u32_e32 v23, -1, v23
	v_min_u32_e32 v23, v22, v23
	v_lshl_add_u32 v23, v23, 2, v16
	ds_read_b32 v23, v23
	v_cndmask_b32_e64 v24, v22, v7, s[24:25]
	v_cmp_lt_u32_e64 s[2:3], v24, v1
	s_waitcnt lgkmcnt(0)
	v_cndmask_b32_e64 v7, v20, v23, s[24:25]
	s_and_saveexec_b64 s[36:37], s[2:3]
	s_cbranch_execz .LBB399_495
; %bb.492:
	v_cndmask_b32_e64 v21, v21, v22, s[24:25]
	v_cndmask_b32_e64 v1, v23, v15, s[24:25]
	v_cmp_lt_u32_e64 s[2:3], v21, v0
	s_and_saveexec_b64 s[38:39], s[2:3]
	s_cbranch_execz .LBB399_494
; %bb.493:
	v_lshrrev_b32_e32 v0, 31, v1
	v_add_u32_e32 v0, v1, v0
	v_lshrrev_b32_e32 v21, 31, v7
	v_and_b32_e32 v0, -2, v0
	v_add_u32_e32 v21, v7, v21
	v_sub_u32_e32 v0, v1, v0
	v_and_b32_e32 v21, -2, v21
	v_cmp_ge_i32_e64 s[2:3], v1, v7
	v_sub_u32_e32 v21, v7, v21
	s_nop 0
	v_cndmask_b32_e64 v22, 0, 1, s[2:3]
	v_cmp_ne_u32_e64 s[2:3], 0, v0
	s_nop 1
	v_cndmask_b32_e64 v23, 0, 1, s[2:3]
	v_cmp_eq_u32_e64 s[2:3], v0, v21
	s_nop 1
	v_cndmask_b32_e64 v0, v23, v22, s[2:3]
	v_and_b32_e32 v0, 1, v0
	v_cmp_eq_u32_e64 s[2:3], 1, v0
	s_nop 1
	v_cndmask_b32_e64 v1, v1, v7, s[2:3]
.LBB399_494:
	s_or_b64 exec, exec, s[38:39]
	v_mov_b32_e32 v7, v1
.LBB399_495:
	s_or_b64 exec, exec, s[36:37]
	v_cndmask_b32_e64 v0, v3, v2, s[16:17]
	v_cndmask_b32_e64 v2, v6, v8, s[12:13]
	;; [unrolled: 1-line block ×7, first 2 shown]
	v_mov_b64_e32 v[14:15], v[6:7]
	v_mov_b64_e32 v[12:13], v[4:5]
	v_mov_b64_e32 v[10:11], v[2:3]
	v_mov_b64_e32 v[8:9], v[0:1]
	v_mov_b64_e32 v[26:27], v[2:3]
	v_mov_b64_e32 v[24:25], v[0:1]
.LBB399_496:
	s_andn2_saveexec_b64 s[2:3], s[14:15]
; %bb.497:
	v_mov_b64_e32 v[26:27], v[2:3]
	v_mov_b32_e32 v0, v24
	v_mov_b32_e32 v1, v25
; %bb.498:
	s_or_b64 exec, exec, s[2:3]
	v_and_b32_e32 v40, 0x3e0, v19
	v_or_b32_e32 v20, 16, v40
	v_min_u32_e32 v20, v17, v20
	v_add_u32_e32 v21, 16, v20
	v_min_u32_e32 v21, v17, v21
	v_and_b32_e32 v22, 24, v19
	v_min_u32_e32 v41, v17, v22
	v_sub_u32_e32 v42, v20, v40
	v_sub_u32_e32 v23, v21, v20
	v_sub_u32_e64 v23, v41, v23 clamp
	v_min_u32_e32 v42, v41, v42
	v_lshl_add_u32 v22, v40, 2, v16
	v_cmp_lt_u32_e64 s[2:3], v23, v42
	; wave barrier
	ds_write_b128 v18, v[24:27]
	ds_write_b128 v18, v[4:7] offset:16
	; wave barrier
	s_and_saveexec_b64 s[12:13], s[2:3]
	s_cbranch_execz .LBB399_502
; %bb.499:
	v_lshlrev_b32_e32 v43, 2, v20
	v_lshlrev_b32_e32 v44, 2, v41
	v_add3_u32 v43, v16, v43, v44
	s_mov_b64 s[14:15], 0
.LBB399_500:                            ; =>This Inner Loop Header: Depth=1
	v_add_u32_e32 v44, v42, v23
	v_lshrrev_b32_e32 v44, 1, v44
	v_not_b32_e32 v45, v44
	v_lshl_add_u32 v46, v44, 2, v22
	v_lshl_add_u32 v45, v45, 2, v43
	ds_read_b32 v46, v46
	ds_read_b32 v45, v45
	v_add_u32_e32 v47, 1, v44
	s_waitcnt lgkmcnt(1)
	v_lshrrev_b32_e32 v48, 31, v46
	s_waitcnt lgkmcnt(0)
	v_lshrrev_b32_e32 v49, 31, v45
	v_add_u32_e32 v49, v45, v49
	v_add_u32_e32 v48, v46, v48
	v_and_b32_e32 v49, -2, v49
	v_cmp_lt_i32_e64 s[2:3], v45, v46
	v_and_b32_e32 v48, -2, v48
	v_sub_u32_e32 v45, v45, v49
	v_cndmask_b32_e64 v50, 0, 1, s[2:3]
	v_sub_u32_e32 v46, v46, v48
	v_cmp_eq_u32_e64 s[2:3], 0, v45
	s_nop 1
	v_cndmask_b32_e64 v48, 0, 1, s[2:3]
	v_cmp_eq_u32_e64 s[2:3], v45, v46
	s_nop 1
	v_cndmask_b32_e64 v45, v48, v50, s[2:3]
	v_and_b32_e32 v45, 1, v45
	v_cmp_eq_u32_e64 s[2:3], 1, v45
	s_nop 1
	v_cndmask_b32_e64 v42, v42, v44, s[2:3]
	v_cndmask_b32_e64 v23, v47, v23, s[2:3]
	v_cmp_ge_u32_e64 s[2:3], v23, v42
	s_or_b64 s[14:15], s[2:3], s[14:15]
	s_andn2_b64 exec, exec, s[14:15]
	s_cbranch_execnz .LBB399_500
; %bb.501:
	s_or_b64 exec, exec, s[14:15]
.LBB399_502:
	s_or_b64 exec, exec, s[12:13]
	v_add_u32_e32 v41, v20, v41
	v_add_u32_e32 v40, v23, v40
	v_sub_u32_e32 v41, v41, v23
	v_cmp_le_u32_e64 s[2:3], v40, v20
	v_cmp_le_u32_e64 s[12:13], v41, v21
	s_or_b64 s[2:3], s[2:3], s[12:13]
	s_and_saveexec_b64 s[14:15], s[2:3]
	s_cbranch_execz .LBB399_538
; %bb.503:
	v_cmp_ge_u32_e64 s[12:13], v40, v20
	v_cmp_lt_u32_e64 s[2:3], v40, v20
                                        ; implicit-def: $vgpr0
	s_and_saveexec_b64 s[16:17], s[2:3]
; %bb.504:
	v_lshl_add_u32 v0, v23, 2, v22
	ds_read_b32 v0, v0
; %bb.505:
	s_or_b64 exec, exec, s[16:17]
	v_cmp_ge_u32_e64 s[16:17], v41, v21
	v_cmp_lt_u32_e64 s[2:3], v41, v21
                                        ; implicit-def: $vgpr1
	s_and_saveexec_b64 s[18:19], s[2:3]
; %bb.506:
	v_lshl_add_u32 v1, v41, 2, v16
	ds_read_b32 v1, v1
; %bb.507:
	s_or_b64 exec, exec, s[18:19]
	s_nor_b64 s[2:3], s[12:13], s[16:17]
	s_and_saveexec_b64 s[12:13], s[2:3]
	s_cbranch_execz .LBB399_509
; %bb.508:
	s_waitcnt lgkmcnt(0)
	v_lshrrev_b32_e32 v2, 31, v1
	v_add_u32_e32 v2, v1, v2
	v_lshrrev_b32_e32 v3, 31, v0
	v_and_b32_e32 v2, -2, v2
	v_add_u32_e32 v3, v0, v3
	v_sub_u32_e32 v2, v1, v2
	v_and_b32_e32 v3, -2, v3
	v_cmp_ge_i32_e64 s[2:3], v1, v0
	v_sub_u32_e32 v3, v0, v3
	s_andn2_b64 s[16:17], s[16:17], exec
	v_cndmask_b32_e64 v4, 0, 1, s[2:3]
	v_cmp_ne_u32_e64 s[2:3], 0, v2
	s_nop 1
	v_cndmask_b32_e64 v5, 0, 1, s[2:3]
	v_cmp_eq_u32_e64 s[2:3], v2, v3
	s_nop 1
	v_cndmask_b32_e64 v2, v5, v4, s[2:3]
	v_and_b32_e32 v2, 1, v2
	v_cmp_eq_u32_e64 s[2:3], 1, v2
	s_and_b64 s[2:3], s[2:3], exec
	s_or_b64 s[16:17], s[16:17], s[2:3]
.LBB399_509:
	s_or_b64 exec, exec, s[12:13]
	v_cndmask_b32_e64 v2, v41, v40, s[16:17]
	v_cndmask_b32_e64 v3, v21, v20, s[16:17]
	v_add_u32_e32 v5, 1, v2
	v_add_u32_e32 v2, -1, v3
	v_min_u32_e32 v2, v5, v2
	v_lshl_add_u32 v2, v2, 2, v16
	ds_read_b32 v3, v2
	v_cndmask_b32_e64 v4, v5, v41, s[16:17]
	v_cndmask_b32_e64 v6, v40, v5, s[16:17]
	v_cmp_lt_u32_e64 s[2:3], v4, v21
	s_mov_b64 s[12:13], -1
	s_waitcnt lgkmcnt(0)
	v_cndmask_b32_e64 v2, v3, v1, s[16:17]
	v_cndmask_b32_e64 v3, v0, v3, s[16:17]
	s_mov_b64 s[18:19], -1
	s_and_saveexec_b64 s[20:21], s[2:3]
	s_cbranch_execz .LBB399_513
; %bb.510:
	v_cmp_lt_u32_e64 s[2:3], v6, v20
	s_mov_b64 s[22:23], 0
	s_and_saveexec_b64 s[18:19], s[2:3]
	s_cbranch_execz .LBB399_512
; %bb.511:
	v_lshrrev_b32_e32 v5, 31, v2
	v_add_u32_e32 v5, v2, v5
	v_lshrrev_b32_e32 v7, 31, v3
	v_and_b32_e32 v5, -2, v5
	v_add_u32_e32 v7, v3, v7
	v_sub_u32_e32 v5, v2, v5
	v_and_b32_e32 v7, -2, v7
	v_cmp_ge_i32_e64 s[2:3], v2, v3
	v_sub_u32_e32 v7, v3, v7
	s_nop 0
	v_cndmask_b32_e64 v8, 0, 1, s[2:3]
	v_cmp_ne_u32_e64 s[2:3], 0, v5
	s_nop 1
	v_cndmask_b32_e64 v9, 0, 1, s[2:3]
	v_cmp_eq_u32_e64 s[2:3], v5, v7
	s_nop 1
	v_cndmask_b32_e64 v5, v9, v8, s[2:3]
	v_and_b32_e32 v5, 1, v5
	v_cmp_eq_u32_e64 s[2:3], 1, v5
	s_and_b64 s[22:23], s[2:3], exec
.LBB399_512:
	s_or_b64 exec, exec, s[18:19]
	s_orn2_b64 s[18:19], s[22:23], exec
.LBB399_513:
	s_or_b64 exec, exec, s[20:21]
	v_cndmask_b32_e64 v5, v4, v6, s[18:19]
	v_cndmask_b32_e64 v7, v21, v20, s[18:19]
	v_add_u32_e32 v8, 1, v5
	v_add_u32_e32 v5, -1, v7
	v_min_u32_e32 v5, v8, v5
	v_lshl_add_u32 v5, v5, 2, v16
	ds_read_b32 v5, v5
	v_cndmask_b32_e64 v7, v8, v4, s[18:19]
	v_cndmask_b32_e64 v9, v6, v8, s[18:19]
	v_cmp_lt_u32_e64 s[2:3], v7, v21
	s_waitcnt lgkmcnt(0)
	v_cndmask_b32_e64 v4, v5, v2, s[18:19]
	v_cndmask_b32_e64 v5, v3, v5, s[18:19]
	s_and_saveexec_b64 s[20:21], s[2:3]
	s_cbranch_execz .LBB399_517
; %bb.514:
	v_cmp_lt_u32_e64 s[2:3], v9, v20
	s_mov_b64 s[22:23], 0
	s_and_saveexec_b64 s[12:13], s[2:3]
	s_cbranch_execz .LBB399_516
; %bb.515:
	v_lshrrev_b32_e32 v6, 31, v4
	v_add_u32_e32 v6, v4, v6
	v_lshrrev_b32_e32 v8, 31, v5
	v_and_b32_e32 v6, -2, v6
	v_add_u32_e32 v8, v5, v8
	v_sub_u32_e32 v6, v4, v6
	v_and_b32_e32 v8, -2, v8
	v_cmp_ge_i32_e64 s[2:3], v4, v5
	v_sub_u32_e32 v8, v5, v8
	s_nop 0
	v_cndmask_b32_e64 v10, 0, 1, s[2:3]
	v_cmp_ne_u32_e64 s[2:3], 0, v6
	s_nop 1
	v_cndmask_b32_e64 v11, 0, 1, s[2:3]
	v_cmp_eq_u32_e64 s[2:3], v6, v8
	s_nop 1
	v_cndmask_b32_e64 v6, v11, v10, s[2:3]
	v_and_b32_e32 v6, 1, v6
	v_cmp_eq_u32_e64 s[2:3], 1, v6
	s_and_b64 s[22:23], s[2:3], exec
.LBB399_516:
	s_or_b64 exec, exec, s[12:13]
	s_orn2_b64 s[12:13], s[22:23], exec
.LBB399_517:
	s_or_b64 exec, exec, s[20:21]
	v_cndmask_b32_e64 v6, v7, v9, s[12:13]
	v_cndmask_b32_e64 v8, v21, v20, s[12:13]
	v_add_u32_e32 v10, 1, v6
	v_add_u32_e32 v6, -1, v8
	v_min_u32_e32 v6, v10, v6
	v_lshl_add_u32 v6, v6, 2, v16
	ds_read_b32 v8, v6
	v_cndmask_b32_e64 v7, v10, v7, s[12:13]
	v_cndmask_b32_e64 v11, v9, v10, s[12:13]
	v_cmp_lt_u32_e64 s[2:3], v7, v21
	s_mov_b64 s[20:21], -1
	s_waitcnt lgkmcnt(0)
	v_cndmask_b32_e64 v6, v8, v4, s[12:13]
	v_cndmask_b32_e64 v8, v5, v8, s[12:13]
	s_mov_b64 s[22:23], -1
	s_and_saveexec_b64 s[24:25], s[2:3]
	s_cbranch_execz .LBB399_521
; %bb.518:
	v_cmp_lt_u32_e64 s[2:3], v11, v20
	s_mov_b64 s[34:35], 0
	s_and_saveexec_b64 s[22:23], s[2:3]
	s_cbranch_execz .LBB399_520
; %bb.519:
	v_lshrrev_b32_e32 v9, 31, v6
	v_add_u32_e32 v9, v6, v9
	v_lshrrev_b32_e32 v10, 31, v8
	v_and_b32_e32 v9, -2, v9
	v_add_u32_e32 v10, v8, v10
	v_sub_u32_e32 v9, v6, v9
	v_and_b32_e32 v10, -2, v10
	v_cmp_ge_i32_e64 s[2:3], v6, v8
	v_sub_u32_e32 v10, v8, v10
	s_nop 0
	v_cndmask_b32_e64 v12, 0, 1, s[2:3]
	v_cmp_ne_u32_e64 s[2:3], 0, v9
	s_nop 1
	v_cndmask_b32_e64 v13, 0, 1, s[2:3]
	v_cmp_eq_u32_e64 s[2:3], v9, v10
	s_nop 1
	v_cndmask_b32_e64 v9, v13, v12, s[2:3]
	v_and_b32_e32 v9, 1, v9
	v_cmp_eq_u32_e64 s[2:3], 1, v9
	s_and_b64 s[34:35], s[2:3], exec
.LBB399_520:
	s_or_b64 exec, exec, s[22:23]
	s_orn2_b64 s[22:23], s[34:35], exec
.LBB399_521:
	s_or_b64 exec, exec, s[24:25]
	v_cndmask_b32_e64 v9, v7, v11, s[22:23]
	v_cndmask_b32_e64 v10, v21, v20, s[22:23]
	v_add_u32_e32 v12, 1, v9
	v_add_u32_e32 v9, -1, v10
	v_min_u32_e32 v9, v12, v9
	v_lshl_add_u32 v9, v9, 2, v16
	ds_read_b32 v10, v9
	v_cndmask_b32_e64 v7, v12, v7, s[22:23]
	v_cndmask_b32_e64 v13, v11, v12, s[22:23]
	v_cmp_lt_u32_e64 s[2:3], v7, v21
	s_waitcnt lgkmcnt(0)
	v_cndmask_b32_e64 v9, v10, v6, s[22:23]
	v_cndmask_b32_e64 v10, v8, v10, s[22:23]
	s_and_saveexec_b64 s[24:25], s[2:3]
	s_cbranch_execz .LBB399_525
; %bb.522:
	v_cmp_lt_u32_e64 s[2:3], v13, v20
	s_mov_b64 s[34:35], 0
	s_and_saveexec_b64 s[20:21], s[2:3]
	s_cbranch_execz .LBB399_524
; %bb.523:
	v_lshrrev_b32_e32 v11, 31, v9
	v_add_u32_e32 v11, v9, v11
	v_lshrrev_b32_e32 v12, 31, v10
	v_and_b32_e32 v11, -2, v11
	v_add_u32_e32 v12, v10, v12
	v_sub_u32_e32 v11, v9, v11
	v_and_b32_e32 v12, -2, v12
	v_cmp_ge_i32_e64 s[2:3], v9, v10
	v_sub_u32_e32 v12, v10, v12
	s_nop 0
	v_cndmask_b32_e64 v14, 0, 1, s[2:3]
	v_cmp_ne_u32_e64 s[2:3], 0, v11
	s_nop 1
	v_cndmask_b32_e64 v15, 0, 1, s[2:3]
	v_cmp_eq_u32_e64 s[2:3], v11, v12
	s_nop 1
	v_cndmask_b32_e64 v11, v15, v14, s[2:3]
	v_and_b32_e32 v11, 1, v11
	v_cmp_eq_u32_e64 s[2:3], 1, v11
	s_and_b64 s[34:35], s[2:3], exec
.LBB399_524:
	s_or_b64 exec, exec, s[20:21]
	s_orn2_b64 s[20:21], s[34:35], exec
.LBB399_525:
	s_or_b64 exec, exec, s[24:25]
	v_cndmask_b32_e64 v11, v7, v13, s[20:21]
	v_cndmask_b32_e64 v12, v21, v20, s[20:21]
	v_add_u32_e32 v14, 1, v11
	v_add_u32_e32 v11, -1, v12
	v_min_u32_e32 v11, v14, v11
	v_lshl_add_u32 v11, v11, 2, v16
	ds_read_b32 v12, v11
	v_cndmask_b32_e64 v7, v14, v7, s[20:21]
	v_cndmask_b32_e64 v15, v13, v14, s[20:21]
	v_cmp_lt_u32_e64 s[2:3], v7, v21
	s_mov_b64 s[24:25], -1
	s_waitcnt lgkmcnt(0)
	v_cndmask_b32_e64 v11, v12, v9, s[20:21]
	v_cndmask_b32_e64 v12, v10, v12, s[20:21]
	s_mov_b64 s[34:35], -1
	s_and_saveexec_b64 s[36:37], s[2:3]
	s_cbranch_execz .LBB399_529
; %bb.526:
	v_cmp_lt_u32_e64 s[2:3], v15, v20
	s_mov_b64 s[38:39], 0
	s_and_saveexec_b64 s[34:35], s[2:3]
	s_cbranch_execz .LBB399_528
; %bb.527:
	v_lshrrev_b32_e32 v13, 31, v11
	v_add_u32_e32 v13, v11, v13
	v_lshrrev_b32_e32 v14, 31, v12
	v_and_b32_e32 v13, -2, v13
	v_add_u32_e32 v14, v12, v14
	v_sub_u32_e32 v13, v11, v13
	v_and_b32_e32 v14, -2, v14
	v_cmp_ge_i32_e64 s[2:3], v11, v12
	v_sub_u32_e32 v14, v12, v14
	s_nop 0
	v_cndmask_b32_e64 v22, 0, 1, s[2:3]
	v_cmp_ne_u32_e64 s[2:3], 0, v13
	s_nop 1
	v_cndmask_b32_e64 v23, 0, 1, s[2:3]
	v_cmp_eq_u32_e64 s[2:3], v13, v14
	s_nop 1
	v_cndmask_b32_e64 v13, v23, v22, s[2:3]
	v_and_b32_e32 v13, 1, v13
	v_cmp_eq_u32_e64 s[2:3], 1, v13
	s_and_b64 s[38:39], s[2:3], exec
.LBB399_528:
	s_or_b64 exec, exec, s[34:35]
	s_orn2_b64 s[34:35], s[38:39], exec
.LBB399_529:
	s_or_b64 exec, exec, s[36:37]
	v_cndmask_b32_e64 v13, v7, v15, s[34:35]
	v_cndmask_b32_e64 v14, v21, v20, s[34:35]
	v_add_u32_e32 v22, 1, v13
	v_add_u32_e32 v13, -1, v14
	v_min_u32_e32 v13, v22, v13
	v_lshl_add_u32 v13, v13, 2, v16
	ds_read_b32 v14, v13
	v_cndmask_b32_e64 v7, v22, v7, s[34:35]
	v_cndmask_b32_e64 v15, v15, v22, s[34:35]
	v_cmp_lt_u32_e64 s[2:3], v7, v21
	s_waitcnt lgkmcnt(0)
	v_cndmask_b32_e64 v13, v14, v11, s[34:35]
	v_cndmask_b32_e64 v14, v12, v14, s[34:35]
	s_and_saveexec_b64 s[36:37], s[2:3]
	s_cbranch_execz .LBB399_533
; %bb.530:
	v_cmp_lt_u32_e64 s[2:3], v15, v20
	s_mov_b64 s[38:39], 0
	s_and_saveexec_b64 s[24:25], s[2:3]
	s_cbranch_execz .LBB399_532
; %bb.531:
	v_lshrrev_b32_e32 v22, 31, v13
	v_add_u32_e32 v22, v13, v22
	v_lshrrev_b32_e32 v23, 31, v14
	v_and_b32_e32 v22, -2, v22
	v_add_u32_e32 v23, v14, v23
	v_sub_u32_e32 v22, v13, v22
	v_and_b32_e32 v23, -2, v23
	v_cmp_ge_i32_e64 s[2:3], v13, v14
	v_sub_u32_e32 v23, v14, v23
	s_nop 0
	v_cndmask_b32_e64 v24, 0, 1, s[2:3]
	v_cmp_ne_u32_e64 s[2:3], 0, v22
	s_nop 1
	v_cndmask_b32_e64 v25, 0, 1, s[2:3]
	v_cmp_eq_u32_e64 s[2:3], v22, v23
	s_nop 1
	v_cndmask_b32_e64 v22, v25, v24, s[2:3]
	v_and_b32_e32 v22, 1, v22
	v_cmp_eq_u32_e64 s[2:3], 1, v22
	s_and_b64 s[38:39], s[2:3], exec
.LBB399_532:
	s_or_b64 exec, exec, s[24:25]
	s_orn2_b64 s[24:25], s[38:39], exec
.LBB399_533:
	s_or_b64 exec, exec, s[36:37]
	v_cndmask_b32_e64 v22, v7, v15, s[24:25]
	v_cndmask_b32_e64 v23, v21, v20, s[24:25]
	v_add_u32_e32 v22, 1, v22
	v_add_u32_e32 v23, -1, v23
	v_min_u32_e32 v23, v22, v23
	v_lshl_add_u32 v23, v23, 2, v16
	ds_read_b32 v23, v23
	v_cndmask_b32_e64 v24, v22, v7, s[24:25]
	v_cmp_lt_u32_e64 s[2:3], v24, v21
	s_waitcnt lgkmcnt(0)
	v_cndmask_b32_e64 v7, v14, v23, s[24:25]
	s_and_saveexec_b64 s[36:37], s[2:3]
	s_cbranch_execz .LBB399_537
; %bb.534:
	v_cndmask_b32_e64 v15, v15, v22, s[24:25]
	v_cndmask_b32_e64 v21, v23, v13, s[24:25]
	v_cmp_lt_u32_e64 s[2:3], v15, v20
	s_and_saveexec_b64 s[38:39], s[2:3]
	s_cbranch_execz .LBB399_536
; %bb.535:
	v_lshrrev_b32_e32 v15, 31, v21
	v_add_u32_e32 v15, v21, v15
	v_lshrrev_b32_e32 v20, 31, v7
	v_and_b32_e32 v15, -2, v15
	v_add_u32_e32 v20, v7, v20
	v_sub_u32_e32 v15, v21, v15
	v_and_b32_e32 v20, -2, v20
	v_cmp_ge_i32_e64 s[2:3], v21, v7
	v_sub_u32_e32 v20, v7, v20
	s_nop 0
	v_cndmask_b32_e64 v22, 0, 1, s[2:3]
	v_cmp_ne_u32_e64 s[2:3], 0, v15
	s_nop 1
	v_cndmask_b32_e64 v23, 0, 1, s[2:3]
	v_cmp_eq_u32_e64 s[2:3], v15, v20
	s_nop 1
	v_cndmask_b32_e64 v15, v23, v22, s[2:3]
	v_and_b32_e32 v15, 1, v15
	v_cmp_eq_u32_e64 s[2:3], 1, v15
	s_nop 1
	v_cndmask_b32_e64 v21, v21, v7, s[2:3]
.LBB399_536:
	s_or_b64 exec, exec, s[38:39]
	v_mov_b32_e32 v7, v21
.LBB399_537:
	s_or_b64 exec, exec, s[36:37]
	v_cndmask_b32_e64 v0, v1, v0, s[16:17]
	v_cndmask_b32_e64 v1, v2, v3, s[18:19]
	;; [unrolled: 1-line block ×7, first 2 shown]
	v_mov_b64_e32 v[14:15], v[6:7]
	v_mov_b64_e32 v[26:27], v[2:3]
	;; [unrolled: 1-line block ×6, first 2 shown]
.LBB399_538:
	s_or_b64 exec, exec, s[14:15]
	v_and_b32_e32 v40, 0x3c0, v19
	v_or_b32_e32 v20, 32, v40
	v_min_u32_e32 v20, v17, v20
	v_add_u32_e32 v21, 32, v20
	v_min_u32_e32 v21, v17, v21
	v_and_b32_e32 v22, 56, v19
	v_min_u32_e32 v41, v17, v22
	v_sub_u32_e32 v42, v20, v40
	v_sub_u32_e32 v23, v21, v20
	v_sub_u32_e64 v23, v41, v23 clamp
	v_min_u32_e32 v42, v41, v42
	v_lshl_add_u32 v22, v40, 2, v16
	v_cmp_lt_u32_e64 s[2:3], v23, v42
	; wave barrier
	ds_write_b128 v18, v[24:27]
	ds_write_b128 v18, v[4:7] offset:16
	; wave barrier
	s_and_saveexec_b64 s[12:13], s[2:3]
	s_cbranch_execz .LBB399_542
; %bb.539:
	v_lshlrev_b32_e32 v43, 2, v20
	v_lshlrev_b32_e32 v44, 2, v41
	v_add3_u32 v43, v16, v43, v44
	s_mov_b64 s[14:15], 0
.LBB399_540:                            ; =>This Inner Loop Header: Depth=1
	v_add_u32_e32 v44, v42, v23
	v_lshrrev_b32_e32 v44, 1, v44
	v_not_b32_e32 v45, v44
	v_lshl_add_u32 v46, v44, 2, v22
	v_lshl_add_u32 v45, v45, 2, v43
	ds_read_b32 v46, v46
	ds_read_b32 v45, v45
	v_add_u32_e32 v47, 1, v44
	s_waitcnt lgkmcnt(1)
	v_lshrrev_b32_e32 v48, 31, v46
	s_waitcnt lgkmcnt(0)
	v_lshrrev_b32_e32 v49, 31, v45
	v_add_u32_e32 v49, v45, v49
	v_add_u32_e32 v48, v46, v48
	v_and_b32_e32 v49, -2, v49
	v_cmp_lt_i32_e64 s[2:3], v45, v46
	v_and_b32_e32 v48, -2, v48
	v_sub_u32_e32 v45, v45, v49
	v_cndmask_b32_e64 v50, 0, 1, s[2:3]
	v_sub_u32_e32 v46, v46, v48
	v_cmp_eq_u32_e64 s[2:3], 0, v45
	s_nop 1
	v_cndmask_b32_e64 v48, 0, 1, s[2:3]
	v_cmp_eq_u32_e64 s[2:3], v45, v46
	s_nop 1
	v_cndmask_b32_e64 v45, v48, v50, s[2:3]
	v_and_b32_e32 v45, 1, v45
	v_cmp_eq_u32_e64 s[2:3], 1, v45
	s_nop 1
	v_cndmask_b32_e64 v42, v42, v44, s[2:3]
	v_cndmask_b32_e64 v23, v47, v23, s[2:3]
	v_cmp_ge_u32_e64 s[2:3], v23, v42
	s_or_b64 s[14:15], s[2:3], s[14:15]
	s_andn2_b64 exec, exec, s[14:15]
	s_cbranch_execnz .LBB399_540
; %bb.541:
	s_or_b64 exec, exec, s[14:15]
.LBB399_542:
	s_or_b64 exec, exec, s[12:13]
	v_add_u32_e32 v41, v20, v41
	v_add_u32_e32 v40, v23, v40
	v_sub_u32_e32 v41, v41, v23
	v_cmp_le_u32_e64 s[2:3], v40, v20
	v_cmp_le_u32_e64 s[12:13], v41, v21
	s_or_b64 s[2:3], s[2:3], s[12:13]
	s_and_saveexec_b64 s[14:15], s[2:3]
	s_cbranch_execz .LBB399_578
; %bb.543:
	v_cmp_ge_u32_e64 s[12:13], v40, v20
	v_cmp_lt_u32_e64 s[2:3], v40, v20
                                        ; implicit-def: $vgpr0
	s_and_saveexec_b64 s[16:17], s[2:3]
; %bb.544:
	v_lshl_add_u32 v0, v23, 2, v22
	ds_read_b32 v0, v0
; %bb.545:
	s_or_b64 exec, exec, s[16:17]
	v_cmp_ge_u32_e64 s[16:17], v41, v21
	v_cmp_lt_u32_e64 s[2:3], v41, v21
                                        ; implicit-def: $vgpr1
	s_and_saveexec_b64 s[18:19], s[2:3]
; %bb.546:
	v_lshl_add_u32 v1, v41, 2, v16
	ds_read_b32 v1, v1
; %bb.547:
	s_or_b64 exec, exec, s[18:19]
	s_nor_b64 s[2:3], s[12:13], s[16:17]
	s_and_saveexec_b64 s[12:13], s[2:3]
	s_cbranch_execz .LBB399_549
; %bb.548:
	s_waitcnt lgkmcnt(0)
	v_lshrrev_b32_e32 v2, 31, v1
	v_add_u32_e32 v2, v1, v2
	v_lshrrev_b32_e32 v3, 31, v0
	v_and_b32_e32 v2, -2, v2
	v_add_u32_e32 v3, v0, v3
	v_sub_u32_e32 v2, v1, v2
	v_and_b32_e32 v3, -2, v3
	v_cmp_ge_i32_e64 s[2:3], v1, v0
	v_sub_u32_e32 v3, v0, v3
	s_andn2_b64 s[16:17], s[16:17], exec
	v_cndmask_b32_e64 v4, 0, 1, s[2:3]
	v_cmp_ne_u32_e64 s[2:3], 0, v2
	s_nop 1
	v_cndmask_b32_e64 v5, 0, 1, s[2:3]
	v_cmp_eq_u32_e64 s[2:3], v2, v3
	s_nop 1
	v_cndmask_b32_e64 v2, v5, v4, s[2:3]
	v_and_b32_e32 v2, 1, v2
	v_cmp_eq_u32_e64 s[2:3], 1, v2
	s_and_b64 s[2:3], s[2:3], exec
	s_or_b64 s[16:17], s[16:17], s[2:3]
.LBB399_549:
	s_or_b64 exec, exec, s[12:13]
	v_cndmask_b32_e64 v2, v41, v40, s[16:17]
	v_cndmask_b32_e64 v3, v21, v20, s[16:17]
	v_add_u32_e32 v5, 1, v2
	v_add_u32_e32 v2, -1, v3
	v_min_u32_e32 v2, v5, v2
	v_lshl_add_u32 v2, v2, 2, v16
	ds_read_b32 v3, v2
	v_cndmask_b32_e64 v4, v5, v41, s[16:17]
	v_cndmask_b32_e64 v6, v40, v5, s[16:17]
	v_cmp_lt_u32_e64 s[2:3], v4, v21
	s_mov_b64 s[12:13], -1
	s_waitcnt lgkmcnt(0)
	v_cndmask_b32_e64 v2, v3, v1, s[16:17]
	v_cndmask_b32_e64 v3, v0, v3, s[16:17]
	s_mov_b64 s[18:19], -1
	s_and_saveexec_b64 s[20:21], s[2:3]
	s_cbranch_execz .LBB399_553
; %bb.550:
	v_cmp_lt_u32_e64 s[2:3], v6, v20
	s_mov_b64 s[22:23], 0
	s_and_saveexec_b64 s[18:19], s[2:3]
	s_cbranch_execz .LBB399_552
; %bb.551:
	v_lshrrev_b32_e32 v5, 31, v2
	v_add_u32_e32 v5, v2, v5
	v_lshrrev_b32_e32 v7, 31, v3
	v_and_b32_e32 v5, -2, v5
	v_add_u32_e32 v7, v3, v7
	v_sub_u32_e32 v5, v2, v5
	v_and_b32_e32 v7, -2, v7
	v_cmp_ge_i32_e64 s[2:3], v2, v3
	v_sub_u32_e32 v7, v3, v7
	s_nop 0
	v_cndmask_b32_e64 v8, 0, 1, s[2:3]
	v_cmp_ne_u32_e64 s[2:3], 0, v5
	s_nop 1
	v_cndmask_b32_e64 v9, 0, 1, s[2:3]
	v_cmp_eq_u32_e64 s[2:3], v5, v7
	s_nop 1
	v_cndmask_b32_e64 v5, v9, v8, s[2:3]
	v_and_b32_e32 v5, 1, v5
	v_cmp_eq_u32_e64 s[2:3], 1, v5
	s_and_b64 s[22:23], s[2:3], exec
.LBB399_552:
	s_or_b64 exec, exec, s[18:19]
	s_orn2_b64 s[18:19], s[22:23], exec
.LBB399_553:
	s_or_b64 exec, exec, s[20:21]
	v_cndmask_b32_e64 v5, v4, v6, s[18:19]
	v_cndmask_b32_e64 v7, v21, v20, s[18:19]
	v_add_u32_e32 v8, 1, v5
	v_add_u32_e32 v5, -1, v7
	v_min_u32_e32 v5, v8, v5
	v_lshl_add_u32 v5, v5, 2, v16
	ds_read_b32 v5, v5
	v_cndmask_b32_e64 v7, v8, v4, s[18:19]
	v_cndmask_b32_e64 v9, v6, v8, s[18:19]
	v_cmp_lt_u32_e64 s[2:3], v7, v21
	s_waitcnt lgkmcnt(0)
	v_cndmask_b32_e64 v4, v5, v2, s[18:19]
	v_cndmask_b32_e64 v5, v3, v5, s[18:19]
	s_and_saveexec_b64 s[20:21], s[2:3]
	s_cbranch_execz .LBB399_557
; %bb.554:
	v_cmp_lt_u32_e64 s[2:3], v9, v20
	s_mov_b64 s[22:23], 0
	s_and_saveexec_b64 s[12:13], s[2:3]
	s_cbranch_execz .LBB399_556
; %bb.555:
	v_lshrrev_b32_e32 v6, 31, v4
	v_add_u32_e32 v6, v4, v6
	v_lshrrev_b32_e32 v8, 31, v5
	v_and_b32_e32 v6, -2, v6
	v_add_u32_e32 v8, v5, v8
	v_sub_u32_e32 v6, v4, v6
	v_and_b32_e32 v8, -2, v8
	v_cmp_ge_i32_e64 s[2:3], v4, v5
	v_sub_u32_e32 v8, v5, v8
	s_nop 0
	v_cndmask_b32_e64 v10, 0, 1, s[2:3]
	v_cmp_ne_u32_e64 s[2:3], 0, v6
	s_nop 1
	v_cndmask_b32_e64 v11, 0, 1, s[2:3]
	v_cmp_eq_u32_e64 s[2:3], v6, v8
	s_nop 1
	v_cndmask_b32_e64 v6, v11, v10, s[2:3]
	v_and_b32_e32 v6, 1, v6
	v_cmp_eq_u32_e64 s[2:3], 1, v6
	s_and_b64 s[22:23], s[2:3], exec
.LBB399_556:
	s_or_b64 exec, exec, s[12:13]
	s_orn2_b64 s[12:13], s[22:23], exec
.LBB399_557:
	s_or_b64 exec, exec, s[20:21]
	v_cndmask_b32_e64 v6, v7, v9, s[12:13]
	v_cndmask_b32_e64 v8, v21, v20, s[12:13]
	v_add_u32_e32 v10, 1, v6
	v_add_u32_e32 v6, -1, v8
	v_min_u32_e32 v6, v10, v6
	v_lshl_add_u32 v6, v6, 2, v16
	ds_read_b32 v8, v6
	v_cndmask_b32_e64 v7, v10, v7, s[12:13]
	v_cndmask_b32_e64 v11, v9, v10, s[12:13]
	v_cmp_lt_u32_e64 s[2:3], v7, v21
	s_mov_b64 s[20:21], -1
	s_waitcnt lgkmcnt(0)
	v_cndmask_b32_e64 v6, v8, v4, s[12:13]
	v_cndmask_b32_e64 v8, v5, v8, s[12:13]
	s_mov_b64 s[22:23], -1
	s_and_saveexec_b64 s[24:25], s[2:3]
	s_cbranch_execz .LBB399_561
; %bb.558:
	v_cmp_lt_u32_e64 s[2:3], v11, v20
	s_mov_b64 s[34:35], 0
	s_and_saveexec_b64 s[22:23], s[2:3]
	s_cbranch_execz .LBB399_560
; %bb.559:
	v_lshrrev_b32_e32 v9, 31, v6
	v_add_u32_e32 v9, v6, v9
	v_lshrrev_b32_e32 v10, 31, v8
	v_and_b32_e32 v9, -2, v9
	v_add_u32_e32 v10, v8, v10
	v_sub_u32_e32 v9, v6, v9
	v_and_b32_e32 v10, -2, v10
	v_cmp_ge_i32_e64 s[2:3], v6, v8
	v_sub_u32_e32 v10, v8, v10
	s_nop 0
	v_cndmask_b32_e64 v12, 0, 1, s[2:3]
	v_cmp_ne_u32_e64 s[2:3], 0, v9
	s_nop 1
	v_cndmask_b32_e64 v13, 0, 1, s[2:3]
	v_cmp_eq_u32_e64 s[2:3], v9, v10
	s_nop 1
	v_cndmask_b32_e64 v9, v13, v12, s[2:3]
	v_and_b32_e32 v9, 1, v9
	v_cmp_eq_u32_e64 s[2:3], 1, v9
	s_and_b64 s[34:35], s[2:3], exec
.LBB399_560:
	s_or_b64 exec, exec, s[22:23]
	s_orn2_b64 s[22:23], s[34:35], exec
.LBB399_561:
	s_or_b64 exec, exec, s[24:25]
	v_cndmask_b32_e64 v9, v7, v11, s[22:23]
	v_cndmask_b32_e64 v10, v21, v20, s[22:23]
	v_add_u32_e32 v12, 1, v9
	v_add_u32_e32 v9, -1, v10
	v_min_u32_e32 v9, v12, v9
	v_lshl_add_u32 v9, v9, 2, v16
	ds_read_b32 v10, v9
	v_cndmask_b32_e64 v7, v12, v7, s[22:23]
	v_cndmask_b32_e64 v13, v11, v12, s[22:23]
	v_cmp_lt_u32_e64 s[2:3], v7, v21
	s_waitcnt lgkmcnt(0)
	v_cndmask_b32_e64 v9, v10, v6, s[22:23]
	v_cndmask_b32_e64 v10, v8, v10, s[22:23]
	s_and_saveexec_b64 s[24:25], s[2:3]
	s_cbranch_execz .LBB399_565
; %bb.562:
	v_cmp_lt_u32_e64 s[2:3], v13, v20
	s_mov_b64 s[34:35], 0
	s_and_saveexec_b64 s[20:21], s[2:3]
	s_cbranch_execz .LBB399_564
; %bb.563:
	v_lshrrev_b32_e32 v11, 31, v9
	v_add_u32_e32 v11, v9, v11
	v_lshrrev_b32_e32 v12, 31, v10
	v_and_b32_e32 v11, -2, v11
	v_add_u32_e32 v12, v10, v12
	v_sub_u32_e32 v11, v9, v11
	v_and_b32_e32 v12, -2, v12
	v_cmp_ge_i32_e64 s[2:3], v9, v10
	v_sub_u32_e32 v12, v10, v12
	s_nop 0
	v_cndmask_b32_e64 v14, 0, 1, s[2:3]
	v_cmp_ne_u32_e64 s[2:3], 0, v11
	s_nop 1
	v_cndmask_b32_e64 v15, 0, 1, s[2:3]
	v_cmp_eq_u32_e64 s[2:3], v11, v12
	s_nop 1
	v_cndmask_b32_e64 v11, v15, v14, s[2:3]
	v_and_b32_e32 v11, 1, v11
	v_cmp_eq_u32_e64 s[2:3], 1, v11
	s_and_b64 s[34:35], s[2:3], exec
.LBB399_564:
	s_or_b64 exec, exec, s[20:21]
	s_orn2_b64 s[20:21], s[34:35], exec
.LBB399_565:
	s_or_b64 exec, exec, s[24:25]
	v_cndmask_b32_e64 v11, v7, v13, s[20:21]
	v_cndmask_b32_e64 v12, v21, v20, s[20:21]
	v_add_u32_e32 v14, 1, v11
	v_add_u32_e32 v11, -1, v12
	v_min_u32_e32 v11, v14, v11
	v_lshl_add_u32 v11, v11, 2, v16
	ds_read_b32 v12, v11
	v_cndmask_b32_e64 v7, v14, v7, s[20:21]
	v_cndmask_b32_e64 v15, v13, v14, s[20:21]
	v_cmp_lt_u32_e64 s[2:3], v7, v21
	s_mov_b64 s[24:25], -1
	s_waitcnt lgkmcnt(0)
	v_cndmask_b32_e64 v11, v12, v9, s[20:21]
	v_cndmask_b32_e64 v12, v10, v12, s[20:21]
	s_mov_b64 s[34:35], -1
	s_and_saveexec_b64 s[36:37], s[2:3]
	s_cbranch_execz .LBB399_569
; %bb.566:
	v_cmp_lt_u32_e64 s[2:3], v15, v20
	s_mov_b64 s[38:39], 0
	s_and_saveexec_b64 s[34:35], s[2:3]
	s_cbranch_execz .LBB399_568
; %bb.567:
	v_lshrrev_b32_e32 v13, 31, v11
	v_add_u32_e32 v13, v11, v13
	v_lshrrev_b32_e32 v14, 31, v12
	v_and_b32_e32 v13, -2, v13
	v_add_u32_e32 v14, v12, v14
	v_sub_u32_e32 v13, v11, v13
	v_and_b32_e32 v14, -2, v14
	v_cmp_ge_i32_e64 s[2:3], v11, v12
	v_sub_u32_e32 v14, v12, v14
	s_nop 0
	v_cndmask_b32_e64 v22, 0, 1, s[2:3]
	v_cmp_ne_u32_e64 s[2:3], 0, v13
	s_nop 1
	v_cndmask_b32_e64 v23, 0, 1, s[2:3]
	v_cmp_eq_u32_e64 s[2:3], v13, v14
	s_nop 1
	v_cndmask_b32_e64 v13, v23, v22, s[2:3]
	v_and_b32_e32 v13, 1, v13
	v_cmp_eq_u32_e64 s[2:3], 1, v13
	s_and_b64 s[38:39], s[2:3], exec
.LBB399_568:
	s_or_b64 exec, exec, s[34:35]
	s_orn2_b64 s[34:35], s[38:39], exec
.LBB399_569:
	s_or_b64 exec, exec, s[36:37]
	v_cndmask_b32_e64 v13, v7, v15, s[34:35]
	v_cndmask_b32_e64 v14, v21, v20, s[34:35]
	v_add_u32_e32 v22, 1, v13
	v_add_u32_e32 v13, -1, v14
	v_min_u32_e32 v13, v22, v13
	v_lshl_add_u32 v13, v13, 2, v16
	ds_read_b32 v14, v13
	v_cndmask_b32_e64 v7, v22, v7, s[34:35]
	v_cndmask_b32_e64 v15, v15, v22, s[34:35]
	v_cmp_lt_u32_e64 s[2:3], v7, v21
	s_waitcnt lgkmcnt(0)
	v_cndmask_b32_e64 v13, v14, v11, s[34:35]
	v_cndmask_b32_e64 v14, v12, v14, s[34:35]
	s_and_saveexec_b64 s[36:37], s[2:3]
	s_cbranch_execz .LBB399_573
; %bb.570:
	v_cmp_lt_u32_e64 s[2:3], v15, v20
	s_mov_b64 s[38:39], 0
	s_and_saveexec_b64 s[24:25], s[2:3]
	s_cbranch_execz .LBB399_572
; %bb.571:
	v_lshrrev_b32_e32 v22, 31, v13
	v_add_u32_e32 v22, v13, v22
	v_lshrrev_b32_e32 v23, 31, v14
	v_and_b32_e32 v22, -2, v22
	v_add_u32_e32 v23, v14, v23
	v_sub_u32_e32 v22, v13, v22
	v_and_b32_e32 v23, -2, v23
	v_cmp_ge_i32_e64 s[2:3], v13, v14
	v_sub_u32_e32 v23, v14, v23
	s_nop 0
	v_cndmask_b32_e64 v24, 0, 1, s[2:3]
	v_cmp_ne_u32_e64 s[2:3], 0, v22
	s_nop 1
	v_cndmask_b32_e64 v25, 0, 1, s[2:3]
	v_cmp_eq_u32_e64 s[2:3], v22, v23
	s_nop 1
	v_cndmask_b32_e64 v22, v25, v24, s[2:3]
	v_and_b32_e32 v22, 1, v22
	v_cmp_eq_u32_e64 s[2:3], 1, v22
	s_and_b64 s[38:39], s[2:3], exec
.LBB399_572:
	s_or_b64 exec, exec, s[24:25]
	s_orn2_b64 s[24:25], s[38:39], exec
.LBB399_573:
	s_or_b64 exec, exec, s[36:37]
	v_cndmask_b32_e64 v22, v7, v15, s[24:25]
	v_cndmask_b32_e64 v23, v21, v20, s[24:25]
	v_add_u32_e32 v22, 1, v22
	v_add_u32_e32 v23, -1, v23
	v_min_u32_e32 v23, v22, v23
	v_lshl_add_u32 v23, v23, 2, v16
	ds_read_b32 v23, v23
	v_cndmask_b32_e64 v24, v22, v7, s[24:25]
	v_cmp_lt_u32_e64 s[2:3], v24, v21
	s_waitcnt lgkmcnt(0)
	v_cndmask_b32_e64 v7, v14, v23, s[24:25]
	s_and_saveexec_b64 s[36:37], s[2:3]
	s_cbranch_execz .LBB399_577
; %bb.574:
	v_cndmask_b32_e64 v15, v15, v22, s[24:25]
	v_cndmask_b32_e64 v21, v23, v13, s[24:25]
	v_cmp_lt_u32_e64 s[2:3], v15, v20
	s_and_saveexec_b64 s[38:39], s[2:3]
	s_cbranch_execz .LBB399_576
; %bb.575:
	v_lshrrev_b32_e32 v15, 31, v21
	v_add_u32_e32 v15, v21, v15
	v_lshrrev_b32_e32 v20, 31, v7
	v_and_b32_e32 v15, -2, v15
	v_add_u32_e32 v20, v7, v20
	v_sub_u32_e32 v15, v21, v15
	v_and_b32_e32 v20, -2, v20
	v_cmp_ge_i32_e64 s[2:3], v21, v7
	v_sub_u32_e32 v20, v7, v20
	s_nop 0
	v_cndmask_b32_e64 v22, 0, 1, s[2:3]
	v_cmp_ne_u32_e64 s[2:3], 0, v15
	s_nop 1
	v_cndmask_b32_e64 v23, 0, 1, s[2:3]
	v_cmp_eq_u32_e64 s[2:3], v15, v20
	s_nop 1
	v_cndmask_b32_e64 v15, v23, v22, s[2:3]
	v_and_b32_e32 v15, 1, v15
	v_cmp_eq_u32_e64 s[2:3], 1, v15
	s_nop 1
	v_cndmask_b32_e64 v21, v21, v7, s[2:3]
.LBB399_576:
	s_or_b64 exec, exec, s[38:39]
	v_mov_b32_e32 v7, v21
.LBB399_577:
	s_or_b64 exec, exec, s[36:37]
	v_cndmask_b32_e64 v0, v1, v0, s[16:17]
	v_cndmask_b32_e64 v1, v2, v3, s[18:19]
	;; [unrolled: 1-line block ×7, first 2 shown]
	v_mov_b64_e32 v[14:15], v[6:7]
	v_mov_b64_e32 v[26:27], v[2:3]
	v_mov_b64_e32 v[24:25], v[0:1]
	v_mov_b64_e32 v[12:13], v[4:5]
	v_mov_b64_e32 v[10:11], v[2:3]
	v_mov_b64_e32 v[8:9], v[0:1]
.LBB399_578:
	s_or_b64 exec, exec, s[14:15]
	v_and_b32_e32 v21, 0x380, v19
	; wave barrier
	ds_write_b128 v18, v[24:27]
	ds_write_b128 v18, v[4:7] offset:16
	v_or_b32_e32 v18, 64, v21
	v_min_u32_e32 v18, v17, v18
	v_add_u32_e32 v20, 64, v18
	v_min_u32_e32 v20, v17, v20
	v_and_b32_e32 v19, 0x78, v19
	v_min_u32_e32 v22, v17, v19
	v_sub_u32_e32 v23, v18, v21
	v_sub_u32_e32 v19, v20, v18
	v_sub_u32_e64 v19, v22, v19 clamp
	v_min_u32_e32 v23, v22, v23
	v_lshl_add_u32 v17, v21, 2, v16
	v_cmp_lt_u32_e64 s[2:3], v19, v23
	; wave barrier
	s_and_saveexec_b64 s[12:13], s[2:3]
	s_cbranch_execz .LBB399_582
; %bb.579:
	v_lshlrev_b32_e32 v24, 2, v18
	v_lshlrev_b32_e32 v25, 2, v22
	v_add3_u32 v24, v16, v24, v25
	s_mov_b64 s[14:15], 0
.LBB399_580:                            ; =>This Inner Loop Header: Depth=1
	v_add_u32_e32 v25, v23, v19
	v_lshrrev_b32_e32 v25, 1, v25
	v_not_b32_e32 v26, v25
	v_lshl_add_u32 v27, v25, 2, v17
	v_lshl_add_u32 v26, v26, 2, v24
	ds_read_b32 v27, v27
	ds_read_b32 v26, v26
	v_add_u32_e32 v40, 1, v25
	s_waitcnt lgkmcnt(1)
	v_lshrrev_b32_e32 v41, 31, v27
	s_waitcnt lgkmcnt(0)
	v_lshrrev_b32_e32 v42, 31, v26
	v_add_u32_e32 v42, v26, v42
	v_add_u32_e32 v41, v27, v41
	v_and_b32_e32 v42, -2, v42
	v_cmp_lt_i32_e64 s[2:3], v26, v27
	v_and_b32_e32 v41, -2, v41
	v_sub_u32_e32 v26, v26, v42
	v_cndmask_b32_e64 v43, 0, 1, s[2:3]
	v_sub_u32_e32 v27, v27, v41
	v_cmp_eq_u32_e64 s[2:3], 0, v26
	s_nop 1
	v_cndmask_b32_e64 v41, 0, 1, s[2:3]
	v_cmp_eq_u32_e64 s[2:3], v26, v27
	s_nop 1
	v_cndmask_b32_e64 v26, v41, v43, s[2:3]
	v_and_b32_e32 v26, 1, v26
	v_cmp_eq_u32_e64 s[2:3], 1, v26
	s_nop 1
	v_cndmask_b32_e64 v23, v23, v25, s[2:3]
	v_cndmask_b32_e64 v19, v40, v19, s[2:3]
	v_cmp_ge_u32_e64 s[2:3], v19, v23
	s_or_b64 s[14:15], s[2:3], s[14:15]
	s_andn2_b64 exec, exec, s[14:15]
	s_cbranch_execnz .LBB399_580
; %bb.581:
	s_or_b64 exec, exec, s[14:15]
.LBB399_582:
	s_or_b64 exec, exec, s[12:13]
	v_add_u32_e32 v22, v18, v22
	v_add_u32_e32 v21, v19, v21
	v_sub_u32_e32 v22, v22, v19
	v_cmp_le_u32_e64 s[2:3], v21, v18
	v_cmp_le_u32_e64 s[12:13], v22, v20
	s_or_b64 s[2:3], s[2:3], s[12:13]
	s_and_saveexec_b64 s[14:15], s[2:3]
	s_cbranch_execz .LBB399_618
; %bb.583:
	v_cmp_ge_u32_e64 s[12:13], v21, v18
	v_cmp_lt_u32_e64 s[2:3], v21, v18
                                        ; implicit-def: $vgpr0
	s_and_saveexec_b64 s[16:17], s[2:3]
; %bb.584:
	v_lshl_add_u32 v0, v19, 2, v17
	ds_read_b32 v0, v0
; %bb.585:
	s_or_b64 exec, exec, s[16:17]
	v_cmp_ge_u32_e64 s[16:17], v22, v20
	v_cmp_lt_u32_e64 s[2:3], v22, v20
                                        ; implicit-def: $vgpr1
	s_and_saveexec_b64 s[18:19], s[2:3]
; %bb.586:
	v_lshl_add_u32 v1, v22, 2, v16
	ds_read_b32 v1, v1
; %bb.587:
	s_or_b64 exec, exec, s[18:19]
	s_nor_b64 s[2:3], s[12:13], s[16:17]
	s_and_saveexec_b64 s[12:13], s[2:3]
	s_cbranch_execz .LBB399_589
; %bb.588:
	s_waitcnt lgkmcnt(0)
	v_lshrrev_b32_e32 v2, 31, v1
	v_add_u32_e32 v2, v1, v2
	v_lshrrev_b32_e32 v3, 31, v0
	v_and_b32_e32 v2, -2, v2
	v_add_u32_e32 v3, v0, v3
	v_sub_u32_e32 v2, v1, v2
	v_and_b32_e32 v3, -2, v3
	v_cmp_ge_i32_e64 s[2:3], v1, v0
	v_sub_u32_e32 v3, v0, v3
	s_andn2_b64 s[16:17], s[16:17], exec
	v_cndmask_b32_e64 v4, 0, 1, s[2:3]
	v_cmp_ne_u32_e64 s[2:3], 0, v2
	s_nop 1
	v_cndmask_b32_e64 v5, 0, 1, s[2:3]
	v_cmp_eq_u32_e64 s[2:3], v2, v3
	s_nop 1
	v_cndmask_b32_e64 v2, v5, v4, s[2:3]
	v_and_b32_e32 v2, 1, v2
	v_cmp_eq_u32_e64 s[2:3], 1, v2
	s_and_b64 s[2:3], s[2:3], exec
	s_or_b64 s[16:17], s[16:17], s[2:3]
.LBB399_589:
	s_or_b64 exec, exec, s[12:13]
	v_cndmask_b32_e64 v2, v22, v21, s[16:17]
	v_cndmask_b32_e64 v3, v20, v18, s[16:17]
	v_add_u32_e32 v5, 1, v2
	v_add_u32_e32 v2, -1, v3
	v_min_u32_e32 v2, v5, v2
	v_lshl_add_u32 v2, v2, 2, v16
	ds_read_b32 v3, v2
	v_cndmask_b32_e64 v4, v5, v22, s[16:17]
	v_cndmask_b32_e64 v6, v21, v5, s[16:17]
	v_cmp_lt_u32_e64 s[2:3], v4, v20
	s_mov_b64 s[12:13], -1
	s_waitcnt lgkmcnt(0)
	v_cndmask_b32_e64 v2, v3, v1, s[16:17]
	v_cndmask_b32_e64 v3, v0, v3, s[16:17]
	s_mov_b64 s[18:19], -1
	s_and_saveexec_b64 s[20:21], s[2:3]
	s_cbranch_execz .LBB399_593
; %bb.590:
	v_cmp_lt_u32_e64 s[2:3], v6, v18
	s_mov_b64 s[22:23], 0
	s_and_saveexec_b64 s[18:19], s[2:3]
	s_cbranch_execz .LBB399_592
; %bb.591:
	v_lshrrev_b32_e32 v5, 31, v2
	v_add_u32_e32 v5, v2, v5
	v_lshrrev_b32_e32 v7, 31, v3
	v_and_b32_e32 v5, -2, v5
	v_add_u32_e32 v7, v3, v7
	v_sub_u32_e32 v5, v2, v5
	v_and_b32_e32 v7, -2, v7
	v_cmp_ge_i32_e64 s[2:3], v2, v3
	v_sub_u32_e32 v7, v3, v7
	s_nop 0
	v_cndmask_b32_e64 v8, 0, 1, s[2:3]
	v_cmp_ne_u32_e64 s[2:3], 0, v5
	s_nop 1
	v_cndmask_b32_e64 v9, 0, 1, s[2:3]
	v_cmp_eq_u32_e64 s[2:3], v5, v7
	s_nop 1
	v_cndmask_b32_e64 v5, v9, v8, s[2:3]
	v_and_b32_e32 v5, 1, v5
	v_cmp_eq_u32_e64 s[2:3], 1, v5
	s_and_b64 s[22:23], s[2:3], exec
.LBB399_592:
	s_or_b64 exec, exec, s[18:19]
	s_orn2_b64 s[18:19], s[22:23], exec
.LBB399_593:
	s_or_b64 exec, exec, s[20:21]
	v_cndmask_b32_e64 v5, v4, v6, s[18:19]
	v_cndmask_b32_e64 v7, v20, v18, s[18:19]
	v_add_u32_e32 v8, 1, v5
	v_add_u32_e32 v5, -1, v7
	v_min_u32_e32 v5, v8, v5
	v_lshl_add_u32 v5, v5, 2, v16
	ds_read_b32 v5, v5
	v_cndmask_b32_e64 v7, v8, v4, s[18:19]
	v_cndmask_b32_e64 v9, v6, v8, s[18:19]
	v_cmp_lt_u32_e64 s[2:3], v7, v20
	s_waitcnt lgkmcnt(0)
	v_cndmask_b32_e64 v4, v5, v2, s[18:19]
	v_cndmask_b32_e64 v5, v3, v5, s[18:19]
	s_and_saveexec_b64 s[20:21], s[2:3]
	s_cbranch_execz .LBB399_597
; %bb.594:
	v_cmp_lt_u32_e64 s[2:3], v9, v18
	s_mov_b64 s[22:23], 0
	s_and_saveexec_b64 s[12:13], s[2:3]
	s_cbranch_execz .LBB399_596
; %bb.595:
	v_lshrrev_b32_e32 v6, 31, v4
	v_add_u32_e32 v6, v4, v6
	v_lshrrev_b32_e32 v8, 31, v5
	v_and_b32_e32 v6, -2, v6
	v_add_u32_e32 v8, v5, v8
	v_sub_u32_e32 v6, v4, v6
	v_and_b32_e32 v8, -2, v8
	v_cmp_ge_i32_e64 s[2:3], v4, v5
	v_sub_u32_e32 v8, v5, v8
	s_nop 0
	v_cndmask_b32_e64 v10, 0, 1, s[2:3]
	v_cmp_ne_u32_e64 s[2:3], 0, v6
	s_nop 1
	v_cndmask_b32_e64 v11, 0, 1, s[2:3]
	v_cmp_eq_u32_e64 s[2:3], v6, v8
	s_nop 1
	v_cndmask_b32_e64 v6, v11, v10, s[2:3]
	v_and_b32_e32 v6, 1, v6
	v_cmp_eq_u32_e64 s[2:3], 1, v6
	s_and_b64 s[22:23], s[2:3], exec
.LBB399_596:
	s_or_b64 exec, exec, s[12:13]
	s_orn2_b64 s[12:13], s[22:23], exec
.LBB399_597:
	s_or_b64 exec, exec, s[20:21]
	v_cndmask_b32_e64 v6, v7, v9, s[12:13]
	v_cndmask_b32_e64 v8, v20, v18, s[12:13]
	v_add_u32_e32 v10, 1, v6
	v_add_u32_e32 v6, -1, v8
	v_min_u32_e32 v6, v10, v6
	v_lshl_add_u32 v6, v6, 2, v16
	ds_read_b32 v8, v6
	v_cndmask_b32_e64 v7, v10, v7, s[12:13]
	v_cndmask_b32_e64 v11, v9, v10, s[12:13]
	v_cmp_lt_u32_e64 s[2:3], v7, v20
	s_mov_b64 s[20:21], -1
	s_waitcnt lgkmcnt(0)
	v_cndmask_b32_e64 v6, v8, v4, s[12:13]
	v_cndmask_b32_e64 v8, v5, v8, s[12:13]
	s_mov_b64 s[22:23], -1
	s_and_saveexec_b64 s[24:25], s[2:3]
	s_cbranch_execz .LBB399_601
; %bb.598:
	v_cmp_lt_u32_e64 s[2:3], v11, v18
	s_mov_b64 s[34:35], 0
	s_and_saveexec_b64 s[22:23], s[2:3]
	s_cbranch_execz .LBB399_600
; %bb.599:
	v_lshrrev_b32_e32 v9, 31, v6
	v_add_u32_e32 v9, v6, v9
	v_lshrrev_b32_e32 v10, 31, v8
	v_and_b32_e32 v9, -2, v9
	v_add_u32_e32 v10, v8, v10
	v_sub_u32_e32 v9, v6, v9
	v_and_b32_e32 v10, -2, v10
	v_cmp_ge_i32_e64 s[2:3], v6, v8
	v_sub_u32_e32 v10, v8, v10
	s_nop 0
	v_cndmask_b32_e64 v12, 0, 1, s[2:3]
	v_cmp_ne_u32_e64 s[2:3], 0, v9
	s_nop 1
	v_cndmask_b32_e64 v13, 0, 1, s[2:3]
	v_cmp_eq_u32_e64 s[2:3], v9, v10
	s_nop 1
	v_cndmask_b32_e64 v9, v13, v12, s[2:3]
	v_and_b32_e32 v9, 1, v9
	v_cmp_eq_u32_e64 s[2:3], 1, v9
	s_and_b64 s[34:35], s[2:3], exec
.LBB399_600:
	s_or_b64 exec, exec, s[22:23]
	s_orn2_b64 s[22:23], s[34:35], exec
.LBB399_601:
	s_or_b64 exec, exec, s[24:25]
	v_cndmask_b32_e64 v9, v7, v11, s[22:23]
	v_cndmask_b32_e64 v10, v20, v18, s[22:23]
	v_add_u32_e32 v12, 1, v9
	v_add_u32_e32 v9, -1, v10
	v_min_u32_e32 v9, v12, v9
	v_lshl_add_u32 v9, v9, 2, v16
	ds_read_b32 v10, v9
	v_cndmask_b32_e64 v7, v12, v7, s[22:23]
	v_cndmask_b32_e64 v13, v11, v12, s[22:23]
	v_cmp_lt_u32_e64 s[2:3], v7, v20
	s_waitcnt lgkmcnt(0)
	v_cndmask_b32_e64 v9, v10, v6, s[22:23]
	v_cndmask_b32_e64 v10, v8, v10, s[22:23]
	s_and_saveexec_b64 s[24:25], s[2:3]
	s_cbranch_execz .LBB399_605
; %bb.602:
	v_cmp_lt_u32_e64 s[2:3], v13, v18
	s_mov_b64 s[34:35], 0
	s_and_saveexec_b64 s[20:21], s[2:3]
	s_cbranch_execz .LBB399_604
; %bb.603:
	v_lshrrev_b32_e32 v11, 31, v9
	v_add_u32_e32 v11, v9, v11
	v_lshrrev_b32_e32 v12, 31, v10
	v_and_b32_e32 v11, -2, v11
	v_add_u32_e32 v12, v10, v12
	v_sub_u32_e32 v11, v9, v11
	v_and_b32_e32 v12, -2, v12
	v_cmp_ge_i32_e64 s[2:3], v9, v10
	v_sub_u32_e32 v12, v10, v12
	s_nop 0
	v_cndmask_b32_e64 v14, 0, 1, s[2:3]
	v_cmp_ne_u32_e64 s[2:3], 0, v11
	s_nop 1
	v_cndmask_b32_e64 v15, 0, 1, s[2:3]
	v_cmp_eq_u32_e64 s[2:3], v11, v12
	s_nop 1
	v_cndmask_b32_e64 v11, v15, v14, s[2:3]
	v_and_b32_e32 v11, 1, v11
	v_cmp_eq_u32_e64 s[2:3], 1, v11
	s_and_b64 s[34:35], s[2:3], exec
.LBB399_604:
	s_or_b64 exec, exec, s[20:21]
	s_orn2_b64 s[20:21], s[34:35], exec
.LBB399_605:
	s_or_b64 exec, exec, s[24:25]
	v_cndmask_b32_e64 v11, v7, v13, s[20:21]
	v_cndmask_b32_e64 v12, v20, v18, s[20:21]
	v_add_u32_e32 v14, 1, v11
	v_add_u32_e32 v11, -1, v12
	v_min_u32_e32 v11, v14, v11
	v_lshl_add_u32 v11, v11, 2, v16
	ds_read_b32 v12, v11
	v_cndmask_b32_e64 v7, v14, v7, s[20:21]
	v_cndmask_b32_e64 v15, v13, v14, s[20:21]
	v_cmp_lt_u32_e64 s[2:3], v7, v20
	s_mov_b64 s[24:25], -1
	s_waitcnt lgkmcnt(0)
	v_cndmask_b32_e64 v11, v12, v9, s[20:21]
	v_cndmask_b32_e64 v12, v10, v12, s[20:21]
	s_mov_b64 s[34:35], -1
	s_and_saveexec_b64 s[36:37], s[2:3]
	s_cbranch_execz .LBB399_609
; %bb.606:
	v_cmp_lt_u32_e64 s[2:3], v15, v18
	s_mov_b64 s[38:39], 0
	s_and_saveexec_b64 s[34:35], s[2:3]
	s_cbranch_execz .LBB399_608
; %bb.607:
	v_lshrrev_b32_e32 v13, 31, v11
	v_add_u32_e32 v13, v11, v13
	v_lshrrev_b32_e32 v14, 31, v12
	v_and_b32_e32 v13, -2, v13
	v_add_u32_e32 v14, v12, v14
	v_sub_u32_e32 v13, v11, v13
	v_and_b32_e32 v14, -2, v14
	v_cmp_ge_i32_e64 s[2:3], v11, v12
	v_sub_u32_e32 v14, v12, v14
	s_nop 0
	v_cndmask_b32_e64 v17, 0, 1, s[2:3]
	v_cmp_ne_u32_e64 s[2:3], 0, v13
	s_nop 1
	v_cndmask_b32_e64 v19, 0, 1, s[2:3]
	v_cmp_eq_u32_e64 s[2:3], v13, v14
	s_nop 1
	v_cndmask_b32_e64 v13, v19, v17, s[2:3]
	v_and_b32_e32 v13, 1, v13
	v_cmp_eq_u32_e64 s[2:3], 1, v13
	s_and_b64 s[38:39], s[2:3], exec
.LBB399_608:
	s_or_b64 exec, exec, s[34:35]
	s_orn2_b64 s[34:35], s[38:39], exec
.LBB399_609:
	s_or_b64 exec, exec, s[36:37]
	v_cndmask_b32_e64 v13, v7, v15, s[34:35]
	v_cndmask_b32_e64 v14, v20, v18, s[34:35]
	v_add_u32_e32 v17, 1, v13
	v_add_u32_e32 v13, -1, v14
	v_min_u32_e32 v13, v17, v13
	v_lshl_add_u32 v13, v13, 2, v16
	ds_read_b32 v14, v13
	v_cndmask_b32_e64 v7, v17, v7, s[34:35]
	v_cndmask_b32_e64 v15, v15, v17, s[34:35]
	v_cmp_lt_u32_e64 s[2:3], v7, v20
	s_waitcnt lgkmcnt(0)
	v_cndmask_b32_e64 v13, v14, v11, s[34:35]
	v_cndmask_b32_e64 v14, v12, v14, s[34:35]
	s_and_saveexec_b64 s[36:37], s[2:3]
	s_cbranch_execz .LBB399_613
; %bb.610:
	v_cmp_lt_u32_e64 s[2:3], v15, v18
	s_mov_b64 s[38:39], 0
	s_and_saveexec_b64 s[24:25], s[2:3]
	s_cbranch_execz .LBB399_612
; %bb.611:
	v_lshrrev_b32_e32 v17, 31, v13
	v_add_u32_e32 v17, v13, v17
	v_lshrrev_b32_e32 v19, 31, v14
	v_and_b32_e32 v17, -2, v17
	v_add_u32_e32 v19, v14, v19
	v_sub_u32_e32 v17, v13, v17
	v_and_b32_e32 v19, -2, v19
	v_cmp_ge_i32_e64 s[2:3], v13, v14
	v_sub_u32_e32 v19, v14, v19
	s_nop 0
	v_cndmask_b32_e64 v21, 0, 1, s[2:3]
	v_cmp_ne_u32_e64 s[2:3], 0, v17
	s_nop 1
	v_cndmask_b32_e64 v22, 0, 1, s[2:3]
	v_cmp_eq_u32_e64 s[2:3], v17, v19
	s_nop 1
	v_cndmask_b32_e64 v17, v22, v21, s[2:3]
	v_and_b32_e32 v17, 1, v17
	v_cmp_eq_u32_e64 s[2:3], 1, v17
	s_and_b64 s[38:39], s[2:3], exec
.LBB399_612:
	s_or_b64 exec, exec, s[24:25]
	s_orn2_b64 s[24:25], s[38:39], exec
.LBB399_613:
	s_or_b64 exec, exec, s[36:37]
	v_cndmask_b32_e64 v17, v7, v15, s[24:25]
	v_cndmask_b32_e64 v19, v20, v18, s[24:25]
	v_add_u32_e32 v17, 1, v17
	v_add_u32_e32 v19, -1, v19
	v_min_u32_e32 v19, v17, v19
	v_lshl_add_u32 v16, v19, 2, v16
	ds_read_b32 v16, v16
	v_cndmask_b32_e64 v19, v17, v7, s[24:25]
	v_cmp_lt_u32_e64 s[2:3], v19, v20
	s_waitcnt lgkmcnt(0)
	v_cndmask_b32_e64 v7, v14, v16, s[24:25]
	s_and_saveexec_b64 s[36:37], s[2:3]
	s_cbranch_execz .LBB399_617
; %bb.614:
	v_cndmask_b32_e64 v15, v15, v17, s[24:25]
	v_cndmask_b32_e64 v16, v16, v13, s[24:25]
	v_cmp_lt_u32_e64 s[2:3], v15, v18
	s_and_saveexec_b64 s[38:39], s[2:3]
	s_cbranch_execz .LBB399_616
; %bb.615:
	v_lshrrev_b32_e32 v15, 31, v16
	v_add_u32_e32 v15, v16, v15
	v_lshrrev_b32_e32 v17, 31, v7
	v_and_b32_e32 v15, -2, v15
	v_add_u32_e32 v17, v7, v17
	v_sub_u32_e32 v15, v16, v15
	v_and_b32_e32 v17, -2, v17
	v_cmp_ge_i32_e64 s[2:3], v16, v7
	v_sub_u32_e32 v17, v7, v17
	s_nop 0
	v_cndmask_b32_e64 v18, 0, 1, s[2:3]
	v_cmp_ne_u32_e64 s[2:3], 0, v15
	s_nop 1
	v_cndmask_b32_e64 v19, 0, 1, s[2:3]
	v_cmp_eq_u32_e64 s[2:3], v15, v17
	s_nop 1
	v_cndmask_b32_e64 v15, v19, v18, s[2:3]
	v_and_b32_e32 v15, 1, v15
	v_cmp_eq_u32_e64 s[2:3], 1, v15
	s_nop 1
	v_cndmask_b32_e64 v16, v16, v7, s[2:3]
.LBB399_616:
	s_or_b64 exec, exec, s[38:39]
	v_mov_b32_e32 v7, v16
.LBB399_617:
	s_or_b64 exec, exec, s[36:37]
	v_cndmask_b32_e64 v0, v1, v0, s[16:17]
	v_cndmask_b32_e64 v1, v2, v3, s[18:19]
	;; [unrolled: 1-line block ×7, first 2 shown]
	v_mov_b64_e32 v[14:15], v[6:7]
	v_mov_b64_e32 v[12:13], v[4:5]
	;; [unrolled: 1-line block ×4, first 2 shown]
.LBB399_618:
	s_or_b64 exec, exec, s[14:15]
	s_cmpk_lt_u32 s33, 0x81
	; wave barrier
	s_waitcnt lgkmcnt(0)
	s_barrier
	s_cbranch_scc1 .LBB399_662
; %bb.619:
	v_lshlrev_b32_e32 v8, 3, v28
	s_movk_i32 s40, 0x80
	s_branch .LBB399_623
.LBB399_620:                            ;   in Loop: Header=BB399_623 Depth=1
	s_or_b64 exec, exec, s[38:39]
	v_mov_b32_e32 v7, v10
.LBB399_621:                            ;   in Loop: Header=BB399_623 Depth=1
	s_or_b64 exec, exec, s[36:37]
	v_cndmask_b32_e64 v0, v1, v0, s[16:17]
	v_cndmask_b32_e64 v1, v2, v3, s[18:19]
	;; [unrolled: 1-line block ×7, first 2 shown]
.LBB399_622:                            ;   in Loop: Header=BB399_623 Depth=1
	s_or_b64 exec, exec, s[14:15]
	s_cmp_lt_u32 s40, s33
	s_barrier
	s_cbranch_scc0 .LBB399_661
.LBB399_623:                            ; =>This Loop Header: Depth=1
                                        ;     Child Loop BB399_625 Depth 2
	s_mov_b32 s2, s40
	s_lshl_b32 s40, s40, 1
	s_sub_i32 s12, 0, s40
	v_and_b32_e32 v13, s12, v8
	v_add_u32_e32 v9, s2, v13
	v_min_u32_e32 v9, s33, v9
	s_add_i32 s3, s40, -1
	v_add_u32_e32 v10, s2, v9
	v_min_u32_e32 v10, s33, v10
	v_and_b32_e32 v11, s3, v8
	v_min_u32_e32 v14, s33, v11
	v_sub_u32_e32 v15, v9, v13
	v_sub_u32_e32 v12, v10, v9
	v_sub_u32_e64 v12, v14, v12 clamp
	v_min_u32_e32 v15, v14, v15
	v_lshlrev_b32_e32 v11, 2, v13
	v_cmp_lt_u32_e64 s[2:3], v12, v15
	ds_write_b128 v32, v[0:3]
	ds_write_b128 v32, v[4:7] offset:16
	s_waitcnt lgkmcnt(0)
	s_barrier
	s_and_saveexec_b64 s[12:13], s[2:3]
	s_cbranch_execz .LBB399_627
; %bb.624:                              ;   in Loop: Header=BB399_623 Depth=1
	v_lshlrev_b32_e32 v16, 2, v14
	v_lshl_add_u32 v16, v9, 2, v16
	s_mov_b64 s[14:15], 0
.LBB399_625:                            ;   Parent Loop BB399_623 Depth=1
                                        ; =>  This Inner Loop Header: Depth=2
	v_add_u32_e32 v17, v15, v12
	v_lshrrev_b32_e32 v17, 1, v17
	v_not_b32_e32 v18, v17
	v_lshl_add_u32 v19, v17, 2, v11
	v_lshl_add_u32 v18, v18, 2, v16
	ds_read_b32 v19, v19
	ds_read_b32 v18, v18
	v_add_u32_e32 v20, 1, v17
	s_waitcnt lgkmcnt(1)
	v_lshrrev_b32_e32 v21, 31, v19
	s_waitcnt lgkmcnt(0)
	v_lshrrev_b32_e32 v22, 31, v18
	v_add_u32_e32 v22, v18, v22
	v_add_u32_e32 v21, v19, v21
	v_and_b32_e32 v22, -2, v22
	v_cmp_lt_i32_e64 s[2:3], v18, v19
	v_and_b32_e32 v21, -2, v21
	v_sub_u32_e32 v18, v18, v22
	v_cndmask_b32_e64 v23, 0, 1, s[2:3]
	v_sub_u32_e32 v19, v19, v21
	v_cmp_eq_u32_e64 s[2:3], 0, v18
	s_nop 1
	v_cndmask_b32_e64 v21, 0, 1, s[2:3]
	v_cmp_eq_u32_e64 s[2:3], v18, v19
	s_nop 1
	v_cndmask_b32_e64 v18, v21, v23, s[2:3]
	v_and_b32_e32 v18, 1, v18
	v_cmp_eq_u32_e64 s[2:3], 1, v18
	s_nop 1
	v_cndmask_b32_e64 v15, v15, v17, s[2:3]
	v_cndmask_b32_e64 v12, v20, v12, s[2:3]
	v_cmp_ge_u32_e64 s[2:3], v12, v15
	s_or_b64 s[14:15], s[2:3], s[14:15]
	s_andn2_b64 exec, exec, s[14:15]
	s_cbranch_execnz .LBB399_625
; %bb.626:                              ;   in Loop: Header=BB399_623 Depth=1
	s_or_b64 exec, exec, s[14:15]
.LBB399_627:                            ;   in Loop: Header=BB399_623 Depth=1
	s_or_b64 exec, exec, s[12:13]
	v_sub_u32_e32 v14, v14, v12
	v_add_u32_e32 v13, v12, v13
	v_add_u32_e32 v14, v14, v9
	v_cmp_le_u32_e64 s[2:3], v13, v9
	v_cmp_le_u32_e64 s[12:13], v14, v10
	s_or_b64 s[2:3], s[2:3], s[12:13]
	s_and_saveexec_b64 s[14:15], s[2:3]
	s_cbranch_execz .LBB399_622
; %bb.628:                              ;   in Loop: Header=BB399_623 Depth=1
	v_cmp_ge_u32_e64 s[12:13], v13, v9
	v_cmp_lt_u32_e64 s[2:3], v13, v9
                                        ; implicit-def: $vgpr0
	s_and_saveexec_b64 s[16:17], s[2:3]
; %bb.629:                              ;   in Loop: Header=BB399_623 Depth=1
	v_lshl_add_u32 v0, v12, 2, v11
	ds_read_b32 v0, v0
; %bb.630:                              ;   in Loop: Header=BB399_623 Depth=1
	s_or_b64 exec, exec, s[16:17]
	v_cmp_ge_u32_e64 s[16:17], v14, v10
	v_cmp_lt_u32_e64 s[2:3], v14, v10
                                        ; implicit-def: $vgpr1
	s_and_saveexec_b64 s[18:19], s[2:3]
; %bb.631:                              ;   in Loop: Header=BB399_623 Depth=1
	v_lshlrev_b32_e32 v1, 2, v14
	ds_read_b32 v1, v1
; %bb.632:                              ;   in Loop: Header=BB399_623 Depth=1
	s_or_b64 exec, exec, s[18:19]
	s_nor_b64 s[2:3], s[12:13], s[16:17]
	s_and_saveexec_b64 s[12:13], s[2:3]
	s_cbranch_execz .LBB399_634
; %bb.633:                              ;   in Loop: Header=BB399_623 Depth=1
	s_waitcnt lgkmcnt(0)
	v_lshrrev_b32_e32 v2, 31, v1
	v_add_u32_e32 v2, v1, v2
	v_lshrrev_b32_e32 v3, 31, v0
	v_and_b32_e32 v2, -2, v2
	v_add_u32_e32 v3, v0, v3
	v_sub_u32_e32 v2, v1, v2
	v_and_b32_e32 v3, -2, v3
	v_cmp_ge_i32_e64 s[2:3], v1, v0
	v_sub_u32_e32 v3, v0, v3
	s_andn2_b64 s[16:17], s[16:17], exec
	v_cndmask_b32_e64 v4, 0, 1, s[2:3]
	v_cmp_ne_u32_e64 s[2:3], 0, v2
	s_nop 1
	v_cndmask_b32_e64 v5, 0, 1, s[2:3]
	v_cmp_eq_u32_e64 s[2:3], v2, v3
	s_nop 1
	v_cndmask_b32_e64 v2, v5, v4, s[2:3]
	v_and_b32_e32 v2, 1, v2
	v_cmp_eq_u32_e64 s[2:3], 1, v2
	s_and_b64 s[2:3], s[2:3], exec
	s_or_b64 s[16:17], s[16:17], s[2:3]
.LBB399_634:                            ;   in Loop: Header=BB399_623 Depth=1
	s_or_b64 exec, exec, s[12:13]
	v_cndmask_b32_e64 v2, v14, v13, s[16:17]
	v_cndmask_b32_e64 v3, v10, v9, s[16:17]
	v_add_u32_e32 v5, 1, v2
	v_add_u32_e32 v2, -1, v3
	v_min_u32_e32 v2, v5, v2
	v_lshlrev_b32_e32 v2, 2, v2
	ds_read_b32 v3, v2
	v_cndmask_b32_e64 v4, v5, v14, s[16:17]
	v_cndmask_b32_e64 v6, v13, v5, s[16:17]
	v_cmp_lt_u32_e64 s[2:3], v4, v10
	s_mov_b64 s[12:13], -1
	s_waitcnt lgkmcnt(0)
	v_cndmask_b32_e64 v2, v3, v1, s[16:17]
	v_cndmask_b32_e64 v3, v0, v3, s[16:17]
	s_mov_b64 s[18:19], -1
	s_and_saveexec_b64 s[20:21], s[2:3]
	s_cbranch_execz .LBB399_638
; %bb.635:                              ;   in Loop: Header=BB399_623 Depth=1
	v_cmp_lt_u32_e64 s[2:3], v6, v9
	s_mov_b64 s[22:23], 0
	s_and_saveexec_b64 s[18:19], s[2:3]
	s_cbranch_execz .LBB399_637
; %bb.636:                              ;   in Loop: Header=BB399_623 Depth=1
	v_lshrrev_b32_e32 v5, 31, v2
	v_add_u32_e32 v5, v2, v5
	v_lshrrev_b32_e32 v7, 31, v3
	v_and_b32_e32 v5, -2, v5
	v_add_u32_e32 v7, v3, v7
	v_sub_u32_e32 v5, v2, v5
	v_and_b32_e32 v7, -2, v7
	v_cmp_ge_i32_e64 s[2:3], v2, v3
	v_sub_u32_e32 v7, v3, v7
	s_nop 0
	v_cndmask_b32_e64 v11, 0, 1, s[2:3]
	v_cmp_ne_u32_e64 s[2:3], 0, v5
	s_nop 1
	v_cndmask_b32_e64 v12, 0, 1, s[2:3]
	v_cmp_eq_u32_e64 s[2:3], v5, v7
	s_nop 1
	v_cndmask_b32_e64 v5, v12, v11, s[2:3]
	v_and_b32_e32 v5, 1, v5
	v_cmp_eq_u32_e64 s[2:3], 1, v5
	s_and_b64 s[22:23], s[2:3], exec
.LBB399_637:                            ;   in Loop: Header=BB399_623 Depth=1
	s_or_b64 exec, exec, s[18:19]
	s_orn2_b64 s[18:19], s[22:23], exec
.LBB399_638:                            ;   in Loop: Header=BB399_623 Depth=1
	s_or_b64 exec, exec, s[20:21]
	v_cndmask_b32_e64 v5, v4, v6, s[18:19]
	v_cndmask_b32_e64 v7, v10, v9, s[18:19]
	v_add_u32_e32 v11, 1, v5
	v_add_u32_e32 v5, -1, v7
	v_min_u32_e32 v5, v11, v5
	v_lshlrev_b32_e32 v5, 2, v5
	ds_read_b32 v5, v5
	v_cndmask_b32_e64 v7, v11, v4, s[18:19]
	v_cndmask_b32_e64 v12, v6, v11, s[18:19]
	v_cmp_lt_u32_e64 s[2:3], v7, v10
	s_waitcnt lgkmcnt(0)
	v_cndmask_b32_e64 v4, v5, v2, s[18:19]
	v_cndmask_b32_e64 v5, v3, v5, s[18:19]
	s_and_saveexec_b64 s[20:21], s[2:3]
	s_cbranch_execz .LBB399_642
; %bb.639:                              ;   in Loop: Header=BB399_623 Depth=1
	v_cmp_lt_u32_e64 s[2:3], v12, v9
	s_mov_b64 s[22:23], 0
	s_and_saveexec_b64 s[12:13], s[2:3]
	s_cbranch_execz .LBB399_641
; %bb.640:                              ;   in Loop: Header=BB399_623 Depth=1
	v_lshrrev_b32_e32 v6, 31, v4
	v_add_u32_e32 v6, v4, v6
	v_lshrrev_b32_e32 v11, 31, v5
	v_and_b32_e32 v6, -2, v6
	v_add_u32_e32 v11, v5, v11
	v_sub_u32_e32 v6, v4, v6
	v_and_b32_e32 v11, -2, v11
	v_cmp_ge_i32_e64 s[2:3], v4, v5
	v_sub_u32_e32 v11, v5, v11
	s_nop 0
	v_cndmask_b32_e64 v13, 0, 1, s[2:3]
	v_cmp_ne_u32_e64 s[2:3], 0, v6
	s_nop 1
	v_cndmask_b32_e64 v14, 0, 1, s[2:3]
	v_cmp_eq_u32_e64 s[2:3], v6, v11
	s_nop 1
	v_cndmask_b32_e64 v6, v14, v13, s[2:3]
	v_and_b32_e32 v6, 1, v6
	v_cmp_eq_u32_e64 s[2:3], 1, v6
	s_and_b64 s[22:23], s[2:3], exec
.LBB399_641:                            ;   in Loop: Header=BB399_623 Depth=1
	s_or_b64 exec, exec, s[12:13]
	s_orn2_b64 s[12:13], s[22:23], exec
.LBB399_642:                            ;   in Loop: Header=BB399_623 Depth=1
	s_or_b64 exec, exec, s[20:21]
	v_cndmask_b32_e64 v6, v7, v12, s[12:13]
	v_cndmask_b32_e64 v11, v10, v9, s[12:13]
	v_add_u32_e32 v13, 1, v6
	v_add_u32_e32 v6, -1, v11
	v_min_u32_e32 v6, v13, v6
	v_lshlrev_b32_e32 v6, 2, v6
	ds_read_b32 v11, v6
	v_cndmask_b32_e64 v7, v13, v7, s[12:13]
	v_cndmask_b32_e64 v14, v12, v13, s[12:13]
	v_cmp_lt_u32_e64 s[2:3], v7, v10
	s_mov_b64 s[20:21], -1
	s_waitcnt lgkmcnt(0)
	v_cndmask_b32_e64 v6, v11, v4, s[12:13]
	v_cndmask_b32_e64 v11, v5, v11, s[12:13]
	s_mov_b64 s[22:23], -1
	s_and_saveexec_b64 s[24:25], s[2:3]
	s_cbranch_execz .LBB399_646
; %bb.643:                              ;   in Loop: Header=BB399_623 Depth=1
	v_cmp_lt_u32_e64 s[2:3], v14, v9
	s_mov_b64 s[34:35], 0
	s_and_saveexec_b64 s[22:23], s[2:3]
	s_cbranch_execz .LBB399_645
; %bb.644:                              ;   in Loop: Header=BB399_623 Depth=1
	v_lshrrev_b32_e32 v12, 31, v6
	v_add_u32_e32 v12, v6, v12
	v_lshrrev_b32_e32 v13, 31, v11
	v_and_b32_e32 v12, -2, v12
	v_add_u32_e32 v13, v11, v13
	v_sub_u32_e32 v12, v6, v12
	v_and_b32_e32 v13, -2, v13
	v_cmp_ge_i32_e64 s[2:3], v6, v11
	v_sub_u32_e32 v13, v11, v13
	s_nop 0
	v_cndmask_b32_e64 v15, 0, 1, s[2:3]
	v_cmp_ne_u32_e64 s[2:3], 0, v12
	s_nop 1
	v_cndmask_b32_e64 v16, 0, 1, s[2:3]
	v_cmp_eq_u32_e64 s[2:3], v12, v13
	s_nop 1
	v_cndmask_b32_e64 v12, v16, v15, s[2:3]
	v_and_b32_e32 v12, 1, v12
	v_cmp_eq_u32_e64 s[2:3], 1, v12
	s_and_b64 s[34:35], s[2:3], exec
.LBB399_645:                            ;   in Loop: Header=BB399_623 Depth=1
	s_or_b64 exec, exec, s[22:23]
	s_orn2_b64 s[22:23], s[34:35], exec
.LBB399_646:                            ;   in Loop: Header=BB399_623 Depth=1
	s_or_b64 exec, exec, s[24:25]
	v_cndmask_b32_e64 v12, v7, v14, s[22:23]
	v_cndmask_b32_e64 v13, v10, v9, s[22:23]
	v_add_u32_e32 v15, 1, v12
	v_add_u32_e32 v12, -1, v13
	v_min_u32_e32 v12, v15, v12
	v_lshlrev_b32_e32 v12, 2, v12
	ds_read_b32 v13, v12
	v_cndmask_b32_e64 v7, v15, v7, s[22:23]
	v_cndmask_b32_e64 v16, v14, v15, s[22:23]
	v_cmp_lt_u32_e64 s[2:3], v7, v10
	s_waitcnt lgkmcnt(0)
	v_cndmask_b32_e64 v12, v13, v6, s[22:23]
	v_cndmask_b32_e64 v13, v11, v13, s[22:23]
	s_and_saveexec_b64 s[24:25], s[2:3]
	s_cbranch_execz .LBB399_650
; %bb.647:                              ;   in Loop: Header=BB399_623 Depth=1
	v_cmp_lt_u32_e64 s[2:3], v16, v9
	s_mov_b64 s[34:35], 0
	s_and_saveexec_b64 s[20:21], s[2:3]
	s_cbranch_execz .LBB399_649
; %bb.648:                              ;   in Loop: Header=BB399_623 Depth=1
	v_lshrrev_b32_e32 v14, 31, v12
	v_add_u32_e32 v14, v12, v14
	v_lshrrev_b32_e32 v15, 31, v13
	v_and_b32_e32 v14, -2, v14
	v_add_u32_e32 v15, v13, v15
	v_sub_u32_e32 v14, v12, v14
	v_and_b32_e32 v15, -2, v15
	v_cmp_ge_i32_e64 s[2:3], v12, v13
	v_sub_u32_e32 v15, v13, v15
	s_nop 0
	v_cndmask_b32_e64 v17, 0, 1, s[2:3]
	v_cmp_ne_u32_e64 s[2:3], 0, v14
	s_nop 1
	v_cndmask_b32_e64 v18, 0, 1, s[2:3]
	v_cmp_eq_u32_e64 s[2:3], v14, v15
	s_nop 1
	v_cndmask_b32_e64 v14, v18, v17, s[2:3]
	v_and_b32_e32 v14, 1, v14
	v_cmp_eq_u32_e64 s[2:3], 1, v14
	s_and_b64 s[34:35], s[2:3], exec
.LBB399_649:                            ;   in Loop: Header=BB399_623 Depth=1
	s_or_b64 exec, exec, s[20:21]
	s_orn2_b64 s[20:21], s[34:35], exec
.LBB399_650:                            ;   in Loop: Header=BB399_623 Depth=1
	s_or_b64 exec, exec, s[24:25]
	v_cndmask_b32_e64 v14, v7, v16, s[20:21]
	v_cndmask_b32_e64 v15, v10, v9, s[20:21]
	v_add_u32_e32 v17, 1, v14
	v_add_u32_e32 v14, -1, v15
	v_min_u32_e32 v14, v17, v14
	v_lshlrev_b32_e32 v14, 2, v14
	ds_read_b32 v15, v14
	v_cndmask_b32_e64 v7, v17, v7, s[20:21]
	v_cndmask_b32_e64 v18, v16, v17, s[20:21]
	v_cmp_lt_u32_e64 s[2:3], v7, v10
	s_mov_b64 s[24:25], -1
	s_waitcnt lgkmcnt(0)
	v_cndmask_b32_e64 v14, v15, v12, s[20:21]
	v_cndmask_b32_e64 v15, v13, v15, s[20:21]
	s_mov_b64 s[34:35], -1
	s_and_saveexec_b64 s[36:37], s[2:3]
	s_cbranch_execz .LBB399_654
; %bb.651:                              ;   in Loop: Header=BB399_623 Depth=1
	v_cmp_lt_u32_e64 s[2:3], v18, v9
	s_mov_b64 s[38:39], 0
	s_and_saveexec_b64 s[34:35], s[2:3]
	s_cbranch_execz .LBB399_653
; %bb.652:                              ;   in Loop: Header=BB399_623 Depth=1
	v_lshrrev_b32_e32 v16, 31, v14
	v_add_u32_e32 v16, v14, v16
	v_lshrrev_b32_e32 v17, 31, v15
	v_and_b32_e32 v16, -2, v16
	v_add_u32_e32 v17, v15, v17
	v_sub_u32_e32 v16, v14, v16
	v_and_b32_e32 v17, -2, v17
	v_cmp_ge_i32_e64 s[2:3], v14, v15
	v_sub_u32_e32 v17, v15, v17
	s_nop 0
	v_cndmask_b32_e64 v19, 0, 1, s[2:3]
	v_cmp_ne_u32_e64 s[2:3], 0, v16
	s_nop 1
	v_cndmask_b32_e64 v20, 0, 1, s[2:3]
	v_cmp_eq_u32_e64 s[2:3], v16, v17
	s_nop 1
	v_cndmask_b32_e64 v16, v20, v19, s[2:3]
	v_and_b32_e32 v16, 1, v16
	v_cmp_eq_u32_e64 s[2:3], 1, v16
	s_and_b64 s[38:39], s[2:3], exec
.LBB399_653:                            ;   in Loop: Header=BB399_623 Depth=1
	s_or_b64 exec, exec, s[34:35]
	s_orn2_b64 s[34:35], s[38:39], exec
.LBB399_654:                            ;   in Loop: Header=BB399_623 Depth=1
	s_or_b64 exec, exec, s[36:37]
	v_cndmask_b32_e64 v16, v7, v18, s[34:35]
	v_cndmask_b32_e64 v17, v10, v9, s[34:35]
	v_add_u32_e32 v19, 1, v16
	v_add_u32_e32 v16, -1, v17
	v_min_u32_e32 v16, v19, v16
	v_lshlrev_b32_e32 v16, 2, v16
	ds_read_b32 v17, v16
	v_cndmask_b32_e64 v7, v19, v7, s[34:35]
	v_cndmask_b32_e64 v18, v18, v19, s[34:35]
	v_cmp_lt_u32_e64 s[2:3], v7, v10
	s_waitcnt lgkmcnt(0)
	v_cndmask_b32_e64 v16, v17, v14, s[34:35]
	v_cndmask_b32_e64 v17, v15, v17, s[34:35]
	s_and_saveexec_b64 s[36:37], s[2:3]
	s_cbranch_execz .LBB399_658
; %bb.655:                              ;   in Loop: Header=BB399_623 Depth=1
	v_cmp_lt_u32_e64 s[2:3], v18, v9
	s_mov_b64 s[38:39], 0
	s_and_saveexec_b64 s[24:25], s[2:3]
	s_cbranch_execz .LBB399_657
; %bb.656:                              ;   in Loop: Header=BB399_623 Depth=1
	v_lshrrev_b32_e32 v19, 31, v16
	v_add_u32_e32 v19, v16, v19
	v_lshrrev_b32_e32 v20, 31, v17
	v_and_b32_e32 v19, -2, v19
	v_add_u32_e32 v20, v17, v20
	v_sub_u32_e32 v19, v16, v19
	v_and_b32_e32 v20, -2, v20
	v_cmp_ge_i32_e64 s[2:3], v16, v17
	v_sub_u32_e32 v20, v17, v20
	s_nop 0
	v_cndmask_b32_e64 v21, 0, 1, s[2:3]
	v_cmp_ne_u32_e64 s[2:3], 0, v19
	s_nop 1
	v_cndmask_b32_e64 v22, 0, 1, s[2:3]
	v_cmp_eq_u32_e64 s[2:3], v19, v20
	s_nop 1
	v_cndmask_b32_e64 v19, v22, v21, s[2:3]
	v_and_b32_e32 v19, 1, v19
	v_cmp_eq_u32_e64 s[2:3], 1, v19
	s_and_b64 s[38:39], s[2:3], exec
.LBB399_657:                            ;   in Loop: Header=BB399_623 Depth=1
	s_or_b64 exec, exec, s[24:25]
	s_orn2_b64 s[24:25], s[38:39], exec
.LBB399_658:                            ;   in Loop: Header=BB399_623 Depth=1
	s_or_b64 exec, exec, s[36:37]
	v_cndmask_b32_e64 v19, v7, v18, s[24:25]
	v_cndmask_b32_e64 v20, v10, v9, s[24:25]
	v_add_u32_e32 v19, 1, v19
	v_add_u32_e32 v20, -1, v20
	v_min_u32_e32 v20, v19, v20
	v_lshlrev_b32_e32 v20, 2, v20
	ds_read_b32 v20, v20
	v_cndmask_b32_e64 v21, v19, v7, s[24:25]
	v_cmp_lt_u32_e64 s[2:3], v21, v10
	s_waitcnt lgkmcnt(0)
	v_cndmask_b32_e64 v7, v17, v20, s[24:25]
	s_and_saveexec_b64 s[36:37], s[2:3]
	s_cbranch_execz .LBB399_621
; %bb.659:                              ;   in Loop: Header=BB399_623 Depth=1
	v_cndmask_b32_e64 v18, v18, v19, s[24:25]
	v_cndmask_b32_e64 v10, v20, v16, s[24:25]
	v_cmp_lt_u32_e64 s[2:3], v18, v9
	s_and_saveexec_b64 s[38:39], s[2:3]
	s_cbranch_execz .LBB399_620
; %bb.660:                              ;   in Loop: Header=BB399_623 Depth=1
	v_lshrrev_b32_e32 v9, 31, v10
	v_add_u32_e32 v9, v10, v9
	v_lshrrev_b32_e32 v18, 31, v7
	v_and_b32_e32 v9, -2, v9
	v_add_u32_e32 v18, v7, v18
	v_sub_u32_e32 v9, v10, v9
	v_and_b32_e32 v18, -2, v18
	v_cmp_ge_i32_e64 s[2:3], v10, v7
	v_sub_u32_e32 v18, v7, v18
	s_nop 0
	v_cndmask_b32_e64 v19, 0, 1, s[2:3]
	v_cmp_ne_u32_e64 s[2:3], 0, v9
	s_nop 1
	v_cndmask_b32_e64 v20, 0, 1, s[2:3]
	v_cmp_eq_u32_e64 s[2:3], v9, v18
	s_nop 1
	v_cndmask_b32_e64 v9, v20, v19, s[2:3]
	v_and_b32_e32 v9, 1, v9
	v_cmp_eq_u32_e64 s[2:3], 1, v9
	s_nop 1
	v_cndmask_b32_e64 v10, v10, v7, s[2:3]
	s_branch .LBB399_620
.LBB399_661:
	v_mov_b64_e32 v[14:15], v[6:7]
	v_mov_b64_e32 v[12:13], v[4:5]
	;; [unrolled: 1-line block ×4, first 2 shown]
.LBB399_662:
	s_barrier
	ds_write2_b32 v39, v8, v9 offset1:1
	ds_write2_b32 v39, v10, v11 offset0:2 offset1:3
	ds_write2_b32 v39, v12, v13 offset0:4 offset1:5
	;; [unrolled: 1-line block ×3, first 2 shown]
	s_waitcnt lgkmcnt(0)
	s_barrier
	ds_read_b32 v7, v31 offset:1024
	ds_read_b32 v6, v33 offset:2048
	;; [unrolled: 1-line block ×7, first 2 shown]
	v_mov_b32_e32 v31, 0
	v_lshl_add_u64 v[0:1], s[28:29], 0, v[30:31]
	s_and_saveexec_b64 s[2:3], vcc
	s_cbranch_execz .LBB399_674
; %bb.663:
	ds_read_b32 v9, v29
	s_waitcnt lgkmcnt(0)
	flat_store_dword v[0:1], v9
	s_or_b64 exec, exec, s[2:3]
	s_and_saveexec_b64 s[2:3], s[0:1]
	s_cbranch_execnz .LBB399_675
.LBB399_664:
	s_or_b64 exec, exec, s[2:3]
	s_and_saveexec_b64 s[0:1], s[26:27]
	s_cbranch_execz .LBB399_676
.LBB399_665:
	s_waitcnt lgkmcnt(0)
	flat_store_dword v[0:1], v6 offset:2048
	s_or_b64 exec, exec, s[0:1]
	s_and_saveexec_b64 s[0:1], s[4:5]
	s_cbranch_execnz .LBB399_677
.LBB399_666:
	s_or_b64 exec, exec, s[0:1]
	s_and_saveexec_b64 s[0:1], s[6:7]
	s_cbranch_execz .LBB399_678
.LBB399_667:
	s_waitcnt lgkmcnt(0)
	v_add_co_u32_e32 v6, vcc, 0x1000, v0
	s_nop 1
	v_addc_co_u32_e32 v7, vcc, 0, v1, vcc
	flat_store_dword v[6:7], v4
	s_or_b64 exec, exec, s[0:1]
	s_and_saveexec_b64 s[0:1], s[8:9]
	s_cbranch_execnz .LBB399_679
.LBB399_668:
	s_or_b64 exec, exec, s[0:1]
	s_and_saveexec_b64 s[0:1], s[10:11]
	s_cbranch_execz .LBB399_670
.LBB399_669:
	v_add_co_u32_e32 v0, vcc, 0x1000, v0
	s_nop 1
	v_addc_co_u32_e32 v1, vcc, 0, v1, vcc
	s_waitcnt lgkmcnt(0)
	flat_store_dword v[0:1], v2 offset:2048
.LBB399_670:
	s_or_b64 exec, exec, s[0:1]
	v_mov_b32_e32 v29, v31
.LBB399_671:
	s_and_saveexec_b64 s[0:1], s[30:31]
	s_cbranch_execz .LBB399_673
; %bb.672:
	v_lshl_add_u64 v[0:1], v[28:29], 2, s[28:29]
	v_add_co_u32_e32 v0, vcc, 0x1000, v0
	s_nop 1
	v_addc_co_u32_e32 v1, vcc, 0, v1, vcc
	s_waitcnt lgkmcnt(0)
	flat_store_dword v[0:1], v8 offset:3072
.LBB399_673:
	s_endpgm
.LBB399_674:
	s_or_b64 exec, exec, s[2:3]
	s_and_saveexec_b64 s[2:3], s[0:1]
	s_cbranch_execz .LBB399_664
.LBB399_675:
	s_waitcnt lgkmcnt(0)
	flat_store_dword v[0:1], v7 offset:1024
	s_or_b64 exec, exec, s[2:3]
	s_and_saveexec_b64 s[0:1], s[26:27]
	s_cbranch_execnz .LBB399_665
.LBB399_676:
	s_or_b64 exec, exec, s[0:1]
	s_and_saveexec_b64 s[0:1], s[4:5]
	s_cbranch_execz .LBB399_666
.LBB399_677:
	s_waitcnt lgkmcnt(0)
	flat_store_dword v[0:1], v5 offset:3072
	s_or_b64 exec, exec, s[0:1]
	s_and_saveexec_b64 s[0:1], s[6:7]
	s_cbranch_execnz .LBB399_667
.LBB399_678:
	s_or_b64 exec, exec, s[0:1]
	s_and_saveexec_b64 s[0:1], s[8:9]
	s_cbranch_execz .LBB399_668
.LBB399_679:
	s_waitcnt lgkmcnt(0)
	v_add_co_u32_e32 v4, vcc, 0x1000, v0
	s_nop 1
	v_addc_co_u32_e32 v5, vcc, 0, v1, vcc
	flat_store_dword v[4:5], v3 offset:1024
	s_or_b64 exec, exec, s[0:1]
	s_and_saveexec_b64 s[0:1], s[10:11]
	s_cbranch_execnz .LBB399_669
	s_branch .LBB399_670
	.section	.rodata,"a",@progbits
	.p2align	6, 0x0
	.amdhsa_kernel _ZN7rocprim17ROCPRIM_400000_NS6detail17trampoline_kernelINS0_14default_configENS1_37merge_sort_block_sort_config_selectorIiNS0_10empty_typeEEEZNS1_21merge_sort_block_sortIS3_N6thrust23THRUST_200600_302600_NS6detail15normal_iteratorINS9_10device_ptrIiEEEESE_PS5_SF_17evens_before_oddsEE10hipError_tT0_T1_T2_T3_mRjT4_P12ihipStream_tbNS1_7vsmem_tEEUlT_E_NS1_11comp_targetILNS1_3genE0ELNS1_11target_archE4294967295ELNS1_3gpuE0ELNS1_3repE0EEENS1_30default_config_static_selectorELNS0_4arch9wavefront6targetE1EEEvSJ_
		.amdhsa_group_segment_fixed_size 8448
		.amdhsa_private_segment_fixed_size 0
		.amdhsa_kernarg_size 320
		.amdhsa_user_sgpr_count 2
		.amdhsa_user_sgpr_dispatch_ptr 0
		.amdhsa_user_sgpr_queue_ptr 0
		.amdhsa_user_sgpr_kernarg_segment_ptr 1
		.amdhsa_user_sgpr_dispatch_id 0
		.amdhsa_user_sgpr_kernarg_preload_length 0
		.amdhsa_user_sgpr_kernarg_preload_offset 0
		.amdhsa_user_sgpr_private_segment_size 0
		.amdhsa_uses_dynamic_stack 0
		.amdhsa_enable_private_segment 0
		.amdhsa_system_sgpr_workgroup_id_x 1
		.amdhsa_system_sgpr_workgroup_id_y 1
		.amdhsa_system_sgpr_workgroup_id_z 1
		.amdhsa_system_sgpr_workgroup_info 0
		.amdhsa_system_vgpr_workitem_id 2
		.amdhsa_next_free_vgpr 81
		.amdhsa_next_free_sgpr 41
		.amdhsa_accum_offset 84
		.amdhsa_reserve_vcc 1
		.amdhsa_float_round_mode_32 0
		.amdhsa_float_round_mode_16_64 0
		.amdhsa_float_denorm_mode_32 3
		.amdhsa_float_denorm_mode_16_64 3
		.amdhsa_dx10_clamp 1
		.amdhsa_ieee_mode 1
		.amdhsa_fp16_overflow 0
		.amdhsa_tg_split 0
		.amdhsa_exception_fp_ieee_invalid_op 0
		.amdhsa_exception_fp_denorm_src 0
		.amdhsa_exception_fp_ieee_div_zero 0
		.amdhsa_exception_fp_ieee_overflow 0
		.amdhsa_exception_fp_ieee_underflow 0
		.amdhsa_exception_fp_ieee_inexact 0
		.amdhsa_exception_int_div_zero 0
	.end_amdhsa_kernel
	.section	.text._ZN7rocprim17ROCPRIM_400000_NS6detail17trampoline_kernelINS0_14default_configENS1_37merge_sort_block_sort_config_selectorIiNS0_10empty_typeEEEZNS1_21merge_sort_block_sortIS3_N6thrust23THRUST_200600_302600_NS6detail15normal_iteratorINS9_10device_ptrIiEEEESE_PS5_SF_17evens_before_oddsEE10hipError_tT0_T1_T2_T3_mRjT4_P12ihipStream_tbNS1_7vsmem_tEEUlT_E_NS1_11comp_targetILNS1_3genE0ELNS1_11target_archE4294967295ELNS1_3gpuE0ELNS1_3repE0EEENS1_30default_config_static_selectorELNS0_4arch9wavefront6targetE1EEEvSJ_,"axG",@progbits,_ZN7rocprim17ROCPRIM_400000_NS6detail17trampoline_kernelINS0_14default_configENS1_37merge_sort_block_sort_config_selectorIiNS0_10empty_typeEEEZNS1_21merge_sort_block_sortIS3_N6thrust23THRUST_200600_302600_NS6detail15normal_iteratorINS9_10device_ptrIiEEEESE_PS5_SF_17evens_before_oddsEE10hipError_tT0_T1_T2_T3_mRjT4_P12ihipStream_tbNS1_7vsmem_tEEUlT_E_NS1_11comp_targetILNS1_3genE0ELNS1_11target_archE4294967295ELNS1_3gpuE0ELNS1_3repE0EEENS1_30default_config_static_selectorELNS0_4arch9wavefront6targetE1EEEvSJ_,comdat
.Lfunc_end399:
	.size	_ZN7rocprim17ROCPRIM_400000_NS6detail17trampoline_kernelINS0_14default_configENS1_37merge_sort_block_sort_config_selectorIiNS0_10empty_typeEEEZNS1_21merge_sort_block_sortIS3_N6thrust23THRUST_200600_302600_NS6detail15normal_iteratorINS9_10device_ptrIiEEEESE_PS5_SF_17evens_before_oddsEE10hipError_tT0_T1_T2_T3_mRjT4_P12ihipStream_tbNS1_7vsmem_tEEUlT_E_NS1_11comp_targetILNS1_3genE0ELNS1_11target_archE4294967295ELNS1_3gpuE0ELNS1_3repE0EEENS1_30default_config_static_selectorELNS0_4arch9wavefront6targetE1EEEvSJ_, .Lfunc_end399-_ZN7rocprim17ROCPRIM_400000_NS6detail17trampoline_kernelINS0_14default_configENS1_37merge_sort_block_sort_config_selectorIiNS0_10empty_typeEEEZNS1_21merge_sort_block_sortIS3_N6thrust23THRUST_200600_302600_NS6detail15normal_iteratorINS9_10device_ptrIiEEEESE_PS5_SF_17evens_before_oddsEE10hipError_tT0_T1_T2_T3_mRjT4_P12ihipStream_tbNS1_7vsmem_tEEUlT_E_NS1_11comp_targetILNS1_3genE0ELNS1_11target_archE4294967295ELNS1_3gpuE0ELNS1_3repE0EEENS1_30default_config_static_selectorELNS0_4arch9wavefront6targetE1EEEvSJ_
                                        ; -- End function
	.set _ZN7rocprim17ROCPRIM_400000_NS6detail17trampoline_kernelINS0_14default_configENS1_37merge_sort_block_sort_config_selectorIiNS0_10empty_typeEEEZNS1_21merge_sort_block_sortIS3_N6thrust23THRUST_200600_302600_NS6detail15normal_iteratorINS9_10device_ptrIiEEEESE_PS5_SF_17evens_before_oddsEE10hipError_tT0_T1_T2_T3_mRjT4_P12ihipStream_tbNS1_7vsmem_tEEUlT_E_NS1_11comp_targetILNS1_3genE0ELNS1_11target_archE4294967295ELNS1_3gpuE0ELNS1_3repE0EEENS1_30default_config_static_selectorELNS0_4arch9wavefront6targetE1EEEvSJ_.num_vgpr, 81
	.set _ZN7rocprim17ROCPRIM_400000_NS6detail17trampoline_kernelINS0_14default_configENS1_37merge_sort_block_sort_config_selectorIiNS0_10empty_typeEEEZNS1_21merge_sort_block_sortIS3_N6thrust23THRUST_200600_302600_NS6detail15normal_iteratorINS9_10device_ptrIiEEEESE_PS5_SF_17evens_before_oddsEE10hipError_tT0_T1_T2_T3_mRjT4_P12ihipStream_tbNS1_7vsmem_tEEUlT_E_NS1_11comp_targetILNS1_3genE0ELNS1_11target_archE4294967295ELNS1_3gpuE0ELNS1_3repE0EEENS1_30default_config_static_selectorELNS0_4arch9wavefront6targetE1EEEvSJ_.num_agpr, 0
	.set _ZN7rocprim17ROCPRIM_400000_NS6detail17trampoline_kernelINS0_14default_configENS1_37merge_sort_block_sort_config_selectorIiNS0_10empty_typeEEEZNS1_21merge_sort_block_sortIS3_N6thrust23THRUST_200600_302600_NS6detail15normal_iteratorINS9_10device_ptrIiEEEESE_PS5_SF_17evens_before_oddsEE10hipError_tT0_T1_T2_T3_mRjT4_P12ihipStream_tbNS1_7vsmem_tEEUlT_E_NS1_11comp_targetILNS1_3genE0ELNS1_11target_archE4294967295ELNS1_3gpuE0ELNS1_3repE0EEENS1_30default_config_static_selectorELNS0_4arch9wavefront6targetE1EEEvSJ_.numbered_sgpr, 41
	.set _ZN7rocprim17ROCPRIM_400000_NS6detail17trampoline_kernelINS0_14default_configENS1_37merge_sort_block_sort_config_selectorIiNS0_10empty_typeEEEZNS1_21merge_sort_block_sortIS3_N6thrust23THRUST_200600_302600_NS6detail15normal_iteratorINS9_10device_ptrIiEEEESE_PS5_SF_17evens_before_oddsEE10hipError_tT0_T1_T2_T3_mRjT4_P12ihipStream_tbNS1_7vsmem_tEEUlT_E_NS1_11comp_targetILNS1_3genE0ELNS1_11target_archE4294967295ELNS1_3gpuE0ELNS1_3repE0EEENS1_30default_config_static_selectorELNS0_4arch9wavefront6targetE1EEEvSJ_.num_named_barrier, 0
	.set _ZN7rocprim17ROCPRIM_400000_NS6detail17trampoline_kernelINS0_14default_configENS1_37merge_sort_block_sort_config_selectorIiNS0_10empty_typeEEEZNS1_21merge_sort_block_sortIS3_N6thrust23THRUST_200600_302600_NS6detail15normal_iteratorINS9_10device_ptrIiEEEESE_PS5_SF_17evens_before_oddsEE10hipError_tT0_T1_T2_T3_mRjT4_P12ihipStream_tbNS1_7vsmem_tEEUlT_E_NS1_11comp_targetILNS1_3genE0ELNS1_11target_archE4294967295ELNS1_3gpuE0ELNS1_3repE0EEENS1_30default_config_static_selectorELNS0_4arch9wavefront6targetE1EEEvSJ_.private_seg_size, 0
	.set _ZN7rocprim17ROCPRIM_400000_NS6detail17trampoline_kernelINS0_14default_configENS1_37merge_sort_block_sort_config_selectorIiNS0_10empty_typeEEEZNS1_21merge_sort_block_sortIS3_N6thrust23THRUST_200600_302600_NS6detail15normal_iteratorINS9_10device_ptrIiEEEESE_PS5_SF_17evens_before_oddsEE10hipError_tT0_T1_T2_T3_mRjT4_P12ihipStream_tbNS1_7vsmem_tEEUlT_E_NS1_11comp_targetILNS1_3genE0ELNS1_11target_archE4294967295ELNS1_3gpuE0ELNS1_3repE0EEENS1_30default_config_static_selectorELNS0_4arch9wavefront6targetE1EEEvSJ_.uses_vcc, 1
	.set _ZN7rocprim17ROCPRIM_400000_NS6detail17trampoline_kernelINS0_14default_configENS1_37merge_sort_block_sort_config_selectorIiNS0_10empty_typeEEEZNS1_21merge_sort_block_sortIS3_N6thrust23THRUST_200600_302600_NS6detail15normal_iteratorINS9_10device_ptrIiEEEESE_PS5_SF_17evens_before_oddsEE10hipError_tT0_T1_T2_T3_mRjT4_P12ihipStream_tbNS1_7vsmem_tEEUlT_E_NS1_11comp_targetILNS1_3genE0ELNS1_11target_archE4294967295ELNS1_3gpuE0ELNS1_3repE0EEENS1_30default_config_static_selectorELNS0_4arch9wavefront6targetE1EEEvSJ_.uses_flat_scratch, 0
	.set _ZN7rocprim17ROCPRIM_400000_NS6detail17trampoline_kernelINS0_14default_configENS1_37merge_sort_block_sort_config_selectorIiNS0_10empty_typeEEEZNS1_21merge_sort_block_sortIS3_N6thrust23THRUST_200600_302600_NS6detail15normal_iteratorINS9_10device_ptrIiEEEESE_PS5_SF_17evens_before_oddsEE10hipError_tT0_T1_T2_T3_mRjT4_P12ihipStream_tbNS1_7vsmem_tEEUlT_E_NS1_11comp_targetILNS1_3genE0ELNS1_11target_archE4294967295ELNS1_3gpuE0ELNS1_3repE0EEENS1_30default_config_static_selectorELNS0_4arch9wavefront6targetE1EEEvSJ_.has_dyn_sized_stack, 0
	.set _ZN7rocprim17ROCPRIM_400000_NS6detail17trampoline_kernelINS0_14default_configENS1_37merge_sort_block_sort_config_selectorIiNS0_10empty_typeEEEZNS1_21merge_sort_block_sortIS3_N6thrust23THRUST_200600_302600_NS6detail15normal_iteratorINS9_10device_ptrIiEEEESE_PS5_SF_17evens_before_oddsEE10hipError_tT0_T1_T2_T3_mRjT4_P12ihipStream_tbNS1_7vsmem_tEEUlT_E_NS1_11comp_targetILNS1_3genE0ELNS1_11target_archE4294967295ELNS1_3gpuE0ELNS1_3repE0EEENS1_30default_config_static_selectorELNS0_4arch9wavefront6targetE1EEEvSJ_.has_recursion, 0
	.set _ZN7rocprim17ROCPRIM_400000_NS6detail17trampoline_kernelINS0_14default_configENS1_37merge_sort_block_sort_config_selectorIiNS0_10empty_typeEEEZNS1_21merge_sort_block_sortIS3_N6thrust23THRUST_200600_302600_NS6detail15normal_iteratorINS9_10device_ptrIiEEEESE_PS5_SF_17evens_before_oddsEE10hipError_tT0_T1_T2_T3_mRjT4_P12ihipStream_tbNS1_7vsmem_tEEUlT_E_NS1_11comp_targetILNS1_3genE0ELNS1_11target_archE4294967295ELNS1_3gpuE0ELNS1_3repE0EEENS1_30default_config_static_selectorELNS0_4arch9wavefront6targetE1EEEvSJ_.has_indirect_call, 0
	.section	.AMDGPU.csdata,"",@progbits
; Kernel info:
; codeLenInByte = 39296
; TotalNumSgprs: 47
; NumVgprs: 81
; NumAgprs: 0
; TotalNumVgprs: 81
; ScratchSize: 0
; MemoryBound: 0
; FloatMode: 240
; IeeeMode: 1
; LDSByteSize: 8448 bytes/workgroup (compile time only)
; SGPRBlocks: 5
; VGPRBlocks: 10
; NumSGPRsForWavesPerEU: 47
; NumVGPRsForWavesPerEU: 81
; AccumOffset: 84
; Occupancy: 5
; WaveLimiterHint : 1
; COMPUTE_PGM_RSRC2:SCRATCH_EN: 0
; COMPUTE_PGM_RSRC2:USER_SGPR: 2
; COMPUTE_PGM_RSRC2:TRAP_HANDLER: 0
; COMPUTE_PGM_RSRC2:TGID_X_EN: 1
; COMPUTE_PGM_RSRC2:TGID_Y_EN: 1
; COMPUTE_PGM_RSRC2:TGID_Z_EN: 1
; COMPUTE_PGM_RSRC2:TIDIG_COMP_CNT: 2
; COMPUTE_PGM_RSRC3_GFX90A:ACCUM_OFFSET: 20
; COMPUTE_PGM_RSRC3_GFX90A:TG_SPLIT: 0
	.section	.text._ZN7rocprim17ROCPRIM_400000_NS6detail17trampoline_kernelINS0_14default_configENS1_37merge_sort_block_sort_config_selectorIiNS0_10empty_typeEEEZNS1_21merge_sort_block_sortIS3_N6thrust23THRUST_200600_302600_NS6detail15normal_iteratorINS9_10device_ptrIiEEEESE_PS5_SF_17evens_before_oddsEE10hipError_tT0_T1_T2_T3_mRjT4_P12ihipStream_tbNS1_7vsmem_tEEUlT_E_NS1_11comp_targetILNS1_3genE5ELNS1_11target_archE942ELNS1_3gpuE9ELNS1_3repE0EEENS1_30default_config_static_selectorELNS0_4arch9wavefront6targetE1EEEvSJ_,"axG",@progbits,_ZN7rocprim17ROCPRIM_400000_NS6detail17trampoline_kernelINS0_14default_configENS1_37merge_sort_block_sort_config_selectorIiNS0_10empty_typeEEEZNS1_21merge_sort_block_sortIS3_N6thrust23THRUST_200600_302600_NS6detail15normal_iteratorINS9_10device_ptrIiEEEESE_PS5_SF_17evens_before_oddsEE10hipError_tT0_T1_T2_T3_mRjT4_P12ihipStream_tbNS1_7vsmem_tEEUlT_E_NS1_11comp_targetILNS1_3genE5ELNS1_11target_archE942ELNS1_3gpuE9ELNS1_3repE0EEENS1_30default_config_static_selectorELNS0_4arch9wavefront6targetE1EEEvSJ_,comdat
	.protected	_ZN7rocprim17ROCPRIM_400000_NS6detail17trampoline_kernelINS0_14default_configENS1_37merge_sort_block_sort_config_selectorIiNS0_10empty_typeEEEZNS1_21merge_sort_block_sortIS3_N6thrust23THRUST_200600_302600_NS6detail15normal_iteratorINS9_10device_ptrIiEEEESE_PS5_SF_17evens_before_oddsEE10hipError_tT0_T1_T2_T3_mRjT4_P12ihipStream_tbNS1_7vsmem_tEEUlT_E_NS1_11comp_targetILNS1_3genE5ELNS1_11target_archE942ELNS1_3gpuE9ELNS1_3repE0EEENS1_30default_config_static_selectorELNS0_4arch9wavefront6targetE1EEEvSJ_ ; -- Begin function _ZN7rocprim17ROCPRIM_400000_NS6detail17trampoline_kernelINS0_14default_configENS1_37merge_sort_block_sort_config_selectorIiNS0_10empty_typeEEEZNS1_21merge_sort_block_sortIS3_N6thrust23THRUST_200600_302600_NS6detail15normal_iteratorINS9_10device_ptrIiEEEESE_PS5_SF_17evens_before_oddsEE10hipError_tT0_T1_T2_T3_mRjT4_P12ihipStream_tbNS1_7vsmem_tEEUlT_E_NS1_11comp_targetILNS1_3genE5ELNS1_11target_archE942ELNS1_3gpuE9ELNS1_3repE0EEENS1_30default_config_static_selectorELNS0_4arch9wavefront6targetE1EEEvSJ_
	.globl	_ZN7rocprim17ROCPRIM_400000_NS6detail17trampoline_kernelINS0_14default_configENS1_37merge_sort_block_sort_config_selectorIiNS0_10empty_typeEEEZNS1_21merge_sort_block_sortIS3_N6thrust23THRUST_200600_302600_NS6detail15normal_iteratorINS9_10device_ptrIiEEEESE_PS5_SF_17evens_before_oddsEE10hipError_tT0_T1_T2_T3_mRjT4_P12ihipStream_tbNS1_7vsmem_tEEUlT_E_NS1_11comp_targetILNS1_3genE5ELNS1_11target_archE942ELNS1_3gpuE9ELNS1_3repE0EEENS1_30default_config_static_selectorELNS0_4arch9wavefront6targetE1EEEvSJ_
	.p2align	8
	.type	_ZN7rocprim17ROCPRIM_400000_NS6detail17trampoline_kernelINS0_14default_configENS1_37merge_sort_block_sort_config_selectorIiNS0_10empty_typeEEEZNS1_21merge_sort_block_sortIS3_N6thrust23THRUST_200600_302600_NS6detail15normal_iteratorINS9_10device_ptrIiEEEESE_PS5_SF_17evens_before_oddsEE10hipError_tT0_T1_T2_T3_mRjT4_P12ihipStream_tbNS1_7vsmem_tEEUlT_E_NS1_11comp_targetILNS1_3genE5ELNS1_11target_archE942ELNS1_3gpuE9ELNS1_3repE0EEENS1_30default_config_static_selectorELNS0_4arch9wavefront6targetE1EEEvSJ_,@function
_ZN7rocprim17ROCPRIM_400000_NS6detail17trampoline_kernelINS0_14default_configENS1_37merge_sort_block_sort_config_selectorIiNS0_10empty_typeEEEZNS1_21merge_sort_block_sortIS3_N6thrust23THRUST_200600_302600_NS6detail15normal_iteratorINS9_10device_ptrIiEEEESE_PS5_SF_17evens_before_oddsEE10hipError_tT0_T1_T2_T3_mRjT4_P12ihipStream_tbNS1_7vsmem_tEEUlT_E_NS1_11comp_targetILNS1_3genE5ELNS1_11target_archE942ELNS1_3gpuE9ELNS1_3repE0EEENS1_30default_config_static_selectorELNS0_4arch9wavefront6targetE1EEEvSJ_: ; @_ZN7rocprim17ROCPRIM_400000_NS6detail17trampoline_kernelINS0_14default_configENS1_37merge_sort_block_sort_config_selectorIiNS0_10empty_typeEEEZNS1_21merge_sort_block_sortIS3_N6thrust23THRUST_200600_302600_NS6detail15normal_iteratorINS9_10device_ptrIiEEEESE_PS5_SF_17evens_before_oddsEE10hipError_tT0_T1_T2_T3_mRjT4_P12ihipStream_tbNS1_7vsmem_tEEUlT_E_NS1_11comp_targetILNS1_3genE5ELNS1_11target_archE942ELNS1_3gpuE9ELNS1_3repE0EEENS1_30default_config_static_selectorELNS0_4arch9wavefront6targetE1EEEvSJ_
; %bb.0:
	.section	.rodata,"a",@progbits
	.p2align	6, 0x0
	.amdhsa_kernel _ZN7rocprim17ROCPRIM_400000_NS6detail17trampoline_kernelINS0_14default_configENS1_37merge_sort_block_sort_config_selectorIiNS0_10empty_typeEEEZNS1_21merge_sort_block_sortIS3_N6thrust23THRUST_200600_302600_NS6detail15normal_iteratorINS9_10device_ptrIiEEEESE_PS5_SF_17evens_before_oddsEE10hipError_tT0_T1_T2_T3_mRjT4_P12ihipStream_tbNS1_7vsmem_tEEUlT_E_NS1_11comp_targetILNS1_3genE5ELNS1_11target_archE942ELNS1_3gpuE9ELNS1_3repE0EEENS1_30default_config_static_selectorELNS0_4arch9wavefront6targetE1EEEvSJ_
		.amdhsa_group_segment_fixed_size 0
		.amdhsa_private_segment_fixed_size 0
		.amdhsa_kernarg_size 64
		.amdhsa_user_sgpr_count 2
		.amdhsa_user_sgpr_dispatch_ptr 0
		.amdhsa_user_sgpr_queue_ptr 0
		.amdhsa_user_sgpr_kernarg_segment_ptr 1
		.amdhsa_user_sgpr_dispatch_id 0
		.amdhsa_user_sgpr_kernarg_preload_length 0
		.amdhsa_user_sgpr_kernarg_preload_offset 0
		.amdhsa_user_sgpr_private_segment_size 0
		.amdhsa_uses_dynamic_stack 0
		.amdhsa_enable_private_segment 0
		.amdhsa_system_sgpr_workgroup_id_x 1
		.amdhsa_system_sgpr_workgroup_id_y 0
		.amdhsa_system_sgpr_workgroup_id_z 0
		.amdhsa_system_sgpr_workgroup_info 0
		.amdhsa_system_vgpr_workitem_id 0
		.amdhsa_next_free_vgpr 1
		.amdhsa_next_free_sgpr 0
		.amdhsa_accum_offset 4
		.amdhsa_reserve_vcc 0
		.amdhsa_float_round_mode_32 0
		.amdhsa_float_round_mode_16_64 0
		.amdhsa_float_denorm_mode_32 3
		.amdhsa_float_denorm_mode_16_64 3
		.amdhsa_dx10_clamp 1
		.amdhsa_ieee_mode 1
		.amdhsa_fp16_overflow 0
		.amdhsa_tg_split 0
		.amdhsa_exception_fp_ieee_invalid_op 0
		.amdhsa_exception_fp_denorm_src 0
		.amdhsa_exception_fp_ieee_div_zero 0
		.amdhsa_exception_fp_ieee_overflow 0
		.amdhsa_exception_fp_ieee_underflow 0
		.amdhsa_exception_fp_ieee_inexact 0
		.amdhsa_exception_int_div_zero 0
	.end_amdhsa_kernel
	.section	.text._ZN7rocprim17ROCPRIM_400000_NS6detail17trampoline_kernelINS0_14default_configENS1_37merge_sort_block_sort_config_selectorIiNS0_10empty_typeEEEZNS1_21merge_sort_block_sortIS3_N6thrust23THRUST_200600_302600_NS6detail15normal_iteratorINS9_10device_ptrIiEEEESE_PS5_SF_17evens_before_oddsEE10hipError_tT0_T1_T2_T3_mRjT4_P12ihipStream_tbNS1_7vsmem_tEEUlT_E_NS1_11comp_targetILNS1_3genE5ELNS1_11target_archE942ELNS1_3gpuE9ELNS1_3repE0EEENS1_30default_config_static_selectorELNS0_4arch9wavefront6targetE1EEEvSJ_,"axG",@progbits,_ZN7rocprim17ROCPRIM_400000_NS6detail17trampoline_kernelINS0_14default_configENS1_37merge_sort_block_sort_config_selectorIiNS0_10empty_typeEEEZNS1_21merge_sort_block_sortIS3_N6thrust23THRUST_200600_302600_NS6detail15normal_iteratorINS9_10device_ptrIiEEEESE_PS5_SF_17evens_before_oddsEE10hipError_tT0_T1_T2_T3_mRjT4_P12ihipStream_tbNS1_7vsmem_tEEUlT_E_NS1_11comp_targetILNS1_3genE5ELNS1_11target_archE942ELNS1_3gpuE9ELNS1_3repE0EEENS1_30default_config_static_selectorELNS0_4arch9wavefront6targetE1EEEvSJ_,comdat
.Lfunc_end400:
	.size	_ZN7rocprim17ROCPRIM_400000_NS6detail17trampoline_kernelINS0_14default_configENS1_37merge_sort_block_sort_config_selectorIiNS0_10empty_typeEEEZNS1_21merge_sort_block_sortIS3_N6thrust23THRUST_200600_302600_NS6detail15normal_iteratorINS9_10device_ptrIiEEEESE_PS5_SF_17evens_before_oddsEE10hipError_tT0_T1_T2_T3_mRjT4_P12ihipStream_tbNS1_7vsmem_tEEUlT_E_NS1_11comp_targetILNS1_3genE5ELNS1_11target_archE942ELNS1_3gpuE9ELNS1_3repE0EEENS1_30default_config_static_selectorELNS0_4arch9wavefront6targetE1EEEvSJ_, .Lfunc_end400-_ZN7rocprim17ROCPRIM_400000_NS6detail17trampoline_kernelINS0_14default_configENS1_37merge_sort_block_sort_config_selectorIiNS0_10empty_typeEEEZNS1_21merge_sort_block_sortIS3_N6thrust23THRUST_200600_302600_NS6detail15normal_iteratorINS9_10device_ptrIiEEEESE_PS5_SF_17evens_before_oddsEE10hipError_tT0_T1_T2_T3_mRjT4_P12ihipStream_tbNS1_7vsmem_tEEUlT_E_NS1_11comp_targetILNS1_3genE5ELNS1_11target_archE942ELNS1_3gpuE9ELNS1_3repE0EEENS1_30default_config_static_selectorELNS0_4arch9wavefront6targetE1EEEvSJ_
                                        ; -- End function
	.set _ZN7rocprim17ROCPRIM_400000_NS6detail17trampoline_kernelINS0_14default_configENS1_37merge_sort_block_sort_config_selectorIiNS0_10empty_typeEEEZNS1_21merge_sort_block_sortIS3_N6thrust23THRUST_200600_302600_NS6detail15normal_iteratorINS9_10device_ptrIiEEEESE_PS5_SF_17evens_before_oddsEE10hipError_tT0_T1_T2_T3_mRjT4_P12ihipStream_tbNS1_7vsmem_tEEUlT_E_NS1_11comp_targetILNS1_3genE5ELNS1_11target_archE942ELNS1_3gpuE9ELNS1_3repE0EEENS1_30default_config_static_selectorELNS0_4arch9wavefront6targetE1EEEvSJ_.num_vgpr, 0
	.set _ZN7rocprim17ROCPRIM_400000_NS6detail17trampoline_kernelINS0_14default_configENS1_37merge_sort_block_sort_config_selectorIiNS0_10empty_typeEEEZNS1_21merge_sort_block_sortIS3_N6thrust23THRUST_200600_302600_NS6detail15normal_iteratorINS9_10device_ptrIiEEEESE_PS5_SF_17evens_before_oddsEE10hipError_tT0_T1_T2_T3_mRjT4_P12ihipStream_tbNS1_7vsmem_tEEUlT_E_NS1_11comp_targetILNS1_3genE5ELNS1_11target_archE942ELNS1_3gpuE9ELNS1_3repE0EEENS1_30default_config_static_selectorELNS0_4arch9wavefront6targetE1EEEvSJ_.num_agpr, 0
	.set _ZN7rocprim17ROCPRIM_400000_NS6detail17trampoline_kernelINS0_14default_configENS1_37merge_sort_block_sort_config_selectorIiNS0_10empty_typeEEEZNS1_21merge_sort_block_sortIS3_N6thrust23THRUST_200600_302600_NS6detail15normal_iteratorINS9_10device_ptrIiEEEESE_PS5_SF_17evens_before_oddsEE10hipError_tT0_T1_T2_T3_mRjT4_P12ihipStream_tbNS1_7vsmem_tEEUlT_E_NS1_11comp_targetILNS1_3genE5ELNS1_11target_archE942ELNS1_3gpuE9ELNS1_3repE0EEENS1_30default_config_static_selectorELNS0_4arch9wavefront6targetE1EEEvSJ_.numbered_sgpr, 0
	.set _ZN7rocprim17ROCPRIM_400000_NS6detail17trampoline_kernelINS0_14default_configENS1_37merge_sort_block_sort_config_selectorIiNS0_10empty_typeEEEZNS1_21merge_sort_block_sortIS3_N6thrust23THRUST_200600_302600_NS6detail15normal_iteratorINS9_10device_ptrIiEEEESE_PS5_SF_17evens_before_oddsEE10hipError_tT0_T1_T2_T3_mRjT4_P12ihipStream_tbNS1_7vsmem_tEEUlT_E_NS1_11comp_targetILNS1_3genE5ELNS1_11target_archE942ELNS1_3gpuE9ELNS1_3repE0EEENS1_30default_config_static_selectorELNS0_4arch9wavefront6targetE1EEEvSJ_.num_named_barrier, 0
	.set _ZN7rocprim17ROCPRIM_400000_NS6detail17trampoline_kernelINS0_14default_configENS1_37merge_sort_block_sort_config_selectorIiNS0_10empty_typeEEEZNS1_21merge_sort_block_sortIS3_N6thrust23THRUST_200600_302600_NS6detail15normal_iteratorINS9_10device_ptrIiEEEESE_PS5_SF_17evens_before_oddsEE10hipError_tT0_T1_T2_T3_mRjT4_P12ihipStream_tbNS1_7vsmem_tEEUlT_E_NS1_11comp_targetILNS1_3genE5ELNS1_11target_archE942ELNS1_3gpuE9ELNS1_3repE0EEENS1_30default_config_static_selectorELNS0_4arch9wavefront6targetE1EEEvSJ_.private_seg_size, 0
	.set _ZN7rocprim17ROCPRIM_400000_NS6detail17trampoline_kernelINS0_14default_configENS1_37merge_sort_block_sort_config_selectorIiNS0_10empty_typeEEEZNS1_21merge_sort_block_sortIS3_N6thrust23THRUST_200600_302600_NS6detail15normal_iteratorINS9_10device_ptrIiEEEESE_PS5_SF_17evens_before_oddsEE10hipError_tT0_T1_T2_T3_mRjT4_P12ihipStream_tbNS1_7vsmem_tEEUlT_E_NS1_11comp_targetILNS1_3genE5ELNS1_11target_archE942ELNS1_3gpuE9ELNS1_3repE0EEENS1_30default_config_static_selectorELNS0_4arch9wavefront6targetE1EEEvSJ_.uses_vcc, 0
	.set _ZN7rocprim17ROCPRIM_400000_NS6detail17trampoline_kernelINS0_14default_configENS1_37merge_sort_block_sort_config_selectorIiNS0_10empty_typeEEEZNS1_21merge_sort_block_sortIS3_N6thrust23THRUST_200600_302600_NS6detail15normal_iteratorINS9_10device_ptrIiEEEESE_PS5_SF_17evens_before_oddsEE10hipError_tT0_T1_T2_T3_mRjT4_P12ihipStream_tbNS1_7vsmem_tEEUlT_E_NS1_11comp_targetILNS1_3genE5ELNS1_11target_archE942ELNS1_3gpuE9ELNS1_3repE0EEENS1_30default_config_static_selectorELNS0_4arch9wavefront6targetE1EEEvSJ_.uses_flat_scratch, 0
	.set _ZN7rocprim17ROCPRIM_400000_NS6detail17trampoline_kernelINS0_14default_configENS1_37merge_sort_block_sort_config_selectorIiNS0_10empty_typeEEEZNS1_21merge_sort_block_sortIS3_N6thrust23THRUST_200600_302600_NS6detail15normal_iteratorINS9_10device_ptrIiEEEESE_PS5_SF_17evens_before_oddsEE10hipError_tT0_T1_T2_T3_mRjT4_P12ihipStream_tbNS1_7vsmem_tEEUlT_E_NS1_11comp_targetILNS1_3genE5ELNS1_11target_archE942ELNS1_3gpuE9ELNS1_3repE0EEENS1_30default_config_static_selectorELNS0_4arch9wavefront6targetE1EEEvSJ_.has_dyn_sized_stack, 0
	.set _ZN7rocprim17ROCPRIM_400000_NS6detail17trampoline_kernelINS0_14default_configENS1_37merge_sort_block_sort_config_selectorIiNS0_10empty_typeEEEZNS1_21merge_sort_block_sortIS3_N6thrust23THRUST_200600_302600_NS6detail15normal_iteratorINS9_10device_ptrIiEEEESE_PS5_SF_17evens_before_oddsEE10hipError_tT0_T1_T2_T3_mRjT4_P12ihipStream_tbNS1_7vsmem_tEEUlT_E_NS1_11comp_targetILNS1_3genE5ELNS1_11target_archE942ELNS1_3gpuE9ELNS1_3repE0EEENS1_30default_config_static_selectorELNS0_4arch9wavefront6targetE1EEEvSJ_.has_recursion, 0
	.set _ZN7rocprim17ROCPRIM_400000_NS6detail17trampoline_kernelINS0_14default_configENS1_37merge_sort_block_sort_config_selectorIiNS0_10empty_typeEEEZNS1_21merge_sort_block_sortIS3_N6thrust23THRUST_200600_302600_NS6detail15normal_iteratorINS9_10device_ptrIiEEEESE_PS5_SF_17evens_before_oddsEE10hipError_tT0_T1_T2_T3_mRjT4_P12ihipStream_tbNS1_7vsmem_tEEUlT_E_NS1_11comp_targetILNS1_3genE5ELNS1_11target_archE942ELNS1_3gpuE9ELNS1_3repE0EEENS1_30default_config_static_selectorELNS0_4arch9wavefront6targetE1EEEvSJ_.has_indirect_call, 0
	.section	.AMDGPU.csdata,"",@progbits
; Kernel info:
; codeLenInByte = 0
; TotalNumSgprs: 6
; NumVgprs: 0
; NumAgprs: 0
; TotalNumVgprs: 0
; ScratchSize: 0
; MemoryBound: 0
; FloatMode: 240
; IeeeMode: 1
; LDSByteSize: 0 bytes/workgroup (compile time only)
; SGPRBlocks: 0
; VGPRBlocks: 0
; NumSGPRsForWavesPerEU: 6
; NumVGPRsForWavesPerEU: 1
; AccumOffset: 4
; Occupancy: 8
; WaveLimiterHint : 0
; COMPUTE_PGM_RSRC2:SCRATCH_EN: 0
; COMPUTE_PGM_RSRC2:USER_SGPR: 2
; COMPUTE_PGM_RSRC2:TRAP_HANDLER: 0
; COMPUTE_PGM_RSRC2:TGID_X_EN: 1
; COMPUTE_PGM_RSRC2:TGID_Y_EN: 0
; COMPUTE_PGM_RSRC2:TGID_Z_EN: 0
; COMPUTE_PGM_RSRC2:TIDIG_COMP_CNT: 0
; COMPUTE_PGM_RSRC3_GFX90A:ACCUM_OFFSET: 0
; COMPUTE_PGM_RSRC3_GFX90A:TG_SPLIT: 0
	.section	.text._ZN7rocprim17ROCPRIM_400000_NS6detail17trampoline_kernelINS0_14default_configENS1_37merge_sort_block_sort_config_selectorIiNS0_10empty_typeEEEZNS1_21merge_sort_block_sortIS3_N6thrust23THRUST_200600_302600_NS6detail15normal_iteratorINS9_10device_ptrIiEEEESE_PS5_SF_17evens_before_oddsEE10hipError_tT0_T1_T2_T3_mRjT4_P12ihipStream_tbNS1_7vsmem_tEEUlT_E_NS1_11comp_targetILNS1_3genE4ELNS1_11target_archE910ELNS1_3gpuE8ELNS1_3repE0EEENS1_30default_config_static_selectorELNS0_4arch9wavefront6targetE1EEEvSJ_,"axG",@progbits,_ZN7rocprim17ROCPRIM_400000_NS6detail17trampoline_kernelINS0_14default_configENS1_37merge_sort_block_sort_config_selectorIiNS0_10empty_typeEEEZNS1_21merge_sort_block_sortIS3_N6thrust23THRUST_200600_302600_NS6detail15normal_iteratorINS9_10device_ptrIiEEEESE_PS5_SF_17evens_before_oddsEE10hipError_tT0_T1_T2_T3_mRjT4_P12ihipStream_tbNS1_7vsmem_tEEUlT_E_NS1_11comp_targetILNS1_3genE4ELNS1_11target_archE910ELNS1_3gpuE8ELNS1_3repE0EEENS1_30default_config_static_selectorELNS0_4arch9wavefront6targetE1EEEvSJ_,comdat
	.protected	_ZN7rocprim17ROCPRIM_400000_NS6detail17trampoline_kernelINS0_14default_configENS1_37merge_sort_block_sort_config_selectorIiNS0_10empty_typeEEEZNS1_21merge_sort_block_sortIS3_N6thrust23THRUST_200600_302600_NS6detail15normal_iteratorINS9_10device_ptrIiEEEESE_PS5_SF_17evens_before_oddsEE10hipError_tT0_T1_T2_T3_mRjT4_P12ihipStream_tbNS1_7vsmem_tEEUlT_E_NS1_11comp_targetILNS1_3genE4ELNS1_11target_archE910ELNS1_3gpuE8ELNS1_3repE0EEENS1_30default_config_static_selectorELNS0_4arch9wavefront6targetE1EEEvSJ_ ; -- Begin function _ZN7rocprim17ROCPRIM_400000_NS6detail17trampoline_kernelINS0_14default_configENS1_37merge_sort_block_sort_config_selectorIiNS0_10empty_typeEEEZNS1_21merge_sort_block_sortIS3_N6thrust23THRUST_200600_302600_NS6detail15normal_iteratorINS9_10device_ptrIiEEEESE_PS5_SF_17evens_before_oddsEE10hipError_tT0_T1_T2_T3_mRjT4_P12ihipStream_tbNS1_7vsmem_tEEUlT_E_NS1_11comp_targetILNS1_3genE4ELNS1_11target_archE910ELNS1_3gpuE8ELNS1_3repE0EEENS1_30default_config_static_selectorELNS0_4arch9wavefront6targetE1EEEvSJ_
	.globl	_ZN7rocprim17ROCPRIM_400000_NS6detail17trampoline_kernelINS0_14default_configENS1_37merge_sort_block_sort_config_selectorIiNS0_10empty_typeEEEZNS1_21merge_sort_block_sortIS3_N6thrust23THRUST_200600_302600_NS6detail15normal_iteratorINS9_10device_ptrIiEEEESE_PS5_SF_17evens_before_oddsEE10hipError_tT0_T1_T2_T3_mRjT4_P12ihipStream_tbNS1_7vsmem_tEEUlT_E_NS1_11comp_targetILNS1_3genE4ELNS1_11target_archE910ELNS1_3gpuE8ELNS1_3repE0EEENS1_30default_config_static_selectorELNS0_4arch9wavefront6targetE1EEEvSJ_
	.p2align	8
	.type	_ZN7rocprim17ROCPRIM_400000_NS6detail17trampoline_kernelINS0_14default_configENS1_37merge_sort_block_sort_config_selectorIiNS0_10empty_typeEEEZNS1_21merge_sort_block_sortIS3_N6thrust23THRUST_200600_302600_NS6detail15normal_iteratorINS9_10device_ptrIiEEEESE_PS5_SF_17evens_before_oddsEE10hipError_tT0_T1_T2_T3_mRjT4_P12ihipStream_tbNS1_7vsmem_tEEUlT_E_NS1_11comp_targetILNS1_3genE4ELNS1_11target_archE910ELNS1_3gpuE8ELNS1_3repE0EEENS1_30default_config_static_selectorELNS0_4arch9wavefront6targetE1EEEvSJ_,@function
_ZN7rocprim17ROCPRIM_400000_NS6detail17trampoline_kernelINS0_14default_configENS1_37merge_sort_block_sort_config_selectorIiNS0_10empty_typeEEEZNS1_21merge_sort_block_sortIS3_N6thrust23THRUST_200600_302600_NS6detail15normal_iteratorINS9_10device_ptrIiEEEESE_PS5_SF_17evens_before_oddsEE10hipError_tT0_T1_T2_T3_mRjT4_P12ihipStream_tbNS1_7vsmem_tEEUlT_E_NS1_11comp_targetILNS1_3genE4ELNS1_11target_archE910ELNS1_3gpuE8ELNS1_3repE0EEENS1_30default_config_static_selectorELNS0_4arch9wavefront6targetE1EEEvSJ_: ; @_ZN7rocprim17ROCPRIM_400000_NS6detail17trampoline_kernelINS0_14default_configENS1_37merge_sort_block_sort_config_selectorIiNS0_10empty_typeEEEZNS1_21merge_sort_block_sortIS3_N6thrust23THRUST_200600_302600_NS6detail15normal_iteratorINS9_10device_ptrIiEEEESE_PS5_SF_17evens_before_oddsEE10hipError_tT0_T1_T2_T3_mRjT4_P12ihipStream_tbNS1_7vsmem_tEEUlT_E_NS1_11comp_targetILNS1_3genE4ELNS1_11target_archE910ELNS1_3gpuE8ELNS1_3repE0EEENS1_30default_config_static_selectorELNS0_4arch9wavefront6targetE1EEEvSJ_
; %bb.0:
	.section	.rodata,"a",@progbits
	.p2align	6, 0x0
	.amdhsa_kernel _ZN7rocprim17ROCPRIM_400000_NS6detail17trampoline_kernelINS0_14default_configENS1_37merge_sort_block_sort_config_selectorIiNS0_10empty_typeEEEZNS1_21merge_sort_block_sortIS3_N6thrust23THRUST_200600_302600_NS6detail15normal_iteratorINS9_10device_ptrIiEEEESE_PS5_SF_17evens_before_oddsEE10hipError_tT0_T1_T2_T3_mRjT4_P12ihipStream_tbNS1_7vsmem_tEEUlT_E_NS1_11comp_targetILNS1_3genE4ELNS1_11target_archE910ELNS1_3gpuE8ELNS1_3repE0EEENS1_30default_config_static_selectorELNS0_4arch9wavefront6targetE1EEEvSJ_
		.amdhsa_group_segment_fixed_size 0
		.amdhsa_private_segment_fixed_size 0
		.amdhsa_kernarg_size 64
		.amdhsa_user_sgpr_count 2
		.amdhsa_user_sgpr_dispatch_ptr 0
		.amdhsa_user_sgpr_queue_ptr 0
		.amdhsa_user_sgpr_kernarg_segment_ptr 1
		.amdhsa_user_sgpr_dispatch_id 0
		.amdhsa_user_sgpr_kernarg_preload_length 0
		.amdhsa_user_sgpr_kernarg_preload_offset 0
		.amdhsa_user_sgpr_private_segment_size 0
		.amdhsa_uses_dynamic_stack 0
		.amdhsa_enable_private_segment 0
		.amdhsa_system_sgpr_workgroup_id_x 1
		.amdhsa_system_sgpr_workgroup_id_y 0
		.amdhsa_system_sgpr_workgroup_id_z 0
		.amdhsa_system_sgpr_workgroup_info 0
		.amdhsa_system_vgpr_workitem_id 0
		.amdhsa_next_free_vgpr 1
		.amdhsa_next_free_sgpr 0
		.amdhsa_accum_offset 4
		.amdhsa_reserve_vcc 0
		.amdhsa_float_round_mode_32 0
		.amdhsa_float_round_mode_16_64 0
		.amdhsa_float_denorm_mode_32 3
		.amdhsa_float_denorm_mode_16_64 3
		.amdhsa_dx10_clamp 1
		.amdhsa_ieee_mode 1
		.amdhsa_fp16_overflow 0
		.amdhsa_tg_split 0
		.amdhsa_exception_fp_ieee_invalid_op 0
		.amdhsa_exception_fp_denorm_src 0
		.amdhsa_exception_fp_ieee_div_zero 0
		.amdhsa_exception_fp_ieee_overflow 0
		.amdhsa_exception_fp_ieee_underflow 0
		.amdhsa_exception_fp_ieee_inexact 0
		.amdhsa_exception_int_div_zero 0
	.end_amdhsa_kernel
	.section	.text._ZN7rocprim17ROCPRIM_400000_NS6detail17trampoline_kernelINS0_14default_configENS1_37merge_sort_block_sort_config_selectorIiNS0_10empty_typeEEEZNS1_21merge_sort_block_sortIS3_N6thrust23THRUST_200600_302600_NS6detail15normal_iteratorINS9_10device_ptrIiEEEESE_PS5_SF_17evens_before_oddsEE10hipError_tT0_T1_T2_T3_mRjT4_P12ihipStream_tbNS1_7vsmem_tEEUlT_E_NS1_11comp_targetILNS1_3genE4ELNS1_11target_archE910ELNS1_3gpuE8ELNS1_3repE0EEENS1_30default_config_static_selectorELNS0_4arch9wavefront6targetE1EEEvSJ_,"axG",@progbits,_ZN7rocprim17ROCPRIM_400000_NS6detail17trampoline_kernelINS0_14default_configENS1_37merge_sort_block_sort_config_selectorIiNS0_10empty_typeEEEZNS1_21merge_sort_block_sortIS3_N6thrust23THRUST_200600_302600_NS6detail15normal_iteratorINS9_10device_ptrIiEEEESE_PS5_SF_17evens_before_oddsEE10hipError_tT0_T1_T2_T3_mRjT4_P12ihipStream_tbNS1_7vsmem_tEEUlT_E_NS1_11comp_targetILNS1_3genE4ELNS1_11target_archE910ELNS1_3gpuE8ELNS1_3repE0EEENS1_30default_config_static_selectorELNS0_4arch9wavefront6targetE1EEEvSJ_,comdat
.Lfunc_end401:
	.size	_ZN7rocprim17ROCPRIM_400000_NS6detail17trampoline_kernelINS0_14default_configENS1_37merge_sort_block_sort_config_selectorIiNS0_10empty_typeEEEZNS1_21merge_sort_block_sortIS3_N6thrust23THRUST_200600_302600_NS6detail15normal_iteratorINS9_10device_ptrIiEEEESE_PS5_SF_17evens_before_oddsEE10hipError_tT0_T1_T2_T3_mRjT4_P12ihipStream_tbNS1_7vsmem_tEEUlT_E_NS1_11comp_targetILNS1_3genE4ELNS1_11target_archE910ELNS1_3gpuE8ELNS1_3repE0EEENS1_30default_config_static_selectorELNS0_4arch9wavefront6targetE1EEEvSJ_, .Lfunc_end401-_ZN7rocprim17ROCPRIM_400000_NS6detail17trampoline_kernelINS0_14default_configENS1_37merge_sort_block_sort_config_selectorIiNS0_10empty_typeEEEZNS1_21merge_sort_block_sortIS3_N6thrust23THRUST_200600_302600_NS6detail15normal_iteratorINS9_10device_ptrIiEEEESE_PS5_SF_17evens_before_oddsEE10hipError_tT0_T1_T2_T3_mRjT4_P12ihipStream_tbNS1_7vsmem_tEEUlT_E_NS1_11comp_targetILNS1_3genE4ELNS1_11target_archE910ELNS1_3gpuE8ELNS1_3repE0EEENS1_30default_config_static_selectorELNS0_4arch9wavefront6targetE1EEEvSJ_
                                        ; -- End function
	.set _ZN7rocprim17ROCPRIM_400000_NS6detail17trampoline_kernelINS0_14default_configENS1_37merge_sort_block_sort_config_selectorIiNS0_10empty_typeEEEZNS1_21merge_sort_block_sortIS3_N6thrust23THRUST_200600_302600_NS6detail15normal_iteratorINS9_10device_ptrIiEEEESE_PS5_SF_17evens_before_oddsEE10hipError_tT0_T1_T2_T3_mRjT4_P12ihipStream_tbNS1_7vsmem_tEEUlT_E_NS1_11comp_targetILNS1_3genE4ELNS1_11target_archE910ELNS1_3gpuE8ELNS1_3repE0EEENS1_30default_config_static_selectorELNS0_4arch9wavefront6targetE1EEEvSJ_.num_vgpr, 0
	.set _ZN7rocprim17ROCPRIM_400000_NS6detail17trampoline_kernelINS0_14default_configENS1_37merge_sort_block_sort_config_selectorIiNS0_10empty_typeEEEZNS1_21merge_sort_block_sortIS3_N6thrust23THRUST_200600_302600_NS6detail15normal_iteratorINS9_10device_ptrIiEEEESE_PS5_SF_17evens_before_oddsEE10hipError_tT0_T1_T2_T3_mRjT4_P12ihipStream_tbNS1_7vsmem_tEEUlT_E_NS1_11comp_targetILNS1_3genE4ELNS1_11target_archE910ELNS1_3gpuE8ELNS1_3repE0EEENS1_30default_config_static_selectorELNS0_4arch9wavefront6targetE1EEEvSJ_.num_agpr, 0
	.set _ZN7rocprim17ROCPRIM_400000_NS6detail17trampoline_kernelINS0_14default_configENS1_37merge_sort_block_sort_config_selectorIiNS0_10empty_typeEEEZNS1_21merge_sort_block_sortIS3_N6thrust23THRUST_200600_302600_NS6detail15normal_iteratorINS9_10device_ptrIiEEEESE_PS5_SF_17evens_before_oddsEE10hipError_tT0_T1_T2_T3_mRjT4_P12ihipStream_tbNS1_7vsmem_tEEUlT_E_NS1_11comp_targetILNS1_3genE4ELNS1_11target_archE910ELNS1_3gpuE8ELNS1_3repE0EEENS1_30default_config_static_selectorELNS0_4arch9wavefront6targetE1EEEvSJ_.numbered_sgpr, 0
	.set _ZN7rocprim17ROCPRIM_400000_NS6detail17trampoline_kernelINS0_14default_configENS1_37merge_sort_block_sort_config_selectorIiNS0_10empty_typeEEEZNS1_21merge_sort_block_sortIS3_N6thrust23THRUST_200600_302600_NS6detail15normal_iteratorINS9_10device_ptrIiEEEESE_PS5_SF_17evens_before_oddsEE10hipError_tT0_T1_T2_T3_mRjT4_P12ihipStream_tbNS1_7vsmem_tEEUlT_E_NS1_11comp_targetILNS1_3genE4ELNS1_11target_archE910ELNS1_3gpuE8ELNS1_3repE0EEENS1_30default_config_static_selectorELNS0_4arch9wavefront6targetE1EEEvSJ_.num_named_barrier, 0
	.set _ZN7rocprim17ROCPRIM_400000_NS6detail17trampoline_kernelINS0_14default_configENS1_37merge_sort_block_sort_config_selectorIiNS0_10empty_typeEEEZNS1_21merge_sort_block_sortIS3_N6thrust23THRUST_200600_302600_NS6detail15normal_iteratorINS9_10device_ptrIiEEEESE_PS5_SF_17evens_before_oddsEE10hipError_tT0_T1_T2_T3_mRjT4_P12ihipStream_tbNS1_7vsmem_tEEUlT_E_NS1_11comp_targetILNS1_3genE4ELNS1_11target_archE910ELNS1_3gpuE8ELNS1_3repE0EEENS1_30default_config_static_selectorELNS0_4arch9wavefront6targetE1EEEvSJ_.private_seg_size, 0
	.set _ZN7rocprim17ROCPRIM_400000_NS6detail17trampoline_kernelINS0_14default_configENS1_37merge_sort_block_sort_config_selectorIiNS0_10empty_typeEEEZNS1_21merge_sort_block_sortIS3_N6thrust23THRUST_200600_302600_NS6detail15normal_iteratorINS9_10device_ptrIiEEEESE_PS5_SF_17evens_before_oddsEE10hipError_tT0_T1_T2_T3_mRjT4_P12ihipStream_tbNS1_7vsmem_tEEUlT_E_NS1_11comp_targetILNS1_3genE4ELNS1_11target_archE910ELNS1_3gpuE8ELNS1_3repE0EEENS1_30default_config_static_selectorELNS0_4arch9wavefront6targetE1EEEvSJ_.uses_vcc, 0
	.set _ZN7rocprim17ROCPRIM_400000_NS6detail17trampoline_kernelINS0_14default_configENS1_37merge_sort_block_sort_config_selectorIiNS0_10empty_typeEEEZNS1_21merge_sort_block_sortIS3_N6thrust23THRUST_200600_302600_NS6detail15normal_iteratorINS9_10device_ptrIiEEEESE_PS5_SF_17evens_before_oddsEE10hipError_tT0_T1_T2_T3_mRjT4_P12ihipStream_tbNS1_7vsmem_tEEUlT_E_NS1_11comp_targetILNS1_3genE4ELNS1_11target_archE910ELNS1_3gpuE8ELNS1_3repE0EEENS1_30default_config_static_selectorELNS0_4arch9wavefront6targetE1EEEvSJ_.uses_flat_scratch, 0
	.set _ZN7rocprim17ROCPRIM_400000_NS6detail17trampoline_kernelINS0_14default_configENS1_37merge_sort_block_sort_config_selectorIiNS0_10empty_typeEEEZNS1_21merge_sort_block_sortIS3_N6thrust23THRUST_200600_302600_NS6detail15normal_iteratorINS9_10device_ptrIiEEEESE_PS5_SF_17evens_before_oddsEE10hipError_tT0_T1_T2_T3_mRjT4_P12ihipStream_tbNS1_7vsmem_tEEUlT_E_NS1_11comp_targetILNS1_3genE4ELNS1_11target_archE910ELNS1_3gpuE8ELNS1_3repE0EEENS1_30default_config_static_selectorELNS0_4arch9wavefront6targetE1EEEvSJ_.has_dyn_sized_stack, 0
	.set _ZN7rocprim17ROCPRIM_400000_NS6detail17trampoline_kernelINS0_14default_configENS1_37merge_sort_block_sort_config_selectorIiNS0_10empty_typeEEEZNS1_21merge_sort_block_sortIS3_N6thrust23THRUST_200600_302600_NS6detail15normal_iteratorINS9_10device_ptrIiEEEESE_PS5_SF_17evens_before_oddsEE10hipError_tT0_T1_T2_T3_mRjT4_P12ihipStream_tbNS1_7vsmem_tEEUlT_E_NS1_11comp_targetILNS1_3genE4ELNS1_11target_archE910ELNS1_3gpuE8ELNS1_3repE0EEENS1_30default_config_static_selectorELNS0_4arch9wavefront6targetE1EEEvSJ_.has_recursion, 0
	.set _ZN7rocprim17ROCPRIM_400000_NS6detail17trampoline_kernelINS0_14default_configENS1_37merge_sort_block_sort_config_selectorIiNS0_10empty_typeEEEZNS1_21merge_sort_block_sortIS3_N6thrust23THRUST_200600_302600_NS6detail15normal_iteratorINS9_10device_ptrIiEEEESE_PS5_SF_17evens_before_oddsEE10hipError_tT0_T1_T2_T3_mRjT4_P12ihipStream_tbNS1_7vsmem_tEEUlT_E_NS1_11comp_targetILNS1_3genE4ELNS1_11target_archE910ELNS1_3gpuE8ELNS1_3repE0EEENS1_30default_config_static_selectorELNS0_4arch9wavefront6targetE1EEEvSJ_.has_indirect_call, 0
	.section	.AMDGPU.csdata,"",@progbits
; Kernel info:
; codeLenInByte = 0
; TotalNumSgprs: 6
; NumVgprs: 0
; NumAgprs: 0
; TotalNumVgprs: 0
; ScratchSize: 0
; MemoryBound: 0
; FloatMode: 240
; IeeeMode: 1
; LDSByteSize: 0 bytes/workgroup (compile time only)
; SGPRBlocks: 0
; VGPRBlocks: 0
; NumSGPRsForWavesPerEU: 6
; NumVGPRsForWavesPerEU: 1
; AccumOffset: 4
; Occupancy: 8
; WaveLimiterHint : 0
; COMPUTE_PGM_RSRC2:SCRATCH_EN: 0
; COMPUTE_PGM_RSRC2:USER_SGPR: 2
; COMPUTE_PGM_RSRC2:TRAP_HANDLER: 0
; COMPUTE_PGM_RSRC2:TGID_X_EN: 1
; COMPUTE_PGM_RSRC2:TGID_Y_EN: 0
; COMPUTE_PGM_RSRC2:TGID_Z_EN: 0
; COMPUTE_PGM_RSRC2:TIDIG_COMP_CNT: 0
; COMPUTE_PGM_RSRC3_GFX90A:ACCUM_OFFSET: 0
; COMPUTE_PGM_RSRC3_GFX90A:TG_SPLIT: 0
	.section	.text._ZN7rocprim17ROCPRIM_400000_NS6detail17trampoline_kernelINS0_14default_configENS1_37merge_sort_block_sort_config_selectorIiNS0_10empty_typeEEEZNS1_21merge_sort_block_sortIS3_N6thrust23THRUST_200600_302600_NS6detail15normal_iteratorINS9_10device_ptrIiEEEESE_PS5_SF_17evens_before_oddsEE10hipError_tT0_T1_T2_T3_mRjT4_P12ihipStream_tbNS1_7vsmem_tEEUlT_E_NS1_11comp_targetILNS1_3genE3ELNS1_11target_archE908ELNS1_3gpuE7ELNS1_3repE0EEENS1_30default_config_static_selectorELNS0_4arch9wavefront6targetE1EEEvSJ_,"axG",@progbits,_ZN7rocprim17ROCPRIM_400000_NS6detail17trampoline_kernelINS0_14default_configENS1_37merge_sort_block_sort_config_selectorIiNS0_10empty_typeEEEZNS1_21merge_sort_block_sortIS3_N6thrust23THRUST_200600_302600_NS6detail15normal_iteratorINS9_10device_ptrIiEEEESE_PS5_SF_17evens_before_oddsEE10hipError_tT0_T1_T2_T3_mRjT4_P12ihipStream_tbNS1_7vsmem_tEEUlT_E_NS1_11comp_targetILNS1_3genE3ELNS1_11target_archE908ELNS1_3gpuE7ELNS1_3repE0EEENS1_30default_config_static_selectorELNS0_4arch9wavefront6targetE1EEEvSJ_,comdat
	.protected	_ZN7rocprim17ROCPRIM_400000_NS6detail17trampoline_kernelINS0_14default_configENS1_37merge_sort_block_sort_config_selectorIiNS0_10empty_typeEEEZNS1_21merge_sort_block_sortIS3_N6thrust23THRUST_200600_302600_NS6detail15normal_iteratorINS9_10device_ptrIiEEEESE_PS5_SF_17evens_before_oddsEE10hipError_tT0_T1_T2_T3_mRjT4_P12ihipStream_tbNS1_7vsmem_tEEUlT_E_NS1_11comp_targetILNS1_3genE3ELNS1_11target_archE908ELNS1_3gpuE7ELNS1_3repE0EEENS1_30default_config_static_selectorELNS0_4arch9wavefront6targetE1EEEvSJ_ ; -- Begin function _ZN7rocprim17ROCPRIM_400000_NS6detail17trampoline_kernelINS0_14default_configENS1_37merge_sort_block_sort_config_selectorIiNS0_10empty_typeEEEZNS1_21merge_sort_block_sortIS3_N6thrust23THRUST_200600_302600_NS6detail15normal_iteratorINS9_10device_ptrIiEEEESE_PS5_SF_17evens_before_oddsEE10hipError_tT0_T1_T2_T3_mRjT4_P12ihipStream_tbNS1_7vsmem_tEEUlT_E_NS1_11comp_targetILNS1_3genE3ELNS1_11target_archE908ELNS1_3gpuE7ELNS1_3repE0EEENS1_30default_config_static_selectorELNS0_4arch9wavefront6targetE1EEEvSJ_
	.globl	_ZN7rocprim17ROCPRIM_400000_NS6detail17trampoline_kernelINS0_14default_configENS1_37merge_sort_block_sort_config_selectorIiNS0_10empty_typeEEEZNS1_21merge_sort_block_sortIS3_N6thrust23THRUST_200600_302600_NS6detail15normal_iteratorINS9_10device_ptrIiEEEESE_PS5_SF_17evens_before_oddsEE10hipError_tT0_T1_T2_T3_mRjT4_P12ihipStream_tbNS1_7vsmem_tEEUlT_E_NS1_11comp_targetILNS1_3genE3ELNS1_11target_archE908ELNS1_3gpuE7ELNS1_3repE0EEENS1_30default_config_static_selectorELNS0_4arch9wavefront6targetE1EEEvSJ_
	.p2align	8
	.type	_ZN7rocprim17ROCPRIM_400000_NS6detail17trampoline_kernelINS0_14default_configENS1_37merge_sort_block_sort_config_selectorIiNS0_10empty_typeEEEZNS1_21merge_sort_block_sortIS3_N6thrust23THRUST_200600_302600_NS6detail15normal_iteratorINS9_10device_ptrIiEEEESE_PS5_SF_17evens_before_oddsEE10hipError_tT0_T1_T2_T3_mRjT4_P12ihipStream_tbNS1_7vsmem_tEEUlT_E_NS1_11comp_targetILNS1_3genE3ELNS1_11target_archE908ELNS1_3gpuE7ELNS1_3repE0EEENS1_30default_config_static_selectorELNS0_4arch9wavefront6targetE1EEEvSJ_,@function
_ZN7rocprim17ROCPRIM_400000_NS6detail17trampoline_kernelINS0_14default_configENS1_37merge_sort_block_sort_config_selectorIiNS0_10empty_typeEEEZNS1_21merge_sort_block_sortIS3_N6thrust23THRUST_200600_302600_NS6detail15normal_iteratorINS9_10device_ptrIiEEEESE_PS5_SF_17evens_before_oddsEE10hipError_tT0_T1_T2_T3_mRjT4_P12ihipStream_tbNS1_7vsmem_tEEUlT_E_NS1_11comp_targetILNS1_3genE3ELNS1_11target_archE908ELNS1_3gpuE7ELNS1_3repE0EEENS1_30default_config_static_selectorELNS0_4arch9wavefront6targetE1EEEvSJ_: ; @_ZN7rocprim17ROCPRIM_400000_NS6detail17trampoline_kernelINS0_14default_configENS1_37merge_sort_block_sort_config_selectorIiNS0_10empty_typeEEEZNS1_21merge_sort_block_sortIS3_N6thrust23THRUST_200600_302600_NS6detail15normal_iteratorINS9_10device_ptrIiEEEESE_PS5_SF_17evens_before_oddsEE10hipError_tT0_T1_T2_T3_mRjT4_P12ihipStream_tbNS1_7vsmem_tEEUlT_E_NS1_11comp_targetILNS1_3genE3ELNS1_11target_archE908ELNS1_3gpuE7ELNS1_3repE0EEENS1_30default_config_static_selectorELNS0_4arch9wavefront6targetE1EEEvSJ_
; %bb.0:
	.section	.rodata,"a",@progbits
	.p2align	6, 0x0
	.amdhsa_kernel _ZN7rocprim17ROCPRIM_400000_NS6detail17trampoline_kernelINS0_14default_configENS1_37merge_sort_block_sort_config_selectorIiNS0_10empty_typeEEEZNS1_21merge_sort_block_sortIS3_N6thrust23THRUST_200600_302600_NS6detail15normal_iteratorINS9_10device_ptrIiEEEESE_PS5_SF_17evens_before_oddsEE10hipError_tT0_T1_T2_T3_mRjT4_P12ihipStream_tbNS1_7vsmem_tEEUlT_E_NS1_11comp_targetILNS1_3genE3ELNS1_11target_archE908ELNS1_3gpuE7ELNS1_3repE0EEENS1_30default_config_static_selectorELNS0_4arch9wavefront6targetE1EEEvSJ_
		.amdhsa_group_segment_fixed_size 0
		.amdhsa_private_segment_fixed_size 0
		.amdhsa_kernarg_size 64
		.amdhsa_user_sgpr_count 2
		.amdhsa_user_sgpr_dispatch_ptr 0
		.amdhsa_user_sgpr_queue_ptr 0
		.amdhsa_user_sgpr_kernarg_segment_ptr 1
		.amdhsa_user_sgpr_dispatch_id 0
		.amdhsa_user_sgpr_kernarg_preload_length 0
		.amdhsa_user_sgpr_kernarg_preload_offset 0
		.amdhsa_user_sgpr_private_segment_size 0
		.amdhsa_uses_dynamic_stack 0
		.amdhsa_enable_private_segment 0
		.amdhsa_system_sgpr_workgroup_id_x 1
		.amdhsa_system_sgpr_workgroup_id_y 0
		.amdhsa_system_sgpr_workgroup_id_z 0
		.amdhsa_system_sgpr_workgroup_info 0
		.amdhsa_system_vgpr_workitem_id 0
		.amdhsa_next_free_vgpr 1
		.amdhsa_next_free_sgpr 0
		.amdhsa_accum_offset 4
		.amdhsa_reserve_vcc 0
		.amdhsa_float_round_mode_32 0
		.amdhsa_float_round_mode_16_64 0
		.amdhsa_float_denorm_mode_32 3
		.amdhsa_float_denorm_mode_16_64 3
		.amdhsa_dx10_clamp 1
		.amdhsa_ieee_mode 1
		.amdhsa_fp16_overflow 0
		.amdhsa_tg_split 0
		.amdhsa_exception_fp_ieee_invalid_op 0
		.amdhsa_exception_fp_denorm_src 0
		.amdhsa_exception_fp_ieee_div_zero 0
		.amdhsa_exception_fp_ieee_overflow 0
		.amdhsa_exception_fp_ieee_underflow 0
		.amdhsa_exception_fp_ieee_inexact 0
		.amdhsa_exception_int_div_zero 0
	.end_amdhsa_kernel
	.section	.text._ZN7rocprim17ROCPRIM_400000_NS6detail17trampoline_kernelINS0_14default_configENS1_37merge_sort_block_sort_config_selectorIiNS0_10empty_typeEEEZNS1_21merge_sort_block_sortIS3_N6thrust23THRUST_200600_302600_NS6detail15normal_iteratorINS9_10device_ptrIiEEEESE_PS5_SF_17evens_before_oddsEE10hipError_tT0_T1_T2_T3_mRjT4_P12ihipStream_tbNS1_7vsmem_tEEUlT_E_NS1_11comp_targetILNS1_3genE3ELNS1_11target_archE908ELNS1_3gpuE7ELNS1_3repE0EEENS1_30default_config_static_selectorELNS0_4arch9wavefront6targetE1EEEvSJ_,"axG",@progbits,_ZN7rocprim17ROCPRIM_400000_NS6detail17trampoline_kernelINS0_14default_configENS1_37merge_sort_block_sort_config_selectorIiNS0_10empty_typeEEEZNS1_21merge_sort_block_sortIS3_N6thrust23THRUST_200600_302600_NS6detail15normal_iteratorINS9_10device_ptrIiEEEESE_PS5_SF_17evens_before_oddsEE10hipError_tT0_T1_T2_T3_mRjT4_P12ihipStream_tbNS1_7vsmem_tEEUlT_E_NS1_11comp_targetILNS1_3genE3ELNS1_11target_archE908ELNS1_3gpuE7ELNS1_3repE0EEENS1_30default_config_static_selectorELNS0_4arch9wavefront6targetE1EEEvSJ_,comdat
.Lfunc_end402:
	.size	_ZN7rocprim17ROCPRIM_400000_NS6detail17trampoline_kernelINS0_14default_configENS1_37merge_sort_block_sort_config_selectorIiNS0_10empty_typeEEEZNS1_21merge_sort_block_sortIS3_N6thrust23THRUST_200600_302600_NS6detail15normal_iteratorINS9_10device_ptrIiEEEESE_PS5_SF_17evens_before_oddsEE10hipError_tT0_T1_T2_T3_mRjT4_P12ihipStream_tbNS1_7vsmem_tEEUlT_E_NS1_11comp_targetILNS1_3genE3ELNS1_11target_archE908ELNS1_3gpuE7ELNS1_3repE0EEENS1_30default_config_static_selectorELNS0_4arch9wavefront6targetE1EEEvSJ_, .Lfunc_end402-_ZN7rocprim17ROCPRIM_400000_NS6detail17trampoline_kernelINS0_14default_configENS1_37merge_sort_block_sort_config_selectorIiNS0_10empty_typeEEEZNS1_21merge_sort_block_sortIS3_N6thrust23THRUST_200600_302600_NS6detail15normal_iteratorINS9_10device_ptrIiEEEESE_PS5_SF_17evens_before_oddsEE10hipError_tT0_T1_T2_T3_mRjT4_P12ihipStream_tbNS1_7vsmem_tEEUlT_E_NS1_11comp_targetILNS1_3genE3ELNS1_11target_archE908ELNS1_3gpuE7ELNS1_3repE0EEENS1_30default_config_static_selectorELNS0_4arch9wavefront6targetE1EEEvSJ_
                                        ; -- End function
	.set _ZN7rocprim17ROCPRIM_400000_NS6detail17trampoline_kernelINS0_14default_configENS1_37merge_sort_block_sort_config_selectorIiNS0_10empty_typeEEEZNS1_21merge_sort_block_sortIS3_N6thrust23THRUST_200600_302600_NS6detail15normal_iteratorINS9_10device_ptrIiEEEESE_PS5_SF_17evens_before_oddsEE10hipError_tT0_T1_T2_T3_mRjT4_P12ihipStream_tbNS1_7vsmem_tEEUlT_E_NS1_11comp_targetILNS1_3genE3ELNS1_11target_archE908ELNS1_3gpuE7ELNS1_3repE0EEENS1_30default_config_static_selectorELNS0_4arch9wavefront6targetE1EEEvSJ_.num_vgpr, 0
	.set _ZN7rocprim17ROCPRIM_400000_NS6detail17trampoline_kernelINS0_14default_configENS1_37merge_sort_block_sort_config_selectorIiNS0_10empty_typeEEEZNS1_21merge_sort_block_sortIS3_N6thrust23THRUST_200600_302600_NS6detail15normal_iteratorINS9_10device_ptrIiEEEESE_PS5_SF_17evens_before_oddsEE10hipError_tT0_T1_T2_T3_mRjT4_P12ihipStream_tbNS1_7vsmem_tEEUlT_E_NS1_11comp_targetILNS1_3genE3ELNS1_11target_archE908ELNS1_3gpuE7ELNS1_3repE0EEENS1_30default_config_static_selectorELNS0_4arch9wavefront6targetE1EEEvSJ_.num_agpr, 0
	.set _ZN7rocprim17ROCPRIM_400000_NS6detail17trampoline_kernelINS0_14default_configENS1_37merge_sort_block_sort_config_selectorIiNS0_10empty_typeEEEZNS1_21merge_sort_block_sortIS3_N6thrust23THRUST_200600_302600_NS6detail15normal_iteratorINS9_10device_ptrIiEEEESE_PS5_SF_17evens_before_oddsEE10hipError_tT0_T1_T2_T3_mRjT4_P12ihipStream_tbNS1_7vsmem_tEEUlT_E_NS1_11comp_targetILNS1_3genE3ELNS1_11target_archE908ELNS1_3gpuE7ELNS1_3repE0EEENS1_30default_config_static_selectorELNS0_4arch9wavefront6targetE1EEEvSJ_.numbered_sgpr, 0
	.set _ZN7rocprim17ROCPRIM_400000_NS6detail17trampoline_kernelINS0_14default_configENS1_37merge_sort_block_sort_config_selectorIiNS0_10empty_typeEEEZNS1_21merge_sort_block_sortIS3_N6thrust23THRUST_200600_302600_NS6detail15normal_iteratorINS9_10device_ptrIiEEEESE_PS5_SF_17evens_before_oddsEE10hipError_tT0_T1_T2_T3_mRjT4_P12ihipStream_tbNS1_7vsmem_tEEUlT_E_NS1_11comp_targetILNS1_3genE3ELNS1_11target_archE908ELNS1_3gpuE7ELNS1_3repE0EEENS1_30default_config_static_selectorELNS0_4arch9wavefront6targetE1EEEvSJ_.num_named_barrier, 0
	.set _ZN7rocprim17ROCPRIM_400000_NS6detail17trampoline_kernelINS0_14default_configENS1_37merge_sort_block_sort_config_selectorIiNS0_10empty_typeEEEZNS1_21merge_sort_block_sortIS3_N6thrust23THRUST_200600_302600_NS6detail15normal_iteratorINS9_10device_ptrIiEEEESE_PS5_SF_17evens_before_oddsEE10hipError_tT0_T1_T2_T3_mRjT4_P12ihipStream_tbNS1_7vsmem_tEEUlT_E_NS1_11comp_targetILNS1_3genE3ELNS1_11target_archE908ELNS1_3gpuE7ELNS1_3repE0EEENS1_30default_config_static_selectorELNS0_4arch9wavefront6targetE1EEEvSJ_.private_seg_size, 0
	.set _ZN7rocprim17ROCPRIM_400000_NS6detail17trampoline_kernelINS0_14default_configENS1_37merge_sort_block_sort_config_selectorIiNS0_10empty_typeEEEZNS1_21merge_sort_block_sortIS3_N6thrust23THRUST_200600_302600_NS6detail15normal_iteratorINS9_10device_ptrIiEEEESE_PS5_SF_17evens_before_oddsEE10hipError_tT0_T1_T2_T3_mRjT4_P12ihipStream_tbNS1_7vsmem_tEEUlT_E_NS1_11comp_targetILNS1_3genE3ELNS1_11target_archE908ELNS1_3gpuE7ELNS1_3repE0EEENS1_30default_config_static_selectorELNS0_4arch9wavefront6targetE1EEEvSJ_.uses_vcc, 0
	.set _ZN7rocprim17ROCPRIM_400000_NS6detail17trampoline_kernelINS0_14default_configENS1_37merge_sort_block_sort_config_selectorIiNS0_10empty_typeEEEZNS1_21merge_sort_block_sortIS3_N6thrust23THRUST_200600_302600_NS6detail15normal_iteratorINS9_10device_ptrIiEEEESE_PS5_SF_17evens_before_oddsEE10hipError_tT0_T1_T2_T3_mRjT4_P12ihipStream_tbNS1_7vsmem_tEEUlT_E_NS1_11comp_targetILNS1_3genE3ELNS1_11target_archE908ELNS1_3gpuE7ELNS1_3repE0EEENS1_30default_config_static_selectorELNS0_4arch9wavefront6targetE1EEEvSJ_.uses_flat_scratch, 0
	.set _ZN7rocprim17ROCPRIM_400000_NS6detail17trampoline_kernelINS0_14default_configENS1_37merge_sort_block_sort_config_selectorIiNS0_10empty_typeEEEZNS1_21merge_sort_block_sortIS3_N6thrust23THRUST_200600_302600_NS6detail15normal_iteratorINS9_10device_ptrIiEEEESE_PS5_SF_17evens_before_oddsEE10hipError_tT0_T1_T2_T3_mRjT4_P12ihipStream_tbNS1_7vsmem_tEEUlT_E_NS1_11comp_targetILNS1_3genE3ELNS1_11target_archE908ELNS1_3gpuE7ELNS1_3repE0EEENS1_30default_config_static_selectorELNS0_4arch9wavefront6targetE1EEEvSJ_.has_dyn_sized_stack, 0
	.set _ZN7rocprim17ROCPRIM_400000_NS6detail17trampoline_kernelINS0_14default_configENS1_37merge_sort_block_sort_config_selectorIiNS0_10empty_typeEEEZNS1_21merge_sort_block_sortIS3_N6thrust23THRUST_200600_302600_NS6detail15normal_iteratorINS9_10device_ptrIiEEEESE_PS5_SF_17evens_before_oddsEE10hipError_tT0_T1_T2_T3_mRjT4_P12ihipStream_tbNS1_7vsmem_tEEUlT_E_NS1_11comp_targetILNS1_3genE3ELNS1_11target_archE908ELNS1_3gpuE7ELNS1_3repE0EEENS1_30default_config_static_selectorELNS0_4arch9wavefront6targetE1EEEvSJ_.has_recursion, 0
	.set _ZN7rocprim17ROCPRIM_400000_NS6detail17trampoline_kernelINS0_14default_configENS1_37merge_sort_block_sort_config_selectorIiNS0_10empty_typeEEEZNS1_21merge_sort_block_sortIS3_N6thrust23THRUST_200600_302600_NS6detail15normal_iteratorINS9_10device_ptrIiEEEESE_PS5_SF_17evens_before_oddsEE10hipError_tT0_T1_T2_T3_mRjT4_P12ihipStream_tbNS1_7vsmem_tEEUlT_E_NS1_11comp_targetILNS1_3genE3ELNS1_11target_archE908ELNS1_3gpuE7ELNS1_3repE0EEENS1_30default_config_static_selectorELNS0_4arch9wavefront6targetE1EEEvSJ_.has_indirect_call, 0
	.section	.AMDGPU.csdata,"",@progbits
; Kernel info:
; codeLenInByte = 0
; TotalNumSgprs: 6
; NumVgprs: 0
; NumAgprs: 0
; TotalNumVgprs: 0
; ScratchSize: 0
; MemoryBound: 0
; FloatMode: 240
; IeeeMode: 1
; LDSByteSize: 0 bytes/workgroup (compile time only)
; SGPRBlocks: 0
; VGPRBlocks: 0
; NumSGPRsForWavesPerEU: 6
; NumVGPRsForWavesPerEU: 1
; AccumOffset: 4
; Occupancy: 8
; WaveLimiterHint : 0
; COMPUTE_PGM_RSRC2:SCRATCH_EN: 0
; COMPUTE_PGM_RSRC2:USER_SGPR: 2
; COMPUTE_PGM_RSRC2:TRAP_HANDLER: 0
; COMPUTE_PGM_RSRC2:TGID_X_EN: 1
; COMPUTE_PGM_RSRC2:TGID_Y_EN: 0
; COMPUTE_PGM_RSRC2:TGID_Z_EN: 0
; COMPUTE_PGM_RSRC2:TIDIG_COMP_CNT: 0
; COMPUTE_PGM_RSRC3_GFX90A:ACCUM_OFFSET: 0
; COMPUTE_PGM_RSRC3_GFX90A:TG_SPLIT: 0
	.section	.text._ZN7rocprim17ROCPRIM_400000_NS6detail17trampoline_kernelINS0_14default_configENS1_37merge_sort_block_sort_config_selectorIiNS0_10empty_typeEEEZNS1_21merge_sort_block_sortIS3_N6thrust23THRUST_200600_302600_NS6detail15normal_iteratorINS9_10device_ptrIiEEEESE_PS5_SF_17evens_before_oddsEE10hipError_tT0_T1_T2_T3_mRjT4_P12ihipStream_tbNS1_7vsmem_tEEUlT_E_NS1_11comp_targetILNS1_3genE2ELNS1_11target_archE906ELNS1_3gpuE6ELNS1_3repE0EEENS1_30default_config_static_selectorELNS0_4arch9wavefront6targetE1EEEvSJ_,"axG",@progbits,_ZN7rocprim17ROCPRIM_400000_NS6detail17trampoline_kernelINS0_14default_configENS1_37merge_sort_block_sort_config_selectorIiNS0_10empty_typeEEEZNS1_21merge_sort_block_sortIS3_N6thrust23THRUST_200600_302600_NS6detail15normal_iteratorINS9_10device_ptrIiEEEESE_PS5_SF_17evens_before_oddsEE10hipError_tT0_T1_T2_T3_mRjT4_P12ihipStream_tbNS1_7vsmem_tEEUlT_E_NS1_11comp_targetILNS1_3genE2ELNS1_11target_archE906ELNS1_3gpuE6ELNS1_3repE0EEENS1_30default_config_static_selectorELNS0_4arch9wavefront6targetE1EEEvSJ_,comdat
	.protected	_ZN7rocprim17ROCPRIM_400000_NS6detail17trampoline_kernelINS0_14default_configENS1_37merge_sort_block_sort_config_selectorIiNS0_10empty_typeEEEZNS1_21merge_sort_block_sortIS3_N6thrust23THRUST_200600_302600_NS6detail15normal_iteratorINS9_10device_ptrIiEEEESE_PS5_SF_17evens_before_oddsEE10hipError_tT0_T1_T2_T3_mRjT4_P12ihipStream_tbNS1_7vsmem_tEEUlT_E_NS1_11comp_targetILNS1_3genE2ELNS1_11target_archE906ELNS1_3gpuE6ELNS1_3repE0EEENS1_30default_config_static_selectorELNS0_4arch9wavefront6targetE1EEEvSJ_ ; -- Begin function _ZN7rocprim17ROCPRIM_400000_NS6detail17trampoline_kernelINS0_14default_configENS1_37merge_sort_block_sort_config_selectorIiNS0_10empty_typeEEEZNS1_21merge_sort_block_sortIS3_N6thrust23THRUST_200600_302600_NS6detail15normal_iteratorINS9_10device_ptrIiEEEESE_PS5_SF_17evens_before_oddsEE10hipError_tT0_T1_T2_T3_mRjT4_P12ihipStream_tbNS1_7vsmem_tEEUlT_E_NS1_11comp_targetILNS1_3genE2ELNS1_11target_archE906ELNS1_3gpuE6ELNS1_3repE0EEENS1_30default_config_static_selectorELNS0_4arch9wavefront6targetE1EEEvSJ_
	.globl	_ZN7rocprim17ROCPRIM_400000_NS6detail17trampoline_kernelINS0_14default_configENS1_37merge_sort_block_sort_config_selectorIiNS0_10empty_typeEEEZNS1_21merge_sort_block_sortIS3_N6thrust23THRUST_200600_302600_NS6detail15normal_iteratorINS9_10device_ptrIiEEEESE_PS5_SF_17evens_before_oddsEE10hipError_tT0_T1_T2_T3_mRjT4_P12ihipStream_tbNS1_7vsmem_tEEUlT_E_NS1_11comp_targetILNS1_3genE2ELNS1_11target_archE906ELNS1_3gpuE6ELNS1_3repE0EEENS1_30default_config_static_selectorELNS0_4arch9wavefront6targetE1EEEvSJ_
	.p2align	8
	.type	_ZN7rocprim17ROCPRIM_400000_NS6detail17trampoline_kernelINS0_14default_configENS1_37merge_sort_block_sort_config_selectorIiNS0_10empty_typeEEEZNS1_21merge_sort_block_sortIS3_N6thrust23THRUST_200600_302600_NS6detail15normal_iteratorINS9_10device_ptrIiEEEESE_PS5_SF_17evens_before_oddsEE10hipError_tT0_T1_T2_T3_mRjT4_P12ihipStream_tbNS1_7vsmem_tEEUlT_E_NS1_11comp_targetILNS1_3genE2ELNS1_11target_archE906ELNS1_3gpuE6ELNS1_3repE0EEENS1_30default_config_static_selectorELNS0_4arch9wavefront6targetE1EEEvSJ_,@function
_ZN7rocprim17ROCPRIM_400000_NS6detail17trampoline_kernelINS0_14default_configENS1_37merge_sort_block_sort_config_selectorIiNS0_10empty_typeEEEZNS1_21merge_sort_block_sortIS3_N6thrust23THRUST_200600_302600_NS6detail15normal_iteratorINS9_10device_ptrIiEEEESE_PS5_SF_17evens_before_oddsEE10hipError_tT0_T1_T2_T3_mRjT4_P12ihipStream_tbNS1_7vsmem_tEEUlT_E_NS1_11comp_targetILNS1_3genE2ELNS1_11target_archE906ELNS1_3gpuE6ELNS1_3repE0EEENS1_30default_config_static_selectorELNS0_4arch9wavefront6targetE1EEEvSJ_: ; @_ZN7rocprim17ROCPRIM_400000_NS6detail17trampoline_kernelINS0_14default_configENS1_37merge_sort_block_sort_config_selectorIiNS0_10empty_typeEEEZNS1_21merge_sort_block_sortIS3_N6thrust23THRUST_200600_302600_NS6detail15normal_iteratorINS9_10device_ptrIiEEEESE_PS5_SF_17evens_before_oddsEE10hipError_tT0_T1_T2_T3_mRjT4_P12ihipStream_tbNS1_7vsmem_tEEUlT_E_NS1_11comp_targetILNS1_3genE2ELNS1_11target_archE906ELNS1_3gpuE6ELNS1_3repE0EEENS1_30default_config_static_selectorELNS0_4arch9wavefront6targetE1EEEvSJ_
; %bb.0:
	.section	.rodata,"a",@progbits
	.p2align	6, 0x0
	.amdhsa_kernel _ZN7rocprim17ROCPRIM_400000_NS6detail17trampoline_kernelINS0_14default_configENS1_37merge_sort_block_sort_config_selectorIiNS0_10empty_typeEEEZNS1_21merge_sort_block_sortIS3_N6thrust23THRUST_200600_302600_NS6detail15normal_iteratorINS9_10device_ptrIiEEEESE_PS5_SF_17evens_before_oddsEE10hipError_tT0_T1_T2_T3_mRjT4_P12ihipStream_tbNS1_7vsmem_tEEUlT_E_NS1_11comp_targetILNS1_3genE2ELNS1_11target_archE906ELNS1_3gpuE6ELNS1_3repE0EEENS1_30default_config_static_selectorELNS0_4arch9wavefront6targetE1EEEvSJ_
		.amdhsa_group_segment_fixed_size 0
		.amdhsa_private_segment_fixed_size 0
		.amdhsa_kernarg_size 64
		.amdhsa_user_sgpr_count 2
		.amdhsa_user_sgpr_dispatch_ptr 0
		.amdhsa_user_sgpr_queue_ptr 0
		.amdhsa_user_sgpr_kernarg_segment_ptr 1
		.amdhsa_user_sgpr_dispatch_id 0
		.amdhsa_user_sgpr_kernarg_preload_length 0
		.amdhsa_user_sgpr_kernarg_preload_offset 0
		.amdhsa_user_sgpr_private_segment_size 0
		.amdhsa_uses_dynamic_stack 0
		.amdhsa_enable_private_segment 0
		.amdhsa_system_sgpr_workgroup_id_x 1
		.amdhsa_system_sgpr_workgroup_id_y 0
		.amdhsa_system_sgpr_workgroup_id_z 0
		.amdhsa_system_sgpr_workgroup_info 0
		.amdhsa_system_vgpr_workitem_id 0
		.amdhsa_next_free_vgpr 1
		.amdhsa_next_free_sgpr 0
		.amdhsa_accum_offset 4
		.amdhsa_reserve_vcc 0
		.amdhsa_float_round_mode_32 0
		.amdhsa_float_round_mode_16_64 0
		.amdhsa_float_denorm_mode_32 3
		.amdhsa_float_denorm_mode_16_64 3
		.amdhsa_dx10_clamp 1
		.amdhsa_ieee_mode 1
		.amdhsa_fp16_overflow 0
		.amdhsa_tg_split 0
		.amdhsa_exception_fp_ieee_invalid_op 0
		.amdhsa_exception_fp_denorm_src 0
		.amdhsa_exception_fp_ieee_div_zero 0
		.amdhsa_exception_fp_ieee_overflow 0
		.amdhsa_exception_fp_ieee_underflow 0
		.amdhsa_exception_fp_ieee_inexact 0
		.amdhsa_exception_int_div_zero 0
	.end_amdhsa_kernel
	.section	.text._ZN7rocprim17ROCPRIM_400000_NS6detail17trampoline_kernelINS0_14default_configENS1_37merge_sort_block_sort_config_selectorIiNS0_10empty_typeEEEZNS1_21merge_sort_block_sortIS3_N6thrust23THRUST_200600_302600_NS6detail15normal_iteratorINS9_10device_ptrIiEEEESE_PS5_SF_17evens_before_oddsEE10hipError_tT0_T1_T2_T3_mRjT4_P12ihipStream_tbNS1_7vsmem_tEEUlT_E_NS1_11comp_targetILNS1_3genE2ELNS1_11target_archE906ELNS1_3gpuE6ELNS1_3repE0EEENS1_30default_config_static_selectorELNS0_4arch9wavefront6targetE1EEEvSJ_,"axG",@progbits,_ZN7rocprim17ROCPRIM_400000_NS6detail17trampoline_kernelINS0_14default_configENS1_37merge_sort_block_sort_config_selectorIiNS0_10empty_typeEEEZNS1_21merge_sort_block_sortIS3_N6thrust23THRUST_200600_302600_NS6detail15normal_iteratorINS9_10device_ptrIiEEEESE_PS5_SF_17evens_before_oddsEE10hipError_tT0_T1_T2_T3_mRjT4_P12ihipStream_tbNS1_7vsmem_tEEUlT_E_NS1_11comp_targetILNS1_3genE2ELNS1_11target_archE906ELNS1_3gpuE6ELNS1_3repE0EEENS1_30default_config_static_selectorELNS0_4arch9wavefront6targetE1EEEvSJ_,comdat
.Lfunc_end403:
	.size	_ZN7rocprim17ROCPRIM_400000_NS6detail17trampoline_kernelINS0_14default_configENS1_37merge_sort_block_sort_config_selectorIiNS0_10empty_typeEEEZNS1_21merge_sort_block_sortIS3_N6thrust23THRUST_200600_302600_NS6detail15normal_iteratorINS9_10device_ptrIiEEEESE_PS5_SF_17evens_before_oddsEE10hipError_tT0_T1_T2_T3_mRjT4_P12ihipStream_tbNS1_7vsmem_tEEUlT_E_NS1_11comp_targetILNS1_3genE2ELNS1_11target_archE906ELNS1_3gpuE6ELNS1_3repE0EEENS1_30default_config_static_selectorELNS0_4arch9wavefront6targetE1EEEvSJ_, .Lfunc_end403-_ZN7rocprim17ROCPRIM_400000_NS6detail17trampoline_kernelINS0_14default_configENS1_37merge_sort_block_sort_config_selectorIiNS0_10empty_typeEEEZNS1_21merge_sort_block_sortIS3_N6thrust23THRUST_200600_302600_NS6detail15normal_iteratorINS9_10device_ptrIiEEEESE_PS5_SF_17evens_before_oddsEE10hipError_tT0_T1_T2_T3_mRjT4_P12ihipStream_tbNS1_7vsmem_tEEUlT_E_NS1_11comp_targetILNS1_3genE2ELNS1_11target_archE906ELNS1_3gpuE6ELNS1_3repE0EEENS1_30default_config_static_selectorELNS0_4arch9wavefront6targetE1EEEvSJ_
                                        ; -- End function
	.set _ZN7rocprim17ROCPRIM_400000_NS6detail17trampoline_kernelINS0_14default_configENS1_37merge_sort_block_sort_config_selectorIiNS0_10empty_typeEEEZNS1_21merge_sort_block_sortIS3_N6thrust23THRUST_200600_302600_NS6detail15normal_iteratorINS9_10device_ptrIiEEEESE_PS5_SF_17evens_before_oddsEE10hipError_tT0_T1_T2_T3_mRjT4_P12ihipStream_tbNS1_7vsmem_tEEUlT_E_NS1_11comp_targetILNS1_3genE2ELNS1_11target_archE906ELNS1_3gpuE6ELNS1_3repE0EEENS1_30default_config_static_selectorELNS0_4arch9wavefront6targetE1EEEvSJ_.num_vgpr, 0
	.set _ZN7rocprim17ROCPRIM_400000_NS6detail17trampoline_kernelINS0_14default_configENS1_37merge_sort_block_sort_config_selectorIiNS0_10empty_typeEEEZNS1_21merge_sort_block_sortIS3_N6thrust23THRUST_200600_302600_NS6detail15normal_iteratorINS9_10device_ptrIiEEEESE_PS5_SF_17evens_before_oddsEE10hipError_tT0_T1_T2_T3_mRjT4_P12ihipStream_tbNS1_7vsmem_tEEUlT_E_NS1_11comp_targetILNS1_3genE2ELNS1_11target_archE906ELNS1_3gpuE6ELNS1_3repE0EEENS1_30default_config_static_selectorELNS0_4arch9wavefront6targetE1EEEvSJ_.num_agpr, 0
	.set _ZN7rocprim17ROCPRIM_400000_NS6detail17trampoline_kernelINS0_14default_configENS1_37merge_sort_block_sort_config_selectorIiNS0_10empty_typeEEEZNS1_21merge_sort_block_sortIS3_N6thrust23THRUST_200600_302600_NS6detail15normal_iteratorINS9_10device_ptrIiEEEESE_PS5_SF_17evens_before_oddsEE10hipError_tT0_T1_T2_T3_mRjT4_P12ihipStream_tbNS1_7vsmem_tEEUlT_E_NS1_11comp_targetILNS1_3genE2ELNS1_11target_archE906ELNS1_3gpuE6ELNS1_3repE0EEENS1_30default_config_static_selectorELNS0_4arch9wavefront6targetE1EEEvSJ_.numbered_sgpr, 0
	.set _ZN7rocprim17ROCPRIM_400000_NS6detail17trampoline_kernelINS0_14default_configENS1_37merge_sort_block_sort_config_selectorIiNS0_10empty_typeEEEZNS1_21merge_sort_block_sortIS3_N6thrust23THRUST_200600_302600_NS6detail15normal_iteratorINS9_10device_ptrIiEEEESE_PS5_SF_17evens_before_oddsEE10hipError_tT0_T1_T2_T3_mRjT4_P12ihipStream_tbNS1_7vsmem_tEEUlT_E_NS1_11comp_targetILNS1_3genE2ELNS1_11target_archE906ELNS1_3gpuE6ELNS1_3repE0EEENS1_30default_config_static_selectorELNS0_4arch9wavefront6targetE1EEEvSJ_.num_named_barrier, 0
	.set _ZN7rocprim17ROCPRIM_400000_NS6detail17trampoline_kernelINS0_14default_configENS1_37merge_sort_block_sort_config_selectorIiNS0_10empty_typeEEEZNS1_21merge_sort_block_sortIS3_N6thrust23THRUST_200600_302600_NS6detail15normal_iteratorINS9_10device_ptrIiEEEESE_PS5_SF_17evens_before_oddsEE10hipError_tT0_T1_T2_T3_mRjT4_P12ihipStream_tbNS1_7vsmem_tEEUlT_E_NS1_11comp_targetILNS1_3genE2ELNS1_11target_archE906ELNS1_3gpuE6ELNS1_3repE0EEENS1_30default_config_static_selectorELNS0_4arch9wavefront6targetE1EEEvSJ_.private_seg_size, 0
	.set _ZN7rocprim17ROCPRIM_400000_NS6detail17trampoline_kernelINS0_14default_configENS1_37merge_sort_block_sort_config_selectorIiNS0_10empty_typeEEEZNS1_21merge_sort_block_sortIS3_N6thrust23THRUST_200600_302600_NS6detail15normal_iteratorINS9_10device_ptrIiEEEESE_PS5_SF_17evens_before_oddsEE10hipError_tT0_T1_T2_T3_mRjT4_P12ihipStream_tbNS1_7vsmem_tEEUlT_E_NS1_11comp_targetILNS1_3genE2ELNS1_11target_archE906ELNS1_3gpuE6ELNS1_3repE0EEENS1_30default_config_static_selectorELNS0_4arch9wavefront6targetE1EEEvSJ_.uses_vcc, 0
	.set _ZN7rocprim17ROCPRIM_400000_NS6detail17trampoline_kernelINS0_14default_configENS1_37merge_sort_block_sort_config_selectorIiNS0_10empty_typeEEEZNS1_21merge_sort_block_sortIS3_N6thrust23THRUST_200600_302600_NS6detail15normal_iteratorINS9_10device_ptrIiEEEESE_PS5_SF_17evens_before_oddsEE10hipError_tT0_T1_T2_T3_mRjT4_P12ihipStream_tbNS1_7vsmem_tEEUlT_E_NS1_11comp_targetILNS1_3genE2ELNS1_11target_archE906ELNS1_3gpuE6ELNS1_3repE0EEENS1_30default_config_static_selectorELNS0_4arch9wavefront6targetE1EEEvSJ_.uses_flat_scratch, 0
	.set _ZN7rocprim17ROCPRIM_400000_NS6detail17trampoline_kernelINS0_14default_configENS1_37merge_sort_block_sort_config_selectorIiNS0_10empty_typeEEEZNS1_21merge_sort_block_sortIS3_N6thrust23THRUST_200600_302600_NS6detail15normal_iteratorINS9_10device_ptrIiEEEESE_PS5_SF_17evens_before_oddsEE10hipError_tT0_T1_T2_T3_mRjT4_P12ihipStream_tbNS1_7vsmem_tEEUlT_E_NS1_11comp_targetILNS1_3genE2ELNS1_11target_archE906ELNS1_3gpuE6ELNS1_3repE0EEENS1_30default_config_static_selectorELNS0_4arch9wavefront6targetE1EEEvSJ_.has_dyn_sized_stack, 0
	.set _ZN7rocprim17ROCPRIM_400000_NS6detail17trampoline_kernelINS0_14default_configENS1_37merge_sort_block_sort_config_selectorIiNS0_10empty_typeEEEZNS1_21merge_sort_block_sortIS3_N6thrust23THRUST_200600_302600_NS6detail15normal_iteratorINS9_10device_ptrIiEEEESE_PS5_SF_17evens_before_oddsEE10hipError_tT0_T1_T2_T3_mRjT4_P12ihipStream_tbNS1_7vsmem_tEEUlT_E_NS1_11comp_targetILNS1_3genE2ELNS1_11target_archE906ELNS1_3gpuE6ELNS1_3repE0EEENS1_30default_config_static_selectorELNS0_4arch9wavefront6targetE1EEEvSJ_.has_recursion, 0
	.set _ZN7rocprim17ROCPRIM_400000_NS6detail17trampoline_kernelINS0_14default_configENS1_37merge_sort_block_sort_config_selectorIiNS0_10empty_typeEEEZNS1_21merge_sort_block_sortIS3_N6thrust23THRUST_200600_302600_NS6detail15normal_iteratorINS9_10device_ptrIiEEEESE_PS5_SF_17evens_before_oddsEE10hipError_tT0_T1_T2_T3_mRjT4_P12ihipStream_tbNS1_7vsmem_tEEUlT_E_NS1_11comp_targetILNS1_3genE2ELNS1_11target_archE906ELNS1_3gpuE6ELNS1_3repE0EEENS1_30default_config_static_selectorELNS0_4arch9wavefront6targetE1EEEvSJ_.has_indirect_call, 0
	.section	.AMDGPU.csdata,"",@progbits
; Kernel info:
; codeLenInByte = 0
; TotalNumSgprs: 6
; NumVgprs: 0
; NumAgprs: 0
; TotalNumVgprs: 0
; ScratchSize: 0
; MemoryBound: 0
; FloatMode: 240
; IeeeMode: 1
; LDSByteSize: 0 bytes/workgroup (compile time only)
; SGPRBlocks: 0
; VGPRBlocks: 0
; NumSGPRsForWavesPerEU: 6
; NumVGPRsForWavesPerEU: 1
; AccumOffset: 4
; Occupancy: 8
; WaveLimiterHint : 0
; COMPUTE_PGM_RSRC2:SCRATCH_EN: 0
; COMPUTE_PGM_RSRC2:USER_SGPR: 2
; COMPUTE_PGM_RSRC2:TRAP_HANDLER: 0
; COMPUTE_PGM_RSRC2:TGID_X_EN: 1
; COMPUTE_PGM_RSRC2:TGID_Y_EN: 0
; COMPUTE_PGM_RSRC2:TGID_Z_EN: 0
; COMPUTE_PGM_RSRC2:TIDIG_COMP_CNT: 0
; COMPUTE_PGM_RSRC3_GFX90A:ACCUM_OFFSET: 0
; COMPUTE_PGM_RSRC3_GFX90A:TG_SPLIT: 0
	.section	.text._ZN7rocprim17ROCPRIM_400000_NS6detail17trampoline_kernelINS0_14default_configENS1_37merge_sort_block_sort_config_selectorIiNS0_10empty_typeEEEZNS1_21merge_sort_block_sortIS3_N6thrust23THRUST_200600_302600_NS6detail15normal_iteratorINS9_10device_ptrIiEEEESE_PS5_SF_17evens_before_oddsEE10hipError_tT0_T1_T2_T3_mRjT4_P12ihipStream_tbNS1_7vsmem_tEEUlT_E_NS1_11comp_targetILNS1_3genE10ELNS1_11target_archE1201ELNS1_3gpuE5ELNS1_3repE0EEENS1_30default_config_static_selectorELNS0_4arch9wavefront6targetE1EEEvSJ_,"axG",@progbits,_ZN7rocprim17ROCPRIM_400000_NS6detail17trampoline_kernelINS0_14default_configENS1_37merge_sort_block_sort_config_selectorIiNS0_10empty_typeEEEZNS1_21merge_sort_block_sortIS3_N6thrust23THRUST_200600_302600_NS6detail15normal_iteratorINS9_10device_ptrIiEEEESE_PS5_SF_17evens_before_oddsEE10hipError_tT0_T1_T2_T3_mRjT4_P12ihipStream_tbNS1_7vsmem_tEEUlT_E_NS1_11comp_targetILNS1_3genE10ELNS1_11target_archE1201ELNS1_3gpuE5ELNS1_3repE0EEENS1_30default_config_static_selectorELNS0_4arch9wavefront6targetE1EEEvSJ_,comdat
	.protected	_ZN7rocprim17ROCPRIM_400000_NS6detail17trampoline_kernelINS0_14default_configENS1_37merge_sort_block_sort_config_selectorIiNS0_10empty_typeEEEZNS1_21merge_sort_block_sortIS3_N6thrust23THRUST_200600_302600_NS6detail15normal_iteratorINS9_10device_ptrIiEEEESE_PS5_SF_17evens_before_oddsEE10hipError_tT0_T1_T2_T3_mRjT4_P12ihipStream_tbNS1_7vsmem_tEEUlT_E_NS1_11comp_targetILNS1_3genE10ELNS1_11target_archE1201ELNS1_3gpuE5ELNS1_3repE0EEENS1_30default_config_static_selectorELNS0_4arch9wavefront6targetE1EEEvSJ_ ; -- Begin function _ZN7rocprim17ROCPRIM_400000_NS6detail17trampoline_kernelINS0_14default_configENS1_37merge_sort_block_sort_config_selectorIiNS0_10empty_typeEEEZNS1_21merge_sort_block_sortIS3_N6thrust23THRUST_200600_302600_NS6detail15normal_iteratorINS9_10device_ptrIiEEEESE_PS5_SF_17evens_before_oddsEE10hipError_tT0_T1_T2_T3_mRjT4_P12ihipStream_tbNS1_7vsmem_tEEUlT_E_NS1_11comp_targetILNS1_3genE10ELNS1_11target_archE1201ELNS1_3gpuE5ELNS1_3repE0EEENS1_30default_config_static_selectorELNS0_4arch9wavefront6targetE1EEEvSJ_
	.globl	_ZN7rocprim17ROCPRIM_400000_NS6detail17trampoline_kernelINS0_14default_configENS1_37merge_sort_block_sort_config_selectorIiNS0_10empty_typeEEEZNS1_21merge_sort_block_sortIS3_N6thrust23THRUST_200600_302600_NS6detail15normal_iteratorINS9_10device_ptrIiEEEESE_PS5_SF_17evens_before_oddsEE10hipError_tT0_T1_T2_T3_mRjT4_P12ihipStream_tbNS1_7vsmem_tEEUlT_E_NS1_11comp_targetILNS1_3genE10ELNS1_11target_archE1201ELNS1_3gpuE5ELNS1_3repE0EEENS1_30default_config_static_selectorELNS0_4arch9wavefront6targetE1EEEvSJ_
	.p2align	8
	.type	_ZN7rocprim17ROCPRIM_400000_NS6detail17trampoline_kernelINS0_14default_configENS1_37merge_sort_block_sort_config_selectorIiNS0_10empty_typeEEEZNS1_21merge_sort_block_sortIS3_N6thrust23THRUST_200600_302600_NS6detail15normal_iteratorINS9_10device_ptrIiEEEESE_PS5_SF_17evens_before_oddsEE10hipError_tT0_T1_T2_T3_mRjT4_P12ihipStream_tbNS1_7vsmem_tEEUlT_E_NS1_11comp_targetILNS1_3genE10ELNS1_11target_archE1201ELNS1_3gpuE5ELNS1_3repE0EEENS1_30default_config_static_selectorELNS0_4arch9wavefront6targetE1EEEvSJ_,@function
_ZN7rocprim17ROCPRIM_400000_NS6detail17trampoline_kernelINS0_14default_configENS1_37merge_sort_block_sort_config_selectorIiNS0_10empty_typeEEEZNS1_21merge_sort_block_sortIS3_N6thrust23THRUST_200600_302600_NS6detail15normal_iteratorINS9_10device_ptrIiEEEESE_PS5_SF_17evens_before_oddsEE10hipError_tT0_T1_T2_T3_mRjT4_P12ihipStream_tbNS1_7vsmem_tEEUlT_E_NS1_11comp_targetILNS1_3genE10ELNS1_11target_archE1201ELNS1_3gpuE5ELNS1_3repE0EEENS1_30default_config_static_selectorELNS0_4arch9wavefront6targetE1EEEvSJ_: ; @_ZN7rocprim17ROCPRIM_400000_NS6detail17trampoline_kernelINS0_14default_configENS1_37merge_sort_block_sort_config_selectorIiNS0_10empty_typeEEEZNS1_21merge_sort_block_sortIS3_N6thrust23THRUST_200600_302600_NS6detail15normal_iteratorINS9_10device_ptrIiEEEESE_PS5_SF_17evens_before_oddsEE10hipError_tT0_T1_T2_T3_mRjT4_P12ihipStream_tbNS1_7vsmem_tEEUlT_E_NS1_11comp_targetILNS1_3genE10ELNS1_11target_archE1201ELNS1_3gpuE5ELNS1_3repE0EEENS1_30default_config_static_selectorELNS0_4arch9wavefront6targetE1EEEvSJ_
; %bb.0:
	.section	.rodata,"a",@progbits
	.p2align	6, 0x0
	.amdhsa_kernel _ZN7rocprim17ROCPRIM_400000_NS6detail17trampoline_kernelINS0_14default_configENS1_37merge_sort_block_sort_config_selectorIiNS0_10empty_typeEEEZNS1_21merge_sort_block_sortIS3_N6thrust23THRUST_200600_302600_NS6detail15normal_iteratorINS9_10device_ptrIiEEEESE_PS5_SF_17evens_before_oddsEE10hipError_tT0_T1_T2_T3_mRjT4_P12ihipStream_tbNS1_7vsmem_tEEUlT_E_NS1_11comp_targetILNS1_3genE10ELNS1_11target_archE1201ELNS1_3gpuE5ELNS1_3repE0EEENS1_30default_config_static_selectorELNS0_4arch9wavefront6targetE1EEEvSJ_
		.amdhsa_group_segment_fixed_size 0
		.amdhsa_private_segment_fixed_size 0
		.amdhsa_kernarg_size 64
		.amdhsa_user_sgpr_count 2
		.amdhsa_user_sgpr_dispatch_ptr 0
		.amdhsa_user_sgpr_queue_ptr 0
		.amdhsa_user_sgpr_kernarg_segment_ptr 1
		.amdhsa_user_sgpr_dispatch_id 0
		.amdhsa_user_sgpr_kernarg_preload_length 0
		.amdhsa_user_sgpr_kernarg_preload_offset 0
		.amdhsa_user_sgpr_private_segment_size 0
		.amdhsa_uses_dynamic_stack 0
		.amdhsa_enable_private_segment 0
		.amdhsa_system_sgpr_workgroup_id_x 1
		.amdhsa_system_sgpr_workgroup_id_y 0
		.amdhsa_system_sgpr_workgroup_id_z 0
		.amdhsa_system_sgpr_workgroup_info 0
		.amdhsa_system_vgpr_workitem_id 0
		.amdhsa_next_free_vgpr 1
		.amdhsa_next_free_sgpr 0
		.amdhsa_accum_offset 4
		.amdhsa_reserve_vcc 0
		.amdhsa_float_round_mode_32 0
		.amdhsa_float_round_mode_16_64 0
		.amdhsa_float_denorm_mode_32 3
		.amdhsa_float_denorm_mode_16_64 3
		.amdhsa_dx10_clamp 1
		.amdhsa_ieee_mode 1
		.amdhsa_fp16_overflow 0
		.amdhsa_tg_split 0
		.amdhsa_exception_fp_ieee_invalid_op 0
		.amdhsa_exception_fp_denorm_src 0
		.amdhsa_exception_fp_ieee_div_zero 0
		.amdhsa_exception_fp_ieee_overflow 0
		.amdhsa_exception_fp_ieee_underflow 0
		.amdhsa_exception_fp_ieee_inexact 0
		.amdhsa_exception_int_div_zero 0
	.end_amdhsa_kernel
	.section	.text._ZN7rocprim17ROCPRIM_400000_NS6detail17trampoline_kernelINS0_14default_configENS1_37merge_sort_block_sort_config_selectorIiNS0_10empty_typeEEEZNS1_21merge_sort_block_sortIS3_N6thrust23THRUST_200600_302600_NS6detail15normal_iteratorINS9_10device_ptrIiEEEESE_PS5_SF_17evens_before_oddsEE10hipError_tT0_T1_T2_T3_mRjT4_P12ihipStream_tbNS1_7vsmem_tEEUlT_E_NS1_11comp_targetILNS1_3genE10ELNS1_11target_archE1201ELNS1_3gpuE5ELNS1_3repE0EEENS1_30default_config_static_selectorELNS0_4arch9wavefront6targetE1EEEvSJ_,"axG",@progbits,_ZN7rocprim17ROCPRIM_400000_NS6detail17trampoline_kernelINS0_14default_configENS1_37merge_sort_block_sort_config_selectorIiNS0_10empty_typeEEEZNS1_21merge_sort_block_sortIS3_N6thrust23THRUST_200600_302600_NS6detail15normal_iteratorINS9_10device_ptrIiEEEESE_PS5_SF_17evens_before_oddsEE10hipError_tT0_T1_T2_T3_mRjT4_P12ihipStream_tbNS1_7vsmem_tEEUlT_E_NS1_11comp_targetILNS1_3genE10ELNS1_11target_archE1201ELNS1_3gpuE5ELNS1_3repE0EEENS1_30default_config_static_selectorELNS0_4arch9wavefront6targetE1EEEvSJ_,comdat
.Lfunc_end404:
	.size	_ZN7rocprim17ROCPRIM_400000_NS6detail17trampoline_kernelINS0_14default_configENS1_37merge_sort_block_sort_config_selectorIiNS0_10empty_typeEEEZNS1_21merge_sort_block_sortIS3_N6thrust23THRUST_200600_302600_NS6detail15normal_iteratorINS9_10device_ptrIiEEEESE_PS5_SF_17evens_before_oddsEE10hipError_tT0_T1_T2_T3_mRjT4_P12ihipStream_tbNS1_7vsmem_tEEUlT_E_NS1_11comp_targetILNS1_3genE10ELNS1_11target_archE1201ELNS1_3gpuE5ELNS1_3repE0EEENS1_30default_config_static_selectorELNS0_4arch9wavefront6targetE1EEEvSJ_, .Lfunc_end404-_ZN7rocprim17ROCPRIM_400000_NS6detail17trampoline_kernelINS0_14default_configENS1_37merge_sort_block_sort_config_selectorIiNS0_10empty_typeEEEZNS1_21merge_sort_block_sortIS3_N6thrust23THRUST_200600_302600_NS6detail15normal_iteratorINS9_10device_ptrIiEEEESE_PS5_SF_17evens_before_oddsEE10hipError_tT0_T1_T2_T3_mRjT4_P12ihipStream_tbNS1_7vsmem_tEEUlT_E_NS1_11comp_targetILNS1_3genE10ELNS1_11target_archE1201ELNS1_3gpuE5ELNS1_3repE0EEENS1_30default_config_static_selectorELNS0_4arch9wavefront6targetE1EEEvSJ_
                                        ; -- End function
	.set _ZN7rocprim17ROCPRIM_400000_NS6detail17trampoline_kernelINS0_14default_configENS1_37merge_sort_block_sort_config_selectorIiNS0_10empty_typeEEEZNS1_21merge_sort_block_sortIS3_N6thrust23THRUST_200600_302600_NS6detail15normal_iteratorINS9_10device_ptrIiEEEESE_PS5_SF_17evens_before_oddsEE10hipError_tT0_T1_T2_T3_mRjT4_P12ihipStream_tbNS1_7vsmem_tEEUlT_E_NS1_11comp_targetILNS1_3genE10ELNS1_11target_archE1201ELNS1_3gpuE5ELNS1_3repE0EEENS1_30default_config_static_selectorELNS0_4arch9wavefront6targetE1EEEvSJ_.num_vgpr, 0
	.set _ZN7rocprim17ROCPRIM_400000_NS6detail17trampoline_kernelINS0_14default_configENS1_37merge_sort_block_sort_config_selectorIiNS0_10empty_typeEEEZNS1_21merge_sort_block_sortIS3_N6thrust23THRUST_200600_302600_NS6detail15normal_iteratorINS9_10device_ptrIiEEEESE_PS5_SF_17evens_before_oddsEE10hipError_tT0_T1_T2_T3_mRjT4_P12ihipStream_tbNS1_7vsmem_tEEUlT_E_NS1_11comp_targetILNS1_3genE10ELNS1_11target_archE1201ELNS1_3gpuE5ELNS1_3repE0EEENS1_30default_config_static_selectorELNS0_4arch9wavefront6targetE1EEEvSJ_.num_agpr, 0
	.set _ZN7rocprim17ROCPRIM_400000_NS6detail17trampoline_kernelINS0_14default_configENS1_37merge_sort_block_sort_config_selectorIiNS0_10empty_typeEEEZNS1_21merge_sort_block_sortIS3_N6thrust23THRUST_200600_302600_NS6detail15normal_iteratorINS9_10device_ptrIiEEEESE_PS5_SF_17evens_before_oddsEE10hipError_tT0_T1_T2_T3_mRjT4_P12ihipStream_tbNS1_7vsmem_tEEUlT_E_NS1_11comp_targetILNS1_3genE10ELNS1_11target_archE1201ELNS1_3gpuE5ELNS1_3repE0EEENS1_30default_config_static_selectorELNS0_4arch9wavefront6targetE1EEEvSJ_.numbered_sgpr, 0
	.set _ZN7rocprim17ROCPRIM_400000_NS6detail17trampoline_kernelINS0_14default_configENS1_37merge_sort_block_sort_config_selectorIiNS0_10empty_typeEEEZNS1_21merge_sort_block_sortIS3_N6thrust23THRUST_200600_302600_NS6detail15normal_iteratorINS9_10device_ptrIiEEEESE_PS5_SF_17evens_before_oddsEE10hipError_tT0_T1_T2_T3_mRjT4_P12ihipStream_tbNS1_7vsmem_tEEUlT_E_NS1_11comp_targetILNS1_3genE10ELNS1_11target_archE1201ELNS1_3gpuE5ELNS1_3repE0EEENS1_30default_config_static_selectorELNS0_4arch9wavefront6targetE1EEEvSJ_.num_named_barrier, 0
	.set _ZN7rocprim17ROCPRIM_400000_NS6detail17trampoline_kernelINS0_14default_configENS1_37merge_sort_block_sort_config_selectorIiNS0_10empty_typeEEEZNS1_21merge_sort_block_sortIS3_N6thrust23THRUST_200600_302600_NS6detail15normal_iteratorINS9_10device_ptrIiEEEESE_PS5_SF_17evens_before_oddsEE10hipError_tT0_T1_T2_T3_mRjT4_P12ihipStream_tbNS1_7vsmem_tEEUlT_E_NS1_11comp_targetILNS1_3genE10ELNS1_11target_archE1201ELNS1_3gpuE5ELNS1_3repE0EEENS1_30default_config_static_selectorELNS0_4arch9wavefront6targetE1EEEvSJ_.private_seg_size, 0
	.set _ZN7rocprim17ROCPRIM_400000_NS6detail17trampoline_kernelINS0_14default_configENS1_37merge_sort_block_sort_config_selectorIiNS0_10empty_typeEEEZNS1_21merge_sort_block_sortIS3_N6thrust23THRUST_200600_302600_NS6detail15normal_iteratorINS9_10device_ptrIiEEEESE_PS5_SF_17evens_before_oddsEE10hipError_tT0_T1_T2_T3_mRjT4_P12ihipStream_tbNS1_7vsmem_tEEUlT_E_NS1_11comp_targetILNS1_3genE10ELNS1_11target_archE1201ELNS1_3gpuE5ELNS1_3repE0EEENS1_30default_config_static_selectorELNS0_4arch9wavefront6targetE1EEEvSJ_.uses_vcc, 0
	.set _ZN7rocprim17ROCPRIM_400000_NS6detail17trampoline_kernelINS0_14default_configENS1_37merge_sort_block_sort_config_selectorIiNS0_10empty_typeEEEZNS1_21merge_sort_block_sortIS3_N6thrust23THRUST_200600_302600_NS6detail15normal_iteratorINS9_10device_ptrIiEEEESE_PS5_SF_17evens_before_oddsEE10hipError_tT0_T1_T2_T3_mRjT4_P12ihipStream_tbNS1_7vsmem_tEEUlT_E_NS1_11comp_targetILNS1_3genE10ELNS1_11target_archE1201ELNS1_3gpuE5ELNS1_3repE0EEENS1_30default_config_static_selectorELNS0_4arch9wavefront6targetE1EEEvSJ_.uses_flat_scratch, 0
	.set _ZN7rocprim17ROCPRIM_400000_NS6detail17trampoline_kernelINS0_14default_configENS1_37merge_sort_block_sort_config_selectorIiNS0_10empty_typeEEEZNS1_21merge_sort_block_sortIS3_N6thrust23THRUST_200600_302600_NS6detail15normal_iteratorINS9_10device_ptrIiEEEESE_PS5_SF_17evens_before_oddsEE10hipError_tT0_T1_T2_T3_mRjT4_P12ihipStream_tbNS1_7vsmem_tEEUlT_E_NS1_11comp_targetILNS1_3genE10ELNS1_11target_archE1201ELNS1_3gpuE5ELNS1_3repE0EEENS1_30default_config_static_selectorELNS0_4arch9wavefront6targetE1EEEvSJ_.has_dyn_sized_stack, 0
	.set _ZN7rocprim17ROCPRIM_400000_NS6detail17trampoline_kernelINS0_14default_configENS1_37merge_sort_block_sort_config_selectorIiNS0_10empty_typeEEEZNS1_21merge_sort_block_sortIS3_N6thrust23THRUST_200600_302600_NS6detail15normal_iteratorINS9_10device_ptrIiEEEESE_PS5_SF_17evens_before_oddsEE10hipError_tT0_T1_T2_T3_mRjT4_P12ihipStream_tbNS1_7vsmem_tEEUlT_E_NS1_11comp_targetILNS1_3genE10ELNS1_11target_archE1201ELNS1_3gpuE5ELNS1_3repE0EEENS1_30default_config_static_selectorELNS0_4arch9wavefront6targetE1EEEvSJ_.has_recursion, 0
	.set _ZN7rocprim17ROCPRIM_400000_NS6detail17trampoline_kernelINS0_14default_configENS1_37merge_sort_block_sort_config_selectorIiNS0_10empty_typeEEEZNS1_21merge_sort_block_sortIS3_N6thrust23THRUST_200600_302600_NS6detail15normal_iteratorINS9_10device_ptrIiEEEESE_PS5_SF_17evens_before_oddsEE10hipError_tT0_T1_T2_T3_mRjT4_P12ihipStream_tbNS1_7vsmem_tEEUlT_E_NS1_11comp_targetILNS1_3genE10ELNS1_11target_archE1201ELNS1_3gpuE5ELNS1_3repE0EEENS1_30default_config_static_selectorELNS0_4arch9wavefront6targetE1EEEvSJ_.has_indirect_call, 0
	.section	.AMDGPU.csdata,"",@progbits
; Kernel info:
; codeLenInByte = 0
; TotalNumSgprs: 6
; NumVgprs: 0
; NumAgprs: 0
; TotalNumVgprs: 0
; ScratchSize: 0
; MemoryBound: 0
; FloatMode: 240
; IeeeMode: 1
; LDSByteSize: 0 bytes/workgroup (compile time only)
; SGPRBlocks: 0
; VGPRBlocks: 0
; NumSGPRsForWavesPerEU: 6
; NumVGPRsForWavesPerEU: 1
; AccumOffset: 4
; Occupancy: 8
; WaveLimiterHint : 0
; COMPUTE_PGM_RSRC2:SCRATCH_EN: 0
; COMPUTE_PGM_RSRC2:USER_SGPR: 2
; COMPUTE_PGM_RSRC2:TRAP_HANDLER: 0
; COMPUTE_PGM_RSRC2:TGID_X_EN: 1
; COMPUTE_PGM_RSRC2:TGID_Y_EN: 0
; COMPUTE_PGM_RSRC2:TGID_Z_EN: 0
; COMPUTE_PGM_RSRC2:TIDIG_COMP_CNT: 0
; COMPUTE_PGM_RSRC3_GFX90A:ACCUM_OFFSET: 0
; COMPUTE_PGM_RSRC3_GFX90A:TG_SPLIT: 0
	.section	.text._ZN7rocprim17ROCPRIM_400000_NS6detail17trampoline_kernelINS0_14default_configENS1_37merge_sort_block_sort_config_selectorIiNS0_10empty_typeEEEZNS1_21merge_sort_block_sortIS3_N6thrust23THRUST_200600_302600_NS6detail15normal_iteratorINS9_10device_ptrIiEEEESE_PS5_SF_17evens_before_oddsEE10hipError_tT0_T1_T2_T3_mRjT4_P12ihipStream_tbNS1_7vsmem_tEEUlT_E_NS1_11comp_targetILNS1_3genE10ELNS1_11target_archE1200ELNS1_3gpuE4ELNS1_3repE0EEENS1_30default_config_static_selectorELNS0_4arch9wavefront6targetE1EEEvSJ_,"axG",@progbits,_ZN7rocprim17ROCPRIM_400000_NS6detail17trampoline_kernelINS0_14default_configENS1_37merge_sort_block_sort_config_selectorIiNS0_10empty_typeEEEZNS1_21merge_sort_block_sortIS3_N6thrust23THRUST_200600_302600_NS6detail15normal_iteratorINS9_10device_ptrIiEEEESE_PS5_SF_17evens_before_oddsEE10hipError_tT0_T1_T2_T3_mRjT4_P12ihipStream_tbNS1_7vsmem_tEEUlT_E_NS1_11comp_targetILNS1_3genE10ELNS1_11target_archE1200ELNS1_3gpuE4ELNS1_3repE0EEENS1_30default_config_static_selectorELNS0_4arch9wavefront6targetE1EEEvSJ_,comdat
	.protected	_ZN7rocprim17ROCPRIM_400000_NS6detail17trampoline_kernelINS0_14default_configENS1_37merge_sort_block_sort_config_selectorIiNS0_10empty_typeEEEZNS1_21merge_sort_block_sortIS3_N6thrust23THRUST_200600_302600_NS6detail15normal_iteratorINS9_10device_ptrIiEEEESE_PS5_SF_17evens_before_oddsEE10hipError_tT0_T1_T2_T3_mRjT4_P12ihipStream_tbNS1_7vsmem_tEEUlT_E_NS1_11comp_targetILNS1_3genE10ELNS1_11target_archE1200ELNS1_3gpuE4ELNS1_3repE0EEENS1_30default_config_static_selectorELNS0_4arch9wavefront6targetE1EEEvSJ_ ; -- Begin function _ZN7rocprim17ROCPRIM_400000_NS6detail17trampoline_kernelINS0_14default_configENS1_37merge_sort_block_sort_config_selectorIiNS0_10empty_typeEEEZNS1_21merge_sort_block_sortIS3_N6thrust23THRUST_200600_302600_NS6detail15normal_iteratorINS9_10device_ptrIiEEEESE_PS5_SF_17evens_before_oddsEE10hipError_tT0_T1_T2_T3_mRjT4_P12ihipStream_tbNS1_7vsmem_tEEUlT_E_NS1_11comp_targetILNS1_3genE10ELNS1_11target_archE1200ELNS1_3gpuE4ELNS1_3repE0EEENS1_30default_config_static_selectorELNS0_4arch9wavefront6targetE1EEEvSJ_
	.globl	_ZN7rocprim17ROCPRIM_400000_NS6detail17trampoline_kernelINS0_14default_configENS1_37merge_sort_block_sort_config_selectorIiNS0_10empty_typeEEEZNS1_21merge_sort_block_sortIS3_N6thrust23THRUST_200600_302600_NS6detail15normal_iteratorINS9_10device_ptrIiEEEESE_PS5_SF_17evens_before_oddsEE10hipError_tT0_T1_T2_T3_mRjT4_P12ihipStream_tbNS1_7vsmem_tEEUlT_E_NS1_11comp_targetILNS1_3genE10ELNS1_11target_archE1200ELNS1_3gpuE4ELNS1_3repE0EEENS1_30default_config_static_selectorELNS0_4arch9wavefront6targetE1EEEvSJ_
	.p2align	8
	.type	_ZN7rocprim17ROCPRIM_400000_NS6detail17trampoline_kernelINS0_14default_configENS1_37merge_sort_block_sort_config_selectorIiNS0_10empty_typeEEEZNS1_21merge_sort_block_sortIS3_N6thrust23THRUST_200600_302600_NS6detail15normal_iteratorINS9_10device_ptrIiEEEESE_PS5_SF_17evens_before_oddsEE10hipError_tT0_T1_T2_T3_mRjT4_P12ihipStream_tbNS1_7vsmem_tEEUlT_E_NS1_11comp_targetILNS1_3genE10ELNS1_11target_archE1200ELNS1_3gpuE4ELNS1_3repE0EEENS1_30default_config_static_selectorELNS0_4arch9wavefront6targetE1EEEvSJ_,@function
_ZN7rocprim17ROCPRIM_400000_NS6detail17trampoline_kernelINS0_14default_configENS1_37merge_sort_block_sort_config_selectorIiNS0_10empty_typeEEEZNS1_21merge_sort_block_sortIS3_N6thrust23THRUST_200600_302600_NS6detail15normal_iteratorINS9_10device_ptrIiEEEESE_PS5_SF_17evens_before_oddsEE10hipError_tT0_T1_T2_T3_mRjT4_P12ihipStream_tbNS1_7vsmem_tEEUlT_E_NS1_11comp_targetILNS1_3genE10ELNS1_11target_archE1200ELNS1_3gpuE4ELNS1_3repE0EEENS1_30default_config_static_selectorELNS0_4arch9wavefront6targetE1EEEvSJ_: ; @_ZN7rocprim17ROCPRIM_400000_NS6detail17trampoline_kernelINS0_14default_configENS1_37merge_sort_block_sort_config_selectorIiNS0_10empty_typeEEEZNS1_21merge_sort_block_sortIS3_N6thrust23THRUST_200600_302600_NS6detail15normal_iteratorINS9_10device_ptrIiEEEESE_PS5_SF_17evens_before_oddsEE10hipError_tT0_T1_T2_T3_mRjT4_P12ihipStream_tbNS1_7vsmem_tEEUlT_E_NS1_11comp_targetILNS1_3genE10ELNS1_11target_archE1200ELNS1_3gpuE4ELNS1_3repE0EEENS1_30default_config_static_selectorELNS0_4arch9wavefront6targetE1EEEvSJ_
; %bb.0:
	.section	.rodata,"a",@progbits
	.p2align	6, 0x0
	.amdhsa_kernel _ZN7rocprim17ROCPRIM_400000_NS6detail17trampoline_kernelINS0_14default_configENS1_37merge_sort_block_sort_config_selectorIiNS0_10empty_typeEEEZNS1_21merge_sort_block_sortIS3_N6thrust23THRUST_200600_302600_NS6detail15normal_iteratorINS9_10device_ptrIiEEEESE_PS5_SF_17evens_before_oddsEE10hipError_tT0_T1_T2_T3_mRjT4_P12ihipStream_tbNS1_7vsmem_tEEUlT_E_NS1_11comp_targetILNS1_3genE10ELNS1_11target_archE1200ELNS1_3gpuE4ELNS1_3repE0EEENS1_30default_config_static_selectorELNS0_4arch9wavefront6targetE1EEEvSJ_
		.amdhsa_group_segment_fixed_size 0
		.amdhsa_private_segment_fixed_size 0
		.amdhsa_kernarg_size 64
		.amdhsa_user_sgpr_count 2
		.amdhsa_user_sgpr_dispatch_ptr 0
		.amdhsa_user_sgpr_queue_ptr 0
		.amdhsa_user_sgpr_kernarg_segment_ptr 1
		.amdhsa_user_sgpr_dispatch_id 0
		.amdhsa_user_sgpr_kernarg_preload_length 0
		.amdhsa_user_sgpr_kernarg_preload_offset 0
		.amdhsa_user_sgpr_private_segment_size 0
		.amdhsa_uses_dynamic_stack 0
		.amdhsa_enable_private_segment 0
		.amdhsa_system_sgpr_workgroup_id_x 1
		.amdhsa_system_sgpr_workgroup_id_y 0
		.amdhsa_system_sgpr_workgroup_id_z 0
		.amdhsa_system_sgpr_workgroup_info 0
		.amdhsa_system_vgpr_workitem_id 0
		.amdhsa_next_free_vgpr 1
		.amdhsa_next_free_sgpr 0
		.amdhsa_accum_offset 4
		.amdhsa_reserve_vcc 0
		.amdhsa_float_round_mode_32 0
		.amdhsa_float_round_mode_16_64 0
		.amdhsa_float_denorm_mode_32 3
		.amdhsa_float_denorm_mode_16_64 3
		.amdhsa_dx10_clamp 1
		.amdhsa_ieee_mode 1
		.amdhsa_fp16_overflow 0
		.amdhsa_tg_split 0
		.amdhsa_exception_fp_ieee_invalid_op 0
		.amdhsa_exception_fp_denorm_src 0
		.amdhsa_exception_fp_ieee_div_zero 0
		.amdhsa_exception_fp_ieee_overflow 0
		.amdhsa_exception_fp_ieee_underflow 0
		.amdhsa_exception_fp_ieee_inexact 0
		.amdhsa_exception_int_div_zero 0
	.end_amdhsa_kernel
	.section	.text._ZN7rocprim17ROCPRIM_400000_NS6detail17trampoline_kernelINS0_14default_configENS1_37merge_sort_block_sort_config_selectorIiNS0_10empty_typeEEEZNS1_21merge_sort_block_sortIS3_N6thrust23THRUST_200600_302600_NS6detail15normal_iteratorINS9_10device_ptrIiEEEESE_PS5_SF_17evens_before_oddsEE10hipError_tT0_T1_T2_T3_mRjT4_P12ihipStream_tbNS1_7vsmem_tEEUlT_E_NS1_11comp_targetILNS1_3genE10ELNS1_11target_archE1200ELNS1_3gpuE4ELNS1_3repE0EEENS1_30default_config_static_selectorELNS0_4arch9wavefront6targetE1EEEvSJ_,"axG",@progbits,_ZN7rocprim17ROCPRIM_400000_NS6detail17trampoline_kernelINS0_14default_configENS1_37merge_sort_block_sort_config_selectorIiNS0_10empty_typeEEEZNS1_21merge_sort_block_sortIS3_N6thrust23THRUST_200600_302600_NS6detail15normal_iteratorINS9_10device_ptrIiEEEESE_PS5_SF_17evens_before_oddsEE10hipError_tT0_T1_T2_T3_mRjT4_P12ihipStream_tbNS1_7vsmem_tEEUlT_E_NS1_11comp_targetILNS1_3genE10ELNS1_11target_archE1200ELNS1_3gpuE4ELNS1_3repE0EEENS1_30default_config_static_selectorELNS0_4arch9wavefront6targetE1EEEvSJ_,comdat
.Lfunc_end405:
	.size	_ZN7rocprim17ROCPRIM_400000_NS6detail17trampoline_kernelINS0_14default_configENS1_37merge_sort_block_sort_config_selectorIiNS0_10empty_typeEEEZNS1_21merge_sort_block_sortIS3_N6thrust23THRUST_200600_302600_NS6detail15normal_iteratorINS9_10device_ptrIiEEEESE_PS5_SF_17evens_before_oddsEE10hipError_tT0_T1_T2_T3_mRjT4_P12ihipStream_tbNS1_7vsmem_tEEUlT_E_NS1_11comp_targetILNS1_3genE10ELNS1_11target_archE1200ELNS1_3gpuE4ELNS1_3repE0EEENS1_30default_config_static_selectorELNS0_4arch9wavefront6targetE1EEEvSJ_, .Lfunc_end405-_ZN7rocprim17ROCPRIM_400000_NS6detail17trampoline_kernelINS0_14default_configENS1_37merge_sort_block_sort_config_selectorIiNS0_10empty_typeEEEZNS1_21merge_sort_block_sortIS3_N6thrust23THRUST_200600_302600_NS6detail15normal_iteratorINS9_10device_ptrIiEEEESE_PS5_SF_17evens_before_oddsEE10hipError_tT0_T1_T2_T3_mRjT4_P12ihipStream_tbNS1_7vsmem_tEEUlT_E_NS1_11comp_targetILNS1_3genE10ELNS1_11target_archE1200ELNS1_3gpuE4ELNS1_3repE0EEENS1_30default_config_static_selectorELNS0_4arch9wavefront6targetE1EEEvSJ_
                                        ; -- End function
	.set _ZN7rocprim17ROCPRIM_400000_NS6detail17trampoline_kernelINS0_14default_configENS1_37merge_sort_block_sort_config_selectorIiNS0_10empty_typeEEEZNS1_21merge_sort_block_sortIS3_N6thrust23THRUST_200600_302600_NS6detail15normal_iteratorINS9_10device_ptrIiEEEESE_PS5_SF_17evens_before_oddsEE10hipError_tT0_T1_T2_T3_mRjT4_P12ihipStream_tbNS1_7vsmem_tEEUlT_E_NS1_11comp_targetILNS1_3genE10ELNS1_11target_archE1200ELNS1_3gpuE4ELNS1_3repE0EEENS1_30default_config_static_selectorELNS0_4arch9wavefront6targetE1EEEvSJ_.num_vgpr, 0
	.set _ZN7rocprim17ROCPRIM_400000_NS6detail17trampoline_kernelINS0_14default_configENS1_37merge_sort_block_sort_config_selectorIiNS0_10empty_typeEEEZNS1_21merge_sort_block_sortIS3_N6thrust23THRUST_200600_302600_NS6detail15normal_iteratorINS9_10device_ptrIiEEEESE_PS5_SF_17evens_before_oddsEE10hipError_tT0_T1_T2_T3_mRjT4_P12ihipStream_tbNS1_7vsmem_tEEUlT_E_NS1_11comp_targetILNS1_3genE10ELNS1_11target_archE1200ELNS1_3gpuE4ELNS1_3repE0EEENS1_30default_config_static_selectorELNS0_4arch9wavefront6targetE1EEEvSJ_.num_agpr, 0
	.set _ZN7rocprim17ROCPRIM_400000_NS6detail17trampoline_kernelINS0_14default_configENS1_37merge_sort_block_sort_config_selectorIiNS0_10empty_typeEEEZNS1_21merge_sort_block_sortIS3_N6thrust23THRUST_200600_302600_NS6detail15normal_iteratorINS9_10device_ptrIiEEEESE_PS5_SF_17evens_before_oddsEE10hipError_tT0_T1_T2_T3_mRjT4_P12ihipStream_tbNS1_7vsmem_tEEUlT_E_NS1_11comp_targetILNS1_3genE10ELNS1_11target_archE1200ELNS1_3gpuE4ELNS1_3repE0EEENS1_30default_config_static_selectorELNS0_4arch9wavefront6targetE1EEEvSJ_.numbered_sgpr, 0
	.set _ZN7rocprim17ROCPRIM_400000_NS6detail17trampoline_kernelINS0_14default_configENS1_37merge_sort_block_sort_config_selectorIiNS0_10empty_typeEEEZNS1_21merge_sort_block_sortIS3_N6thrust23THRUST_200600_302600_NS6detail15normal_iteratorINS9_10device_ptrIiEEEESE_PS5_SF_17evens_before_oddsEE10hipError_tT0_T1_T2_T3_mRjT4_P12ihipStream_tbNS1_7vsmem_tEEUlT_E_NS1_11comp_targetILNS1_3genE10ELNS1_11target_archE1200ELNS1_3gpuE4ELNS1_3repE0EEENS1_30default_config_static_selectorELNS0_4arch9wavefront6targetE1EEEvSJ_.num_named_barrier, 0
	.set _ZN7rocprim17ROCPRIM_400000_NS6detail17trampoline_kernelINS0_14default_configENS1_37merge_sort_block_sort_config_selectorIiNS0_10empty_typeEEEZNS1_21merge_sort_block_sortIS3_N6thrust23THRUST_200600_302600_NS6detail15normal_iteratorINS9_10device_ptrIiEEEESE_PS5_SF_17evens_before_oddsEE10hipError_tT0_T1_T2_T3_mRjT4_P12ihipStream_tbNS1_7vsmem_tEEUlT_E_NS1_11comp_targetILNS1_3genE10ELNS1_11target_archE1200ELNS1_3gpuE4ELNS1_3repE0EEENS1_30default_config_static_selectorELNS0_4arch9wavefront6targetE1EEEvSJ_.private_seg_size, 0
	.set _ZN7rocprim17ROCPRIM_400000_NS6detail17trampoline_kernelINS0_14default_configENS1_37merge_sort_block_sort_config_selectorIiNS0_10empty_typeEEEZNS1_21merge_sort_block_sortIS3_N6thrust23THRUST_200600_302600_NS6detail15normal_iteratorINS9_10device_ptrIiEEEESE_PS5_SF_17evens_before_oddsEE10hipError_tT0_T1_T2_T3_mRjT4_P12ihipStream_tbNS1_7vsmem_tEEUlT_E_NS1_11comp_targetILNS1_3genE10ELNS1_11target_archE1200ELNS1_3gpuE4ELNS1_3repE0EEENS1_30default_config_static_selectorELNS0_4arch9wavefront6targetE1EEEvSJ_.uses_vcc, 0
	.set _ZN7rocprim17ROCPRIM_400000_NS6detail17trampoline_kernelINS0_14default_configENS1_37merge_sort_block_sort_config_selectorIiNS0_10empty_typeEEEZNS1_21merge_sort_block_sortIS3_N6thrust23THRUST_200600_302600_NS6detail15normal_iteratorINS9_10device_ptrIiEEEESE_PS5_SF_17evens_before_oddsEE10hipError_tT0_T1_T2_T3_mRjT4_P12ihipStream_tbNS1_7vsmem_tEEUlT_E_NS1_11comp_targetILNS1_3genE10ELNS1_11target_archE1200ELNS1_3gpuE4ELNS1_3repE0EEENS1_30default_config_static_selectorELNS0_4arch9wavefront6targetE1EEEvSJ_.uses_flat_scratch, 0
	.set _ZN7rocprim17ROCPRIM_400000_NS6detail17trampoline_kernelINS0_14default_configENS1_37merge_sort_block_sort_config_selectorIiNS0_10empty_typeEEEZNS1_21merge_sort_block_sortIS3_N6thrust23THRUST_200600_302600_NS6detail15normal_iteratorINS9_10device_ptrIiEEEESE_PS5_SF_17evens_before_oddsEE10hipError_tT0_T1_T2_T3_mRjT4_P12ihipStream_tbNS1_7vsmem_tEEUlT_E_NS1_11comp_targetILNS1_3genE10ELNS1_11target_archE1200ELNS1_3gpuE4ELNS1_3repE0EEENS1_30default_config_static_selectorELNS0_4arch9wavefront6targetE1EEEvSJ_.has_dyn_sized_stack, 0
	.set _ZN7rocprim17ROCPRIM_400000_NS6detail17trampoline_kernelINS0_14default_configENS1_37merge_sort_block_sort_config_selectorIiNS0_10empty_typeEEEZNS1_21merge_sort_block_sortIS3_N6thrust23THRUST_200600_302600_NS6detail15normal_iteratorINS9_10device_ptrIiEEEESE_PS5_SF_17evens_before_oddsEE10hipError_tT0_T1_T2_T3_mRjT4_P12ihipStream_tbNS1_7vsmem_tEEUlT_E_NS1_11comp_targetILNS1_3genE10ELNS1_11target_archE1200ELNS1_3gpuE4ELNS1_3repE0EEENS1_30default_config_static_selectorELNS0_4arch9wavefront6targetE1EEEvSJ_.has_recursion, 0
	.set _ZN7rocprim17ROCPRIM_400000_NS6detail17trampoline_kernelINS0_14default_configENS1_37merge_sort_block_sort_config_selectorIiNS0_10empty_typeEEEZNS1_21merge_sort_block_sortIS3_N6thrust23THRUST_200600_302600_NS6detail15normal_iteratorINS9_10device_ptrIiEEEESE_PS5_SF_17evens_before_oddsEE10hipError_tT0_T1_T2_T3_mRjT4_P12ihipStream_tbNS1_7vsmem_tEEUlT_E_NS1_11comp_targetILNS1_3genE10ELNS1_11target_archE1200ELNS1_3gpuE4ELNS1_3repE0EEENS1_30default_config_static_selectorELNS0_4arch9wavefront6targetE1EEEvSJ_.has_indirect_call, 0
	.section	.AMDGPU.csdata,"",@progbits
; Kernel info:
; codeLenInByte = 0
; TotalNumSgprs: 6
; NumVgprs: 0
; NumAgprs: 0
; TotalNumVgprs: 0
; ScratchSize: 0
; MemoryBound: 0
; FloatMode: 240
; IeeeMode: 1
; LDSByteSize: 0 bytes/workgroup (compile time only)
; SGPRBlocks: 0
; VGPRBlocks: 0
; NumSGPRsForWavesPerEU: 6
; NumVGPRsForWavesPerEU: 1
; AccumOffset: 4
; Occupancy: 8
; WaveLimiterHint : 0
; COMPUTE_PGM_RSRC2:SCRATCH_EN: 0
; COMPUTE_PGM_RSRC2:USER_SGPR: 2
; COMPUTE_PGM_RSRC2:TRAP_HANDLER: 0
; COMPUTE_PGM_RSRC2:TGID_X_EN: 1
; COMPUTE_PGM_RSRC2:TGID_Y_EN: 0
; COMPUTE_PGM_RSRC2:TGID_Z_EN: 0
; COMPUTE_PGM_RSRC2:TIDIG_COMP_CNT: 0
; COMPUTE_PGM_RSRC3_GFX90A:ACCUM_OFFSET: 0
; COMPUTE_PGM_RSRC3_GFX90A:TG_SPLIT: 0
	.section	.text._ZN7rocprim17ROCPRIM_400000_NS6detail17trampoline_kernelINS0_14default_configENS1_37merge_sort_block_sort_config_selectorIiNS0_10empty_typeEEEZNS1_21merge_sort_block_sortIS3_N6thrust23THRUST_200600_302600_NS6detail15normal_iteratorINS9_10device_ptrIiEEEESE_PS5_SF_17evens_before_oddsEE10hipError_tT0_T1_T2_T3_mRjT4_P12ihipStream_tbNS1_7vsmem_tEEUlT_E_NS1_11comp_targetILNS1_3genE9ELNS1_11target_archE1100ELNS1_3gpuE3ELNS1_3repE0EEENS1_30default_config_static_selectorELNS0_4arch9wavefront6targetE1EEEvSJ_,"axG",@progbits,_ZN7rocprim17ROCPRIM_400000_NS6detail17trampoline_kernelINS0_14default_configENS1_37merge_sort_block_sort_config_selectorIiNS0_10empty_typeEEEZNS1_21merge_sort_block_sortIS3_N6thrust23THRUST_200600_302600_NS6detail15normal_iteratorINS9_10device_ptrIiEEEESE_PS5_SF_17evens_before_oddsEE10hipError_tT0_T1_T2_T3_mRjT4_P12ihipStream_tbNS1_7vsmem_tEEUlT_E_NS1_11comp_targetILNS1_3genE9ELNS1_11target_archE1100ELNS1_3gpuE3ELNS1_3repE0EEENS1_30default_config_static_selectorELNS0_4arch9wavefront6targetE1EEEvSJ_,comdat
	.protected	_ZN7rocprim17ROCPRIM_400000_NS6detail17trampoline_kernelINS0_14default_configENS1_37merge_sort_block_sort_config_selectorIiNS0_10empty_typeEEEZNS1_21merge_sort_block_sortIS3_N6thrust23THRUST_200600_302600_NS6detail15normal_iteratorINS9_10device_ptrIiEEEESE_PS5_SF_17evens_before_oddsEE10hipError_tT0_T1_T2_T3_mRjT4_P12ihipStream_tbNS1_7vsmem_tEEUlT_E_NS1_11comp_targetILNS1_3genE9ELNS1_11target_archE1100ELNS1_3gpuE3ELNS1_3repE0EEENS1_30default_config_static_selectorELNS0_4arch9wavefront6targetE1EEEvSJ_ ; -- Begin function _ZN7rocprim17ROCPRIM_400000_NS6detail17trampoline_kernelINS0_14default_configENS1_37merge_sort_block_sort_config_selectorIiNS0_10empty_typeEEEZNS1_21merge_sort_block_sortIS3_N6thrust23THRUST_200600_302600_NS6detail15normal_iteratorINS9_10device_ptrIiEEEESE_PS5_SF_17evens_before_oddsEE10hipError_tT0_T1_T2_T3_mRjT4_P12ihipStream_tbNS1_7vsmem_tEEUlT_E_NS1_11comp_targetILNS1_3genE9ELNS1_11target_archE1100ELNS1_3gpuE3ELNS1_3repE0EEENS1_30default_config_static_selectorELNS0_4arch9wavefront6targetE1EEEvSJ_
	.globl	_ZN7rocprim17ROCPRIM_400000_NS6detail17trampoline_kernelINS0_14default_configENS1_37merge_sort_block_sort_config_selectorIiNS0_10empty_typeEEEZNS1_21merge_sort_block_sortIS3_N6thrust23THRUST_200600_302600_NS6detail15normal_iteratorINS9_10device_ptrIiEEEESE_PS5_SF_17evens_before_oddsEE10hipError_tT0_T1_T2_T3_mRjT4_P12ihipStream_tbNS1_7vsmem_tEEUlT_E_NS1_11comp_targetILNS1_3genE9ELNS1_11target_archE1100ELNS1_3gpuE3ELNS1_3repE0EEENS1_30default_config_static_selectorELNS0_4arch9wavefront6targetE1EEEvSJ_
	.p2align	8
	.type	_ZN7rocprim17ROCPRIM_400000_NS6detail17trampoline_kernelINS0_14default_configENS1_37merge_sort_block_sort_config_selectorIiNS0_10empty_typeEEEZNS1_21merge_sort_block_sortIS3_N6thrust23THRUST_200600_302600_NS6detail15normal_iteratorINS9_10device_ptrIiEEEESE_PS5_SF_17evens_before_oddsEE10hipError_tT0_T1_T2_T3_mRjT4_P12ihipStream_tbNS1_7vsmem_tEEUlT_E_NS1_11comp_targetILNS1_3genE9ELNS1_11target_archE1100ELNS1_3gpuE3ELNS1_3repE0EEENS1_30default_config_static_selectorELNS0_4arch9wavefront6targetE1EEEvSJ_,@function
_ZN7rocprim17ROCPRIM_400000_NS6detail17trampoline_kernelINS0_14default_configENS1_37merge_sort_block_sort_config_selectorIiNS0_10empty_typeEEEZNS1_21merge_sort_block_sortIS3_N6thrust23THRUST_200600_302600_NS6detail15normal_iteratorINS9_10device_ptrIiEEEESE_PS5_SF_17evens_before_oddsEE10hipError_tT0_T1_T2_T3_mRjT4_P12ihipStream_tbNS1_7vsmem_tEEUlT_E_NS1_11comp_targetILNS1_3genE9ELNS1_11target_archE1100ELNS1_3gpuE3ELNS1_3repE0EEENS1_30default_config_static_selectorELNS0_4arch9wavefront6targetE1EEEvSJ_: ; @_ZN7rocprim17ROCPRIM_400000_NS6detail17trampoline_kernelINS0_14default_configENS1_37merge_sort_block_sort_config_selectorIiNS0_10empty_typeEEEZNS1_21merge_sort_block_sortIS3_N6thrust23THRUST_200600_302600_NS6detail15normal_iteratorINS9_10device_ptrIiEEEESE_PS5_SF_17evens_before_oddsEE10hipError_tT0_T1_T2_T3_mRjT4_P12ihipStream_tbNS1_7vsmem_tEEUlT_E_NS1_11comp_targetILNS1_3genE9ELNS1_11target_archE1100ELNS1_3gpuE3ELNS1_3repE0EEENS1_30default_config_static_selectorELNS0_4arch9wavefront6targetE1EEEvSJ_
; %bb.0:
	.section	.rodata,"a",@progbits
	.p2align	6, 0x0
	.amdhsa_kernel _ZN7rocprim17ROCPRIM_400000_NS6detail17trampoline_kernelINS0_14default_configENS1_37merge_sort_block_sort_config_selectorIiNS0_10empty_typeEEEZNS1_21merge_sort_block_sortIS3_N6thrust23THRUST_200600_302600_NS6detail15normal_iteratorINS9_10device_ptrIiEEEESE_PS5_SF_17evens_before_oddsEE10hipError_tT0_T1_T2_T3_mRjT4_P12ihipStream_tbNS1_7vsmem_tEEUlT_E_NS1_11comp_targetILNS1_3genE9ELNS1_11target_archE1100ELNS1_3gpuE3ELNS1_3repE0EEENS1_30default_config_static_selectorELNS0_4arch9wavefront6targetE1EEEvSJ_
		.amdhsa_group_segment_fixed_size 0
		.amdhsa_private_segment_fixed_size 0
		.amdhsa_kernarg_size 64
		.amdhsa_user_sgpr_count 2
		.amdhsa_user_sgpr_dispatch_ptr 0
		.amdhsa_user_sgpr_queue_ptr 0
		.amdhsa_user_sgpr_kernarg_segment_ptr 1
		.amdhsa_user_sgpr_dispatch_id 0
		.amdhsa_user_sgpr_kernarg_preload_length 0
		.amdhsa_user_sgpr_kernarg_preload_offset 0
		.amdhsa_user_sgpr_private_segment_size 0
		.amdhsa_uses_dynamic_stack 0
		.amdhsa_enable_private_segment 0
		.amdhsa_system_sgpr_workgroup_id_x 1
		.amdhsa_system_sgpr_workgroup_id_y 0
		.amdhsa_system_sgpr_workgroup_id_z 0
		.amdhsa_system_sgpr_workgroup_info 0
		.amdhsa_system_vgpr_workitem_id 0
		.amdhsa_next_free_vgpr 1
		.amdhsa_next_free_sgpr 0
		.amdhsa_accum_offset 4
		.amdhsa_reserve_vcc 0
		.amdhsa_float_round_mode_32 0
		.amdhsa_float_round_mode_16_64 0
		.amdhsa_float_denorm_mode_32 3
		.amdhsa_float_denorm_mode_16_64 3
		.amdhsa_dx10_clamp 1
		.amdhsa_ieee_mode 1
		.amdhsa_fp16_overflow 0
		.amdhsa_tg_split 0
		.amdhsa_exception_fp_ieee_invalid_op 0
		.amdhsa_exception_fp_denorm_src 0
		.amdhsa_exception_fp_ieee_div_zero 0
		.amdhsa_exception_fp_ieee_overflow 0
		.amdhsa_exception_fp_ieee_underflow 0
		.amdhsa_exception_fp_ieee_inexact 0
		.amdhsa_exception_int_div_zero 0
	.end_amdhsa_kernel
	.section	.text._ZN7rocprim17ROCPRIM_400000_NS6detail17trampoline_kernelINS0_14default_configENS1_37merge_sort_block_sort_config_selectorIiNS0_10empty_typeEEEZNS1_21merge_sort_block_sortIS3_N6thrust23THRUST_200600_302600_NS6detail15normal_iteratorINS9_10device_ptrIiEEEESE_PS5_SF_17evens_before_oddsEE10hipError_tT0_T1_T2_T3_mRjT4_P12ihipStream_tbNS1_7vsmem_tEEUlT_E_NS1_11comp_targetILNS1_3genE9ELNS1_11target_archE1100ELNS1_3gpuE3ELNS1_3repE0EEENS1_30default_config_static_selectorELNS0_4arch9wavefront6targetE1EEEvSJ_,"axG",@progbits,_ZN7rocprim17ROCPRIM_400000_NS6detail17trampoline_kernelINS0_14default_configENS1_37merge_sort_block_sort_config_selectorIiNS0_10empty_typeEEEZNS1_21merge_sort_block_sortIS3_N6thrust23THRUST_200600_302600_NS6detail15normal_iteratorINS9_10device_ptrIiEEEESE_PS5_SF_17evens_before_oddsEE10hipError_tT0_T1_T2_T3_mRjT4_P12ihipStream_tbNS1_7vsmem_tEEUlT_E_NS1_11comp_targetILNS1_3genE9ELNS1_11target_archE1100ELNS1_3gpuE3ELNS1_3repE0EEENS1_30default_config_static_selectorELNS0_4arch9wavefront6targetE1EEEvSJ_,comdat
.Lfunc_end406:
	.size	_ZN7rocprim17ROCPRIM_400000_NS6detail17trampoline_kernelINS0_14default_configENS1_37merge_sort_block_sort_config_selectorIiNS0_10empty_typeEEEZNS1_21merge_sort_block_sortIS3_N6thrust23THRUST_200600_302600_NS6detail15normal_iteratorINS9_10device_ptrIiEEEESE_PS5_SF_17evens_before_oddsEE10hipError_tT0_T1_T2_T3_mRjT4_P12ihipStream_tbNS1_7vsmem_tEEUlT_E_NS1_11comp_targetILNS1_3genE9ELNS1_11target_archE1100ELNS1_3gpuE3ELNS1_3repE0EEENS1_30default_config_static_selectorELNS0_4arch9wavefront6targetE1EEEvSJ_, .Lfunc_end406-_ZN7rocprim17ROCPRIM_400000_NS6detail17trampoline_kernelINS0_14default_configENS1_37merge_sort_block_sort_config_selectorIiNS0_10empty_typeEEEZNS1_21merge_sort_block_sortIS3_N6thrust23THRUST_200600_302600_NS6detail15normal_iteratorINS9_10device_ptrIiEEEESE_PS5_SF_17evens_before_oddsEE10hipError_tT0_T1_T2_T3_mRjT4_P12ihipStream_tbNS1_7vsmem_tEEUlT_E_NS1_11comp_targetILNS1_3genE9ELNS1_11target_archE1100ELNS1_3gpuE3ELNS1_3repE0EEENS1_30default_config_static_selectorELNS0_4arch9wavefront6targetE1EEEvSJ_
                                        ; -- End function
	.set _ZN7rocprim17ROCPRIM_400000_NS6detail17trampoline_kernelINS0_14default_configENS1_37merge_sort_block_sort_config_selectorIiNS0_10empty_typeEEEZNS1_21merge_sort_block_sortIS3_N6thrust23THRUST_200600_302600_NS6detail15normal_iteratorINS9_10device_ptrIiEEEESE_PS5_SF_17evens_before_oddsEE10hipError_tT0_T1_T2_T3_mRjT4_P12ihipStream_tbNS1_7vsmem_tEEUlT_E_NS1_11comp_targetILNS1_3genE9ELNS1_11target_archE1100ELNS1_3gpuE3ELNS1_3repE0EEENS1_30default_config_static_selectorELNS0_4arch9wavefront6targetE1EEEvSJ_.num_vgpr, 0
	.set _ZN7rocprim17ROCPRIM_400000_NS6detail17trampoline_kernelINS0_14default_configENS1_37merge_sort_block_sort_config_selectorIiNS0_10empty_typeEEEZNS1_21merge_sort_block_sortIS3_N6thrust23THRUST_200600_302600_NS6detail15normal_iteratorINS9_10device_ptrIiEEEESE_PS5_SF_17evens_before_oddsEE10hipError_tT0_T1_T2_T3_mRjT4_P12ihipStream_tbNS1_7vsmem_tEEUlT_E_NS1_11comp_targetILNS1_3genE9ELNS1_11target_archE1100ELNS1_3gpuE3ELNS1_3repE0EEENS1_30default_config_static_selectorELNS0_4arch9wavefront6targetE1EEEvSJ_.num_agpr, 0
	.set _ZN7rocprim17ROCPRIM_400000_NS6detail17trampoline_kernelINS0_14default_configENS1_37merge_sort_block_sort_config_selectorIiNS0_10empty_typeEEEZNS1_21merge_sort_block_sortIS3_N6thrust23THRUST_200600_302600_NS6detail15normal_iteratorINS9_10device_ptrIiEEEESE_PS5_SF_17evens_before_oddsEE10hipError_tT0_T1_T2_T3_mRjT4_P12ihipStream_tbNS1_7vsmem_tEEUlT_E_NS1_11comp_targetILNS1_3genE9ELNS1_11target_archE1100ELNS1_3gpuE3ELNS1_3repE0EEENS1_30default_config_static_selectorELNS0_4arch9wavefront6targetE1EEEvSJ_.numbered_sgpr, 0
	.set _ZN7rocprim17ROCPRIM_400000_NS6detail17trampoline_kernelINS0_14default_configENS1_37merge_sort_block_sort_config_selectorIiNS0_10empty_typeEEEZNS1_21merge_sort_block_sortIS3_N6thrust23THRUST_200600_302600_NS6detail15normal_iteratorINS9_10device_ptrIiEEEESE_PS5_SF_17evens_before_oddsEE10hipError_tT0_T1_T2_T3_mRjT4_P12ihipStream_tbNS1_7vsmem_tEEUlT_E_NS1_11comp_targetILNS1_3genE9ELNS1_11target_archE1100ELNS1_3gpuE3ELNS1_3repE0EEENS1_30default_config_static_selectorELNS0_4arch9wavefront6targetE1EEEvSJ_.num_named_barrier, 0
	.set _ZN7rocprim17ROCPRIM_400000_NS6detail17trampoline_kernelINS0_14default_configENS1_37merge_sort_block_sort_config_selectorIiNS0_10empty_typeEEEZNS1_21merge_sort_block_sortIS3_N6thrust23THRUST_200600_302600_NS6detail15normal_iteratorINS9_10device_ptrIiEEEESE_PS5_SF_17evens_before_oddsEE10hipError_tT0_T1_T2_T3_mRjT4_P12ihipStream_tbNS1_7vsmem_tEEUlT_E_NS1_11comp_targetILNS1_3genE9ELNS1_11target_archE1100ELNS1_3gpuE3ELNS1_3repE0EEENS1_30default_config_static_selectorELNS0_4arch9wavefront6targetE1EEEvSJ_.private_seg_size, 0
	.set _ZN7rocprim17ROCPRIM_400000_NS6detail17trampoline_kernelINS0_14default_configENS1_37merge_sort_block_sort_config_selectorIiNS0_10empty_typeEEEZNS1_21merge_sort_block_sortIS3_N6thrust23THRUST_200600_302600_NS6detail15normal_iteratorINS9_10device_ptrIiEEEESE_PS5_SF_17evens_before_oddsEE10hipError_tT0_T1_T2_T3_mRjT4_P12ihipStream_tbNS1_7vsmem_tEEUlT_E_NS1_11comp_targetILNS1_3genE9ELNS1_11target_archE1100ELNS1_3gpuE3ELNS1_3repE0EEENS1_30default_config_static_selectorELNS0_4arch9wavefront6targetE1EEEvSJ_.uses_vcc, 0
	.set _ZN7rocprim17ROCPRIM_400000_NS6detail17trampoline_kernelINS0_14default_configENS1_37merge_sort_block_sort_config_selectorIiNS0_10empty_typeEEEZNS1_21merge_sort_block_sortIS3_N6thrust23THRUST_200600_302600_NS6detail15normal_iteratorINS9_10device_ptrIiEEEESE_PS5_SF_17evens_before_oddsEE10hipError_tT0_T1_T2_T3_mRjT4_P12ihipStream_tbNS1_7vsmem_tEEUlT_E_NS1_11comp_targetILNS1_3genE9ELNS1_11target_archE1100ELNS1_3gpuE3ELNS1_3repE0EEENS1_30default_config_static_selectorELNS0_4arch9wavefront6targetE1EEEvSJ_.uses_flat_scratch, 0
	.set _ZN7rocprim17ROCPRIM_400000_NS6detail17trampoline_kernelINS0_14default_configENS1_37merge_sort_block_sort_config_selectorIiNS0_10empty_typeEEEZNS1_21merge_sort_block_sortIS3_N6thrust23THRUST_200600_302600_NS6detail15normal_iteratorINS9_10device_ptrIiEEEESE_PS5_SF_17evens_before_oddsEE10hipError_tT0_T1_T2_T3_mRjT4_P12ihipStream_tbNS1_7vsmem_tEEUlT_E_NS1_11comp_targetILNS1_3genE9ELNS1_11target_archE1100ELNS1_3gpuE3ELNS1_3repE0EEENS1_30default_config_static_selectorELNS0_4arch9wavefront6targetE1EEEvSJ_.has_dyn_sized_stack, 0
	.set _ZN7rocprim17ROCPRIM_400000_NS6detail17trampoline_kernelINS0_14default_configENS1_37merge_sort_block_sort_config_selectorIiNS0_10empty_typeEEEZNS1_21merge_sort_block_sortIS3_N6thrust23THRUST_200600_302600_NS6detail15normal_iteratorINS9_10device_ptrIiEEEESE_PS5_SF_17evens_before_oddsEE10hipError_tT0_T1_T2_T3_mRjT4_P12ihipStream_tbNS1_7vsmem_tEEUlT_E_NS1_11comp_targetILNS1_3genE9ELNS1_11target_archE1100ELNS1_3gpuE3ELNS1_3repE0EEENS1_30default_config_static_selectorELNS0_4arch9wavefront6targetE1EEEvSJ_.has_recursion, 0
	.set _ZN7rocprim17ROCPRIM_400000_NS6detail17trampoline_kernelINS0_14default_configENS1_37merge_sort_block_sort_config_selectorIiNS0_10empty_typeEEEZNS1_21merge_sort_block_sortIS3_N6thrust23THRUST_200600_302600_NS6detail15normal_iteratorINS9_10device_ptrIiEEEESE_PS5_SF_17evens_before_oddsEE10hipError_tT0_T1_T2_T3_mRjT4_P12ihipStream_tbNS1_7vsmem_tEEUlT_E_NS1_11comp_targetILNS1_3genE9ELNS1_11target_archE1100ELNS1_3gpuE3ELNS1_3repE0EEENS1_30default_config_static_selectorELNS0_4arch9wavefront6targetE1EEEvSJ_.has_indirect_call, 0
	.section	.AMDGPU.csdata,"",@progbits
; Kernel info:
; codeLenInByte = 0
; TotalNumSgprs: 6
; NumVgprs: 0
; NumAgprs: 0
; TotalNumVgprs: 0
; ScratchSize: 0
; MemoryBound: 0
; FloatMode: 240
; IeeeMode: 1
; LDSByteSize: 0 bytes/workgroup (compile time only)
; SGPRBlocks: 0
; VGPRBlocks: 0
; NumSGPRsForWavesPerEU: 6
; NumVGPRsForWavesPerEU: 1
; AccumOffset: 4
; Occupancy: 8
; WaveLimiterHint : 0
; COMPUTE_PGM_RSRC2:SCRATCH_EN: 0
; COMPUTE_PGM_RSRC2:USER_SGPR: 2
; COMPUTE_PGM_RSRC2:TRAP_HANDLER: 0
; COMPUTE_PGM_RSRC2:TGID_X_EN: 1
; COMPUTE_PGM_RSRC2:TGID_Y_EN: 0
; COMPUTE_PGM_RSRC2:TGID_Z_EN: 0
; COMPUTE_PGM_RSRC2:TIDIG_COMP_CNT: 0
; COMPUTE_PGM_RSRC3_GFX90A:ACCUM_OFFSET: 0
; COMPUTE_PGM_RSRC3_GFX90A:TG_SPLIT: 0
	.section	.text._ZN7rocprim17ROCPRIM_400000_NS6detail17trampoline_kernelINS0_14default_configENS1_37merge_sort_block_sort_config_selectorIiNS0_10empty_typeEEEZNS1_21merge_sort_block_sortIS3_N6thrust23THRUST_200600_302600_NS6detail15normal_iteratorINS9_10device_ptrIiEEEESE_PS5_SF_17evens_before_oddsEE10hipError_tT0_T1_T2_T3_mRjT4_P12ihipStream_tbNS1_7vsmem_tEEUlT_E_NS1_11comp_targetILNS1_3genE8ELNS1_11target_archE1030ELNS1_3gpuE2ELNS1_3repE0EEENS1_30default_config_static_selectorELNS0_4arch9wavefront6targetE1EEEvSJ_,"axG",@progbits,_ZN7rocprim17ROCPRIM_400000_NS6detail17trampoline_kernelINS0_14default_configENS1_37merge_sort_block_sort_config_selectorIiNS0_10empty_typeEEEZNS1_21merge_sort_block_sortIS3_N6thrust23THRUST_200600_302600_NS6detail15normal_iteratorINS9_10device_ptrIiEEEESE_PS5_SF_17evens_before_oddsEE10hipError_tT0_T1_T2_T3_mRjT4_P12ihipStream_tbNS1_7vsmem_tEEUlT_E_NS1_11comp_targetILNS1_3genE8ELNS1_11target_archE1030ELNS1_3gpuE2ELNS1_3repE0EEENS1_30default_config_static_selectorELNS0_4arch9wavefront6targetE1EEEvSJ_,comdat
	.protected	_ZN7rocprim17ROCPRIM_400000_NS6detail17trampoline_kernelINS0_14default_configENS1_37merge_sort_block_sort_config_selectorIiNS0_10empty_typeEEEZNS1_21merge_sort_block_sortIS3_N6thrust23THRUST_200600_302600_NS6detail15normal_iteratorINS9_10device_ptrIiEEEESE_PS5_SF_17evens_before_oddsEE10hipError_tT0_T1_T2_T3_mRjT4_P12ihipStream_tbNS1_7vsmem_tEEUlT_E_NS1_11comp_targetILNS1_3genE8ELNS1_11target_archE1030ELNS1_3gpuE2ELNS1_3repE0EEENS1_30default_config_static_selectorELNS0_4arch9wavefront6targetE1EEEvSJ_ ; -- Begin function _ZN7rocprim17ROCPRIM_400000_NS6detail17trampoline_kernelINS0_14default_configENS1_37merge_sort_block_sort_config_selectorIiNS0_10empty_typeEEEZNS1_21merge_sort_block_sortIS3_N6thrust23THRUST_200600_302600_NS6detail15normal_iteratorINS9_10device_ptrIiEEEESE_PS5_SF_17evens_before_oddsEE10hipError_tT0_T1_T2_T3_mRjT4_P12ihipStream_tbNS1_7vsmem_tEEUlT_E_NS1_11comp_targetILNS1_3genE8ELNS1_11target_archE1030ELNS1_3gpuE2ELNS1_3repE0EEENS1_30default_config_static_selectorELNS0_4arch9wavefront6targetE1EEEvSJ_
	.globl	_ZN7rocprim17ROCPRIM_400000_NS6detail17trampoline_kernelINS0_14default_configENS1_37merge_sort_block_sort_config_selectorIiNS0_10empty_typeEEEZNS1_21merge_sort_block_sortIS3_N6thrust23THRUST_200600_302600_NS6detail15normal_iteratorINS9_10device_ptrIiEEEESE_PS5_SF_17evens_before_oddsEE10hipError_tT0_T1_T2_T3_mRjT4_P12ihipStream_tbNS1_7vsmem_tEEUlT_E_NS1_11comp_targetILNS1_3genE8ELNS1_11target_archE1030ELNS1_3gpuE2ELNS1_3repE0EEENS1_30default_config_static_selectorELNS0_4arch9wavefront6targetE1EEEvSJ_
	.p2align	8
	.type	_ZN7rocprim17ROCPRIM_400000_NS6detail17trampoline_kernelINS0_14default_configENS1_37merge_sort_block_sort_config_selectorIiNS0_10empty_typeEEEZNS1_21merge_sort_block_sortIS3_N6thrust23THRUST_200600_302600_NS6detail15normal_iteratorINS9_10device_ptrIiEEEESE_PS5_SF_17evens_before_oddsEE10hipError_tT0_T1_T2_T3_mRjT4_P12ihipStream_tbNS1_7vsmem_tEEUlT_E_NS1_11comp_targetILNS1_3genE8ELNS1_11target_archE1030ELNS1_3gpuE2ELNS1_3repE0EEENS1_30default_config_static_selectorELNS0_4arch9wavefront6targetE1EEEvSJ_,@function
_ZN7rocprim17ROCPRIM_400000_NS6detail17trampoline_kernelINS0_14default_configENS1_37merge_sort_block_sort_config_selectorIiNS0_10empty_typeEEEZNS1_21merge_sort_block_sortIS3_N6thrust23THRUST_200600_302600_NS6detail15normal_iteratorINS9_10device_ptrIiEEEESE_PS5_SF_17evens_before_oddsEE10hipError_tT0_T1_T2_T3_mRjT4_P12ihipStream_tbNS1_7vsmem_tEEUlT_E_NS1_11comp_targetILNS1_3genE8ELNS1_11target_archE1030ELNS1_3gpuE2ELNS1_3repE0EEENS1_30default_config_static_selectorELNS0_4arch9wavefront6targetE1EEEvSJ_: ; @_ZN7rocprim17ROCPRIM_400000_NS6detail17trampoline_kernelINS0_14default_configENS1_37merge_sort_block_sort_config_selectorIiNS0_10empty_typeEEEZNS1_21merge_sort_block_sortIS3_N6thrust23THRUST_200600_302600_NS6detail15normal_iteratorINS9_10device_ptrIiEEEESE_PS5_SF_17evens_before_oddsEE10hipError_tT0_T1_T2_T3_mRjT4_P12ihipStream_tbNS1_7vsmem_tEEUlT_E_NS1_11comp_targetILNS1_3genE8ELNS1_11target_archE1030ELNS1_3gpuE2ELNS1_3repE0EEENS1_30default_config_static_selectorELNS0_4arch9wavefront6targetE1EEEvSJ_
; %bb.0:
	.section	.rodata,"a",@progbits
	.p2align	6, 0x0
	.amdhsa_kernel _ZN7rocprim17ROCPRIM_400000_NS6detail17trampoline_kernelINS0_14default_configENS1_37merge_sort_block_sort_config_selectorIiNS0_10empty_typeEEEZNS1_21merge_sort_block_sortIS3_N6thrust23THRUST_200600_302600_NS6detail15normal_iteratorINS9_10device_ptrIiEEEESE_PS5_SF_17evens_before_oddsEE10hipError_tT0_T1_T2_T3_mRjT4_P12ihipStream_tbNS1_7vsmem_tEEUlT_E_NS1_11comp_targetILNS1_3genE8ELNS1_11target_archE1030ELNS1_3gpuE2ELNS1_3repE0EEENS1_30default_config_static_selectorELNS0_4arch9wavefront6targetE1EEEvSJ_
		.amdhsa_group_segment_fixed_size 0
		.amdhsa_private_segment_fixed_size 0
		.amdhsa_kernarg_size 64
		.amdhsa_user_sgpr_count 2
		.amdhsa_user_sgpr_dispatch_ptr 0
		.amdhsa_user_sgpr_queue_ptr 0
		.amdhsa_user_sgpr_kernarg_segment_ptr 1
		.amdhsa_user_sgpr_dispatch_id 0
		.amdhsa_user_sgpr_kernarg_preload_length 0
		.amdhsa_user_sgpr_kernarg_preload_offset 0
		.amdhsa_user_sgpr_private_segment_size 0
		.amdhsa_uses_dynamic_stack 0
		.amdhsa_enable_private_segment 0
		.amdhsa_system_sgpr_workgroup_id_x 1
		.amdhsa_system_sgpr_workgroup_id_y 0
		.amdhsa_system_sgpr_workgroup_id_z 0
		.amdhsa_system_sgpr_workgroup_info 0
		.amdhsa_system_vgpr_workitem_id 0
		.amdhsa_next_free_vgpr 1
		.amdhsa_next_free_sgpr 0
		.amdhsa_accum_offset 4
		.amdhsa_reserve_vcc 0
		.amdhsa_float_round_mode_32 0
		.amdhsa_float_round_mode_16_64 0
		.amdhsa_float_denorm_mode_32 3
		.amdhsa_float_denorm_mode_16_64 3
		.amdhsa_dx10_clamp 1
		.amdhsa_ieee_mode 1
		.amdhsa_fp16_overflow 0
		.amdhsa_tg_split 0
		.amdhsa_exception_fp_ieee_invalid_op 0
		.amdhsa_exception_fp_denorm_src 0
		.amdhsa_exception_fp_ieee_div_zero 0
		.amdhsa_exception_fp_ieee_overflow 0
		.amdhsa_exception_fp_ieee_underflow 0
		.amdhsa_exception_fp_ieee_inexact 0
		.amdhsa_exception_int_div_zero 0
	.end_amdhsa_kernel
	.section	.text._ZN7rocprim17ROCPRIM_400000_NS6detail17trampoline_kernelINS0_14default_configENS1_37merge_sort_block_sort_config_selectorIiNS0_10empty_typeEEEZNS1_21merge_sort_block_sortIS3_N6thrust23THRUST_200600_302600_NS6detail15normal_iteratorINS9_10device_ptrIiEEEESE_PS5_SF_17evens_before_oddsEE10hipError_tT0_T1_T2_T3_mRjT4_P12ihipStream_tbNS1_7vsmem_tEEUlT_E_NS1_11comp_targetILNS1_3genE8ELNS1_11target_archE1030ELNS1_3gpuE2ELNS1_3repE0EEENS1_30default_config_static_selectorELNS0_4arch9wavefront6targetE1EEEvSJ_,"axG",@progbits,_ZN7rocprim17ROCPRIM_400000_NS6detail17trampoline_kernelINS0_14default_configENS1_37merge_sort_block_sort_config_selectorIiNS0_10empty_typeEEEZNS1_21merge_sort_block_sortIS3_N6thrust23THRUST_200600_302600_NS6detail15normal_iteratorINS9_10device_ptrIiEEEESE_PS5_SF_17evens_before_oddsEE10hipError_tT0_T1_T2_T3_mRjT4_P12ihipStream_tbNS1_7vsmem_tEEUlT_E_NS1_11comp_targetILNS1_3genE8ELNS1_11target_archE1030ELNS1_3gpuE2ELNS1_3repE0EEENS1_30default_config_static_selectorELNS0_4arch9wavefront6targetE1EEEvSJ_,comdat
.Lfunc_end407:
	.size	_ZN7rocprim17ROCPRIM_400000_NS6detail17trampoline_kernelINS0_14default_configENS1_37merge_sort_block_sort_config_selectorIiNS0_10empty_typeEEEZNS1_21merge_sort_block_sortIS3_N6thrust23THRUST_200600_302600_NS6detail15normal_iteratorINS9_10device_ptrIiEEEESE_PS5_SF_17evens_before_oddsEE10hipError_tT0_T1_T2_T3_mRjT4_P12ihipStream_tbNS1_7vsmem_tEEUlT_E_NS1_11comp_targetILNS1_3genE8ELNS1_11target_archE1030ELNS1_3gpuE2ELNS1_3repE0EEENS1_30default_config_static_selectorELNS0_4arch9wavefront6targetE1EEEvSJ_, .Lfunc_end407-_ZN7rocprim17ROCPRIM_400000_NS6detail17trampoline_kernelINS0_14default_configENS1_37merge_sort_block_sort_config_selectorIiNS0_10empty_typeEEEZNS1_21merge_sort_block_sortIS3_N6thrust23THRUST_200600_302600_NS6detail15normal_iteratorINS9_10device_ptrIiEEEESE_PS5_SF_17evens_before_oddsEE10hipError_tT0_T1_T2_T3_mRjT4_P12ihipStream_tbNS1_7vsmem_tEEUlT_E_NS1_11comp_targetILNS1_3genE8ELNS1_11target_archE1030ELNS1_3gpuE2ELNS1_3repE0EEENS1_30default_config_static_selectorELNS0_4arch9wavefront6targetE1EEEvSJ_
                                        ; -- End function
	.set _ZN7rocprim17ROCPRIM_400000_NS6detail17trampoline_kernelINS0_14default_configENS1_37merge_sort_block_sort_config_selectorIiNS0_10empty_typeEEEZNS1_21merge_sort_block_sortIS3_N6thrust23THRUST_200600_302600_NS6detail15normal_iteratorINS9_10device_ptrIiEEEESE_PS5_SF_17evens_before_oddsEE10hipError_tT0_T1_T2_T3_mRjT4_P12ihipStream_tbNS1_7vsmem_tEEUlT_E_NS1_11comp_targetILNS1_3genE8ELNS1_11target_archE1030ELNS1_3gpuE2ELNS1_3repE0EEENS1_30default_config_static_selectorELNS0_4arch9wavefront6targetE1EEEvSJ_.num_vgpr, 0
	.set _ZN7rocprim17ROCPRIM_400000_NS6detail17trampoline_kernelINS0_14default_configENS1_37merge_sort_block_sort_config_selectorIiNS0_10empty_typeEEEZNS1_21merge_sort_block_sortIS3_N6thrust23THRUST_200600_302600_NS6detail15normal_iteratorINS9_10device_ptrIiEEEESE_PS5_SF_17evens_before_oddsEE10hipError_tT0_T1_T2_T3_mRjT4_P12ihipStream_tbNS1_7vsmem_tEEUlT_E_NS1_11comp_targetILNS1_3genE8ELNS1_11target_archE1030ELNS1_3gpuE2ELNS1_3repE0EEENS1_30default_config_static_selectorELNS0_4arch9wavefront6targetE1EEEvSJ_.num_agpr, 0
	.set _ZN7rocprim17ROCPRIM_400000_NS6detail17trampoline_kernelINS0_14default_configENS1_37merge_sort_block_sort_config_selectorIiNS0_10empty_typeEEEZNS1_21merge_sort_block_sortIS3_N6thrust23THRUST_200600_302600_NS6detail15normal_iteratorINS9_10device_ptrIiEEEESE_PS5_SF_17evens_before_oddsEE10hipError_tT0_T1_T2_T3_mRjT4_P12ihipStream_tbNS1_7vsmem_tEEUlT_E_NS1_11comp_targetILNS1_3genE8ELNS1_11target_archE1030ELNS1_3gpuE2ELNS1_3repE0EEENS1_30default_config_static_selectorELNS0_4arch9wavefront6targetE1EEEvSJ_.numbered_sgpr, 0
	.set _ZN7rocprim17ROCPRIM_400000_NS6detail17trampoline_kernelINS0_14default_configENS1_37merge_sort_block_sort_config_selectorIiNS0_10empty_typeEEEZNS1_21merge_sort_block_sortIS3_N6thrust23THRUST_200600_302600_NS6detail15normal_iteratorINS9_10device_ptrIiEEEESE_PS5_SF_17evens_before_oddsEE10hipError_tT0_T1_T2_T3_mRjT4_P12ihipStream_tbNS1_7vsmem_tEEUlT_E_NS1_11comp_targetILNS1_3genE8ELNS1_11target_archE1030ELNS1_3gpuE2ELNS1_3repE0EEENS1_30default_config_static_selectorELNS0_4arch9wavefront6targetE1EEEvSJ_.num_named_barrier, 0
	.set _ZN7rocprim17ROCPRIM_400000_NS6detail17trampoline_kernelINS0_14default_configENS1_37merge_sort_block_sort_config_selectorIiNS0_10empty_typeEEEZNS1_21merge_sort_block_sortIS3_N6thrust23THRUST_200600_302600_NS6detail15normal_iteratorINS9_10device_ptrIiEEEESE_PS5_SF_17evens_before_oddsEE10hipError_tT0_T1_T2_T3_mRjT4_P12ihipStream_tbNS1_7vsmem_tEEUlT_E_NS1_11comp_targetILNS1_3genE8ELNS1_11target_archE1030ELNS1_3gpuE2ELNS1_3repE0EEENS1_30default_config_static_selectorELNS0_4arch9wavefront6targetE1EEEvSJ_.private_seg_size, 0
	.set _ZN7rocprim17ROCPRIM_400000_NS6detail17trampoline_kernelINS0_14default_configENS1_37merge_sort_block_sort_config_selectorIiNS0_10empty_typeEEEZNS1_21merge_sort_block_sortIS3_N6thrust23THRUST_200600_302600_NS6detail15normal_iteratorINS9_10device_ptrIiEEEESE_PS5_SF_17evens_before_oddsEE10hipError_tT0_T1_T2_T3_mRjT4_P12ihipStream_tbNS1_7vsmem_tEEUlT_E_NS1_11comp_targetILNS1_3genE8ELNS1_11target_archE1030ELNS1_3gpuE2ELNS1_3repE0EEENS1_30default_config_static_selectorELNS0_4arch9wavefront6targetE1EEEvSJ_.uses_vcc, 0
	.set _ZN7rocprim17ROCPRIM_400000_NS6detail17trampoline_kernelINS0_14default_configENS1_37merge_sort_block_sort_config_selectorIiNS0_10empty_typeEEEZNS1_21merge_sort_block_sortIS3_N6thrust23THRUST_200600_302600_NS6detail15normal_iteratorINS9_10device_ptrIiEEEESE_PS5_SF_17evens_before_oddsEE10hipError_tT0_T1_T2_T3_mRjT4_P12ihipStream_tbNS1_7vsmem_tEEUlT_E_NS1_11comp_targetILNS1_3genE8ELNS1_11target_archE1030ELNS1_3gpuE2ELNS1_3repE0EEENS1_30default_config_static_selectorELNS0_4arch9wavefront6targetE1EEEvSJ_.uses_flat_scratch, 0
	.set _ZN7rocprim17ROCPRIM_400000_NS6detail17trampoline_kernelINS0_14default_configENS1_37merge_sort_block_sort_config_selectorIiNS0_10empty_typeEEEZNS1_21merge_sort_block_sortIS3_N6thrust23THRUST_200600_302600_NS6detail15normal_iteratorINS9_10device_ptrIiEEEESE_PS5_SF_17evens_before_oddsEE10hipError_tT0_T1_T2_T3_mRjT4_P12ihipStream_tbNS1_7vsmem_tEEUlT_E_NS1_11comp_targetILNS1_3genE8ELNS1_11target_archE1030ELNS1_3gpuE2ELNS1_3repE0EEENS1_30default_config_static_selectorELNS0_4arch9wavefront6targetE1EEEvSJ_.has_dyn_sized_stack, 0
	.set _ZN7rocprim17ROCPRIM_400000_NS6detail17trampoline_kernelINS0_14default_configENS1_37merge_sort_block_sort_config_selectorIiNS0_10empty_typeEEEZNS1_21merge_sort_block_sortIS3_N6thrust23THRUST_200600_302600_NS6detail15normal_iteratorINS9_10device_ptrIiEEEESE_PS5_SF_17evens_before_oddsEE10hipError_tT0_T1_T2_T3_mRjT4_P12ihipStream_tbNS1_7vsmem_tEEUlT_E_NS1_11comp_targetILNS1_3genE8ELNS1_11target_archE1030ELNS1_3gpuE2ELNS1_3repE0EEENS1_30default_config_static_selectorELNS0_4arch9wavefront6targetE1EEEvSJ_.has_recursion, 0
	.set _ZN7rocprim17ROCPRIM_400000_NS6detail17trampoline_kernelINS0_14default_configENS1_37merge_sort_block_sort_config_selectorIiNS0_10empty_typeEEEZNS1_21merge_sort_block_sortIS3_N6thrust23THRUST_200600_302600_NS6detail15normal_iteratorINS9_10device_ptrIiEEEESE_PS5_SF_17evens_before_oddsEE10hipError_tT0_T1_T2_T3_mRjT4_P12ihipStream_tbNS1_7vsmem_tEEUlT_E_NS1_11comp_targetILNS1_3genE8ELNS1_11target_archE1030ELNS1_3gpuE2ELNS1_3repE0EEENS1_30default_config_static_selectorELNS0_4arch9wavefront6targetE1EEEvSJ_.has_indirect_call, 0
	.section	.AMDGPU.csdata,"",@progbits
; Kernel info:
; codeLenInByte = 0
; TotalNumSgprs: 6
; NumVgprs: 0
; NumAgprs: 0
; TotalNumVgprs: 0
; ScratchSize: 0
; MemoryBound: 0
; FloatMode: 240
; IeeeMode: 1
; LDSByteSize: 0 bytes/workgroup (compile time only)
; SGPRBlocks: 0
; VGPRBlocks: 0
; NumSGPRsForWavesPerEU: 6
; NumVGPRsForWavesPerEU: 1
; AccumOffset: 4
; Occupancy: 8
; WaveLimiterHint : 0
; COMPUTE_PGM_RSRC2:SCRATCH_EN: 0
; COMPUTE_PGM_RSRC2:USER_SGPR: 2
; COMPUTE_PGM_RSRC2:TRAP_HANDLER: 0
; COMPUTE_PGM_RSRC2:TGID_X_EN: 1
; COMPUTE_PGM_RSRC2:TGID_Y_EN: 0
; COMPUTE_PGM_RSRC2:TGID_Z_EN: 0
; COMPUTE_PGM_RSRC2:TIDIG_COMP_CNT: 0
; COMPUTE_PGM_RSRC3_GFX90A:ACCUM_OFFSET: 0
; COMPUTE_PGM_RSRC3_GFX90A:TG_SPLIT: 0
	.section	.text._ZN7rocprim17ROCPRIM_400000_NS6detail17trampoline_kernelINS0_14default_configENS1_38merge_sort_block_merge_config_selectorIiNS0_10empty_typeEEEZZNS1_27merge_sort_block_merge_implIS3_N6thrust23THRUST_200600_302600_NS6detail15normal_iteratorINS9_10device_ptrIiEEEEPS5_m17evens_before_oddsEE10hipError_tT0_T1_T2_jT3_P12ihipStream_tbPNSt15iterator_traitsISI_E10value_typeEPNSO_ISJ_E10value_typeEPSK_NS1_7vsmem_tEENKUlT_SI_SJ_SK_E_clIPiSE_SF_SF_EESH_SX_SI_SJ_SK_EUlSX_E_NS1_11comp_targetILNS1_3genE0ELNS1_11target_archE4294967295ELNS1_3gpuE0ELNS1_3repE0EEENS1_48merge_mergepath_partition_config_static_selectorELNS0_4arch9wavefront6targetE1EEEvSJ_,"axG",@progbits,_ZN7rocprim17ROCPRIM_400000_NS6detail17trampoline_kernelINS0_14default_configENS1_38merge_sort_block_merge_config_selectorIiNS0_10empty_typeEEEZZNS1_27merge_sort_block_merge_implIS3_N6thrust23THRUST_200600_302600_NS6detail15normal_iteratorINS9_10device_ptrIiEEEEPS5_m17evens_before_oddsEE10hipError_tT0_T1_T2_jT3_P12ihipStream_tbPNSt15iterator_traitsISI_E10value_typeEPNSO_ISJ_E10value_typeEPSK_NS1_7vsmem_tEENKUlT_SI_SJ_SK_E_clIPiSE_SF_SF_EESH_SX_SI_SJ_SK_EUlSX_E_NS1_11comp_targetILNS1_3genE0ELNS1_11target_archE4294967295ELNS1_3gpuE0ELNS1_3repE0EEENS1_48merge_mergepath_partition_config_static_selectorELNS0_4arch9wavefront6targetE1EEEvSJ_,comdat
	.protected	_ZN7rocprim17ROCPRIM_400000_NS6detail17trampoline_kernelINS0_14default_configENS1_38merge_sort_block_merge_config_selectorIiNS0_10empty_typeEEEZZNS1_27merge_sort_block_merge_implIS3_N6thrust23THRUST_200600_302600_NS6detail15normal_iteratorINS9_10device_ptrIiEEEEPS5_m17evens_before_oddsEE10hipError_tT0_T1_T2_jT3_P12ihipStream_tbPNSt15iterator_traitsISI_E10value_typeEPNSO_ISJ_E10value_typeEPSK_NS1_7vsmem_tEENKUlT_SI_SJ_SK_E_clIPiSE_SF_SF_EESH_SX_SI_SJ_SK_EUlSX_E_NS1_11comp_targetILNS1_3genE0ELNS1_11target_archE4294967295ELNS1_3gpuE0ELNS1_3repE0EEENS1_48merge_mergepath_partition_config_static_selectorELNS0_4arch9wavefront6targetE1EEEvSJ_ ; -- Begin function _ZN7rocprim17ROCPRIM_400000_NS6detail17trampoline_kernelINS0_14default_configENS1_38merge_sort_block_merge_config_selectorIiNS0_10empty_typeEEEZZNS1_27merge_sort_block_merge_implIS3_N6thrust23THRUST_200600_302600_NS6detail15normal_iteratorINS9_10device_ptrIiEEEEPS5_m17evens_before_oddsEE10hipError_tT0_T1_T2_jT3_P12ihipStream_tbPNSt15iterator_traitsISI_E10value_typeEPNSO_ISJ_E10value_typeEPSK_NS1_7vsmem_tEENKUlT_SI_SJ_SK_E_clIPiSE_SF_SF_EESH_SX_SI_SJ_SK_EUlSX_E_NS1_11comp_targetILNS1_3genE0ELNS1_11target_archE4294967295ELNS1_3gpuE0ELNS1_3repE0EEENS1_48merge_mergepath_partition_config_static_selectorELNS0_4arch9wavefront6targetE1EEEvSJ_
	.globl	_ZN7rocprim17ROCPRIM_400000_NS6detail17trampoline_kernelINS0_14default_configENS1_38merge_sort_block_merge_config_selectorIiNS0_10empty_typeEEEZZNS1_27merge_sort_block_merge_implIS3_N6thrust23THRUST_200600_302600_NS6detail15normal_iteratorINS9_10device_ptrIiEEEEPS5_m17evens_before_oddsEE10hipError_tT0_T1_T2_jT3_P12ihipStream_tbPNSt15iterator_traitsISI_E10value_typeEPNSO_ISJ_E10value_typeEPSK_NS1_7vsmem_tEENKUlT_SI_SJ_SK_E_clIPiSE_SF_SF_EESH_SX_SI_SJ_SK_EUlSX_E_NS1_11comp_targetILNS1_3genE0ELNS1_11target_archE4294967295ELNS1_3gpuE0ELNS1_3repE0EEENS1_48merge_mergepath_partition_config_static_selectorELNS0_4arch9wavefront6targetE1EEEvSJ_
	.p2align	8
	.type	_ZN7rocprim17ROCPRIM_400000_NS6detail17trampoline_kernelINS0_14default_configENS1_38merge_sort_block_merge_config_selectorIiNS0_10empty_typeEEEZZNS1_27merge_sort_block_merge_implIS3_N6thrust23THRUST_200600_302600_NS6detail15normal_iteratorINS9_10device_ptrIiEEEEPS5_m17evens_before_oddsEE10hipError_tT0_T1_T2_jT3_P12ihipStream_tbPNSt15iterator_traitsISI_E10value_typeEPNSO_ISJ_E10value_typeEPSK_NS1_7vsmem_tEENKUlT_SI_SJ_SK_E_clIPiSE_SF_SF_EESH_SX_SI_SJ_SK_EUlSX_E_NS1_11comp_targetILNS1_3genE0ELNS1_11target_archE4294967295ELNS1_3gpuE0ELNS1_3repE0EEENS1_48merge_mergepath_partition_config_static_selectorELNS0_4arch9wavefront6targetE1EEEvSJ_,@function
_ZN7rocprim17ROCPRIM_400000_NS6detail17trampoline_kernelINS0_14default_configENS1_38merge_sort_block_merge_config_selectorIiNS0_10empty_typeEEEZZNS1_27merge_sort_block_merge_implIS3_N6thrust23THRUST_200600_302600_NS6detail15normal_iteratorINS9_10device_ptrIiEEEEPS5_m17evens_before_oddsEE10hipError_tT0_T1_T2_jT3_P12ihipStream_tbPNSt15iterator_traitsISI_E10value_typeEPNSO_ISJ_E10value_typeEPSK_NS1_7vsmem_tEENKUlT_SI_SJ_SK_E_clIPiSE_SF_SF_EESH_SX_SI_SJ_SK_EUlSX_E_NS1_11comp_targetILNS1_3genE0ELNS1_11target_archE4294967295ELNS1_3gpuE0ELNS1_3repE0EEENS1_48merge_mergepath_partition_config_static_selectorELNS0_4arch9wavefront6targetE1EEEvSJ_: ; @_ZN7rocprim17ROCPRIM_400000_NS6detail17trampoline_kernelINS0_14default_configENS1_38merge_sort_block_merge_config_selectorIiNS0_10empty_typeEEEZZNS1_27merge_sort_block_merge_implIS3_N6thrust23THRUST_200600_302600_NS6detail15normal_iteratorINS9_10device_ptrIiEEEEPS5_m17evens_before_oddsEE10hipError_tT0_T1_T2_jT3_P12ihipStream_tbPNSt15iterator_traitsISI_E10value_typeEPNSO_ISJ_E10value_typeEPSK_NS1_7vsmem_tEENKUlT_SI_SJ_SK_E_clIPiSE_SF_SF_EESH_SX_SI_SJ_SK_EUlSX_E_NS1_11comp_targetILNS1_3genE0ELNS1_11target_archE4294967295ELNS1_3gpuE0ELNS1_3repE0EEENS1_48merge_mergepath_partition_config_static_selectorELNS0_4arch9wavefront6targetE1EEEvSJ_
; %bb.0:
	s_load_dword s3, s[0:1], 0x0
	v_lshl_or_b32 v0, s2, 7, v0
	s_waitcnt lgkmcnt(0)
	v_cmp_gt_u32_e32 vcc, s3, v0
	s_and_saveexec_b64 s[2:3], vcc
	s_cbranch_execz .LBB408_6
; %bb.1:
	s_load_dwordx4 s[4:7], s[0:1], 0x8
	s_load_dwordx2 s[2:3], s[0:1], 0x28
	v_mov_b32_e32 v5, 0
	v_mov_b32_e32 v7, v5
	s_waitcnt lgkmcnt(0)
	s_lshr_b64 s[8:9], s[4:5], 9
	s_and_b32 s8, s8, -2
	s_add_i32 s9, s8, -1
	s_sub_i32 s8, 0, s8
	v_and_b32_e32 v4, s8, v0
	v_lshlrev_b64 v[8:9], 10, v[4:5]
	v_mov_b32_e32 v1, s7
	v_cmp_lt_u64_e32 vcc, s[6:7], v[8:9]
	v_mov_b32_e32 v4, s6
	v_and_b32_e32 v6, s9, v0
	v_cndmask_b32_e32 v3, v9, v1, vcc
	v_cndmask_b32_e32 v2, v8, v4, vcc
	v_lshl_add_u64 v[8:9], v[8:9], 0, s[4:5]
	v_cmp_lt_u64_e32 vcc, s[6:7], v[8:9]
	s_nop 1
	v_cndmask_b32_e32 v11, v9, v1, vcc
	v_cndmask_b32_e32 v10, v8, v4, vcc
	v_lshl_add_u64 v[8:9], v[10:11], 0, s[4:5]
	v_cmp_lt_u64_e32 vcc, s[6:7], v[8:9]
	s_nop 1
	v_cndmask_b32_e32 v14, v8, v4, vcc
	v_cndmask_b32_e32 v1, v9, v1, vcc
	v_sub_co_u32_e32 v8, vcc, v14, v2
	v_lshlrev_b64 v[4:5], 10, v[6:7]
	s_nop 0
	v_subb_co_u32_e32 v9, vcc, v1, v3, vcc
	v_cmp_lt_u64_e32 vcc, v[8:9], v[4:5]
	s_nop 1
	v_cndmask_b32_e32 v13, v5, v9, vcc
	v_cndmask_b32_e32 v12, v4, v8, vcc
	v_sub_co_u32_e32 v6, vcc, v10, v2
	s_nop 1
	v_subb_co_u32_e32 v7, vcc, v11, v3, vcc
	v_sub_co_u32_e32 v4, vcc, v10, v14
	s_nop 1
	v_subb_co_u32_e32 v5, vcc, v11, v1, vcc
	v_lshl_add_u64 v[4:5], v[12:13], 0, v[4:5]
	v_cmp_gt_u64_e32 vcc, v[4:5], v[12:13]
	s_nop 1
	v_cndmask_b32_e64 v5, v5, 0, vcc
	v_cndmask_b32_e64 v4, v4, 0, vcc
	v_cmp_lt_u64_e32 vcc, v[12:13], v[6:7]
	s_nop 1
	v_cndmask_b32_e32 v7, v7, v13, vcc
	v_cndmask_b32_e32 v6, v6, v12, vcc
	v_cmp_lt_u64_e32 vcc, v[4:5], v[6:7]
	s_and_saveexec_b64 s[4:5], vcc
	s_cbranch_execz .LBB408_5
; %bb.2:
	s_load_dwordx2 s[0:1], s[0:1], 0x18
	s_waitcnt lgkmcnt(0)
	v_lshl_add_u64 v[10:11], v[10:11], 2, s[0:1]
	v_lshl_add_u64 v[8:9], v[2:3], 2, s[0:1]
	;; [unrolled: 1-line block ×3, first 2 shown]
	s_mov_b64 s[0:1], 0
.LBB408_3:                              ; =>This Inner Loop Header: Depth=1
	v_lshl_add_u64 v[12:13], v[6:7], 0, v[4:5]
	v_lshrrev_b64 v[12:13], 1, v[12:13]
	v_lshlrev_b64 v[14:15], 2, v[12:13]
	v_lshl_add_u64 v[16:17], v[8:9], 0, v[14:15]
	v_xor_b32_e32 v15, -1, v15
	v_xor_b32_e32 v14, -4, v14
	v_lshl_add_u64 v[14:15], v[10:11], 0, v[14:15]
	global_load_dword v1, v[16:17], off
	global_load_dword v18, v[14:15], off
	v_lshl_add_u64 v[14:15], v[12:13], 0, 1
	s_waitcnt vmcnt(1)
	v_lshrrev_b32_e32 v16, 31, v1
	s_waitcnt vmcnt(0)
	v_lshrrev_b32_e32 v17, 31, v18
	v_add_u32_e32 v16, v1, v16
	v_add_u32_e32 v17, v18, v17
	v_and_b32_e32 v16, -2, v16
	v_and_b32_e32 v17, -2, v17
	v_cmp_lt_i32_e32 vcc, v18, v1
	v_sub_u32_e32 v1, v1, v16
	v_sub_u32_e32 v16, v18, v17
	v_cndmask_b32_e64 v19, 0, 1, vcc
	v_cmp_eq_u32_e32 vcc, 0, v16
	s_nop 1
	v_cndmask_b32_e64 v17, 0, 1, vcc
	v_cmp_eq_u32_e32 vcc, v16, v1
	s_nop 1
	v_cndmask_b32_e32 v1, v17, v19, vcc
	v_and_b32_e32 v1, 1, v1
	v_cmp_eq_u32_e32 vcc, 1, v1
	s_nop 1
	v_cndmask_b32_e32 v7, v7, v13, vcc
	v_cndmask_b32_e32 v6, v6, v12, vcc
	;; [unrolled: 1-line block ×4, first 2 shown]
	v_cmp_ge_u64_e32 vcc, v[4:5], v[6:7]
	s_or_b64 s[0:1], vcc, s[0:1]
	s_andn2_b64 exec, exec, s[0:1]
	s_cbranch_execnz .LBB408_3
; %bb.4:
	s_or_b64 exec, exec, s[0:1]
.LBB408_5:
	s_or_b64 exec, exec, s[4:5]
	v_mov_b32_e32 v1, 0
	v_lshl_add_u64 v[2:3], v[4:5], 0, v[2:3]
	v_lshl_add_u64 v[0:1], v[0:1], 3, s[2:3]
	global_store_dwordx2 v[0:1], v[2:3], off
.LBB408_6:
	s_endpgm
	.section	.rodata,"a",@progbits
	.p2align	6, 0x0
	.amdhsa_kernel _ZN7rocprim17ROCPRIM_400000_NS6detail17trampoline_kernelINS0_14default_configENS1_38merge_sort_block_merge_config_selectorIiNS0_10empty_typeEEEZZNS1_27merge_sort_block_merge_implIS3_N6thrust23THRUST_200600_302600_NS6detail15normal_iteratorINS9_10device_ptrIiEEEEPS5_m17evens_before_oddsEE10hipError_tT0_T1_T2_jT3_P12ihipStream_tbPNSt15iterator_traitsISI_E10value_typeEPNSO_ISJ_E10value_typeEPSK_NS1_7vsmem_tEENKUlT_SI_SJ_SK_E_clIPiSE_SF_SF_EESH_SX_SI_SJ_SK_EUlSX_E_NS1_11comp_targetILNS1_3genE0ELNS1_11target_archE4294967295ELNS1_3gpuE0ELNS1_3repE0EEENS1_48merge_mergepath_partition_config_static_selectorELNS0_4arch9wavefront6targetE1EEEvSJ_
		.amdhsa_group_segment_fixed_size 0
		.amdhsa_private_segment_fixed_size 0
		.amdhsa_kernarg_size 48
		.amdhsa_user_sgpr_count 2
		.amdhsa_user_sgpr_dispatch_ptr 0
		.amdhsa_user_sgpr_queue_ptr 0
		.amdhsa_user_sgpr_kernarg_segment_ptr 1
		.amdhsa_user_sgpr_dispatch_id 0
		.amdhsa_user_sgpr_kernarg_preload_length 0
		.amdhsa_user_sgpr_kernarg_preload_offset 0
		.amdhsa_user_sgpr_private_segment_size 0
		.amdhsa_uses_dynamic_stack 0
		.amdhsa_enable_private_segment 0
		.amdhsa_system_sgpr_workgroup_id_x 1
		.amdhsa_system_sgpr_workgroup_id_y 0
		.amdhsa_system_sgpr_workgroup_id_z 0
		.amdhsa_system_sgpr_workgroup_info 0
		.amdhsa_system_vgpr_workitem_id 0
		.amdhsa_next_free_vgpr 20
		.amdhsa_next_free_sgpr 10
		.amdhsa_accum_offset 20
		.amdhsa_reserve_vcc 1
		.amdhsa_float_round_mode_32 0
		.amdhsa_float_round_mode_16_64 0
		.amdhsa_float_denorm_mode_32 3
		.amdhsa_float_denorm_mode_16_64 3
		.amdhsa_dx10_clamp 1
		.amdhsa_ieee_mode 1
		.amdhsa_fp16_overflow 0
		.amdhsa_tg_split 0
		.amdhsa_exception_fp_ieee_invalid_op 0
		.amdhsa_exception_fp_denorm_src 0
		.amdhsa_exception_fp_ieee_div_zero 0
		.amdhsa_exception_fp_ieee_overflow 0
		.amdhsa_exception_fp_ieee_underflow 0
		.amdhsa_exception_fp_ieee_inexact 0
		.amdhsa_exception_int_div_zero 0
	.end_amdhsa_kernel
	.section	.text._ZN7rocprim17ROCPRIM_400000_NS6detail17trampoline_kernelINS0_14default_configENS1_38merge_sort_block_merge_config_selectorIiNS0_10empty_typeEEEZZNS1_27merge_sort_block_merge_implIS3_N6thrust23THRUST_200600_302600_NS6detail15normal_iteratorINS9_10device_ptrIiEEEEPS5_m17evens_before_oddsEE10hipError_tT0_T1_T2_jT3_P12ihipStream_tbPNSt15iterator_traitsISI_E10value_typeEPNSO_ISJ_E10value_typeEPSK_NS1_7vsmem_tEENKUlT_SI_SJ_SK_E_clIPiSE_SF_SF_EESH_SX_SI_SJ_SK_EUlSX_E_NS1_11comp_targetILNS1_3genE0ELNS1_11target_archE4294967295ELNS1_3gpuE0ELNS1_3repE0EEENS1_48merge_mergepath_partition_config_static_selectorELNS0_4arch9wavefront6targetE1EEEvSJ_,"axG",@progbits,_ZN7rocprim17ROCPRIM_400000_NS6detail17trampoline_kernelINS0_14default_configENS1_38merge_sort_block_merge_config_selectorIiNS0_10empty_typeEEEZZNS1_27merge_sort_block_merge_implIS3_N6thrust23THRUST_200600_302600_NS6detail15normal_iteratorINS9_10device_ptrIiEEEEPS5_m17evens_before_oddsEE10hipError_tT0_T1_T2_jT3_P12ihipStream_tbPNSt15iterator_traitsISI_E10value_typeEPNSO_ISJ_E10value_typeEPSK_NS1_7vsmem_tEENKUlT_SI_SJ_SK_E_clIPiSE_SF_SF_EESH_SX_SI_SJ_SK_EUlSX_E_NS1_11comp_targetILNS1_3genE0ELNS1_11target_archE4294967295ELNS1_3gpuE0ELNS1_3repE0EEENS1_48merge_mergepath_partition_config_static_selectorELNS0_4arch9wavefront6targetE1EEEvSJ_,comdat
.Lfunc_end408:
	.size	_ZN7rocprim17ROCPRIM_400000_NS6detail17trampoline_kernelINS0_14default_configENS1_38merge_sort_block_merge_config_selectorIiNS0_10empty_typeEEEZZNS1_27merge_sort_block_merge_implIS3_N6thrust23THRUST_200600_302600_NS6detail15normal_iteratorINS9_10device_ptrIiEEEEPS5_m17evens_before_oddsEE10hipError_tT0_T1_T2_jT3_P12ihipStream_tbPNSt15iterator_traitsISI_E10value_typeEPNSO_ISJ_E10value_typeEPSK_NS1_7vsmem_tEENKUlT_SI_SJ_SK_E_clIPiSE_SF_SF_EESH_SX_SI_SJ_SK_EUlSX_E_NS1_11comp_targetILNS1_3genE0ELNS1_11target_archE4294967295ELNS1_3gpuE0ELNS1_3repE0EEENS1_48merge_mergepath_partition_config_static_selectorELNS0_4arch9wavefront6targetE1EEEvSJ_, .Lfunc_end408-_ZN7rocprim17ROCPRIM_400000_NS6detail17trampoline_kernelINS0_14default_configENS1_38merge_sort_block_merge_config_selectorIiNS0_10empty_typeEEEZZNS1_27merge_sort_block_merge_implIS3_N6thrust23THRUST_200600_302600_NS6detail15normal_iteratorINS9_10device_ptrIiEEEEPS5_m17evens_before_oddsEE10hipError_tT0_T1_T2_jT3_P12ihipStream_tbPNSt15iterator_traitsISI_E10value_typeEPNSO_ISJ_E10value_typeEPSK_NS1_7vsmem_tEENKUlT_SI_SJ_SK_E_clIPiSE_SF_SF_EESH_SX_SI_SJ_SK_EUlSX_E_NS1_11comp_targetILNS1_3genE0ELNS1_11target_archE4294967295ELNS1_3gpuE0ELNS1_3repE0EEENS1_48merge_mergepath_partition_config_static_selectorELNS0_4arch9wavefront6targetE1EEEvSJ_
                                        ; -- End function
	.set _ZN7rocprim17ROCPRIM_400000_NS6detail17trampoline_kernelINS0_14default_configENS1_38merge_sort_block_merge_config_selectorIiNS0_10empty_typeEEEZZNS1_27merge_sort_block_merge_implIS3_N6thrust23THRUST_200600_302600_NS6detail15normal_iteratorINS9_10device_ptrIiEEEEPS5_m17evens_before_oddsEE10hipError_tT0_T1_T2_jT3_P12ihipStream_tbPNSt15iterator_traitsISI_E10value_typeEPNSO_ISJ_E10value_typeEPSK_NS1_7vsmem_tEENKUlT_SI_SJ_SK_E_clIPiSE_SF_SF_EESH_SX_SI_SJ_SK_EUlSX_E_NS1_11comp_targetILNS1_3genE0ELNS1_11target_archE4294967295ELNS1_3gpuE0ELNS1_3repE0EEENS1_48merge_mergepath_partition_config_static_selectorELNS0_4arch9wavefront6targetE1EEEvSJ_.num_vgpr, 20
	.set _ZN7rocprim17ROCPRIM_400000_NS6detail17trampoline_kernelINS0_14default_configENS1_38merge_sort_block_merge_config_selectorIiNS0_10empty_typeEEEZZNS1_27merge_sort_block_merge_implIS3_N6thrust23THRUST_200600_302600_NS6detail15normal_iteratorINS9_10device_ptrIiEEEEPS5_m17evens_before_oddsEE10hipError_tT0_T1_T2_jT3_P12ihipStream_tbPNSt15iterator_traitsISI_E10value_typeEPNSO_ISJ_E10value_typeEPSK_NS1_7vsmem_tEENKUlT_SI_SJ_SK_E_clIPiSE_SF_SF_EESH_SX_SI_SJ_SK_EUlSX_E_NS1_11comp_targetILNS1_3genE0ELNS1_11target_archE4294967295ELNS1_3gpuE0ELNS1_3repE0EEENS1_48merge_mergepath_partition_config_static_selectorELNS0_4arch9wavefront6targetE1EEEvSJ_.num_agpr, 0
	.set _ZN7rocprim17ROCPRIM_400000_NS6detail17trampoline_kernelINS0_14default_configENS1_38merge_sort_block_merge_config_selectorIiNS0_10empty_typeEEEZZNS1_27merge_sort_block_merge_implIS3_N6thrust23THRUST_200600_302600_NS6detail15normal_iteratorINS9_10device_ptrIiEEEEPS5_m17evens_before_oddsEE10hipError_tT0_T1_T2_jT3_P12ihipStream_tbPNSt15iterator_traitsISI_E10value_typeEPNSO_ISJ_E10value_typeEPSK_NS1_7vsmem_tEENKUlT_SI_SJ_SK_E_clIPiSE_SF_SF_EESH_SX_SI_SJ_SK_EUlSX_E_NS1_11comp_targetILNS1_3genE0ELNS1_11target_archE4294967295ELNS1_3gpuE0ELNS1_3repE0EEENS1_48merge_mergepath_partition_config_static_selectorELNS0_4arch9wavefront6targetE1EEEvSJ_.numbered_sgpr, 10
	.set _ZN7rocprim17ROCPRIM_400000_NS6detail17trampoline_kernelINS0_14default_configENS1_38merge_sort_block_merge_config_selectorIiNS0_10empty_typeEEEZZNS1_27merge_sort_block_merge_implIS3_N6thrust23THRUST_200600_302600_NS6detail15normal_iteratorINS9_10device_ptrIiEEEEPS5_m17evens_before_oddsEE10hipError_tT0_T1_T2_jT3_P12ihipStream_tbPNSt15iterator_traitsISI_E10value_typeEPNSO_ISJ_E10value_typeEPSK_NS1_7vsmem_tEENKUlT_SI_SJ_SK_E_clIPiSE_SF_SF_EESH_SX_SI_SJ_SK_EUlSX_E_NS1_11comp_targetILNS1_3genE0ELNS1_11target_archE4294967295ELNS1_3gpuE0ELNS1_3repE0EEENS1_48merge_mergepath_partition_config_static_selectorELNS0_4arch9wavefront6targetE1EEEvSJ_.num_named_barrier, 0
	.set _ZN7rocprim17ROCPRIM_400000_NS6detail17trampoline_kernelINS0_14default_configENS1_38merge_sort_block_merge_config_selectorIiNS0_10empty_typeEEEZZNS1_27merge_sort_block_merge_implIS3_N6thrust23THRUST_200600_302600_NS6detail15normal_iteratorINS9_10device_ptrIiEEEEPS5_m17evens_before_oddsEE10hipError_tT0_T1_T2_jT3_P12ihipStream_tbPNSt15iterator_traitsISI_E10value_typeEPNSO_ISJ_E10value_typeEPSK_NS1_7vsmem_tEENKUlT_SI_SJ_SK_E_clIPiSE_SF_SF_EESH_SX_SI_SJ_SK_EUlSX_E_NS1_11comp_targetILNS1_3genE0ELNS1_11target_archE4294967295ELNS1_3gpuE0ELNS1_3repE0EEENS1_48merge_mergepath_partition_config_static_selectorELNS0_4arch9wavefront6targetE1EEEvSJ_.private_seg_size, 0
	.set _ZN7rocprim17ROCPRIM_400000_NS6detail17trampoline_kernelINS0_14default_configENS1_38merge_sort_block_merge_config_selectorIiNS0_10empty_typeEEEZZNS1_27merge_sort_block_merge_implIS3_N6thrust23THRUST_200600_302600_NS6detail15normal_iteratorINS9_10device_ptrIiEEEEPS5_m17evens_before_oddsEE10hipError_tT0_T1_T2_jT3_P12ihipStream_tbPNSt15iterator_traitsISI_E10value_typeEPNSO_ISJ_E10value_typeEPSK_NS1_7vsmem_tEENKUlT_SI_SJ_SK_E_clIPiSE_SF_SF_EESH_SX_SI_SJ_SK_EUlSX_E_NS1_11comp_targetILNS1_3genE0ELNS1_11target_archE4294967295ELNS1_3gpuE0ELNS1_3repE0EEENS1_48merge_mergepath_partition_config_static_selectorELNS0_4arch9wavefront6targetE1EEEvSJ_.uses_vcc, 1
	.set _ZN7rocprim17ROCPRIM_400000_NS6detail17trampoline_kernelINS0_14default_configENS1_38merge_sort_block_merge_config_selectorIiNS0_10empty_typeEEEZZNS1_27merge_sort_block_merge_implIS3_N6thrust23THRUST_200600_302600_NS6detail15normal_iteratorINS9_10device_ptrIiEEEEPS5_m17evens_before_oddsEE10hipError_tT0_T1_T2_jT3_P12ihipStream_tbPNSt15iterator_traitsISI_E10value_typeEPNSO_ISJ_E10value_typeEPSK_NS1_7vsmem_tEENKUlT_SI_SJ_SK_E_clIPiSE_SF_SF_EESH_SX_SI_SJ_SK_EUlSX_E_NS1_11comp_targetILNS1_3genE0ELNS1_11target_archE4294967295ELNS1_3gpuE0ELNS1_3repE0EEENS1_48merge_mergepath_partition_config_static_selectorELNS0_4arch9wavefront6targetE1EEEvSJ_.uses_flat_scratch, 0
	.set _ZN7rocprim17ROCPRIM_400000_NS6detail17trampoline_kernelINS0_14default_configENS1_38merge_sort_block_merge_config_selectorIiNS0_10empty_typeEEEZZNS1_27merge_sort_block_merge_implIS3_N6thrust23THRUST_200600_302600_NS6detail15normal_iteratorINS9_10device_ptrIiEEEEPS5_m17evens_before_oddsEE10hipError_tT0_T1_T2_jT3_P12ihipStream_tbPNSt15iterator_traitsISI_E10value_typeEPNSO_ISJ_E10value_typeEPSK_NS1_7vsmem_tEENKUlT_SI_SJ_SK_E_clIPiSE_SF_SF_EESH_SX_SI_SJ_SK_EUlSX_E_NS1_11comp_targetILNS1_3genE0ELNS1_11target_archE4294967295ELNS1_3gpuE0ELNS1_3repE0EEENS1_48merge_mergepath_partition_config_static_selectorELNS0_4arch9wavefront6targetE1EEEvSJ_.has_dyn_sized_stack, 0
	.set _ZN7rocprim17ROCPRIM_400000_NS6detail17trampoline_kernelINS0_14default_configENS1_38merge_sort_block_merge_config_selectorIiNS0_10empty_typeEEEZZNS1_27merge_sort_block_merge_implIS3_N6thrust23THRUST_200600_302600_NS6detail15normal_iteratorINS9_10device_ptrIiEEEEPS5_m17evens_before_oddsEE10hipError_tT0_T1_T2_jT3_P12ihipStream_tbPNSt15iterator_traitsISI_E10value_typeEPNSO_ISJ_E10value_typeEPSK_NS1_7vsmem_tEENKUlT_SI_SJ_SK_E_clIPiSE_SF_SF_EESH_SX_SI_SJ_SK_EUlSX_E_NS1_11comp_targetILNS1_3genE0ELNS1_11target_archE4294967295ELNS1_3gpuE0ELNS1_3repE0EEENS1_48merge_mergepath_partition_config_static_selectorELNS0_4arch9wavefront6targetE1EEEvSJ_.has_recursion, 0
	.set _ZN7rocprim17ROCPRIM_400000_NS6detail17trampoline_kernelINS0_14default_configENS1_38merge_sort_block_merge_config_selectorIiNS0_10empty_typeEEEZZNS1_27merge_sort_block_merge_implIS3_N6thrust23THRUST_200600_302600_NS6detail15normal_iteratorINS9_10device_ptrIiEEEEPS5_m17evens_before_oddsEE10hipError_tT0_T1_T2_jT3_P12ihipStream_tbPNSt15iterator_traitsISI_E10value_typeEPNSO_ISJ_E10value_typeEPSK_NS1_7vsmem_tEENKUlT_SI_SJ_SK_E_clIPiSE_SF_SF_EESH_SX_SI_SJ_SK_EUlSX_E_NS1_11comp_targetILNS1_3genE0ELNS1_11target_archE4294967295ELNS1_3gpuE0ELNS1_3repE0EEENS1_48merge_mergepath_partition_config_static_selectorELNS0_4arch9wavefront6targetE1EEEvSJ_.has_indirect_call, 0
	.section	.AMDGPU.csdata,"",@progbits
; Kernel info:
; codeLenInByte = 556
; TotalNumSgprs: 16
; NumVgprs: 20
; NumAgprs: 0
; TotalNumVgprs: 20
; ScratchSize: 0
; MemoryBound: 0
; FloatMode: 240
; IeeeMode: 1
; LDSByteSize: 0 bytes/workgroup (compile time only)
; SGPRBlocks: 1
; VGPRBlocks: 2
; NumSGPRsForWavesPerEU: 16
; NumVGPRsForWavesPerEU: 20
; AccumOffset: 20
; Occupancy: 8
; WaveLimiterHint : 0
; COMPUTE_PGM_RSRC2:SCRATCH_EN: 0
; COMPUTE_PGM_RSRC2:USER_SGPR: 2
; COMPUTE_PGM_RSRC2:TRAP_HANDLER: 0
; COMPUTE_PGM_RSRC2:TGID_X_EN: 1
; COMPUTE_PGM_RSRC2:TGID_Y_EN: 0
; COMPUTE_PGM_RSRC2:TGID_Z_EN: 0
; COMPUTE_PGM_RSRC2:TIDIG_COMP_CNT: 0
; COMPUTE_PGM_RSRC3_GFX90A:ACCUM_OFFSET: 4
; COMPUTE_PGM_RSRC3_GFX90A:TG_SPLIT: 0
	.section	.text._ZN7rocprim17ROCPRIM_400000_NS6detail17trampoline_kernelINS0_14default_configENS1_38merge_sort_block_merge_config_selectorIiNS0_10empty_typeEEEZZNS1_27merge_sort_block_merge_implIS3_N6thrust23THRUST_200600_302600_NS6detail15normal_iteratorINS9_10device_ptrIiEEEEPS5_m17evens_before_oddsEE10hipError_tT0_T1_T2_jT3_P12ihipStream_tbPNSt15iterator_traitsISI_E10value_typeEPNSO_ISJ_E10value_typeEPSK_NS1_7vsmem_tEENKUlT_SI_SJ_SK_E_clIPiSE_SF_SF_EESH_SX_SI_SJ_SK_EUlSX_E_NS1_11comp_targetILNS1_3genE10ELNS1_11target_archE1201ELNS1_3gpuE5ELNS1_3repE0EEENS1_48merge_mergepath_partition_config_static_selectorELNS0_4arch9wavefront6targetE1EEEvSJ_,"axG",@progbits,_ZN7rocprim17ROCPRIM_400000_NS6detail17trampoline_kernelINS0_14default_configENS1_38merge_sort_block_merge_config_selectorIiNS0_10empty_typeEEEZZNS1_27merge_sort_block_merge_implIS3_N6thrust23THRUST_200600_302600_NS6detail15normal_iteratorINS9_10device_ptrIiEEEEPS5_m17evens_before_oddsEE10hipError_tT0_T1_T2_jT3_P12ihipStream_tbPNSt15iterator_traitsISI_E10value_typeEPNSO_ISJ_E10value_typeEPSK_NS1_7vsmem_tEENKUlT_SI_SJ_SK_E_clIPiSE_SF_SF_EESH_SX_SI_SJ_SK_EUlSX_E_NS1_11comp_targetILNS1_3genE10ELNS1_11target_archE1201ELNS1_3gpuE5ELNS1_3repE0EEENS1_48merge_mergepath_partition_config_static_selectorELNS0_4arch9wavefront6targetE1EEEvSJ_,comdat
	.protected	_ZN7rocprim17ROCPRIM_400000_NS6detail17trampoline_kernelINS0_14default_configENS1_38merge_sort_block_merge_config_selectorIiNS0_10empty_typeEEEZZNS1_27merge_sort_block_merge_implIS3_N6thrust23THRUST_200600_302600_NS6detail15normal_iteratorINS9_10device_ptrIiEEEEPS5_m17evens_before_oddsEE10hipError_tT0_T1_T2_jT3_P12ihipStream_tbPNSt15iterator_traitsISI_E10value_typeEPNSO_ISJ_E10value_typeEPSK_NS1_7vsmem_tEENKUlT_SI_SJ_SK_E_clIPiSE_SF_SF_EESH_SX_SI_SJ_SK_EUlSX_E_NS1_11comp_targetILNS1_3genE10ELNS1_11target_archE1201ELNS1_3gpuE5ELNS1_3repE0EEENS1_48merge_mergepath_partition_config_static_selectorELNS0_4arch9wavefront6targetE1EEEvSJ_ ; -- Begin function _ZN7rocprim17ROCPRIM_400000_NS6detail17trampoline_kernelINS0_14default_configENS1_38merge_sort_block_merge_config_selectorIiNS0_10empty_typeEEEZZNS1_27merge_sort_block_merge_implIS3_N6thrust23THRUST_200600_302600_NS6detail15normal_iteratorINS9_10device_ptrIiEEEEPS5_m17evens_before_oddsEE10hipError_tT0_T1_T2_jT3_P12ihipStream_tbPNSt15iterator_traitsISI_E10value_typeEPNSO_ISJ_E10value_typeEPSK_NS1_7vsmem_tEENKUlT_SI_SJ_SK_E_clIPiSE_SF_SF_EESH_SX_SI_SJ_SK_EUlSX_E_NS1_11comp_targetILNS1_3genE10ELNS1_11target_archE1201ELNS1_3gpuE5ELNS1_3repE0EEENS1_48merge_mergepath_partition_config_static_selectorELNS0_4arch9wavefront6targetE1EEEvSJ_
	.globl	_ZN7rocprim17ROCPRIM_400000_NS6detail17trampoline_kernelINS0_14default_configENS1_38merge_sort_block_merge_config_selectorIiNS0_10empty_typeEEEZZNS1_27merge_sort_block_merge_implIS3_N6thrust23THRUST_200600_302600_NS6detail15normal_iteratorINS9_10device_ptrIiEEEEPS5_m17evens_before_oddsEE10hipError_tT0_T1_T2_jT3_P12ihipStream_tbPNSt15iterator_traitsISI_E10value_typeEPNSO_ISJ_E10value_typeEPSK_NS1_7vsmem_tEENKUlT_SI_SJ_SK_E_clIPiSE_SF_SF_EESH_SX_SI_SJ_SK_EUlSX_E_NS1_11comp_targetILNS1_3genE10ELNS1_11target_archE1201ELNS1_3gpuE5ELNS1_3repE0EEENS1_48merge_mergepath_partition_config_static_selectorELNS0_4arch9wavefront6targetE1EEEvSJ_
	.p2align	8
	.type	_ZN7rocprim17ROCPRIM_400000_NS6detail17trampoline_kernelINS0_14default_configENS1_38merge_sort_block_merge_config_selectorIiNS0_10empty_typeEEEZZNS1_27merge_sort_block_merge_implIS3_N6thrust23THRUST_200600_302600_NS6detail15normal_iteratorINS9_10device_ptrIiEEEEPS5_m17evens_before_oddsEE10hipError_tT0_T1_T2_jT3_P12ihipStream_tbPNSt15iterator_traitsISI_E10value_typeEPNSO_ISJ_E10value_typeEPSK_NS1_7vsmem_tEENKUlT_SI_SJ_SK_E_clIPiSE_SF_SF_EESH_SX_SI_SJ_SK_EUlSX_E_NS1_11comp_targetILNS1_3genE10ELNS1_11target_archE1201ELNS1_3gpuE5ELNS1_3repE0EEENS1_48merge_mergepath_partition_config_static_selectorELNS0_4arch9wavefront6targetE1EEEvSJ_,@function
_ZN7rocprim17ROCPRIM_400000_NS6detail17trampoline_kernelINS0_14default_configENS1_38merge_sort_block_merge_config_selectorIiNS0_10empty_typeEEEZZNS1_27merge_sort_block_merge_implIS3_N6thrust23THRUST_200600_302600_NS6detail15normal_iteratorINS9_10device_ptrIiEEEEPS5_m17evens_before_oddsEE10hipError_tT0_T1_T2_jT3_P12ihipStream_tbPNSt15iterator_traitsISI_E10value_typeEPNSO_ISJ_E10value_typeEPSK_NS1_7vsmem_tEENKUlT_SI_SJ_SK_E_clIPiSE_SF_SF_EESH_SX_SI_SJ_SK_EUlSX_E_NS1_11comp_targetILNS1_3genE10ELNS1_11target_archE1201ELNS1_3gpuE5ELNS1_3repE0EEENS1_48merge_mergepath_partition_config_static_selectorELNS0_4arch9wavefront6targetE1EEEvSJ_: ; @_ZN7rocprim17ROCPRIM_400000_NS6detail17trampoline_kernelINS0_14default_configENS1_38merge_sort_block_merge_config_selectorIiNS0_10empty_typeEEEZZNS1_27merge_sort_block_merge_implIS3_N6thrust23THRUST_200600_302600_NS6detail15normal_iteratorINS9_10device_ptrIiEEEEPS5_m17evens_before_oddsEE10hipError_tT0_T1_T2_jT3_P12ihipStream_tbPNSt15iterator_traitsISI_E10value_typeEPNSO_ISJ_E10value_typeEPSK_NS1_7vsmem_tEENKUlT_SI_SJ_SK_E_clIPiSE_SF_SF_EESH_SX_SI_SJ_SK_EUlSX_E_NS1_11comp_targetILNS1_3genE10ELNS1_11target_archE1201ELNS1_3gpuE5ELNS1_3repE0EEENS1_48merge_mergepath_partition_config_static_selectorELNS0_4arch9wavefront6targetE1EEEvSJ_
; %bb.0:
	.section	.rodata,"a",@progbits
	.p2align	6, 0x0
	.amdhsa_kernel _ZN7rocprim17ROCPRIM_400000_NS6detail17trampoline_kernelINS0_14default_configENS1_38merge_sort_block_merge_config_selectorIiNS0_10empty_typeEEEZZNS1_27merge_sort_block_merge_implIS3_N6thrust23THRUST_200600_302600_NS6detail15normal_iteratorINS9_10device_ptrIiEEEEPS5_m17evens_before_oddsEE10hipError_tT0_T1_T2_jT3_P12ihipStream_tbPNSt15iterator_traitsISI_E10value_typeEPNSO_ISJ_E10value_typeEPSK_NS1_7vsmem_tEENKUlT_SI_SJ_SK_E_clIPiSE_SF_SF_EESH_SX_SI_SJ_SK_EUlSX_E_NS1_11comp_targetILNS1_3genE10ELNS1_11target_archE1201ELNS1_3gpuE5ELNS1_3repE0EEENS1_48merge_mergepath_partition_config_static_selectorELNS0_4arch9wavefront6targetE1EEEvSJ_
		.amdhsa_group_segment_fixed_size 0
		.amdhsa_private_segment_fixed_size 0
		.amdhsa_kernarg_size 48
		.amdhsa_user_sgpr_count 2
		.amdhsa_user_sgpr_dispatch_ptr 0
		.amdhsa_user_sgpr_queue_ptr 0
		.amdhsa_user_sgpr_kernarg_segment_ptr 1
		.amdhsa_user_sgpr_dispatch_id 0
		.amdhsa_user_sgpr_kernarg_preload_length 0
		.amdhsa_user_sgpr_kernarg_preload_offset 0
		.amdhsa_user_sgpr_private_segment_size 0
		.amdhsa_uses_dynamic_stack 0
		.amdhsa_enable_private_segment 0
		.amdhsa_system_sgpr_workgroup_id_x 1
		.amdhsa_system_sgpr_workgroup_id_y 0
		.amdhsa_system_sgpr_workgroup_id_z 0
		.amdhsa_system_sgpr_workgroup_info 0
		.amdhsa_system_vgpr_workitem_id 0
		.amdhsa_next_free_vgpr 1
		.amdhsa_next_free_sgpr 0
		.amdhsa_accum_offset 4
		.amdhsa_reserve_vcc 0
		.amdhsa_float_round_mode_32 0
		.amdhsa_float_round_mode_16_64 0
		.amdhsa_float_denorm_mode_32 3
		.amdhsa_float_denorm_mode_16_64 3
		.amdhsa_dx10_clamp 1
		.amdhsa_ieee_mode 1
		.amdhsa_fp16_overflow 0
		.amdhsa_tg_split 0
		.amdhsa_exception_fp_ieee_invalid_op 0
		.amdhsa_exception_fp_denorm_src 0
		.amdhsa_exception_fp_ieee_div_zero 0
		.amdhsa_exception_fp_ieee_overflow 0
		.amdhsa_exception_fp_ieee_underflow 0
		.amdhsa_exception_fp_ieee_inexact 0
		.amdhsa_exception_int_div_zero 0
	.end_amdhsa_kernel
	.section	.text._ZN7rocprim17ROCPRIM_400000_NS6detail17trampoline_kernelINS0_14default_configENS1_38merge_sort_block_merge_config_selectorIiNS0_10empty_typeEEEZZNS1_27merge_sort_block_merge_implIS3_N6thrust23THRUST_200600_302600_NS6detail15normal_iteratorINS9_10device_ptrIiEEEEPS5_m17evens_before_oddsEE10hipError_tT0_T1_T2_jT3_P12ihipStream_tbPNSt15iterator_traitsISI_E10value_typeEPNSO_ISJ_E10value_typeEPSK_NS1_7vsmem_tEENKUlT_SI_SJ_SK_E_clIPiSE_SF_SF_EESH_SX_SI_SJ_SK_EUlSX_E_NS1_11comp_targetILNS1_3genE10ELNS1_11target_archE1201ELNS1_3gpuE5ELNS1_3repE0EEENS1_48merge_mergepath_partition_config_static_selectorELNS0_4arch9wavefront6targetE1EEEvSJ_,"axG",@progbits,_ZN7rocprim17ROCPRIM_400000_NS6detail17trampoline_kernelINS0_14default_configENS1_38merge_sort_block_merge_config_selectorIiNS0_10empty_typeEEEZZNS1_27merge_sort_block_merge_implIS3_N6thrust23THRUST_200600_302600_NS6detail15normal_iteratorINS9_10device_ptrIiEEEEPS5_m17evens_before_oddsEE10hipError_tT0_T1_T2_jT3_P12ihipStream_tbPNSt15iterator_traitsISI_E10value_typeEPNSO_ISJ_E10value_typeEPSK_NS1_7vsmem_tEENKUlT_SI_SJ_SK_E_clIPiSE_SF_SF_EESH_SX_SI_SJ_SK_EUlSX_E_NS1_11comp_targetILNS1_3genE10ELNS1_11target_archE1201ELNS1_3gpuE5ELNS1_3repE0EEENS1_48merge_mergepath_partition_config_static_selectorELNS0_4arch9wavefront6targetE1EEEvSJ_,comdat
.Lfunc_end409:
	.size	_ZN7rocprim17ROCPRIM_400000_NS6detail17trampoline_kernelINS0_14default_configENS1_38merge_sort_block_merge_config_selectorIiNS0_10empty_typeEEEZZNS1_27merge_sort_block_merge_implIS3_N6thrust23THRUST_200600_302600_NS6detail15normal_iteratorINS9_10device_ptrIiEEEEPS5_m17evens_before_oddsEE10hipError_tT0_T1_T2_jT3_P12ihipStream_tbPNSt15iterator_traitsISI_E10value_typeEPNSO_ISJ_E10value_typeEPSK_NS1_7vsmem_tEENKUlT_SI_SJ_SK_E_clIPiSE_SF_SF_EESH_SX_SI_SJ_SK_EUlSX_E_NS1_11comp_targetILNS1_3genE10ELNS1_11target_archE1201ELNS1_3gpuE5ELNS1_3repE0EEENS1_48merge_mergepath_partition_config_static_selectorELNS0_4arch9wavefront6targetE1EEEvSJ_, .Lfunc_end409-_ZN7rocprim17ROCPRIM_400000_NS6detail17trampoline_kernelINS0_14default_configENS1_38merge_sort_block_merge_config_selectorIiNS0_10empty_typeEEEZZNS1_27merge_sort_block_merge_implIS3_N6thrust23THRUST_200600_302600_NS6detail15normal_iteratorINS9_10device_ptrIiEEEEPS5_m17evens_before_oddsEE10hipError_tT0_T1_T2_jT3_P12ihipStream_tbPNSt15iterator_traitsISI_E10value_typeEPNSO_ISJ_E10value_typeEPSK_NS1_7vsmem_tEENKUlT_SI_SJ_SK_E_clIPiSE_SF_SF_EESH_SX_SI_SJ_SK_EUlSX_E_NS1_11comp_targetILNS1_3genE10ELNS1_11target_archE1201ELNS1_3gpuE5ELNS1_3repE0EEENS1_48merge_mergepath_partition_config_static_selectorELNS0_4arch9wavefront6targetE1EEEvSJ_
                                        ; -- End function
	.set _ZN7rocprim17ROCPRIM_400000_NS6detail17trampoline_kernelINS0_14default_configENS1_38merge_sort_block_merge_config_selectorIiNS0_10empty_typeEEEZZNS1_27merge_sort_block_merge_implIS3_N6thrust23THRUST_200600_302600_NS6detail15normal_iteratorINS9_10device_ptrIiEEEEPS5_m17evens_before_oddsEE10hipError_tT0_T1_T2_jT3_P12ihipStream_tbPNSt15iterator_traitsISI_E10value_typeEPNSO_ISJ_E10value_typeEPSK_NS1_7vsmem_tEENKUlT_SI_SJ_SK_E_clIPiSE_SF_SF_EESH_SX_SI_SJ_SK_EUlSX_E_NS1_11comp_targetILNS1_3genE10ELNS1_11target_archE1201ELNS1_3gpuE5ELNS1_3repE0EEENS1_48merge_mergepath_partition_config_static_selectorELNS0_4arch9wavefront6targetE1EEEvSJ_.num_vgpr, 0
	.set _ZN7rocprim17ROCPRIM_400000_NS6detail17trampoline_kernelINS0_14default_configENS1_38merge_sort_block_merge_config_selectorIiNS0_10empty_typeEEEZZNS1_27merge_sort_block_merge_implIS3_N6thrust23THRUST_200600_302600_NS6detail15normal_iteratorINS9_10device_ptrIiEEEEPS5_m17evens_before_oddsEE10hipError_tT0_T1_T2_jT3_P12ihipStream_tbPNSt15iterator_traitsISI_E10value_typeEPNSO_ISJ_E10value_typeEPSK_NS1_7vsmem_tEENKUlT_SI_SJ_SK_E_clIPiSE_SF_SF_EESH_SX_SI_SJ_SK_EUlSX_E_NS1_11comp_targetILNS1_3genE10ELNS1_11target_archE1201ELNS1_3gpuE5ELNS1_3repE0EEENS1_48merge_mergepath_partition_config_static_selectorELNS0_4arch9wavefront6targetE1EEEvSJ_.num_agpr, 0
	.set _ZN7rocprim17ROCPRIM_400000_NS6detail17trampoline_kernelINS0_14default_configENS1_38merge_sort_block_merge_config_selectorIiNS0_10empty_typeEEEZZNS1_27merge_sort_block_merge_implIS3_N6thrust23THRUST_200600_302600_NS6detail15normal_iteratorINS9_10device_ptrIiEEEEPS5_m17evens_before_oddsEE10hipError_tT0_T1_T2_jT3_P12ihipStream_tbPNSt15iterator_traitsISI_E10value_typeEPNSO_ISJ_E10value_typeEPSK_NS1_7vsmem_tEENKUlT_SI_SJ_SK_E_clIPiSE_SF_SF_EESH_SX_SI_SJ_SK_EUlSX_E_NS1_11comp_targetILNS1_3genE10ELNS1_11target_archE1201ELNS1_3gpuE5ELNS1_3repE0EEENS1_48merge_mergepath_partition_config_static_selectorELNS0_4arch9wavefront6targetE1EEEvSJ_.numbered_sgpr, 0
	.set _ZN7rocprim17ROCPRIM_400000_NS6detail17trampoline_kernelINS0_14default_configENS1_38merge_sort_block_merge_config_selectorIiNS0_10empty_typeEEEZZNS1_27merge_sort_block_merge_implIS3_N6thrust23THRUST_200600_302600_NS6detail15normal_iteratorINS9_10device_ptrIiEEEEPS5_m17evens_before_oddsEE10hipError_tT0_T1_T2_jT3_P12ihipStream_tbPNSt15iterator_traitsISI_E10value_typeEPNSO_ISJ_E10value_typeEPSK_NS1_7vsmem_tEENKUlT_SI_SJ_SK_E_clIPiSE_SF_SF_EESH_SX_SI_SJ_SK_EUlSX_E_NS1_11comp_targetILNS1_3genE10ELNS1_11target_archE1201ELNS1_3gpuE5ELNS1_3repE0EEENS1_48merge_mergepath_partition_config_static_selectorELNS0_4arch9wavefront6targetE1EEEvSJ_.num_named_barrier, 0
	.set _ZN7rocprim17ROCPRIM_400000_NS6detail17trampoline_kernelINS0_14default_configENS1_38merge_sort_block_merge_config_selectorIiNS0_10empty_typeEEEZZNS1_27merge_sort_block_merge_implIS3_N6thrust23THRUST_200600_302600_NS6detail15normal_iteratorINS9_10device_ptrIiEEEEPS5_m17evens_before_oddsEE10hipError_tT0_T1_T2_jT3_P12ihipStream_tbPNSt15iterator_traitsISI_E10value_typeEPNSO_ISJ_E10value_typeEPSK_NS1_7vsmem_tEENKUlT_SI_SJ_SK_E_clIPiSE_SF_SF_EESH_SX_SI_SJ_SK_EUlSX_E_NS1_11comp_targetILNS1_3genE10ELNS1_11target_archE1201ELNS1_3gpuE5ELNS1_3repE0EEENS1_48merge_mergepath_partition_config_static_selectorELNS0_4arch9wavefront6targetE1EEEvSJ_.private_seg_size, 0
	.set _ZN7rocprim17ROCPRIM_400000_NS6detail17trampoline_kernelINS0_14default_configENS1_38merge_sort_block_merge_config_selectorIiNS0_10empty_typeEEEZZNS1_27merge_sort_block_merge_implIS3_N6thrust23THRUST_200600_302600_NS6detail15normal_iteratorINS9_10device_ptrIiEEEEPS5_m17evens_before_oddsEE10hipError_tT0_T1_T2_jT3_P12ihipStream_tbPNSt15iterator_traitsISI_E10value_typeEPNSO_ISJ_E10value_typeEPSK_NS1_7vsmem_tEENKUlT_SI_SJ_SK_E_clIPiSE_SF_SF_EESH_SX_SI_SJ_SK_EUlSX_E_NS1_11comp_targetILNS1_3genE10ELNS1_11target_archE1201ELNS1_3gpuE5ELNS1_3repE0EEENS1_48merge_mergepath_partition_config_static_selectorELNS0_4arch9wavefront6targetE1EEEvSJ_.uses_vcc, 0
	.set _ZN7rocprim17ROCPRIM_400000_NS6detail17trampoline_kernelINS0_14default_configENS1_38merge_sort_block_merge_config_selectorIiNS0_10empty_typeEEEZZNS1_27merge_sort_block_merge_implIS3_N6thrust23THRUST_200600_302600_NS6detail15normal_iteratorINS9_10device_ptrIiEEEEPS5_m17evens_before_oddsEE10hipError_tT0_T1_T2_jT3_P12ihipStream_tbPNSt15iterator_traitsISI_E10value_typeEPNSO_ISJ_E10value_typeEPSK_NS1_7vsmem_tEENKUlT_SI_SJ_SK_E_clIPiSE_SF_SF_EESH_SX_SI_SJ_SK_EUlSX_E_NS1_11comp_targetILNS1_3genE10ELNS1_11target_archE1201ELNS1_3gpuE5ELNS1_3repE0EEENS1_48merge_mergepath_partition_config_static_selectorELNS0_4arch9wavefront6targetE1EEEvSJ_.uses_flat_scratch, 0
	.set _ZN7rocprim17ROCPRIM_400000_NS6detail17trampoline_kernelINS0_14default_configENS1_38merge_sort_block_merge_config_selectorIiNS0_10empty_typeEEEZZNS1_27merge_sort_block_merge_implIS3_N6thrust23THRUST_200600_302600_NS6detail15normal_iteratorINS9_10device_ptrIiEEEEPS5_m17evens_before_oddsEE10hipError_tT0_T1_T2_jT3_P12ihipStream_tbPNSt15iterator_traitsISI_E10value_typeEPNSO_ISJ_E10value_typeEPSK_NS1_7vsmem_tEENKUlT_SI_SJ_SK_E_clIPiSE_SF_SF_EESH_SX_SI_SJ_SK_EUlSX_E_NS1_11comp_targetILNS1_3genE10ELNS1_11target_archE1201ELNS1_3gpuE5ELNS1_3repE0EEENS1_48merge_mergepath_partition_config_static_selectorELNS0_4arch9wavefront6targetE1EEEvSJ_.has_dyn_sized_stack, 0
	.set _ZN7rocprim17ROCPRIM_400000_NS6detail17trampoline_kernelINS0_14default_configENS1_38merge_sort_block_merge_config_selectorIiNS0_10empty_typeEEEZZNS1_27merge_sort_block_merge_implIS3_N6thrust23THRUST_200600_302600_NS6detail15normal_iteratorINS9_10device_ptrIiEEEEPS5_m17evens_before_oddsEE10hipError_tT0_T1_T2_jT3_P12ihipStream_tbPNSt15iterator_traitsISI_E10value_typeEPNSO_ISJ_E10value_typeEPSK_NS1_7vsmem_tEENKUlT_SI_SJ_SK_E_clIPiSE_SF_SF_EESH_SX_SI_SJ_SK_EUlSX_E_NS1_11comp_targetILNS1_3genE10ELNS1_11target_archE1201ELNS1_3gpuE5ELNS1_3repE0EEENS1_48merge_mergepath_partition_config_static_selectorELNS0_4arch9wavefront6targetE1EEEvSJ_.has_recursion, 0
	.set _ZN7rocprim17ROCPRIM_400000_NS6detail17trampoline_kernelINS0_14default_configENS1_38merge_sort_block_merge_config_selectorIiNS0_10empty_typeEEEZZNS1_27merge_sort_block_merge_implIS3_N6thrust23THRUST_200600_302600_NS6detail15normal_iteratorINS9_10device_ptrIiEEEEPS5_m17evens_before_oddsEE10hipError_tT0_T1_T2_jT3_P12ihipStream_tbPNSt15iterator_traitsISI_E10value_typeEPNSO_ISJ_E10value_typeEPSK_NS1_7vsmem_tEENKUlT_SI_SJ_SK_E_clIPiSE_SF_SF_EESH_SX_SI_SJ_SK_EUlSX_E_NS1_11comp_targetILNS1_3genE10ELNS1_11target_archE1201ELNS1_3gpuE5ELNS1_3repE0EEENS1_48merge_mergepath_partition_config_static_selectorELNS0_4arch9wavefront6targetE1EEEvSJ_.has_indirect_call, 0
	.section	.AMDGPU.csdata,"",@progbits
; Kernel info:
; codeLenInByte = 0
; TotalNumSgprs: 6
; NumVgprs: 0
; NumAgprs: 0
; TotalNumVgprs: 0
; ScratchSize: 0
; MemoryBound: 0
; FloatMode: 240
; IeeeMode: 1
; LDSByteSize: 0 bytes/workgroup (compile time only)
; SGPRBlocks: 0
; VGPRBlocks: 0
; NumSGPRsForWavesPerEU: 6
; NumVGPRsForWavesPerEU: 1
; AccumOffset: 4
; Occupancy: 8
; WaveLimiterHint : 0
; COMPUTE_PGM_RSRC2:SCRATCH_EN: 0
; COMPUTE_PGM_RSRC2:USER_SGPR: 2
; COMPUTE_PGM_RSRC2:TRAP_HANDLER: 0
; COMPUTE_PGM_RSRC2:TGID_X_EN: 1
; COMPUTE_PGM_RSRC2:TGID_Y_EN: 0
; COMPUTE_PGM_RSRC2:TGID_Z_EN: 0
; COMPUTE_PGM_RSRC2:TIDIG_COMP_CNT: 0
; COMPUTE_PGM_RSRC3_GFX90A:ACCUM_OFFSET: 0
; COMPUTE_PGM_RSRC3_GFX90A:TG_SPLIT: 0
	.section	.text._ZN7rocprim17ROCPRIM_400000_NS6detail17trampoline_kernelINS0_14default_configENS1_38merge_sort_block_merge_config_selectorIiNS0_10empty_typeEEEZZNS1_27merge_sort_block_merge_implIS3_N6thrust23THRUST_200600_302600_NS6detail15normal_iteratorINS9_10device_ptrIiEEEEPS5_m17evens_before_oddsEE10hipError_tT0_T1_T2_jT3_P12ihipStream_tbPNSt15iterator_traitsISI_E10value_typeEPNSO_ISJ_E10value_typeEPSK_NS1_7vsmem_tEENKUlT_SI_SJ_SK_E_clIPiSE_SF_SF_EESH_SX_SI_SJ_SK_EUlSX_E_NS1_11comp_targetILNS1_3genE5ELNS1_11target_archE942ELNS1_3gpuE9ELNS1_3repE0EEENS1_48merge_mergepath_partition_config_static_selectorELNS0_4arch9wavefront6targetE1EEEvSJ_,"axG",@progbits,_ZN7rocprim17ROCPRIM_400000_NS6detail17trampoline_kernelINS0_14default_configENS1_38merge_sort_block_merge_config_selectorIiNS0_10empty_typeEEEZZNS1_27merge_sort_block_merge_implIS3_N6thrust23THRUST_200600_302600_NS6detail15normal_iteratorINS9_10device_ptrIiEEEEPS5_m17evens_before_oddsEE10hipError_tT0_T1_T2_jT3_P12ihipStream_tbPNSt15iterator_traitsISI_E10value_typeEPNSO_ISJ_E10value_typeEPSK_NS1_7vsmem_tEENKUlT_SI_SJ_SK_E_clIPiSE_SF_SF_EESH_SX_SI_SJ_SK_EUlSX_E_NS1_11comp_targetILNS1_3genE5ELNS1_11target_archE942ELNS1_3gpuE9ELNS1_3repE0EEENS1_48merge_mergepath_partition_config_static_selectorELNS0_4arch9wavefront6targetE1EEEvSJ_,comdat
	.protected	_ZN7rocprim17ROCPRIM_400000_NS6detail17trampoline_kernelINS0_14default_configENS1_38merge_sort_block_merge_config_selectorIiNS0_10empty_typeEEEZZNS1_27merge_sort_block_merge_implIS3_N6thrust23THRUST_200600_302600_NS6detail15normal_iteratorINS9_10device_ptrIiEEEEPS5_m17evens_before_oddsEE10hipError_tT0_T1_T2_jT3_P12ihipStream_tbPNSt15iterator_traitsISI_E10value_typeEPNSO_ISJ_E10value_typeEPSK_NS1_7vsmem_tEENKUlT_SI_SJ_SK_E_clIPiSE_SF_SF_EESH_SX_SI_SJ_SK_EUlSX_E_NS1_11comp_targetILNS1_3genE5ELNS1_11target_archE942ELNS1_3gpuE9ELNS1_3repE0EEENS1_48merge_mergepath_partition_config_static_selectorELNS0_4arch9wavefront6targetE1EEEvSJ_ ; -- Begin function _ZN7rocprim17ROCPRIM_400000_NS6detail17trampoline_kernelINS0_14default_configENS1_38merge_sort_block_merge_config_selectorIiNS0_10empty_typeEEEZZNS1_27merge_sort_block_merge_implIS3_N6thrust23THRUST_200600_302600_NS6detail15normal_iteratorINS9_10device_ptrIiEEEEPS5_m17evens_before_oddsEE10hipError_tT0_T1_T2_jT3_P12ihipStream_tbPNSt15iterator_traitsISI_E10value_typeEPNSO_ISJ_E10value_typeEPSK_NS1_7vsmem_tEENKUlT_SI_SJ_SK_E_clIPiSE_SF_SF_EESH_SX_SI_SJ_SK_EUlSX_E_NS1_11comp_targetILNS1_3genE5ELNS1_11target_archE942ELNS1_3gpuE9ELNS1_3repE0EEENS1_48merge_mergepath_partition_config_static_selectorELNS0_4arch9wavefront6targetE1EEEvSJ_
	.globl	_ZN7rocprim17ROCPRIM_400000_NS6detail17trampoline_kernelINS0_14default_configENS1_38merge_sort_block_merge_config_selectorIiNS0_10empty_typeEEEZZNS1_27merge_sort_block_merge_implIS3_N6thrust23THRUST_200600_302600_NS6detail15normal_iteratorINS9_10device_ptrIiEEEEPS5_m17evens_before_oddsEE10hipError_tT0_T1_T2_jT3_P12ihipStream_tbPNSt15iterator_traitsISI_E10value_typeEPNSO_ISJ_E10value_typeEPSK_NS1_7vsmem_tEENKUlT_SI_SJ_SK_E_clIPiSE_SF_SF_EESH_SX_SI_SJ_SK_EUlSX_E_NS1_11comp_targetILNS1_3genE5ELNS1_11target_archE942ELNS1_3gpuE9ELNS1_3repE0EEENS1_48merge_mergepath_partition_config_static_selectorELNS0_4arch9wavefront6targetE1EEEvSJ_
	.p2align	8
	.type	_ZN7rocprim17ROCPRIM_400000_NS6detail17trampoline_kernelINS0_14default_configENS1_38merge_sort_block_merge_config_selectorIiNS0_10empty_typeEEEZZNS1_27merge_sort_block_merge_implIS3_N6thrust23THRUST_200600_302600_NS6detail15normal_iteratorINS9_10device_ptrIiEEEEPS5_m17evens_before_oddsEE10hipError_tT0_T1_T2_jT3_P12ihipStream_tbPNSt15iterator_traitsISI_E10value_typeEPNSO_ISJ_E10value_typeEPSK_NS1_7vsmem_tEENKUlT_SI_SJ_SK_E_clIPiSE_SF_SF_EESH_SX_SI_SJ_SK_EUlSX_E_NS1_11comp_targetILNS1_3genE5ELNS1_11target_archE942ELNS1_3gpuE9ELNS1_3repE0EEENS1_48merge_mergepath_partition_config_static_selectorELNS0_4arch9wavefront6targetE1EEEvSJ_,@function
_ZN7rocprim17ROCPRIM_400000_NS6detail17trampoline_kernelINS0_14default_configENS1_38merge_sort_block_merge_config_selectorIiNS0_10empty_typeEEEZZNS1_27merge_sort_block_merge_implIS3_N6thrust23THRUST_200600_302600_NS6detail15normal_iteratorINS9_10device_ptrIiEEEEPS5_m17evens_before_oddsEE10hipError_tT0_T1_T2_jT3_P12ihipStream_tbPNSt15iterator_traitsISI_E10value_typeEPNSO_ISJ_E10value_typeEPSK_NS1_7vsmem_tEENKUlT_SI_SJ_SK_E_clIPiSE_SF_SF_EESH_SX_SI_SJ_SK_EUlSX_E_NS1_11comp_targetILNS1_3genE5ELNS1_11target_archE942ELNS1_3gpuE9ELNS1_3repE0EEENS1_48merge_mergepath_partition_config_static_selectorELNS0_4arch9wavefront6targetE1EEEvSJ_: ; @_ZN7rocprim17ROCPRIM_400000_NS6detail17trampoline_kernelINS0_14default_configENS1_38merge_sort_block_merge_config_selectorIiNS0_10empty_typeEEEZZNS1_27merge_sort_block_merge_implIS3_N6thrust23THRUST_200600_302600_NS6detail15normal_iteratorINS9_10device_ptrIiEEEEPS5_m17evens_before_oddsEE10hipError_tT0_T1_T2_jT3_P12ihipStream_tbPNSt15iterator_traitsISI_E10value_typeEPNSO_ISJ_E10value_typeEPSK_NS1_7vsmem_tEENKUlT_SI_SJ_SK_E_clIPiSE_SF_SF_EESH_SX_SI_SJ_SK_EUlSX_E_NS1_11comp_targetILNS1_3genE5ELNS1_11target_archE942ELNS1_3gpuE9ELNS1_3repE0EEENS1_48merge_mergepath_partition_config_static_selectorELNS0_4arch9wavefront6targetE1EEEvSJ_
; %bb.0:
	.section	.rodata,"a",@progbits
	.p2align	6, 0x0
	.amdhsa_kernel _ZN7rocprim17ROCPRIM_400000_NS6detail17trampoline_kernelINS0_14default_configENS1_38merge_sort_block_merge_config_selectorIiNS0_10empty_typeEEEZZNS1_27merge_sort_block_merge_implIS3_N6thrust23THRUST_200600_302600_NS6detail15normal_iteratorINS9_10device_ptrIiEEEEPS5_m17evens_before_oddsEE10hipError_tT0_T1_T2_jT3_P12ihipStream_tbPNSt15iterator_traitsISI_E10value_typeEPNSO_ISJ_E10value_typeEPSK_NS1_7vsmem_tEENKUlT_SI_SJ_SK_E_clIPiSE_SF_SF_EESH_SX_SI_SJ_SK_EUlSX_E_NS1_11comp_targetILNS1_3genE5ELNS1_11target_archE942ELNS1_3gpuE9ELNS1_3repE0EEENS1_48merge_mergepath_partition_config_static_selectorELNS0_4arch9wavefront6targetE1EEEvSJ_
		.amdhsa_group_segment_fixed_size 0
		.amdhsa_private_segment_fixed_size 0
		.amdhsa_kernarg_size 48
		.amdhsa_user_sgpr_count 2
		.amdhsa_user_sgpr_dispatch_ptr 0
		.amdhsa_user_sgpr_queue_ptr 0
		.amdhsa_user_sgpr_kernarg_segment_ptr 1
		.amdhsa_user_sgpr_dispatch_id 0
		.amdhsa_user_sgpr_kernarg_preload_length 0
		.amdhsa_user_sgpr_kernarg_preload_offset 0
		.amdhsa_user_sgpr_private_segment_size 0
		.amdhsa_uses_dynamic_stack 0
		.amdhsa_enable_private_segment 0
		.amdhsa_system_sgpr_workgroup_id_x 1
		.amdhsa_system_sgpr_workgroup_id_y 0
		.amdhsa_system_sgpr_workgroup_id_z 0
		.amdhsa_system_sgpr_workgroup_info 0
		.amdhsa_system_vgpr_workitem_id 0
		.amdhsa_next_free_vgpr 1
		.amdhsa_next_free_sgpr 0
		.amdhsa_accum_offset 4
		.amdhsa_reserve_vcc 0
		.amdhsa_float_round_mode_32 0
		.amdhsa_float_round_mode_16_64 0
		.amdhsa_float_denorm_mode_32 3
		.amdhsa_float_denorm_mode_16_64 3
		.amdhsa_dx10_clamp 1
		.amdhsa_ieee_mode 1
		.amdhsa_fp16_overflow 0
		.amdhsa_tg_split 0
		.amdhsa_exception_fp_ieee_invalid_op 0
		.amdhsa_exception_fp_denorm_src 0
		.amdhsa_exception_fp_ieee_div_zero 0
		.amdhsa_exception_fp_ieee_overflow 0
		.amdhsa_exception_fp_ieee_underflow 0
		.amdhsa_exception_fp_ieee_inexact 0
		.amdhsa_exception_int_div_zero 0
	.end_amdhsa_kernel
	.section	.text._ZN7rocprim17ROCPRIM_400000_NS6detail17trampoline_kernelINS0_14default_configENS1_38merge_sort_block_merge_config_selectorIiNS0_10empty_typeEEEZZNS1_27merge_sort_block_merge_implIS3_N6thrust23THRUST_200600_302600_NS6detail15normal_iteratorINS9_10device_ptrIiEEEEPS5_m17evens_before_oddsEE10hipError_tT0_T1_T2_jT3_P12ihipStream_tbPNSt15iterator_traitsISI_E10value_typeEPNSO_ISJ_E10value_typeEPSK_NS1_7vsmem_tEENKUlT_SI_SJ_SK_E_clIPiSE_SF_SF_EESH_SX_SI_SJ_SK_EUlSX_E_NS1_11comp_targetILNS1_3genE5ELNS1_11target_archE942ELNS1_3gpuE9ELNS1_3repE0EEENS1_48merge_mergepath_partition_config_static_selectorELNS0_4arch9wavefront6targetE1EEEvSJ_,"axG",@progbits,_ZN7rocprim17ROCPRIM_400000_NS6detail17trampoline_kernelINS0_14default_configENS1_38merge_sort_block_merge_config_selectorIiNS0_10empty_typeEEEZZNS1_27merge_sort_block_merge_implIS3_N6thrust23THRUST_200600_302600_NS6detail15normal_iteratorINS9_10device_ptrIiEEEEPS5_m17evens_before_oddsEE10hipError_tT0_T1_T2_jT3_P12ihipStream_tbPNSt15iterator_traitsISI_E10value_typeEPNSO_ISJ_E10value_typeEPSK_NS1_7vsmem_tEENKUlT_SI_SJ_SK_E_clIPiSE_SF_SF_EESH_SX_SI_SJ_SK_EUlSX_E_NS1_11comp_targetILNS1_3genE5ELNS1_11target_archE942ELNS1_3gpuE9ELNS1_3repE0EEENS1_48merge_mergepath_partition_config_static_selectorELNS0_4arch9wavefront6targetE1EEEvSJ_,comdat
.Lfunc_end410:
	.size	_ZN7rocprim17ROCPRIM_400000_NS6detail17trampoline_kernelINS0_14default_configENS1_38merge_sort_block_merge_config_selectorIiNS0_10empty_typeEEEZZNS1_27merge_sort_block_merge_implIS3_N6thrust23THRUST_200600_302600_NS6detail15normal_iteratorINS9_10device_ptrIiEEEEPS5_m17evens_before_oddsEE10hipError_tT0_T1_T2_jT3_P12ihipStream_tbPNSt15iterator_traitsISI_E10value_typeEPNSO_ISJ_E10value_typeEPSK_NS1_7vsmem_tEENKUlT_SI_SJ_SK_E_clIPiSE_SF_SF_EESH_SX_SI_SJ_SK_EUlSX_E_NS1_11comp_targetILNS1_3genE5ELNS1_11target_archE942ELNS1_3gpuE9ELNS1_3repE0EEENS1_48merge_mergepath_partition_config_static_selectorELNS0_4arch9wavefront6targetE1EEEvSJ_, .Lfunc_end410-_ZN7rocprim17ROCPRIM_400000_NS6detail17trampoline_kernelINS0_14default_configENS1_38merge_sort_block_merge_config_selectorIiNS0_10empty_typeEEEZZNS1_27merge_sort_block_merge_implIS3_N6thrust23THRUST_200600_302600_NS6detail15normal_iteratorINS9_10device_ptrIiEEEEPS5_m17evens_before_oddsEE10hipError_tT0_T1_T2_jT3_P12ihipStream_tbPNSt15iterator_traitsISI_E10value_typeEPNSO_ISJ_E10value_typeEPSK_NS1_7vsmem_tEENKUlT_SI_SJ_SK_E_clIPiSE_SF_SF_EESH_SX_SI_SJ_SK_EUlSX_E_NS1_11comp_targetILNS1_3genE5ELNS1_11target_archE942ELNS1_3gpuE9ELNS1_3repE0EEENS1_48merge_mergepath_partition_config_static_selectorELNS0_4arch9wavefront6targetE1EEEvSJ_
                                        ; -- End function
	.set _ZN7rocprim17ROCPRIM_400000_NS6detail17trampoline_kernelINS0_14default_configENS1_38merge_sort_block_merge_config_selectorIiNS0_10empty_typeEEEZZNS1_27merge_sort_block_merge_implIS3_N6thrust23THRUST_200600_302600_NS6detail15normal_iteratorINS9_10device_ptrIiEEEEPS5_m17evens_before_oddsEE10hipError_tT0_T1_T2_jT3_P12ihipStream_tbPNSt15iterator_traitsISI_E10value_typeEPNSO_ISJ_E10value_typeEPSK_NS1_7vsmem_tEENKUlT_SI_SJ_SK_E_clIPiSE_SF_SF_EESH_SX_SI_SJ_SK_EUlSX_E_NS1_11comp_targetILNS1_3genE5ELNS1_11target_archE942ELNS1_3gpuE9ELNS1_3repE0EEENS1_48merge_mergepath_partition_config_static_selectorELNS0_4arch9wavefront6targetE1EEEvSJ_.num_vgpr, 0
	.set _ZN7rocprim17ROCPRIM_400000_NS6detail17trampoline_kernelINS0_14default_configENS1_38merge_sort_block_merge_config_selectorIiNS0_10empty_typeEEEZZNS1_27merge_sort_block_merge_implIS3_N6thrust23THRUST_200600_302600_NS6detail15normal_iteratorINS9_10device_ptrIiEEEEPS5_m17evens_before_oddsEE10hipError_tT0_T1_T2_jT3_P12ihipStream_tbPNSt15iterator_traitsISI_E10value_typeEPNSO_ISJ_E10value_typeEPSK_NS1_7vsmem_tEENKUlT_SI_SJ_SK_E_clIPiSE_SF_SF_EESH_SX_SI_SJ_SK_EUlSX_E_NS1_11comp_targetILNS1_3genE5ELNS1_11target_archE942ELNS1_3gpuE9ELNS1_3repE0EEENS1_48merge_mergepath_partition_config_static_selectorELNS0_4arch9wavefront6targetE1EEEvSJ_.num_agpr, 0
	.set _ZN7rocprim17ROCPRIM_400000_NS6detail17trampoline_kernelINS0_14default_configENS1_38merge_sort_block_merge_config_selectorIiNS0_10empty_typeEEEZZNS1_27merge_sort_block_merge_implIS3_N6thrust23THRUST_200600_302600_NS6detail15normal_iteratorINS9_10device_ptrIiEEEEPS5_m17evens_before_oddsEE10hipError_tT0_T1_T2_jT3_P12ihipStream_tbPNSt15iterator_traitsISI_E10value_typeEPNSO_ISJ_E10value_typeEPSK_NS1_7vsmem_tEENKUlT_SI_SJ_SK_E_clIPiSE_SF_SF_EESH_SX_SI_SJ_SK_EUlSX_E_NS1_11comp_targetILNS1_3genE5ELNS1_11target_archE942ELNS1_3gpuE9ELNS1_3repE0EEENS1_48merge_mergepath_partition_config_static_selectorELNS0_4arch9wavefront6targetE1EEEvSJ_.numbered_sgpr, 0
	.set _ZN7rocprim17ROCPRIM_400000_NS6detail17trampoline_kernelINS0_14default_configENS1_38merge_sort_block_merge_config_selectorIiNS0_10empty_typeEEEZZNS1_27merge_sort_block_merge_implIS3_N6thrust23THRUST_200600_302600_NS6detail15normal_iteratorINS9_10device_ptrIiEEEEPS5_m17evens_before_oddsEE10hipError_tT0_T1_T2_jT3_P12ihipStream_tbPNSt15iterator_traitsISI_E10value_typeEPNSO_ISJ_E10value_typeEPSK_NS1_7vsmem_tEENKUlT_SI_SJ_SK_E_clIPiSE_SF_SF_EESH_SX_SI_SJ_SK_EUlSX_E_NS1_11comp_targetILNS1_3genE5ELNS1_11target_archE942ELNS1_3gpuE9ELNS1_3repE0EEENS1_48merge_mergepath_partition_config_static_selectorELNS0_4arch9wavefront6targetE1EEEvSJ_.num_named_barrier, 0
	.set _ZN7rocprim17ROCPRIM_400000_NS6detail17trampoline_kernelINS0_14default_configENS1_38merge_sort_block_merge_config_selectorIiNS0_10empty_typeEEEZZNS1_27merge_sort_block_merge_implIS3_N6thrust23THRUST_200600_302600_NS6detail15normal_iteratorINS9_10device_ptrIiEEEEPS5_m17evens_before_oddsEE10hipError_tT0_T1_T2_jT3_P12ihipStream_tbPNSt15iterator_traitsISI_E10value_typeEPNSO_ISJ_E10value_typeEPSK_NS1_7vsmem_tEENKUlT_SI_SJ_SK_E_clIPiSE_SF_SF_EESH_SX_SI_SJ_SK_EUlSX_E_NS1_11comp_targetILNS1_3genE5ELNS1_11target_archE942ELNS1_3gpuE9ELNS1_3repE0EEENS1_48merge_mergepath_partition_config_static_selectorELNS0_4arch9wavefront6targetE1EEEvSJ_.private_seg_size, 0
	.set _ZN7rocprim17ROCPRIM_400000_NS6detail17trampoline_kernelINS0_14default_configENS1_38merge_sort_block_merge_config_selectorIiNS0_10empty_typeEEEZZNS1_27merge_sort_block_merge_implIS3_N6thrust23THRUST_200600_302600_NS6detail15normal_iteratorINS9_10device_ptrIiEEEEPS5_m17evens_before_oddsEE10hipError_tT0_T1_T2_jT3_P12ihipStream_tbPNSt15iterator_traitsISI_E10value_typeEPNSO_ISJ_E10value_typeEPSK_NS1_7vsmem_tEENKUlT_SI_SJ_SK_E_clIPiSE_SF_SF_EESH_SX_SI_SJ_SK_EUlSX_E_NS1_11comp_targetILNS1_3genE5ELNS1_11target_archE942ELNS1_3gpuE9ELNS1_3repE0EEENS1_48merge_mergepath_partition_config_static_selectorELNS0_4arch9wavefront6targetE1EEEvSJ_.uses_vcc, 0
	.set _ZN7rocprim17ROCPRIM_400000_NS6detail17trampoline_kernelINS0_14default_configENS1_38merge_sort_block_merge_config_selectorIiNS0_10empty_typeEEEZZNS1_27merge_sort_block_merge_implIS3_N6thrust23THRUST_200600_302600_NS6detail15normal_iteratorINS9_10device_ptrIiEEEEPS5_m17evens_before_oddsEE10hipError_tT0_T1_T2_jT3_P12ihipStream_tbPNSt15iterator_traitsISI_E10value_typeEPNSO_ISJ_E10value_typeEPSK_NS1_7vsmem_tEENKUlT_SI_SJ_SK_E_clIPiSE_SF_SF_EESH_SX_SI_SJ_SK_EUlSX_E_NS1_11comp_targetILNS1_3genE5ELNS1_11target_archE942ELNS1_3gpuE9ELNS1_3repE0EEENS1_48merge_mergepath_partition_config_static_selectorELNS0_4arch9wavefront6targetE1EEEvSJ_.uses_flat_scratch, 0
	.set _ZN7rocprim17ROCPRIM_400000_NS6detail17trampoline_kernelINS0_14default_configENS1_38merge_sort_block_merge_config_selectorIiNS0_10empty_typeEEEZZNS1_27merge_sort_block_merge_implIS3_N6thrust23THRUST_200600_302600_NS6detail15normal_iteratorINS9_10device_ptrIiEEEEPS5_m17evens_before_oddsEE10hipError_tT0_T1_T2_jT3_P12ihipStream_tbPNSt15iterator_traitsISI_E10value_typeEPNSO_ISJ_E10value_typeEPSK_NS1_7vsmem_tEENKUlT_SI_SJ_SK_E_clIPiSE_SF_SF_EESH_SX_SI_SJ_SK_EUlSX_E_NS1_11comp_targetILNS1_3genE5ELNS1_11target_archE942ELNS1_3gpuE9ELNS1_3repE0EEENS1_48merge_mergepath_partition_config_static_selectorELNS0_4arch9wavefront6targetE1EEEvSJ_.has_dyn_sized_stack, 0
	.set _ZN7rocprim17ROCPRIM_400000_NS6detail17trampoline_kernelINS0_14default_configENS1_38merge_sort_block_merge_config_selectorIiNS0_10empty_typeEEEZZNS1_27merge_sort_block_merge_implIS3_N6thrust23THRUST_200600_302600_NS6detail15normal_iteratorINS9_10device_ptrIiEEEEPS5_m17evens_before_oddsEE10hipError_tT0_T1_T2_jT3_P12ihipStream_tbPNSt15iterator_traitsISI_E10value_typeEPNSO_ISJ_E10value_typeEPSK_NS1_7vsmem_tEENKUlT_SI_SJ_SK_E_clIPiSE_SF_SF_EESH_SX_SI_SJ_SK_EUlSX_E_NS1_11comp_targetILNS1_3genE5ELNS1_11target_archE942ELNS1_3gpuE9ELNS1_3repE0EEENS1_48merge_mergepath_partition_config_static_selectorELNS0_4arch9wavefront6targetE1EEEvSJ_.has_recursion, 0
	.set _ZN7rocprim17ROCPRIM_400000_NS6detail17trampoline_kernelINS0_14default_configENS1_38merge_sort_block_merge_config_selectorIiNS0_10empty_typeEEEZZNS1_27merge_sort_block_merge_implIS3_N6thrust23THRUST_200600_302600_NS6detail15normal_iteratorINS9_10device_ptrIiEEEEPS5_m17evens_before_oddsEE10hipError_tT0_T1_T2_jT3_P12ihipStream_tbPNSt15iterator_traitsISI_E10value_typeEPNSO_ISJ_E10value_typeEPSK_NS1_7vsmem_tEENKUlT_SI_SJ_SK_E_clIPiSE_SF_SF_EESH_SX_SI_SJ_SK_EUlSX_E_NS1_11comp_targetILNS1_3genE5ELNS1_11target_archE942ELNS1_3gpuE9ELNS1_3repE0EEENS1_48merge_mergepath_partition_config_static_selectorELNS0_4arch9wavefront6targetE1EEEvSJ_.has_indirect_call, 0
	.section	.AMDGPU.csdata,"",@progbits
; Kernel info:
; codeLenInByte = 0
; TotalNumSgprs: 6
; NumVgprs: 0
; NumAgprs: 0
; TotalNumVgprs: 0
; ScratchSize: 0
; MemoryBound: 0
; FloatMode: 240
; IeeeMode: 1
; LDSByteSize: 0 bytes/workgroup (compile time only)
; SGPRBlocks: 0
; VGPRBlocks: 0
; NumSGPRsForWavesPerEU: 6
; NumVGPRsForWavesPerEU: 1
; AccumOffset: 4
; Occupancy: 8
; WaveLimiterHint : 0
; COMPUTE_PGM_RSRC2:SCRATCH_EN: 0
; COMPUTE_PGM_RSRC2:USER_SGPR: 2
; COMPUTE_PGM_RSRC2:TRAP_HANDLER: 0
; COMPUTE_PGM_RSRC2:TGID_X_EN: 1
; COMPUTE_PGM_RSRC2:TGID_Y_EN: 0
; COMPUTE_PGM_RSRC2:TGID_Z_EN: 0
; COMPUTE_PGM_RSRC2:TIDIG_COMP_CNT: 0
; COMPUTE_PGM_RSRC3_GFX90A:ACCUM_OFFSET: 0
; COMPUTE_PGM_RSRC3_GFX90A:TG_SPLIT: 0
	.section	.text._ZN7rocprim17ROCPRIM_400000_NS6detail17trampoline_kernelINS0_14default_configENS1_38merge_sort_block_merge_config_selectorIiNS0_10empty_typeEEEZZNS1_27merge_sort_block_merge_implIS3_N6thrust23THRUST_200600_302600_NS6detail15normal_iteratorINS9_10device_ptrIiEEEEPS5_m17evens_before_oddsEE10hipError_tT0_T1_T2_jT3_P12ihipStream_tbPNSt15iterator_traitsISI_E10value_typeEPNSO_ISJ_E10value_typeEPSK_NS1_7vsmem_tEENKUlT_SI_SJ_SK_E_clIPiSE_SF_SF_EESH_SX_SI_SJ_SK_EUlSX_E_NS1_11comp_targetILNS1_3genE4ELNS1_11target_archE910ELNS1_3gpuE8ELNS1_3repE0EEENS1_48merge_mergepath_partition_config_static_selectorELNS0_4arch9wavefront6targetE1EEEvSJ_,"axG",@progbits,_ZN7rocprim17ROCPRIM_400000_NS6detail17trampoline_kernelINS0_14default_configENS1_38merge_sort_block_merge_config_selectorIiNS0_10empty_typeEEEZZNS1_27merge_sort_block_merge_implIS3_N6thrust23THRUST_200600_302600_NS6detail15normal_iteratorINS9_10device_ptrIiEEEEPS5_m17evens_before_oddsEE10hipError_tT0_T1_T2_jT3_P12ihipStream_tbPNSt15iterator_traitsISI_E10value_typeEPNSO_ISJ_E10value_typeEPSK_NS1_7vsmem_tEENKUlT_SI_SJ_SK_E_clIPiSE_SF_SF_EESH_SX_SI_SJ_SK_EUlSX_E_NS1_11comp_targetILNS1_3genE4ELNS1_11target_archE910ELNS1_3gpuE8ELNS1_3repE0EEENS1_48merge_mergepath_partition_config_static_selectorELNS0_4arch9wavefront6targetE1EEEvSJ_,comdat
	.protected	_ZN7rocprim17ROCPRIM_400000_NS6detail17trampoline_kernelINS0_14default_configENS1_38merge_sort_block_merge_config_selectorIiNS0_10empty_typeEEEZZNS1_27merge_sort_block_merge_implIS3_N6thrust23THRUST_200600_302600_NS6detail15normal_iteratorINS9_10device_ptrIiEEEEPS5_m17evens_before_oddsEE10hipError_tT0_T1_T2_jT3_P12ihipStream_tbPNSt15iterator_traitsISI_E10value_typeEPNSO_ISJ_E10value_typeEPSK_NS1_7vsmem_tEENKUlT_SI_SJ_SK_E_clIPiSE_SF_SF_EESH_SX_SI_SJ_SK_EUlSX_E_NS1_11comp_targetILNS1_3genE4ELNS1_11target_archE910ELNS1_3gpuE8ELNS1_3repE0EEENS1_48merge_mergepath_partition_config_static_selectorELNS0_4arch9wavefront6targetE1EEEvSJ_ ; -- Begin function _ZN7rocprim17ROCPRIM_400000_NS6detail17trampoline_kernelINS0_14default_configENS1_38merge_sort_block_merge_config_selectorIiNS0_10empty_typeEEEZZNS1_27merge_sort_block_merge_implIS3_N6thrust23THRUST_200600_302600_NS6detail15normal_iteratorINS9_10device_ptrIiEEEEPS5_m17evens_before_oddsEE10hipError_tT0_T1_T2_jT3_P12ihipStream_tbPNSt15iterator_traitsISI_E10value_typeEPNSO_ISJ_E10value_typeEPSK_NS1_7vsmem_tEENKUlT_SI_SJ_SK_E_clIPiSE_SF_SF_EESH_SX_SI_SJ_SK_EUlSX_E_NS1_11comp_targetILNS1_3genE4ELNS1_11target_archE910ELNS1_3gpuE8ELNS1_3repE0EEENS1_48merge_mergepath_partition_config_static_selectorELNS0_4arch9wavefront6targetE1EEEvSJ_
	.globl	_ZN7rocprim17ROCPRIM_400000_NS6detail17trampoline_kernelINS0_14default_configENS1_38merge_sort_block_merge_config_selectorIiNS0_10empty_typeEEEZZNS1_27merge_sort_block_merge_implIS3_N6thrust23THRUST_200600_302600_NS6detail15normal_iteratorINS9_10device_ptrIiEEEEPS5_m17evens_before_oddsEE10hipError_tT0_T1_T2_jT3_P12ihipStream_tbPNSt15iterator_traitsISI_E10value_typeEPNSO_ISJ_E10value_typeEPSK_NS1_7vsmem_tEENKUlT_SI_SJ_SK_E_clIPiSE_SF_SF_EESH_SX_SI_SJ_SK_EUlSX_E_NS1_11comp_targetILNS1_3genE4ELNS1_11target_archE910ELNS1_3gpuE8ELNS1_3repE0EEENS1_48merge_mergepath_partition_config_static_selectorELNS0_4arch9wavefront6targetE1EEEvSJ_
	.p2align	8
	.type	_ZN7rocprim17ROCPRIM_400000_NS6detail17trampoline_kernelINS0_14default_configENS1_38merge_sort_block_merge_config_selectorIiNS0_10empty_typeEEEZZNS1_27merge_sort_block_merge_implIS3_N6thrust23THRUST_200600_302600_NS6detail15normal_iteratorINS9_10device_ptrIiEEEEPS5_m17evens_before_oddsEE10hipError_tT0_T1_T2_jT3_P12ihipStream_tbPNSt15iterator_traitsISI_E10value_typeEPNSO_ISJ_E10value_typeEPSK_NS1_7vsmem_tEENKUlT_SI_SJ_SK_E_clIPiSE_SF_SF_EESH_SX_SI_SJ_SK_EUlSX_E_NS1_11comp_targetILNS1_3genE4ELNS1_11target_archE910ELNS1_3gpuE8ELNS1_3repE0EEENS1_48merge_mergepath_partition_config_static_selectorELNS0_4arch9wavefront6targetE1EEEvSJ_,@function
_ZN7rocprim17ROCPRIM_400000_NS6detail17trampoline_kernelINS0_14default_configENS1_38merge_sort_block_merge_config_selectorIiNS0_10empty_typeEEEZZNS1_27merge_sort_block_merge_implIS3_N6thrust23THRUST_200600_302600_NS6detail15normal_iteratorINS9_10device_ptrIiEEEEPS5_m17evens_before_oddsEE10hipError_tT0_T1_T2_jT3_P12ihipStream_tbPNSt15iterator_traitsISI_E10value_typeEPNSO_ISJ_E10value_typeEPSK_NS1_7vsmem_tEENKUlT_SI_SJ_SK_E_clIPiSE_SF_SF_EESH_SX_SI_SJ_SK_EUlSX_E_NS1_11comp_targetILNS1_3genE4ELNS1_11target_archE910ELNS1_3gpuE8ELNS1_3repE0EEENS1_48merge_mergepath_partition_config_static_selectorELNS0_4arch9wavefront6targetE1EEEvSJ_: ; @_ZN7rocprim17ROCPRIM_400000_NS6detail17trampoline_kernelINS0_14default_configENS1_38merge_sort_block_merge_config_selectorIiNS0_10empty_typeEEEZZNS1_27merge_sort_block_merge_implIS3_N6thrust23THRUST_200600_302600_NS6detail15normal_iteratorINS9_10device_ptrIiEEEEPS5_m17evens_before_oddsEE10hipError_tT0_T1_T2_jT3_P12ihipStream_tbPNSt15iterator_traitsISI_E10value_typeEPNSO_ISJ_E10value_typeEPSK_NS1_7vsmem_tEENKUlT_SI_SJ_SK_E_clIPiSE_SF_SF_EESH_SX_SI_SJ_SK_EUlSX_E_NS1_11comp_targetILNS1_3genE4ELNS1_11target_archE910ELNS1_3gpuE8ELNS1_3repE0EEENS1_48merge_mergepath_partition_config_static_selectorELNS0_4arch9wavefront6targetE1EEEvSJ_
; %bb.0:
	.section	.rodata,"a",@progbits
	.p2align	6, 0x0
	.amdhsa_kernel _ZN7rocprim17ROCPRIM_400000_NS6detail17trampoline_kernelINS0_14default_configENS1_38merge_sort_block_merge_config_selectorIiNS0_10empty_typeEEEZZNS1_27merge_sort_block_merge_implIS3_N6thrust23THRUST_200600_302600_NS6detail15normal_iteratorINS9_10device_ptrIiEEEEPS5_m17evens_before_oddsEE10hipError_tT0_T1_T2_jT3_P12ihipStream_tbPNSt15iterator_traitsISI_E10value_typeEPNSO_ISJ_E10value_typeEPSK_NS1_7vsmem_tEENKUlT_SI_SJ_SK_E_clIPiSE_SF_SF_EESH_SX_SI_SJ_SK_EUlSX_E_NS1_11comp_targetILNS1_3genE4ELNS1_11target_archE910ELNS1_3gpuE8ELNS1_3repE0EEENS1_48merge_mergepath_partition_config_static_selectorELNS0_4arch9wavefront6targetE1EEEvSJ_
		.amdhsa_group_segment_fixed_size 0
		.amdhsa_private_segment_fixed_size 0
		.amdhsa_kernarg_size 48
		.amdhsa_user_sgpr_count 2
		.amdhsa_user_sgpr_dispatch_ptr 0
		.amdhsa_user_sgpr_queue_ptr 0
		.amdhsa_user_sgpr_kernarg_segment_ptr 1
		.amdhsa_user_sgpr_dispatch_id 0
		.amdhsa_user_sgpr_kernarg_preload_length 0
		.amdhsa_user_sgpr_kernarg_preload_offset 0
		.amdhsa_user_sgpr_private_segment_size 0
		.amdhsa_uses_dynamic_stack 0
		.amdhsa_enable_private_segment 0
		.amdhsa_system_sgpr_workgroup_id_x 1
		.amdhsa_system_sgpr_workgroup_id_y 0
		.amdhsa_system_sgpr_workgroup_id_z 0
		.amdhsa_system_sgpr_workgroup_info 0
		.amdhsa_system_vgpr_workitem_id 0
		.amdhsa_next_free_vgpr 1
		.amdhsa_next_free_sgpr 0
		.amdhsa_accum_offset 4
		.amdhsa_reserve_vcc 0
		.amdhsa_float_round_mode_32 0
		.amdhsa_float_round_mode_16_64 0
		.amdhsa_float_denorm_mode_32 3
		.amdhsa_float_denorm_mode_16_64 3
		.amdhsa_dx10_clamp 1
		.amdhsa_ieee_mode 1
		.amdhsa_fp16_overflow 0
		.amdhsa_tg_split 0
		.amdhsa_exception_fp_ieee_invalid_op 0
		.amdhsa_exception_fp_denorm_src 0
		.amdhsa_exception_fp_ieee_div_zero 0
		.amdhsa_exception_fp_ieee_overflow 0
		.amdhsa_exception_fp_ieee_underflow 0
		.amdhsa_exception_fp_ieee_inexact 0
		.amdhsa_exception_int_div_zero 0
	.end_amdhsa_kernel
	.section	.text._ZN7rocprim17ROCPRIM_400000_NS6detail17trampoline_kernelINS0_14default_configENS1_38merge_sort_block_merge_config_selectorIiNS0_10empty_typeEEEZZNS1_27merge_sort_block_merge_implIS3_N6thrust23THRUST_200600_302600_NS6detail15normal_iteratorINS9_10device_ptrIiEEEEPS5_m17evens_before_oddsEE10hipError_tT0_T1_T2_jT3_P12ihipStream_tbPNSt15iterator_traitsISI_E10value_typeEPNSO_ISJ_E10value_typeEPSK_NS1_7vsmem_tEENKUlT_SI_SJ_SK_E_clIPiSE_SF_SF_EESH_SX_SI_SJ_SK_EUlSX_E_NS1_11comp_targetILNS1_3genE4ELNS1_11target_archE910ELNS1_3gpuE8ELNS1_3repE0EEENS1_48merge_mergepath_partition_config_static_selectorELNS0_4arch9wavefront6targetE1EEEvSJ_,"axG",@progbits,_ZN7rocprim17ROCPRIM_400000_NS6detail17trampoline_kernelINS0_14default_configENS1_38merge_sort_block_merge_config_selectorIiNS0_10empty_typeEEEZZNS1_27merge_sort_block_merge_implIS3_N6thrust23THRUST_200600_302600_NS6detail15normal_iteratorINS9_10device_ptrIiEEEEPS5_m17evens_before_oddsEE10hipError_tT0_T1_T2_jT3_P12ihipStream_tbPNSt15iterator_traitsISI_E10value_typeEPNSO_ISJ_E10value_typeEPSK_NS1_7vsmem_tEENKUlT_SI_SJ_SK_E_clIPiSE_SF_SF_EESH_SX_SI_SJ_SK_EUlSX_E_NS1_11comp_targetILNS1_3genE4ELNS1_11target_archE910ELNS1_3gpuE8ELNS1_3repE0EEENS1_48merge_mergepath_partition_config_static_selectorELNS0_4arch9wavefront6targetE1EEEvSJ_,comdat
.Lfunc_end411:
	.size	_ZN7rocprim17ROCPRIM_400000_NS6detail17trampoline_kernelINS0_14default_configENS1_38merge_sort_block_merge_config_selectorIiNS0_10empty_typeEEEZZNS1_27merge_sort_block_merge_implIS3_N6thrust23THRUST_200600_302600_NS6detail15normal_iteratorINS9_10device_ptrIiEEEEPS5_m17evens_before_oddsEE10hipError_tT0_T1_T2_jT3_P12ihipStream_tbPNSt15iterator_traitsISI_E10value_typeEPNSO_ISJ_E10value_typeEPSK_NS1_7vsmem_tEENKUlT_SI_SJ_SK_E_clIPiSE_SF_SF_EESH_SX_SI_SJ_SK_EUlSX_E_NS1_11comp_targetILNS1_3genE4ELNS1_11target_archE910ELNS1_3gpuE8ELNS1_3repE0EEENS1_48merge_mergepath_partition_config_static_selectorELNS0_4arch9wavefront6targetE1EEEvSJ_, .Lfunc_end411-_ZN7rocprim17ROCPRIM_400000_NS6detail17trampoline_kernelINS0_14default_configENS1_38merge_sort_block_merge_config_selectorIiNS0_10empty_typeEEEZZNS1_27merge_sort_block_merge_implIS3_N6thrust23THRUST_200600_302600_NS6detail15normal_iteratorINS9_10device_ptrIiEEEEPS5_m17evens_before_oddsEE10hipError_tT0_T1_T2_jT3_P12ihipStream_tbPNSt15iterator_traitsISI_E10value_typeEPNSO_ISJ_E10value_typeEPSK_NS1_7vsmem_tEENKUlT_SI_SJ_SK_E_clIPiSE_SF_SF_EESH_SX_SI_SJ_SK_EUlSX_E_NS1_11comp_targetILNS1_3genE4ELNS1_11target_archE910ELNS1_3gpuE8ELNS1_3repE0EEENS1_48merge_mergepath_partition_config_static_selectorELNS0_4arch9wavefront6targetE1EEEvSJ_
                                        ; -- End function
	.set _ZN7rocprim17ROCPRIM_400000_NS6detail17trampoline_kernelINS0_14default_configENS1_38merge_sort_block_merge_config_selectorIiNS0_10empty_typeEEEZZNS1_27merge_sort_block_merge_implIS3_N6thrust23THRUST_200600_302600_NS6detail15normal_iteratorINS9_10device_ptrIiEEEEPS5_m17evens_before_oddsEE10hipError_tT0_T1_T2_jT3_P12ihipStream_tbPNSt15iterator_traitsISI_E10value_typeEPNSO_ISJ_E10value_typeEPSK_NS1_7vsmem_tEENKUlT_SI_SJ_SK_E_clIPiSE_SF_SF_EESH_SX_SI_SJ_SK_EUlSX_E_NS1_11comp_targetILNS1_3genE4ELNS1_11target_archE910ELNS1_3gpuE8ELNS1_3repE0EEENS1_48merge_mergepath_partition_config_static_selectorELNS0_4arch9wavefront6targetE1EEEvSJ_.num_vgpr, 0
	.set _ZN7rocprim17ROCPRIM_400000_NS6detail17trampoline_kernelINS0_14default_configENS1_38merge_sort_block_merge_config_selectorIiNS0_10empty_typeEEEZZNS1_27merge_sort_block_merge_implIS3_N6thrust23THRUST_200600_302600_NS6detail15normal_iteratorINS9_10device_ptrIiEEEEPS5_m17evens_before_oddsEE10hipError_tT0_T1_T2_jT3_P12ihipStream_tbPNSt15iterator_traitsISI_E10value_typeEPNSO_ISJ_E10value_typeEPSK_NS1_7vsmem_tEENKUlT_SI_SJ_SK_E_clIPiSE_SF_SF_EESH_SX_SI_SJ_SK_EUlSX_E_NS1_11comp_targetILNS1_3genE4ELNS1_11target_archE910ELNS1_3gpuE8ELNS1_3repE0EEENS1_48merge_mergepath_partition_config_static_selectorELNS0_4arch9wavefront6targetE1EEEvSJ_.num_agpr, 0
	.set _ZN7rocprim17ROCPRIM_400000_NS6detail17trampoline_kernelINS0_14default_configENS1_38merge_sort_block_merge_config_selectorIiNS0_10empty_typeEEEZZNS1_27merge_sort_block_merge_implIS3_N6thrust23THRUST_200600_302600_NS6detail15normal_iteratorINS9_10device_ptrIiEEEEPS5_m17evens_before_oddsEE10hipError_tT0_T1_T2_jT3_P12ihipStream_tbPNSt15iterator_traitsISI_E10value_typeEPNSO_ISJ_E10value_typeEPSK_NS1_7vsmem_tEENKUlT_SI_SJ_SK_E_clIPiSE_SF_SF_EESH_SX_SI_SJ_SK_EUlSX_E_NS1_11comp_targetILNS1_3genE4ELNS1_11target_archE910ELNS1_3gpuE8ELNS1_3repE0EEENS1_48merge_mergepath_partition_config_static_selectorELNS0_4arch9wavefront6targetE1EEEvSJ_.numbered_sgpr, 0
	.set _ZN7rocprim17ROCPRIM_400000_NS6detail17trampoline_kernelINS0_14default_configENS1_38merge_sort_block_merge_config_selectorIiNS0_10empty_typeEEEZZNS1_27merge_sort_block_merge_implIS3_N6thrust23THRUST_200600_302600_NS6detail15normal_iteratorINS9_10device_ptrIiEEEEPS5_m17evens_before_oddsEE10hipError_tT0_T1_T2_jT3_P12ihipStream_tbPNSt15iterator_traitsISI_E10value_typeEPNSO_ISJ_E10value_typeEPSK_NS1_7vsmem_tEENKUlT_SI_SJ_SK_E_clIPiSE_SF_SF_EESH_SX_SI_SJ_SK_EUlSX_E_NS1_11comp_targetILNS1_3genE4ELNS1_11target_archE910ELNS1_3gpuE8ELNS1_3repE0EEENS1_48merge_mergepath_partition_config_static_selectorELNS0_4arch9wavefront6targetE1EEEvSJ_.num_named_barrier, 0
	.set _ZN7rocprim17ROCPRIM_400000_NS6detail17trampoline_kernelINS0_14default_configENS1_38merge_sort_block_merge_config_selectorIiNS0_10empty_typeEEEZZNS1_27merge_sort_block_merge_implIS3_N6thrust23THRUST_200600_302600_NS6detail15normal_iteratorINS9_10device_ptrIiEEEEPS5_m17evens_before_oddsEE10hipError_tT0_T1_T2_jT3_P12ihipStream_tbPNSt15iterator_traitsISI_E10value_typeEPNSO_ISJ_E10value_typeEPSK_NS1_7vsmem_tEENKUlT_SI_SJ_SK_E_clIPiSE_SF_SF_EESH_SX_SI_SJ_SK_EUlSX_E_NS1_11comp_targetILNS1_3genE4ELNS1_11target_archE910ELNS1_3gpuE8ELNS1_3repE0EEENS1_48merge_mergepath_partition_config_static_selectorELNS0_4arch9wavefront6targetE1EEEvSJ_.private_seg_size, 0
	.set _ZN7rocprim17ROCPRIM_400000_NS6detail17trampoline_kernelINS0_14default_configENS1_38merge_sort_block_merge_config_selectorIiNS0_10empty_typeEEEZZNS1_27merge_sort_block_merge_implIS3_N6thrust23THRUST_200600_302600_NS6detail15normal_iteratorINS9_10device_ptrIiEEEEPS5_m17evens_before_oddsEE10hipError_tT0_T1_T2_jT3_P12ihipStream_tbPNSt15iterator_traitsISI_E10value_typeEPNSO_ISJ_E10value_typeEPSK_NS1_7vsmem_tEENKUlT_SI_SJ_SK_E_clIPiSE_SF_SF_EESH_SX_SI_SJ_SK_EUlSX_E_NS1_11comp_targetILNS1_3genE4ELNS1_11target_archE910ELNS1_3gpuE8ELNS1_3repE0EEENS1_48merge_mergepath_partition_config_static_selectorELNS0_4arch9wavefront6targetE1EEEvSJ_.uses_vcc, 0
	.set _ZN7rocprim17ROCPRIM_400000_NS6detail17trampoline_kernelINS0_14default_configENS1_38merge_sort_block_merge_config_selectorIiNS0_10empty_typeEEEZZNS1_27merge_sort_block_merge_implIS3_N6thrust23THRUST_200600_302600_NS6detail15normal_iteratorINS9_10device_ptrIiEEEEPS5_m17evens_before_oddsEE10hipError_tT0_T1_T2_jT3_P12ihipStream_tbPNSt15iterator_traitsISI_E10value_typeEPNSO_ISJ_E10value_typeEPSK_NS1_7vsmem_tEENKUlT_SI_SJ_SK_E_clIPiSE_SF_SF_EESH_SX_SI_SJ_SK_EUlSX_E_NS1_11comp_targetILNS1_3genE4ELNS1_11target_archE910ELNS1_3gpuE8ELNS1_3repE0EEENS1_48merge_mergepath_partition_config_static_selectorELNS0_4arch9wavefront6targetE1EEEvSJ_.uses_flat_scratch, 0
	.set _ZN7rocprim17ROCPRIM_400000_NS6detail17trampoline_kernelINS0_14default_configENS1_38merge_sort_block_merge_config_selectorIiNS0_10empty_typeEEEZZNS1_27merge_sort_block_merge_implIS3_N6thrust23THRUST_200600_302600_NS6detail15normal_iteratorINS9_10device_ptrIiEEEEPS5_m17evens_before_oddsEE10hipError_tT0_T1_T2_jT3_P12ihipStream_tbPNSt15iterator_traitsISI_E10value_typeEPNSO_ISJ_E10value_typeEPSK_NS1_7vsmem_tEENKUlT_SI_SJ_SK_E_clIPiSE_SF_SF_EESH_SX_SI_SJ_SK_EUlSX_E_NS1_11comp_targetILNS1_3genE4ELNS1_11target_archE910ELNS1_3gpuE8ELNS1_3repE0EEENS1_48merge_mergepath_partition_config_static_selectorELNS0_4arch9wavefront6targetE1EEEvSJ_.has_dyn_sized_stack, 0
	.set _ZN7rocprim17ROCPRIM_400000_NS6detail17trampoline_kernelINS0_14default_configENS1_38merge_sort_block_merge_config_selectorIiNS0_10empty_typeEEEZZNS1_27merge_sort_block_merge_implIS3_N6thrust23THRUST_200600_302600_NS6detail15normal_iteratorINS9_10device_ptrIiEEEEPS5_m17evens_before_oddsEE10hipError_tT0_T1_T2_jT3_P12ihipStream_tbPNSt15iterator_traitsISI_E10value_typeEPNSO_ISJ_E10value_typeEPSK_NS1_7vsmem_tEENKUlT_SI_SJ_SK_E_clIPiSE_SF_SF_EESH_SX_SI_SJ_SK_EUlSX_E_NS1_11comp_targetILNS1_3genE4ELNS1_11target_archE910ELNS1_3gpuE8ELNS1_3repE0EEENS1_48merge_mergepath_partition_config_static_selectorELNS0_4arch9wavefront6targetE1EEEvSJ_.has_recursion, 0
	.set _ZN7rocprim17ROCPRIM_400000_NS6detail17trampoline_kernelINS0_14default_configENS1_38merge_sort_block_merge_config_selectorIiNS0_10empty_typeEEEZZNS1_27merge_sort_block_merge_implIS3_N6thrust23THRUST_200600_302600_NS6detail15normal_iteratorINS9_10device_ptrIiEEEEPS5_m17evens_before_oddsEE10hipError_tT0_T1_T2_jT3_P12ihipStream_tbPNSt15iterator_traitsISI_E10value_typeEPNSO_ISJ_E10value_typeEPSK_NS1_7vsmem_tEENKUlT_SI_SJ_SK_E_clIPiSE_SF_SF_EESH_SX_SI_SJ_SK_EUlSX_E_NS1_11comp_targetILNS1_3genE4ELNS1_11target_archE910ELNS1_3gpuE8ELNS1_3repE0EEENS1_48merge_mergepath_partition_config_static_selectorELNS0_4arch9wavefront6targetE1EEEvSJ_.has_indirect_call, 0
	.section	.AMDGPU.csdata,"",@progbits
; Kernel info:
; codeLenInByte = 0
; TotalNumSgprs: 6
; NumVgprs: 0
; NumAgprs: 0
; TotalNumVgprs: 0
; ScratchSize: 0
; MemoryBound: 0
; FloatMode: 240
; IeeeMode: 1
; LDSByteSize: 0 bytes/workgroup (compile time only)
; SGPRBlocks: 0
; VGPRBlocks: 0
; NumSGPRsForWavesPerEU: 6
; NumVGPRsForWavesPerEU: 1
; AccumOffset: 4
; Occupancy: 8
; WaveLimiterHint : 0
; COMPUTE_PGM_RSRC2:SCRATCH_EN: 0
; COMPUTE_PGM_RSRC2:USER_SGPR: 2
; COMPUTE_PGM_RSRC2:TRAP_HANDLER: 0
; COMPUTE_PGM_RSRC2:TGID_X_EN: 1
; COMPUTE_PGM_RSRC2:TGID_Y_EN: 0
; COMPUTE_PGM_RSRC2:TGID_Z_EN: 0
; COMPUTE_PGM_RSRC2:TIDIG_COMP_CNT: 0
; COMPUTE_PGM_RSRC3_GFX90A:ACCUM_OFFSET: 0
; COMPUTE_PGM_RSRC3_GFX90A:TG_SPLIT: 0
	.section	.text._ZN7rocprim17ROCPRIM_400000_NS6detail17trampoline_kernelINS0_14default_configENS1_38merge_sort_block_merge_config_selectorIiNS0_10empty_typeEEEZZNS1_27merge_sort_block_merge_implIS3_N6thrust23THRUST_200600_302600_NS6detail15normal_iteratorINS9_10device_ptrIiEEEEPS5_m17evens_before_oddsEE10hipError_tT0_T1_T2_jT3_P12ihipStream_tbPNSt15iterator_traitsISI_E10value_typeEPNSO_ISJ_E10value_typeEPSK_NS1_7vsmem_tEENKUlT_SI_SJ_SK_E_clIPiSE_SF_SF_EESH_SX_SI_SJ_SK_EUlSX_E_NS1_11comp_targetILNS1_3genE3ELNS1_11target_archE908ELNS1_3gpuE7ELNS1_3repE0EEENS1_48merge_mergepath_partition_config_static_selectorELNS0_4arch9wavefront6targetE1EEEvSJ_,"axG",@progbits,_ZN7rocprim17ROCPRIM_400000_NS6detail17trampoline_kernelINS0_14default_configENS1_38merge_sort_block_merge_config_selectorIiNS0_10empty_typeEEEZZNS1_27merge_sort_block_merge_implIS3_N6thrust23THRUST_200600_302600_NS6detail15normal_iteratorINS9_10device_ptrIiEEEEPS5_m17evens_before_oddsEE10hipError_tT0_T1_T2_jT3_P12ihipStream_tbPNSt15iterator_traitsISI_E10value_typeEPNSO_ISJ_E10value_typeEPSK_NS1_7vsmem_tEENKUlT_SI_SJ_SK_E_clIPiSE_SF_SF_EESH_SX_SI_SJ_SK_EUlSX_E_NS1_11comp_targetILNS1_3genE3ELNS1_11target_archE908ELNS1_3gpuE7ELNS1_3repE0EEENS1_48merge_mergepath_partition_config_static_selectorELNS0_4arch9wavefront6targetE1EEEvSJ_,comdat
	.protected	_ZN7rocprim17ROCPRIM_400000_NS6detail17trampoline_kernelINS0_14default_configENS1_38merge_sort_block_merge_config_selectorIiNS0_10empty_typeEEEZZNS1_27merge_sort_block_merge_implIS3_N6thrust23THRUST_200600_302600_NS6detail15normal_iteratorINS9_10device_ptrIiEEEEPS5_m17evens_before_oddsEE10hipError_tT0_T1_T2_jT3_P12ihipStream_tbPNSt15iterator_traitsISI_E10value_typeEPNSO_ISJ_E10value_typeEPSK_NS1_7vsmem_tEENKUlT_SI_SJ_SK_E_clIPiSE_SF_SF_EESH_SX_SI_SJ_SK_EUlSX_E_NS1_11comp_targetILNS1_3genE3ELNS1_11target_archE908ELNS1_3gpuE7ELNS1_3repE0EEENS1_48merge_mergepath_partition_config_static_selectorELNS0_4arch9wavefront6targetE1EEEvSJ_ ; -- Begin function _ZN7rocprim17ROCPRIM_400000_NS6detail17trampoline_kernelINS0_14default_configENS1_38merge_sort_block_merge_config_selectorIiNS0_10empty_typeEEEZZNS1_27merge_sort_block_merge_implIS3_N6thrust23THRUST_200600_302600_NS6detail15normal_iteratorINS9_10device_ptrIiEEEEPS5_m17evens_before_oddsEE10hipError_tT0_T1_T2_jT3_P12ihipStream_tbPNSt15iterator_traitsISI_E10value_typeEPNSO_ISJ_E10value_typeEPSK_NS1_7vsmem_tEENKUlT_SI_SJ_SK_E_clIPiSE_SF_SF_EESH_SX_SI_SJ_SK_EUlSX_E_NS1_11comp_targetILNS1_3genE3ELNS1_11target_archE908ELNS1_3gpuE7ELNS1_3repE0EEENS1_48merge_mergepath_partition_config_static_selectorELNS0_4arch9wavefront6targetE1EEEvSJ_
	.globl	_ZN7rocprim17ROCPRIM_400000_NS6detail17trampoline_kernelINS0_14default_configENS1_38merge_sort_block_merge_config_selectorIiNS0_10empty_typeEEEZZNS1_27merge_sort_block_merge_implIS3_N6thrust23THRUST_200600_302600_NS6detail15normal_iteratorINS9_10device_ptrIiEEEEPS5_m17evens_before_oddsEE10hipError_tT0_T1_T2_jT3_P12ihipStream_tbPNSt15iterator_traitsISI_E10value_typeEPNSO_ISJ_E10value_typeEPSK_NS1_7vsmem_tEENKUlT_SI_SJ_SK_E_clIPiSE_SF_SF_EESH_SX_SI_SJ_SK_EUlSX_E_NS1_11comp_targetILNS1_3genE3ELNS1_11target_archE908ELNS1_3gpuE7ELNS1_3repE0EEENS1_48merge_mergepath_partition_config_static_selectorELNS0_4arch9wavefront6targetE1EEEvSJ_
	.p2align	8
	.type	_ZN7rocprim17ROCPRIM_400000_NS6detail17trampoline_kernelINS0_14default_configENS1_38merge_sort_block_merge_config_selectorIiNS0_10empty_typeEEEZZNS1_27merge_sort_block_merge_implIS3_N6thrust23THRUST_200600_302600_NS6detail15normal_iteratorINS9_10device_ptrIiEEEEPS5_m17evens_before_oddsEE10hipError_tT0_T1_T2_jT3_P12ihipStream_tbPNSt15iterator_traitsISI_E10value_typeEPNSO_ISJ_E10value_typeEPSK_NS1_7vsmem_tEENKUlT_SI_SJ_SK_E_clIPiSE_SF_SF_EESH_SX_SI_SJ_SK_EUlSX_E_NS1_11comp_targetILNS1_3genE3ELNS1_11target_archE908ELNS1_3gpuE7ELNS1_3repE0EEENS1_48merge_mergepath_partition_config_static_selectorELNS0_4arch9wavefront6targetE1EEEvSJ_,@function
_ZN7rocprim17ROCPRIM_400000_NS6detail17trampoline_kernelINS0_14default_configENS1_38merge_sort_block_merge_config_selectorIiNS0_10empty_typeEEEZZNS1_27merge_sort_block_merge_implIS3_N6thrust23THRUST_200600_302600_NS6detail15normal_iteratorINS9_10device_ptrIiEEEEPS5_m17evens_before_oddsEE10hipError_tT0_T1_T2_jT3_P12ihipStream_tbPNSt15iterator_traitsISI_E10value_typeEPNSO_ISJ_E10value_typeEPSK_NS1_7vsmem_tEENKUlT_SI_SJ_SK_E_clIPiSE_SF_SF_EESH_SX_SI_SJ_SK_EUlSX_E_NS1_11comp_targetILNS1_3genE3ELNS1_11target_archE908ELNS1_3gpuE7ELNS1_3repE0EEENS1_48merge_mergepath_partition_config_static_selectorELNS0_4arch9wavefront6targetE1EEEvSJ_: ; @_ZN7rocprim17ROCPRIM_400000_NS6detail17trampoline_kernelINS0_14default_configENS1_38merge_sort_block_merge_config_selectorIiNS0_10empty_typeEEEZZNS1_27merge_sort_block_merge_implIS3_N6thrust23THRUST_200600_302600_NS6detail15normal_iteratorINS9_10device_ptrIiEEEEPS5_m17evens_before_oddsEE10hipError_tT0_T1_T2_jT3_P12ihipStream_tbPNSt15iterator_traitsISI_E10value_typeEPNSO_ISJ_E10value_typeEPSK_NS1_7vsmem_tEENKUlT_SI_SJ_SK_E_clIPiSE_SF_SF_EESH_SX_SI_SJ_SK_EUlSX_E_NS1_11comp_targetILNS1_3genE3ELNS1_11target_archE908ELNS1_3gpuE7ELNS1_3repE0EEENS1_48merge_mergepath_partition_config_static_selectorELNS0_4arch9wavefront6targetE1EEEvSJ_
; %bb.0:
	.section	.rodata,"a",@progbits
	.p2align	6, 0x0
	.amdhsa_kernel _ZN7rocprim17ROCPRIM_400000_NS6detail17trampoline_kernelINS0_14default_configENS1_38merge_sort_block_merge_config_selectorIiNS0_10empty_typeEEEZZNS1_27merge_sort_block_merge_implIS3_N6thrust23THRUST_200600_302600_NS6detail15normal_iteratorINS9_10device_ptrIiEEEEPS5_m17evens_before_oddsEE10hipError_tT0_T1_T2_jT3_P12ihipStream_tbPNSt15iterator_traitsISI_E10value_typeEPNSO_ISJ_E10value_typeEPSK_NS1_7vsmem_tEENKUlT_SI_SJ_SK_E_clIPiSE_SF_SF_EESH_SX_SI_SJ_SK_EUlSX_E_NS1_11comp_targetILNS1_3genE3ELNS1_11target_archE908ELNS1_3gpuE7ELNS1_3repE0EEENS1_48merge_mergepath_partition_config_static_selectorELNS0_4arch9wavefront6targetE1EEEvSJ_
		.amdhsa_group_segment_fixed_size 0
		.amdhsa_private_segment_fixed_size 0
		.amdhsa_kernarg_size 48
		.amdhsa_user_sgpr_count 2
		.amdhsa_user_sgpr_dispatch_ptr 0
		.amdhsa_user_sgpr_queue_ptr 0
		.amdhsa_user_sgpr_kernarg_segment_ptr 1
		.amdhsa_user_sgpr_dispatch_id 0
		.amdhsa_user_sgpr_kernarg_preload_length 0
		.amdhsa_user_sgpr_kernarg_preload_offset 0
		.amdhsa_user_sgpr_private_segment_size 0
		.amdhsa_uses_dynamic_stack 0
		.amdhsa_enable_private_segment 0
		.amdhsa_system_sgpr_workgroup_id_x 1
		.amdhsa_system_sgpr_workgroup_id_y 0
		.amdhsa_system_sgpr_workgroup_id_z 0
		.amdhsa_system_sgpr_workgroup_info 0
		.amdhsa_system_vgpr_workitem_id 0
		.amdhsa_next_free_vgpr 1
		.amdhsa_next_free_sgpr 0
		.amdhsa_accum_offset 4
		.amdhsa_reserve_vcc 0
		.amdhsa_float_round_mode_32 0
		.amdhsa_float_round_mode_16_64 0
		.amdhsa_float_denorm_mode_32 3
		.amdhsa_float_denorm_mode_16_64 3
		.amdhsa_dx10_clamp 1
		.amdhsa_ieee_mode 1
		.amdhsa_fp16_overflow 0
		.amdhsa_tg_split 0
		.amdhsa_exception_fp_ieee_invalid_op 0
		.amdhsa_exception_fp_denorm_src 0
		.amdhsa_exception_fp_ieee_div_zero 0
		.amdhsa_exception_fp_ieee_overflow 0
		.amdhsa_exception_fp_ieee_underflow 0
		.amdhsa_exception_fp_ieee_inexact 0
		.amdhsa_exception_int_div_zero 0
	.end_amdhsa_kernel
	.section	.text._ZN7rocprim17ROCPRIM_400000_NS6detail17trampoline_kernelINS0_14default_configENS1_38merge_sort_block_merge_config_selectorIiNS0_10empty_typeEEEZZNS1_27merge_sort_block_merge_implIS3_N6thrust23THRUST_200600_302600_NS6detail15normal_iteratorINS9_10device_ptrIiEEEEPS5_m17evens_before_oddsEE10hipError_tT0_T1_T2_jT3_P12ihipStream_tbPNSt15iterator_traitsISI_E10value_typeEPNSO_ISJ_E10value_typeEPSK_NS1_7vsmem_tEENKUlT_SI_SJ_SK_E_clIPiSE_SF_SF_EESH_SX_SI_SJ_SK_EUlSX_E_NS1_11comp_targetILNS1_3genE3ELNS1_11target_archE908ELNS1_3gpuE7ELNS1_3repE0EEENS1_48merge_mergepath_partition_config_static_selectorELNS0_4arch9wavefront6targetE1EEEvSJ_,"axG",@progbits,_ZN7rocprim17ROCPRIM_400000_NS6detail17trampoline_kernelINS0_14default_configENS1_38merge_sort_block_merge_config_selectorIiNS0_10empty_typeEEEZZNS1_27merge_sort_block_merge_implIS3_N6thrust23THRUST_200600_302600_NS6detail15normal_iteratorINS9_10device_ptrIiEEEEPS5_m17evens_before_oddsEE10hipError_tT0_T1_T2_jT3_P12ihipStream_tbPNSt15iterator_traitsISI_E10value_typeEPNSO_ISJ_E10value_typeEPSK_NS1_7vsmem_tEENKUlT_SI_SJ_SK_E_clIPiSE_SF_SF_EESH_SX_SI_SJ_SK_EUlSX_E_NS1_11comp_targetILNS1_3genE3ELNS1_11target_archE908ELNS1_3gpuE7ELNS1_3repE0EEENS1_48merge_mergepath_partition_config_static_selectorELNS0_4arch9wavefront6targetE1EEEvSJ_,comdat
.Lfunc_end412:
	.size	_ZN7rocprim17ROCPRIM_400000_NS6detail17trampoline_kernelINS0_14default_configENS1_38merge_sort_block_merge_config_selectorIiNS0_10empty_typeEEEZZNS1_27merge_sort_block_merge_implIS3_N6thrust23THRUST_200600_302600_NS6detail15normal_iteratorINS9_10device_ptrIiEEEEPS5_m17evens_before_oddsEE10hipError_tT0_T1_T2_jT3_P12ihipStream_tbPNSt15iterator_traitsISI_E10value_typeEPNSO_ISJ_E10value_typeEPSK_NS1_7vsmem_tEENKUlT_SI_SJ_SK_E_clIPiSE_SF_SF_EESH_SX_SI_SJ_SK_EUlSX_E_NS1_11comp_targetILNS1_3genE3ELNS1_11target_archE908ELNS1_3gpuE7ELNS1_3repE0EEENS1_48merge_mergepath_partition_config_static_selectorELNS0_4arch9wavefront6targetE1EEEvSJ_, .Lfunc_end412-_ZN7rocprim17ROCPRIM_400000_NS6detail17trampoline_kernelINS0_14default_configENS1_38merge_sort_block_merge_config_selectorIiNS0_10empty_typeEEEZZNS1_27merge_sort_block_merge_implIS3_N6thrust23THRUST_200600_302600_NS6detail15normal_iteratorINS9_10device_ptrIiEEEEPS5_m17evens_before_oddsEE10hipError_tT0_T1_T2_jT3_P12ihipStream_tbPNSt15iterator_traitsISI_E10value_typeEPNSO_ISJ_E10value_typeEPSK_NS1_7vsmem_tEENKUlT_SI_SJ_SK_E_clIPiSE_SF_SF_EESH_SX_SI_SJ_SK_EUlSX_E_NS1_11comp_targetILNS1_3genE3ELNS1_11target_archE908ELNS1_3gpuE7ELNS1_3repE0EEENS1_48merge_mergepath_partition_config_static_selectorELNS0_4arch9wavefront6targetE1EEEvSJ_
                                        ; -- End function
	.set _ZN7rocprim17ROCPRIM_400000_NS6detail17trampoline_kernelINS0_14default_configENS1_38merge_sort_block_merge_config_selectorIiNS0_10empty_typeEEEZZNS1_27merge_sort_block_merge_implIS3_N6thrust23THRUST_200600_302600_NS6detail15normal_iteratorINS9_10device_ptrIiEEEEPS5_m17evens_before_oddsEE10hipError_tT0_T1_T2_jT3_P12ihipStream_tbPNSt15iterator_traitsISI_E10value_typeEPNSO_ISJ_E10value_typeEPSK_NS1_7vsmem_tEENKUlT_SI_SJ_SK_E_clIPiSE_SF_SF_EESH_SX_SI_SJ_SK_EUlSX_E_NS1_11comp_targetILNS1_3genE3ELNS1_11target_archE908ELNS1_3gpuE7ELNS1_3repE0EEENS1_48merge_mergepath_partition_config_static_selectorELNS0_4arch9wavefront6targetE1EEEvSJ_.num_vgpr, 0
	.set _ZN7rocprim17ROCPRIM_400000_NS6detail17trampoline_kernelINS0_14default_configENS1_38merge_sort_block_merge_config_selectorIiNS0_10empty_typeEEEZZNS1_27merge_sort_block_merge_implIS3_N6thrust23THRUST_200600_302600_NS6detail15normal_iteratorINS9_10device_ptrIiEEEEPS5_m17evens_before_oddsEE10hipError_tT0_T1_T2_jT3_P12ihipStream_tbPNSt15iterator_traitsISI_E10value_typeEPNSO_ISJ_E10value_typeEPSK_NS1_7vsmem_tEENKUlT_SI_SJ_SK_E_clIPiSE_SF_SF_EESH_SX_SI_SJ_SK_EUlSX_E_NS1_11comp_targetILNS1_3genE3ELNS1_11target_archE908ELNS1_3gpuE7ELNS1_3repE0EEENS1_48merge_mergepath_partition_config_static_selectorELNS0_4arch9wavefront6targetE1EEEvSJ_.num_agpr, 0
	.set _ZN7rocprim17ROCPRIM_400000_NS6detail17trampoline_kernelINS0_14default_configENS1_38merge_sort_block_merge_config_selectorIiNS0_10empty_typeEEEZZNS1_27merge_sort_block_merge_implIS3_N6thrust23THRUST_200600_302600_NS6detail15normal_iteratorINS9_10device_ptrIiEEEEPS5_m17evens_before_oddsEE10hipError_tT0_T1_T2_jT3_P12ihipStream_tbPNSt15iterator_traitsISI_E10value_typeEPNSO_ISJ_E10value_typeEPSK_NS1_7vsmem_tEENKUlT_SI_SJ_SK_E_clIPiSE_SF_SF_EESH_SX_SI_SJ_SK_EUlSX_E_NS1_11comp_targetILNS1_3genE3ELNS1_11target_archE908ELNS1_3gpuE7ELNS1_3repE0EEENS1_48merge_mergepath_partition_config_static_selectorELNS0_4arch9wavefront6targetE1EEEvSJ_.numbered_sgpr, 0
	.set _ZN7rocprim17ROCPRIM_400000_NS6detail17trampoline_kernelINS0_14default_configENS1_38merge_sort_block_merge_config_selectorIiNS0_10empty_typeEEEZZNS1_27merge_sort_block_merge_implIS3_N6thrust23THRUST_200600_302600_NS6detail15normal_iteratorINS9_10device_ptrIiEEEEPS5_m17evens_before_oddsEE10hipError_tT0_T1_T2_jT3_P12ihipStream_tbPNSt15iterator_traitsISI_E10value_typeEPNSO_ISJ_E10value_typeEPSK_NS1_7vsmem_tEENKUlT_SI_SJ_SK_E_clIPiSE_SF_SF_EESH_SX_SI_SJ_SK_EUlSX_E_NS1_11comp_targetILNS1_3genE3ELNS1_11target_archE908ELNS1_3gpuE7ELNS1_3repE0EEENS1_48merge_mergepath_partition_config_static_selectorELNS0_4arch9wavefront6targetE1EEEvSJ_.num_named_barrier, 0
	.set _ZN7rocprim17ROCPRIM_400000_NS6detail17trampoline_kernelINS0_14default_configENS1_38merge_sort_block_merge_config_selectorIiNS0_10empty_typeEEEZZNS1_27merge_sort_block_merge_implIS3_N6thrust23THRUST_200600_302600_NS6detail15normal_iteratorINS9_10device_ptrIiEEEEPS5_m17evens_before_oddsEE10hipError_tT0_T1_T2_jT3_P12ihipStream_tbPNSt15iterator_traitsISI_E10value_typeEPNSO_ISJ_E10value_typeEPSK_NS1_7vsmem_tEENKUlT_SI_SJ_SK_E_clIPiSE_SF_SF_EESH_SX_SI_SJ_SK_EUlSX_E_NS1_11comp_targetILNS1_3genE3ELNS1_11target_archE908ELNS1_3gpuE7ELNS1_3repE0EEENS1_48merge_mergepath_partition_config_static_selectorELNS0_4arch9wavefront6targetE1EEEvSJ_.private_seg_size, 0
	.set _ZN7rocprim17ROCPRIM_400000_NS6detail17trampoline_kernelINS0_14default_configENS1_38merge_sort_block_merge_config_selectorIiNS0_10empty_typeEEEZZNS1_27merge_sort_block_merge_implIS3_N6thrust23THRUST_200600_302600_NS6detail15normal_iteratorINS9_10device_ptrIiEEEEPS5_m17evens_before_oddsEE10hipError_tT0_T1_T2_jT3_P12ihipStream_tbPNSt15iterator_traitsISI_E10value_typeEPNSO_ISJ_E10value_typeEPSK_NS1_7vsmem_tEENKUlT_SI_SJ_SK_E_clIPiSE_SF_SF_EESH_SX_SI_SJ_SK_EUlSX_E_NS1_11comp_targetILNS1_3genE3ELNS1_11target_archE908ELNS1_3gpuE7ELNS1_3repE0EEENS1_48merge_mergepath_partition_config_static_selectorELNS0_4arch9wavefront6targetE1EEEvSJ_.uses_vcc, 0
	.set _ZN7rocprim17ROCPRIM_400000_NS6detail17trampoline_kernelINS0_14default_configENS1_38merge_sort_block_merge_config_selectorIiNS0_10empty_typeEEEZZNS1_27merge_sort_block_merge_implIS3_N6thrust23THRUST_200600_302600_NS6detail15normal_iteratorINS9_10device_ptrIiEEEEPS5_m17evens_before_oddsEE10hipError_tT0_T1_T2_jT3_P12ihipStream_tbPNSt15iterator_traitsISI_E10value_typeEPNSO_ISJ_E10value_typeEPSK_NS1_7vsmem_tEENKUlT_SI_SJ_SK_E_clIPiSE_SF_SF_EESH_SX_SI_SJ_SK_EUlSX_E_NS1_11comp_targetILNS1_3genE3ELNS1_11target_archE908ELNS1_3gpuE7ELNS1_3repE0EEENS1_48merge_mergepath_partition_config_static_selectorELNS0_4arch9wavefront6targetE1EEEvSJ_.uses_flat_scratch, 0
	.set _ZN7rocprim17ROCPRIM_400000_NS6detail17trampoline_kernelINS0_14default_configENS1_38merge_sort_block_merge_config_selectorIiNS0_10empty_typeEEEZZNS1_27merge_sort_block_merge_implIS3_N6thrust23THRUST_200600_302600_NS6detail15normal_iteratorINS9_10device_ptrIiEEEEPS5_m17evens_before_oddsEE10hipError_tT0_T1_T2_jT3_P12ihipStream_tbPNSt15iterator_traitsISI_E10value_typeEPNSO_ISJ_E10value_typeEPSK_NS1_7vsmem_tEENKUlT_SI_SJ_SK_E_clIPiSE_SF_SF_EESH_SX_SI_SJ_SK_EUlSX_E_NS1_11comp_targetILNS1_3genE3ELNS1_11target_archE908ELNS1_3gpuE7ELNS1_3repE0EEENS1_48merge_mergepath_partition_config_static_selectorELNS0_4arch9wavefront6targetE1EEEvSJ_.has_dyn_sized_stack, 0
	.set _ZN7rocprim17ROCPRIM_400000_NS6detail17trampoline_kernelINS0_14default_configENS1_38merge_sort_block_merge_config_selectorIiNS0_10empty_typeEEEZZNS1_27merge_sort_block_merge_implIS3_N6thrust23THRUST_200600_302600_NS6detail15normal_iteratorINS9_10device_ptrIiEEEEPS5_m17evens_before_oddsEE10hipError_tT0_T1_T2_jT3_P12ihipStream_tbPNSt15iterator_traitsISI_E10value_typeEPNSO_ISJ_E10value_typeEPSK_NS1_7vsmem_tEENKUlT_SI_SJ_SK_E_clIPiSE_SF_SF_EESH_SX_SI_SJ_SK_EUlSX_E_NS1_11comp_targetILNS1_3genE3ELNS1_11target_archE908ELNS1_3gpuE7ELNS1_3repE0EEENS1_48merge_mergepath_partition_config_static_selectorELNS0_4arch9wavefront6targetE1EEEvSJ_.has_recursion, 0
	.set _ZN7rocprim17ROCPRIM_400000_NS6detail17trampoline_kernelINS0_14default_configENS1_38merge_sort_block_merge_config_selectorIiNS0_10empty_typeEEEZZNS1_27merge_sort_block_merge_implIS3_N6thrust23THRUST_200600_302600_NS6detail15normal_iteratorINS9_10device_ptrIiEEEEPS5_m17evens_before_oddsEE10hipError_tT0_T1_T2_jT3_P12ihipStream_tbPNSt15iterator_traitsISI_E10value_typeEPNSO_ISJ_E10value_typeEPSK_NS1_7vsmem_tEENKUlT_SI_SJ_SK_E_clIPiSE_SF_SF_EESH_SX_SI_SJ_SK_EUlSX_E_NS1_11comp_targetILNS1_3genE3ELNS1_11target_archE908ELNS1_3gpuE7ELNS1_3repE0EEENS1_48merge_mergepath_partition_config_static_selectorELNS0_4arch9wavefront6targetE1EEEvSJ_.has_indirect_call, 0
	.section	.AMDGPU.csdata,"",@progbits
; Kernel info:
; codeLenInByte = 0
; TotalNumSgprs: 6
; NumVgprs: 0
; NumAgprs: 0
; TotalNumVgprs: 0
; ScratchSize: 0
; MemoryBound: 0
; FloatMode: 240
; IeeeMode: 1
; LDSByteSize: 0 bytes/workgroup (compile time only)
; SGPRBlocks: 0
; VGPRBlocks: 0
; NumSGPRsForWavesPerEU: 6
; NumVGPRsForWavesPerEU: 1
; AccumOffset: 4
; Occupancy: 8
; WaveLimiterHint : 0
; COMPUTE_PGM_RSRC2:SCRATCH_EN: 0
; COMPUTE_PGM_RSRC2:USER_SGPR: 2
; COMPUTE_PGM_RSRC2:TRAP_HANDLER: 0
; COMPUTE_PGM_RSRC2:TGID_X_EN: 1
; COMPUTE_PGM_RSRC2:TGID_Y_EN: 0
; COMPUTE_PGM_RSRC2:TGID_Z_EN: 0
; COMPUTE_PGM_RSRC2:TIDIG_COMP_CNT: 0
; COMPUTE_PGM_RSRC3_GFX90A:ACCUM_OFFSET: 0
; COMPUTE_PGM_RSRC3_GFX90A:TG_SPLIT: 0
	.section	.text._ZN7rocprim17ROCPRIM_400000_NS6detail17trampoline_kernelINS0_14default_configENS1_38merge_sort_block_merge_config_selectorIiNS0_10empty_typeEEEZZNS1_27merge_sort_block_merge_implIS3_N6thrust23THRUST_200600_302600_NS6detail15normal_iteratorINS9_10device_ptrIiEEEEPS5_m17evens_before_oddsEE10hipError_tT0_T1_T2_jT3_P12ihipStream_tbPNSt15iterator_traitsISI_E10value_typeEPNSO_ISJ_E10value_typeEPSK_NS1_7vsmem_tEENKUlT_SI_SJ_SK_E_clIPiSE_SF_SF_EESH_SX_SI_SJ_SK_EUlSX_E_NS1_11comp_targetILNS1_3genE2ELNS1_11target_archE906ELNS1_3gpuE6ELNS1_3repE0EEENS1_48merge_mergepath_partition_config_static_selectorELNS0_4arch9wavefront6targetE1EEEvSJ_,"axG",@progbits,_ZN7rocprim17ROCPRIM_400000_NS6detail17trampoline_kernelINS0_14default_configENS1_38merge_sort_block_merge_config_selectorIiNS0_10empty_typeEEEZZNS1_27merge_sort_block_merge_implIS3_N6thrust23THRUST_200600_302600_NS6detail15normal_iteratorINS9_10device_ptrIiEEEEPS5_m17evens_before_oddsEE10hipError_tT0_T1_T2_jT3_P12ihipStream_tbPNSt15iterator_traitsISI_E10value_typeEPNSO_ISJ_E10value_typeEPSK_NS1_7vsmem_tEENKUlT_SI_SJ_SK_E_clIPiSE_SF_SF_EESH_SX_SI_SJ_SK_EUlSX_E_NS1_11comp_targetILNS1_3genE2ELNS1_11target_archE906ELNS1_3gpuE6ELNS1_3repE0EEENS1_48merge_mergepath_partition_config_static_selectorELNS0_4arch9wavefront6targetE1EEEvSJ_,comdat
	.protected	_ZN7rocprim17ROCPRIM_400000_NS6detail17trampoline_kernelINS0_14default_configENS1_38merge_sort_block_merge_config_selectorIiNS0_10empty_typeEEEZZNS1_27merge_sort_block_merge_implIS3_N6thrust23THRUST_200600_302600_NS6detail15normal_iteratorINS9_10device_ptrIiEEEEPS5_m17evens_before_oddsEE10hipError_tT0_T1_T2_jT3_P12ihipStream_tbPNSt15iterator_traitsISI_E10value_typeEPNSO_ISJ_E10value_typeEPSK_NS1_7vsmem_tEENKUlT_SI_SJ_SK_E_clIPiSE_SF_SF_EESH_SX_SI_SJ_SK_EUlSX_E_NS1_11comp_targetILNS1_3genE2ELNS1_11target_archE906ELNS1_3gpuE6ELNS1_3repE0EEENS1_48merge_mergepath_partition_config_static_selectorELNS0_4arch9wavefront6targetE1EEEvSJ_ ; -- Begin function _ZN7rocprim17ROCPRIM_400000_NS6detail17trampoline_kernelINS0_14default_configENS1_38merge_sort_block_merge_config_selectorIiNS0_10empty_typeEEEZZNS1_27merge_sort_block_merge_implIS3_N6thrust23THRUST_200600_302600_NS6detail15normal_iteratorINS9_10device_ptrIiEEEEPS5_m17evens_before_oddsEE10hipError_tT0_T1_T2_jT3_P12ihipStream_tbPNSt15iterator_traitsISI_E10value_typeEPNSO_ISJ_E10value_typeEPSK_NS1_7vsmem_tEENKUlT_SI_SJ_SK_E_clIPiSE_SF_SF_EESH_SX_SI_SJ_SK_EUlSX_E_NS1_11comp_targetILNS1_3genE2ELNS1_11target_archE906ELNS1_3gpuE6ELNS1_3repE0EEENS1_48merge_mergepath_partition_config_static_selectorELNS0_4arch9wavefront6targetE1EEEvSJ_
	.globl	_ZN7rocprim17ROCPRIM_400000_NS6detail17trampoline_kernelINS0_14default_configENS1_38merge_sort_block_merge_config_selectorIiNS0_10empty_typeEEEZZNS1_27merge_sort_block_merge_implIS3_N6thrust23THRUST_200600_302600_NS6detail15normal_iteratorINS9_10device_ptrIiEEEEPS5_m17evens_before_oddsEE10hipError_tT0_T1_T2_jT3_P12ihipStream_tbPNSt15iterator_traitsISI_E10value_typeEPNSO_ISJ_E10value_typeEPSK_NS1_7vsmem_tEENKUlT_SI_SJ_SK_E_clIPiSE_SF_SF_EESH_SX_SI_SJ_SK_EUlSX_E_NS1_11comp_targetILNS1_3genE2ELNS1_11target_archE906ELNS1_3gpuE6ELNS1_3repE0EEENS1_48merge_mergepath_partition_config_static_selectorELNS0_4arch9wavefront6targetE1EEEvSJ_
	.p2align	8
	.type	_ZN7rocprim17ROCPRIM_400000_NS6detail17trampoline_kernelINS0_14default_configENS1_38merge_sort_block_merge_config_selectorIiNS0_10empty_typeEEEZZNS1_27merge_sort_block_merge_implIS3_N6thrust23THRUST_200600_302600_NS6detail15normal_iteratorINS9_10device_ptrIiEEEEPS5_m17evens_before_oddsEE10hipError_tT0_T1_T2_jT3_P12ihipStream_tbPNSt15iterator_traitsISI_E10value_typeEPNSO_ISJ_E10value_typeEPSK_NS1_7vsmem_tEENKUlT_SI_SJ_SK_E_clIPiSE_SF_SF_EESH_SX_SI_SJ_SK_EUlSX_E_NS1_11comp_targetILNS1_3genE2ELNS1_11target_archE906ELNS1_3gpuE6ELNS1_3repE0EEENS1_48merge_mergepath_partition_config_static_selectorELNS0_4arch9wavefront6targetE1EEEvSJ_,@function
_ZN7rocprim17ROCPRIM_400000_NS6detail17trampoline_kernelINS0_14default_configENS1_38merge_sort_block_merge_config_selectorIiNS0_10empty_typeEEEZZNS1_27merge_sort_block_merge_implIS3_N6thrust23THRUST_200600_302600_NS6detail15normal_iteratorINS9_10device_ptrIiEEEEPS5_m17evens_before_oddsEE10hipError_tT0_T1_T2_jT3_P12ihipStream_tbPNSt15iterator_traitsISI_E10value_typeEPNSO_ISJ_E10value_typeEPSK_NS1_7vsmem_tEENKUlT_SI_SJ_SK_E_clIPiSE_SF_SF_EESH_SX_SI_SJ_SK_EUlSX_E_NS1_11comp_targetILNS1_3genE2ELNS1_11target_archE906ELNS1_3gpuE6ELNS1_3repE0EEENS1_48merge_mergepath_partition_config_static_selectorELNS0_4arch9wavefront6targetE1EEEvSJ_: ; @_ZN7rocprim17ROCPRIM_400000_NS6detail17trampoline_kernelINS0_14default_configENS1_38merge_sort_block_merge_config_selectorIiNS0_10empty_typeEEEZZNS1_27merge_sort_block_merge_implIS3_N6thrust23THRUST_200600_302600_NS6detail15normal_iteratorINS9_10device_ptrIiEEEEPS5_m17evens_before_oddsEE10hipError_tT0_T1_T2_jT3_P12ihipStream_tbPNSt15iterator_traitsISI_E10value_typeEPNSO_ISJ_E10value_typeEPSK_NS1_7vsmem_tEENKUlT_SI_SJ_SK_E_clIPiSE_SF_SF_EESH_SX_SI_SJ_SK_EUlSX_E_NS1_11comp_targetILNS1_3genE2ELNS1_11target_archE906ELNS1_3gpuE6ELNS1_3repE0EEENS1_48merge_mergepath_partition_config_static_selectorELNS0_4arch9wavefront6targetE1EEEvSJ_
; %bb.0:
	.section	.rodata,"a",@progbits
	.p2align	6, 0x0
	.amdhsa_kernel _ZN7rocprim17ROCPRIM_400000_NS6detail17trampoline_kernelINS0_14default_configENS1_38merge_sort_block_merge_config_selectorIiNS0_10empty_typeEEEZZNS1_27merge_sort_block_merge_implIS3_N6thrust23THRUST_200600_302600_NS6detail15normal_iteratorINS9_10device_ptrIiEEEEPS5_m17evens_before_oddsEE10hipError_tT0_T1_T2_jT3_P12ihipStream_tbPNSt15iterator_traitsISI_E10value_typeEPNSO_ISJ_E10value_typeEPSK_NS1_7vsmem_tEENKUlT_SI_SJ_SK_E_clIPiSE_SF_SF_EESH_SX_SI_SJ_SK_EUlSX_E_NS1_11comp_targetILNS1_3genE2ELNS1_11target_archE906ELNS1_3gpuE6ELNS1_3repE0EEENS1_48merge_mergepath_partition_config_static_selectorELNS0_4arch9wavefront6targetE1EEEvSJ_
		.amdhsa_group_segment_fixed_size 0
		.amdhsa_private_segment_fixed_size 0
		.amdhsa_kernarg_size 48
		.amdhsa_user_sgpr_count 2
		.amdhsa_user_sgpr_dispatch_ptr 0
		.amdhsa_user_sgpr_queue_ptr 0
		.amdhsa_user_sgpr_kernarg_segment_ptr 1
		.amdhsa_user_sgpr_dispatch_id 0
		.amdhsa_user_sgpr_kernarg_preload_length 0
		.amdhsa_user_sgpr_kernarg_preload_offset 0
		.amdhsa_user_sgpr_private_segment_size 0
		.amdhsa_uses_dynamic_stack 0
		.amdhsa_enable_private_segment 0
		.amdhsa_system_sgpr_workgroup_id_x 1
		.amdhsa_system_sgpr_workgroup_id_y 0
		.amdhsa_system_sgpr_workgroup_id_z 0
		.amdhsa_system_sgpr_workgroup_info 0
		.amdhsa_system_vgpr_workitem_id 0
		.amdhsa_next_free_vgpr 1
		.amdhsa_next_free_sgpr 0
		.amdhsa_accum_offset 4
		.amdhsa_reserve_vcc 0
		.amdhsa_float_round_mode_32 0
		.amdhsa_float_round_mode_16_64 0
		.amdhsa_float_denorm_mode_32 3
		.amdhsa_float_denorm_mode_16_64 3
		.amdhsa_dx10_clamp 1
		.amdhsa_ieee_mode 1
		.amdhsa_fp16_overflow 0
		.amdhsa_tg_split 0
		.amdhsa_exception_fp_ieee_invalid_op 0
		.amdhsa_exception_fp_denorm_src 0
		.amdhsa_exception_fp_ieee_div_zero 0
		.amdhsa_exception_fp_ieee_overflow 0
		.amdhsa_exception_fp_ieee_underflow 0
		.amdhsa_exception_fp_ieee_inexact 0
		.amdhsa_exception_int_div_zero 0
	.end_amdhsa_kernel
	.section	.text._ZN7rocprim17ROCPRIM_400000_NS6detail17trampoline_kernelINS0_14default_configENS1_38merge_sort_block_merge_config_selectorIiNS0_10empty_typeEEEZZNS1_27merge_sort_block_merge_implIS3_N6thrust23THRUST_200600_302600_NS6detail15normal_iteratorINS9_10device_ptrIiEEEEPS5_m17evens_before_oddsEE10hipError_tT0_T1_T2_jT3_P12ihipStream_tbPNSt15iterator_traitsISI_E10value_typeEPNSO_ISJ_E10value_typeEPSK_NS1_7vsmem_tEENKUlT_SI_SJ_SK_E_clIPiSE_SF_SF_EESH_SX_SI_SJ_SK_EUlSX_E_NS1_11comp_targetILNS1_3genE2ELNS1_11target_archE906ELNS1_3gpuE6ELNS1_3repE0EEENS1_48merge_mergepath_partition_config_static_selectorELNS0_4arch9wavefront6targetE1EEEvSJ_,"axG",@progbits,_ZN7rocprim17ROCPRIM_400000_NS6detail17trampoline_kernelINS0_14default_configENS1_38merge_sort_block_merge_config_selectorIiNS0_10empty_typeEEEZZNS1_27merge_sort_block_merge_implIS3_N6thrust23THRUST_200600_302600_NS6detail15normal_iteratorINS9_10device_ptrIiEEEEPS5_m17evens_before_oddsEE10hipError_tT0_T1_T2_jT3_P12ihipStream_tbPNSt15iterator_traitsISI_E10value_typeEPNSO_ISJ_E10value_typeEPSK_NS1_7vsmem_tEENKUlT_SI_SJ_SK_E_clIPiSE_SF_SF_EESH_SX_SI_SJ_SK_EUlSX_E_NS1_11comp_targetILNS1_3genE2ELNS1_11target_archE906ELNS1_3gpuE6ELNS1_3repE0EEENS1_48merge_mergepath_partition_config_static_selectorELNS0_4arch9wavefront6targetE1EEEvSJ_,comdat
.Lfunc_end413:
	.size	_ZN7rocprim17ROCPRIM_400000_NS6detail17trampoline_kernelINS0_14default_configENS1_38merge_sort_block_merge_config_selectorIiNS0_10empty_typeEEEZZNS1_27merge_sort_block_merge_implIS3_N6thrust23THRUST_200600_302600_NS6detail15normal_iteratorINS9_10device_ptrIiEEEEPS5_m17evens_before_oddsEE10hipError_tT0_T1_T2_jT3_P12ihipStream_tbPNSt15iterator_traitsISI_E10value_typeEPNSO_ISJ_E10value_typeEPSK_NS1_7vsmem_tEENKUlT_SI_SJ_SK_E_clIPiSE_SF_SF_EESH_SX_SI_SJ_SK_EUlSX_E_NS1_11comp_targetILNS1_3genE2ELNS1_11target_archE906ELNS1_3gpuE6ELNS1_3repE0EEENS1_48merge_mergepath_partition_config_static_selectorELNS0_4arch9wavefront6targetE1EEEvSJ_, .Lfunc_end413-_ZN7rocprim17ROCPRIM_400000_NS6detail17trampoline_kernelINS0_14default_configENS1_38merge_sort_block_merge_config_selectorIiNS0_10empty_typeEEEZZNS1_27merge_sort_block_merge_implIS3_N6thrust23THRUST_200600_302600_NS6detail15normal_iteratorINS9_10device_ptrIiEEEEPS5_m17evens_before_oddsEE10hipError_tT0_T1_T2_jT3_P12ihipStream_tbPNSt15iterator_traitsISI_E10value_typeEPNSO_ISJ_E10value_typeEPSK_NS1_7vsmem_tEENKUlT_SI_SJ_SK_E_clIPiSE_SF_SF_EESH_SX_SI_SJ_SK_EUlSX_E_NS1_11comp_targetILNS1_3genE2ELNS1_11target_archE906ELNS1_3gpuE6ELNS1_3repE0EEENS1_48merge_mergepath_partition_config_static_selectorELNS0_4arch9wavefront6targetE1EEEvSJ_
                                        ; -- End function
	.set _ZN7rocprim17ROCPRIM_400000_NS6detail17trampoline_kernelINS0_14default_configENS1_38merge_sort_block_merge_config_selectorIiNS0_10empty_typeEEEZZNS1_27merge_sort_block_merge_implIS3_N6thrust23THRUST_200600_302600_NS6detail15normal_iteratorINS9_10device_ptrIiEEEEPS5_m17evens_before_oddsEE10hipError_tT0_T1_T2_jT3_P12ihipStream_tbPNSt15iterator_traitsISI_E10value_typeEPNSO_ISJ_E10value_typeEPSK_NS1_7vsmem_tEENKUlT_SI_SJ_SK_E_clIPiSE_SF_SF_EESH_SX_SI_SJ_SK_EUlSX_E_NS1_11comp_targetILNS1_3genE2ELNS1_11target_archE906ELNS1_3gpuE6ELNS1_3repE0EEENS1_48merge_mergepath_partition_config_static_selectorELNS0_4arch9wavefront6targetE1EEEvSJ_.num_vgpr, 0
	.set _ZN7rocprim17ROCPRIM_400000_NS6detail17trampoline_kernelINS0_14default_configENS1_38merge_sort_block_merge_config_selectorIiNS0_10empty_typeEEEZZNS1_27merge_sort_block_merge_implIS3_N6thrust23THRUST_200600_302600_NS6detail15normal_iteratorINS9_10device_ptrIiEEEEPS5_m17evens_before_oddsEE10hipError_tT0_T1_T2_jT3_P12ihipStream_tbPNSt15iterator_traitsISI_E10value_typeEPNSO_ISJ_E10value_typeEPSK_NS1_7vsmem_tEENKUlT_SI_SJ_SK_E_clIPiSE_SF_SF_EESH_SX_SI_SJ_SK_EUlSX_E_NS1_11comp_targetILNS1_3genE2ELNS1_11target_archE906ELNS1_3gpuE6ELNS1_3repE0EEENS1_48merge_mergepath_partition_config_static_selectorELNS0_4arch9wavefront6targetE1EEEvSJ_.num_agpr, 0
	.set _ZN7rocprim17ROCPRIM_400000_NS6detail17trampoline_kernelINS0_14default_configENS1_38merge_sort_block_merge_config_selectorIiNS0_10empty_typeEEEZZNS1_27merge_sort_block_merge_implIS3_N6thrust23THRUST_200600_302600_NS6detail15normal_iteratorINS9_10device_ptrIiEEEEPS5_m17evens_before_oddsEE10hipError_tT0_T1_T2_jT3_P12ihipStream_tbPNSt15iterator_traitsISI_E10value_typeEPNSO_ISJ_E10value_typeEPSK_NS1_7vsmem_tEENKUlT_SI_SJ_SK_E_clIPiSE_SF_SF_EESH_SX_SI_SJ_SK_EUlSX_E_NS1_11comp_targetILNS1_3genE2ELNS1_11target_archE906ELNS1_3gpuE6ELNS1_3repE0EEENS1_48merge_mergepath_partition_config_static_selectorELNS0_4arch9wavefront6targetE1EEEvSJ_.numbered_sgpr, 0
	.set _ZN7rocprim17ROCPRIM_400000_NS6detail17trampoline_kernelINS0_14default_configENS1_38merge_sort_block_merge_config_selectorIiNS0_10empty_typeEEEZZNS1_27merge_sort_block_merge_implIS3_N6thrust23THRUST_200600_302600_NS6detail15normal_iteratorINS9_10device_ptrIiEEEEPS5_m17evens_before_oddsEE10hipError_tT0_T1_T2_jT3_P12ihipStream_tbPNSt15iterator_traitsISI_E10value_typeEPNSO_ISJ_E10value_typeEPSK_NS1_7vsmem_tEENKUlT_SI_SJ_SK_E_clIPiSE_SF_SF_EESH_SX_SI_SJ_SK_EUlSX_E_NS1_11comp_targetILNS1_3genE2ELNS1_11target_archE906ELNS1_3gpuE6ELNS1_3repE0EEENS1_48merge_mergepath_partition_config_static_selectorELNS0_4arch9wavefront6targetE1EEEvSJ_.num_named_barrier, 0
	.set _ZN7rocprim17ROCPRIM_400000_NS6detail17trampoline_kernelINS0_14default_configENS1_38merge_sort_block_merge_config_selectorIiNS0_10empty_typeEEEZZNS1_27merge_sort_block_merge_implIS3_N6thrust23THRUST_200600_302600_NS6detail15normal_iteratorINS9_10device_ptrIiEEEEPS5_m17evens_before_oddsEE10hipError_tT0_T1_T2_jT3_P12ihipStream_tbPNSt15iterator_traitsISI_E10value_typeEPNSO_ISJ_E10value_typeEPSK_NS1_7vsmem_tEENKUlT_SI_SJ_SK_E_clIPiSE_SF_SF_EESH_SX_SI_SJ_SK_EUlSX_E_NS1_11comp_targetILNS1_3genE2ELNS1_11target_archE906ELNS1_3gpuE6ELNS1_3repE0EEENS1_48merge_mergepath_partition_config_static_selectorELNS0_4arch9wavefront6targetE1EEEvSJ_.private_seg_size, 0
	.set _ZN7rocprim17ROCPRIM_400000_NS6detail17trampoline_kernelINS0_14default_configENS1_38merge_sort_block_merge_config_selectorIiNS0_10empty_typeEEEZZNS1_27merge_sort_block_merge_implIS3_N6thrust23THRUST_200600_302600_NS6detail15normal_iteratorINS9_10device_ptrIiEEEEPS5_m17evens_before_oddsEE10hipError_tT0_T1_T2_jT3_P12ihipStream_tbPNSt15iterator_traitsISI_E10value_typeEPNSO_ISJ_E10value_typeEPSK_NS1_7vsmem_tEENKUlT_SI_SJ_SK_E_clIPiSE_SF_SF_EESH_SX_SI_SJ_SK_EUlSX_E_NS1_11comp_targetILNS1_3genE2ELNS1_11target_archE906ELNS1_3gpuE6ELNS1_3repE0EEENS1_48merge_mergepath_partition_config_static_selectorELNS0_4arch9wavefront6targetE1EEEvSJ_.uses_vcc, 0
	.set _ZN7rocprim17ROCPRIM_400000_NS6detail17trampoline_kernelINS0_14default_configENS1_38merge_sort_block_merge_config_selectorIiNS0_10empty_typeEEEZZNS1_27merge_sort_block_merge_implIS3_N6thrust23THRUST_200600_302600_NS6detail15normal_iteratorINS9_10device_ptrIiEEEEPS5_m17evens_before_oddsEE10hipError_tT0_T1_T2_jT3_P12ihipStream_tbPNSt15iterator_traitsISI_E10value_typeEPNSO_ISJ_E10value_typeEPSK_NS1_7vsmem_tEENKUlT_SI_SJ_SK_E_clIPiSE_SF_SF_EESH_SX_SI_SJ_SK_EUlSX_E_NS1_11comp_targetILNS1_3genE2ELNS1_11target_archE906ELNS1_3gpuE6ELNS1_3repE0EEENS1_48merge_mergepath_partition_config_static_selectorELNS0_4arch9wavefront6targetE1EEEvSJ_.uses_flat_scratch, 0
	.set _ZN7rocprim17ROCPRIM_400000_NS6detail17trampoline_kernelINS0_14default_configENS1_38merge_sort_block_merge_config_selectorIiNS0_10empty_typeEEEZZNS1_27merge_sort_block_merge_implIS3_N6thrust23THRUST_200600_302600_NS6detail15normal_iteratorINS9_10device_ptrIiEEEEPS5_m17evens_before_oddsEE10hipError_tT0_T1_T2_jT3_P12ihipStream_tbPNSt15iterator_traitsISI_E10value_typeEPNSO_ISJ_E10value_typeEPSK_NS1_7vsmem_tEENKUlT_SI_SJ_SK_E_clIPiSE_SF_SF_EESH_SX_SI_SJ_SK_EUlSX_E_NS1_11comp_targetILNS1_3genE2ELNS1_11target_archE906ELNS1_3gpuE6ELNS1_3repE0EEENS1_48merge_mergepath_partition_config_static_selectorELNS0_4arch9wavefront6targetE1EEEvSJ_.has_dyn_sized_stack, 0
	.set _ZN7rocprim17ROCPRIM_400000_NS6detail17trampoline_kernelINS0_14default_configENS1_38merge_sort_block_merge_config_selectorIiNS0_10empty_typeEEEZZNS1_27merge_sort_block_merge_implIS3_N6thrust23THRUST_200600_302600_NS6detail15normal_iteratorINS9_10device_ptrIiEEEEPS5_m17evens_before_oddsEE10hipError_tT0_T1_T2_jT3_P12ihipStream_tbPNSt15iterator_traitsISI_E10value_typeEPNSO_ISJ_E10value_typeEPSK_NS1_7vsmem_tEENKUlT_SI_SJ_SK_E_clIPiSE_SF_SF_EESH_SX_SI_SJ_SK_EUlSX_E_NS1_11comp_targetILNS1_3genE2ELNS1_11target_archE906ELNS1_3gpuE6ELNS1_3repE0EEENS1_48merge_mergepath_partition_config_static_selectorELNS0_4arch9wavefront6targetE1EEEvSJ_.has_recursion, 0
	.set _ZN7rocprim17ROCPRIM_400000_NS6detail17trampoline_kernelINS0_14default_configENS1_38merge_sort_block_merge_config_selectorIiNS0_10empty_typeEEEZZNS1_27merge_sort_block_merge_implIS3_N6thrust23THRUST_200600_302600_NS6detail15normal_iteratorINS9_10device_ptrIiEEEEPS5_m17evens_before_oddsEE10hipError_tT0_T1_T2_jT3_P12ihipStream_tbPNSt15iterator_traitsISI_E10value_typeEPNSO_ISJ_E10value_typeEPSK_NS1_7vsmem_tEENKUlT_SI_SJ_SK_E_clIPiSE_SF_SF_EESH_SX_SI_SJ_SK_EUlSX_E_NS1_11comp_targetILNS1_3genE2ELNS1_11target_archE906ELNS1_3gpuE6ELNS1_3repE0EEENS1_48merge_mergepath_partition_config_static_selectorELNS0_4arch9wavefront6targetE1EEEvSJ_.has_indirect_call, 0
	.section	.AMDGPU.csdata,"",@progbits
; Kernel info:
; codeLenInByte = 0
; TotalNumSgprs: 6
; NumVgprs: 0
; NumAgprs: 0
; TotalNumVgprs: 0
; ScratchSize: 0
; MemoryBound: 0
; FloatMode: 240
; IeeeMode: 1
; LDSByteSize: 0 bytes/workgroup (compile time only)
; SGPRBlocks: 0
; VGPRBlocks: 0
; NumSGPRsForWavesPerEU: 6
; NumVGPRsForWavesPerEU: 1
; AccumOffset: 4
; Occupancy: 8
; WaveLimiterHint : 0
; COMPUTE_PGM_RSRC2:SCRATCH_EN: 0
; COMPUTE_PGM_RSRC2:USER_SGPR: 2
; COMPUTE_PGM_RSRC2:TRAP_HANDLER: 0
; COMPUTE_PGM_RSRC2:TGID_X_EN: 1
; COMPUTE_PGM_RSRC2:TGID_Y_EN: 0
; COMPUTE_PGM_RSRC2:TGID_Z_EN: 0
; COMPUTE_PGM_RSRC2:TIDIG_COMP_CNT: 0
; COMPUTE_PGM_RSRC3_GFX90A:ACCUM_OFFSET: 0
; COMPUTE_PGM_RSRC3_GFX90A:TG_SPLIT: 0
	.section	.text._ZN7rocprim17ROCPRIM_400000_NS6detail17trampoline_kernelINS0_14default_configENS1_38merge_sort_block_merge_config_selectorIiNS0_10empty_typeEEEZZNS1_27merge_sort_block_merge_implIS3_N6thrust23THRUST_200600_302600_NS6detail15normal_iteratorINS9_10device_ptrIiEEEEPS5_m17evens_before_oddsEE10hipError_tT0_T1_T2_jT3_P12ihipStream_tbPNSt15iterator_traitsISI_E10value_typeEPNSO_ISJ_E10value_typeEPSK_NS1_7vsmem_tEENKUlT_SI_SJ_SK_E_clIPiSE_SF_SF_EESH_SX_SI_SJ_SK_EUlSX_E_NS1_11comp_targetILNS1_3genE9ELNS1_11target_archE1100ELNS1_3gpuE3ELNS1_3repE0EEENS1_48merge_mergepath_partition_config_static_selectorELNS0_4arch9wavefront6targetE1EEEvSJ_,"axG",@progbits,_ZN7rocprim17ROCPRIM_400000_NS6detail17trampoline_kernelINS0_14default_configENS1_38merge_sort_block_merge_config_selectorIiNS0_10empty_typeEEEZZNS1_27merge_sort_block_merge_implIS3_N6thrust23THRUST_200600_302600_NS6detail15normal_iteratorINS9_10device_ptrIiEEEEPS5_m17evens_before_oddsEE10hipError_tT0_T1_T2_jT3_P12ihipStream_tbPNSt15iterator_traitsISI_E10value_typeEPNSO_ISJ_E10value_typeEPSK_NS1_7vsmem_tEENKUlT_SI_SJ_SK_E_clIPiSE_SF_SF_EESH_SX_SI_SJ_SK_EUlSX_E_NS1_11comp_targetILNS1_3genE9ELNS1_11target_archE1100ELNS1_3gpuE3ELNS1_3repE0EEENS1_48merge_mergepath_partition_config_static_selectorELNS0_4arch9wavefront6targetE1EEEvSJ_,comdat
	.protected	_ZN7rocprim17ROCPRIM_400000_NS6detail17trampoline_kernelINS0_14default_configENS1_38merge_sort_block_merge_config_selectorIiNS0_10empty_typeEEEZZNS1_27merge_sort_block_merge_implIS3_N6thrust23THRUST_200600_302600_NS6detail15normal_iteratorINS9_10device_ptrIiEEEEPS5_m17evens_before_oddsEE10hipError_tT0_T1_T2_jT3_P12ihipStream_tbPNSt15iterator_traitsISI_E10value_typeEPNSO_ISJ_E10value_typeEPSK_NS1_7vsmem_tEENKUlT_SI_SJ_SK_E_clIPiSE_SF_SF_EESH_SX_SI_SJ_SK_EUlSX_E_NS1_11comp_targetILNS1_3genE9ELNS1_11target_archE1100ELNS1_3gpuE3ELNS1_3repE0EEENS1_48merge_mergepath_partition_config_static_selectorELNS0_4arch9wavefront6targetE1EEEvSJ_ ; -- Begin function _ZN7rocprim17ROCPRIM_400000_NS6detail17trampoline_kernelINS0_14default_configENS1_38merge_sort_block_merge_config_selectorIiNS0_10empty_typeEEEZZNS1_27merge_sort_block_merge_implIS3_N6thrust23THRUST_200600_302600_NS6detail15normal_iteratorINS9_10device_ptrIiEEEEPS5_m17evens_before_oddsEE10hipError_tT0_T1_T2_jT3_P12ihipStream_tbPNSt15iterator_traitsISI_E10value_typeEPNSO_ISJ_E10value_typeEPSK_NS1_7vsmem_tEENKUlT_SI_SJ_SK_E_clIPiSE_SF_SF_EESH_SX_SI_SJ_SK_EUlSX_E_NS1_11comp_targetILNS1_3genE9ELNS1_11target_archE1100ELNS1_3gpuE3ELNS1_3repE0EEENS1_48merge_mergepath_partition_config_static_selectorELNS0_4arch9wavefront6targetE1EEEvSJ_
	.globl	_ZN7rocprim17ROCPRIM_400000_NS6detail17trampoline_kernelINS0_14default_configENS1_38merge_sort_block_merge_config_selectorIiNS0_10empty_typeEEEZZNS1_27merge_sort_block_merge_implIS3_N6thrust23THRUST_200600_302600_NS6detail15normal_iteratorINS9_10device_ptrIiEEEEPS5_m17evens_before_oddsEE10hipError_tT0_T1_T2_jT3_P12ihipStream_tbPNSt15iterator_traitsISI_E10value_typeEPNSO_ISJ_E10value_typeEPSK_NS1_7vsmem_tEENKUlT_SI_SJ_SK_E_clIPiSE_SF_SF_EESH_SX_SI_SJ_SK_EUlSX_E_NS1_11comp_targetILNS1_3genE9ELNS1_11target_archE1100ELNS1_3gpuE3ELNS1_3repE0EEENS1_48merge_mergepath_partition_config_static_selectorELNS0_4arch9wavefront6targetE1EEEvSJ_
	.p2align	8
	.type	_ZN7rocprim17ROCPRIM_400000_NS6detail17trampoline_kernelINS0_14default_configENS1_38merge_sort_block_merge_config_selectorIiNS0_10empty_typeEEEZZNS1_27merge_sort_block_merge_implIS3_N6thrust23THRUST_200600_302600_NS6detail15normal_iteratorINS9_10device_ptrIiEEEEPS5_m17evens_before_oddsEE10hipError_tT0_T1_T2_jT3_P12ihipStream_tbPNSt15iterator_traitsISI_E10value_typeEPNSO_ISJ_E10value_typeEPSK_NS1_7vsmem_tEENKUlT_SI_SJ_SK_E_clIPiSE_SF_SF_EESH_SX_SI_SJ_SK_EUlSX_E_NS1_11comp_targetILNS1_3genE9ELNS1_11target_archE1100ELNS1_3gpuE3ELNS1_3repE0EEENS1_48merge_mergepath_partition_config_static_selectorELNS0_4arch9wavefront6targetE1EEEvSJ_,@function
_ZN7rocprim17ROCPRIM_400000_NS6detail17trampoline_kernelINS0_14default_configENS1_38merge_sort_block_merge_config_selectorIiNS0_10empty_typeEEEZZNS1_27merge_sort_block_merge_implIS3_N6thrust23THRUST_200600_302600_NS6detail15normal_iteratorINS9_10device_ptrIiEEEEPS5_m17evens_before_oddsEE10hipError_tT0_T1_T2_jT3_P12ihipStream_tbPNSt15iterator_traitsISI_E10value_typeEPNSO_ISJ_E10value_typeEPSK_NS1_7vsmem_tEENKUlT_SI_SJ_SK_E_clIPiSE_SF_SF_EESH_SX_SI_SJ_SK_EUlSX_E_NS1_11comp_targetILNS1_3genE9ELNS1_11target_archE1100ELNS1_3gpuE3ELNS1_3repE0EEENS1_48merge_mergepath_partition_config_static_selectorELNS0_4arch9wavefront6targetE1EEEvSJ_: ; @_ZN7rocprim17ROCPRIM_400000_NS6detail17trampoline_kernelINS0_14default_configENS1_38merge_sort_block_merge_config_selectorIiNS0_10empty_typeEEEZZNS1_27merge_sort_block_merge_implIS3_N6thrust23THRUST_200600_302600_NS6detail15normal_iteratorINS9_10device_ptrIiEEEEPS5_m17evens_before_oddsEE10hipError_tT0_T1_T2_jT3_P12ihipStream_tbPNSt15iterator_traitsISI_E10value_typeEPNSO_ISJ_E10value_typeEPSK_NS1_7vsmem_tEENKUlT_SI_SJ_SK_E_clIPiSE_SF_SF_EESH_SX_SI_SJ_SK_EUlSX_E_NS1_11comp_targetILNS1_3genE9ELNS1_11target_archE1100ELNS1_3gpuE3ELNS1_3repE0EEENS1_48merge_mergepath_partition_config_static_selectorELNS0_4arch9wavefront6targetE1EEEvSJ_
; %bb.0:
	.section	.rodata,"a",@progbits
	.p2align	6, 0x0
	.amdhsa_kernel _ZN7rocprim17ROCPRIM_400000_NS6detail17trampoline_kernelINS0_14default_configENS1_38merge_sort_block_merge_config_selectorIiNS0_10empty_typeEEEZZNS1_27merge_sort_block_merge_implIS3_N6thrust23THRUST_200600_302600_NS6detail15normal_iteratorINS9_10device_ptrIiEEEEPS5_m17evens_before_oddsEE10hipError_tT0_T1_T2_jT3_P12ihipStream_tbPNSt15iterator_traitsISI_E10value_typeEPNSO_ISJ_E10value_typeEPSK_NS1_7vsmem_tEENKUlT_SI_SJ_SK_E_clIPiSE_SF_SF_EESH_SX_SI_SJ_SK_EUlSX_E_NS1_11comp_targetILNS1_3genE9ELNS1_11target_archE1100ELNS1_3gpuE3ELNS1_3repE0EEENS1_48merge_mergepath_partition_config_static_selectorELNS0_4arch9wavefront6targetE1EEEvSJ_
		.amdhsa_group_segment_fixed_size 0
		.amdhsa_private_segment_fixed_size 0
		.amdhsa_kernarg_size 48
		.amdhsa_user_sgpr_count 2
		.amdhsa_user_sgpr_dispatch_ptr 0
		.amdhsa_user_sgpr_queue_ptr 0
		.amdhsa_user_sgpr_kernarg_segment_ptr 1
		.amdhsa_user_sgpr_dispatch_id 0
		.amdhsa_user_sgpr_kernarg_preload_length 0
		.amdhsa_user_sgpr_kernarg_preload_offset 0
		.amdhsa_user_sgpr_private_segment_size 0
		.amdhsa_uses_dynamic_stack 0
		.amdhsa_enable_private_segment 0
		.amdhsa_system_sgpr_workgroup_id_x 1
		.amdhsa_system_sgpr_workgroup_id_y 0
		.amdhsa_system_sgpr_workgroup_id_z 0
		.amdhsa_system_sgpr_workgroup_info 0
		.amdhsa_system_vgpr_workitem_id 0
		.amdhsa_next_free_vgpr 1
		.amdhsa_next_free_sgpr 0
		.amdhsa_accum_offset 4
		.amdhsa_reserve_vcc 0
		.amdhsa_float_round_mode_32 0
		.amdhsa_float_round_mode_16_64 0
		.amdhsa_float_denorm_mode_32 3
		.amdhsa_float_denorm_mode_16_64 3
		.amdhsa_dx10_clamp 1
		.amdhsa_ieee_mode 1
		.amdhsa_fp16_overflow 0
		.amdhsa_tg_split 0
		.amdhsa_exception_fp_ieee_invalid_op 0
		.amdhsa_exception_fp_denorm_src 0
		.amdhsa_exception_fp_ieee_div_zero 0
		.amdhsa_exception_fp_ieee_overflow 0
		.amdhsa_exception_fp_ieee_underflow 0
		.amdhsa_exception_fp_ieee_inexact 0
		.amdhsa_exception_int_div_zero 0
	.end_amdhsa_kernel
	.section	.text._ZN7rocprim17ROCPRIM_400000_NS6detail17trampoline_kernelINS0_14default_configENS1_38merge_sort_block_merge_config_selectorIiNS0_10empty_typeEEEZZNS1_27merge_sort_block_merge_implIS3_N6thrust23THRUST_200600_302600_NS6detail15normal_iteratorINS9_10device_ptrIiEEEEPS5_m17evens_before_oddsEE10hipError_tT0_T1_T2_jT3_P12ihipStream_tbPNSt15iterator_traitsISI_E10value_typeEPNSO_ISJ_E10value_typeEPSK_NS1_7vsmem_tEENKUlT_SI_SJ_SK_E_clIPiSE_SF_SF_EESH_SX_SI_SJ_SK_EUlSX_E_NS1_11comp_targetILNS1_3genE9ELNS1_11target_archE1100ELNS1_3gpuE3ELNS1_3repE0EEENS1_48merge_mergepath_partition_config_static_selectorELNS0_4arch9wavefront6targetE1EEEvSJ_,"axG",@progbits,_ZN7rocprim17ROCPRIM_400000_NS6detail17trampoline_kernelINS0_14default_configENS1_38merge_sort_block_merge_config_selectorIiNS0_10empty_typeEEEZZNS1_27merge_sort_block_merge_implIS3_N6thrust23THRUST_200600_302600_NS6detail15normal_iteratorINS9_10device_ptrIiEEEEPS5_m17evens_before_oddsEE10hipError_tT0_T1_T2_jT3_P12ihipStream_tbPNSt15iterator_traitsISI_E10value_typeEPNSO_ISJ_E10value_typeEPSK_NS1_7vsmem_tEENKUlT_SI_SJ_SK_E_clIPiSE_SF_SF_EESH_SX_SI_SJ_SK_EUlSX_E_NS1_11comp_targetILNS1_3genE9ELNS1_11target_archE1100ELNS1_3gpuE3ELNS1_3repE0EEENS1_48merge_mergepath_partition_config_static_selectorELNS0_4arch9wavefront6targetE1EEEvSJ_,comdat
.Lfunc_end414:
	.size	_ZN7rocprim17ROCPRIM_400000_NS6detail17trampoline_kernelINS0_14default_configENS1_38merge_sort_block_merge_config_selectorIiNS0_10empty_typeEEEZZNS1_27merge_sort_block_merge_implIS3_N6thrust23THRUST_200600_302600_NS6detail15normal_iteratorINS9_10device_ptrIiEEEEPS5_m17evens_before_oddsEE10hipError_tT0_T1_T2_jT3_P12ihipStream_tbPNSt15iterator_traitsISI_E10value_typeEPNSO_ISJ_E10value_typeEPSK_NS1_7vsmem_tEENKUlT_SI_SJ_SK_E_clIPiSE_SF_SF_EESH_SX_SI_SJ_SK_EUlSX_E_NS1_11comp_targetILNS1_3genE9ELNS1_11target_archE1100ELNS1_3gpuE3ELNS1_3repE0EEENS1_48merge_mergepath_partition_config_static_selectorELNS0_4arch9wavefront6targetE1EEEvSJ_, .Lfunc_end414-_ZN7rocprim17ROCPRIM_400000_NS6detail17trampoline_kernelINS0_14default_configENS1_38merge_sort_block_merge_config_selectorIiNS0_10empty_typeEEEZZNS1_27merge_sort_block_merge_implIS3_N6thrust23THRUST_200600_302600_NS6detail15normal_iteratorINS9_10device_ptrIiEEEEPS5_m17evens_before_oddsEE10hipError_tT0_T1_T2_jT3_P12ihipStream_tbPNSt15iterator_traitsISI_E10value_typeEPNSO_ISJ_E10value_typeEPSK_NS1_7vsmem_tEENKUlT_SI_SJ_SK_E_clIPiSE_SF_SF_EESH_SX_SI_SJ_SK_EUlSX_E_NS1_11comp_targetILNS1_3genE9ELNS1_11target_archE1100ELNS1_3gpuE3ELNS1_3repE0EEENS1_48merge_mergepath_partition_config_static_selectorELNS0_4arch9wavefront6targetE1EEEvSJ_
                                        ; -- End function
	.set _ZN7rocprim17ROCPRIM_400000_NS6detail17trampoline_kernelINS0_14default_configENS1_38merge_sort_block_merge_config_selectorIiNS0_10empty_typeEEEZZNS1_27merge_sort_block_merge_implIS3_N6thrust23THRUST_200600_302600_NS6detail15normal_iteratorINS9_10device_ptrIiEEEEPS5_m17evens_before_oddsEE10hipError_tT0_T1_T2_jT3_P12ihipStream_tbPNSt15iterator_traitsISI_E10value_typeEPNSO_ISJ_E10value_typeEPSK_NS1_7vsmem_tEENKUlT_SI_SJ_SK_E_clIPiSE_SF_SF_EESH_SX_SI_SJ_SK_EUlSX_E_NS1_11comp_targetILNS1_3genE9ELNS1_11target_archE1100ELNS1_3gpuE3ELNS1_3repE0EEENS1_48merge_mergepath_partition_config_static_selectorELNS0_4arch9wavefront6targetE1EEEvSJ_.num_vgpr, 0
	.set _ZN7rocprim17ROCPRIM_400000_NS6detail17trampoline_kernelINS0_14default_configENS1_38merge_sort_block_merge_config_selectorIiNS0_10empty_typeEEEZZNS1_27merge_sort_block_merge_implIS3_N6thrust23THRUST_200600_302600_NS6detail15normal_iteratorINS9_10device_ptrIiEEEEPS5_m17evens_before_oddsEE10hipError_tT0_T1_T2_jT3_P12ihipStream_tbPNSt15iterator_traitsISI_E10value_typeEPNSO_ISJ_E10value_typeEPSK_NS1_7vsmem_tEENKUlT_SI_SJ_SK_E_clIPiSE_SF_SF_EESH_SX_SI_SJ_SK_EUlSX_E_NS1_11comp_targetILNS1_3genE9ELNS1_11target_archE1100ELNS1_3gpuE3ELNS1_3repE0EEENS1_48merge_mergepath_partition_config_static_selectorELNS0_4arch9wavefront6targetE1EEEvSJ_.num_agpr, 0
	.set _ZN7rocprim17ROCPRIM_400000_NS6detail17trampoline_kernelINS0_14default_configENS1_38merge_sort_block_merge_config_selectorIiNS0_10empty_typeEEEZZNS1_27merge_sort_block_merge_implIS3_N6thrust23THRUST_200600_302600_NS6detail15normal_iteratorINS9_10device_ptrIiEEEEPS5_m17evens_before_oddsEE10hipError_tT0_T1_T2_jT3_P12ihipStream_tbPNSt15iterator_traitsISI_E10value_typeEPNSO_ISJ_E10value_typeEPSK_NS1_7vsmem_tEENKUlT_SI_SJ_SK_E_clIPiSE_SF_SF_EESH_SX_SI_SJ_SK_EUlSX_E_NS1_11comp_targetILNS1_3genE9ELNS1_11target_archE1100ELNS1_3gpuE3ELNS1_3repE0EEENS1_48merge_mergepath_partition_config_static_selectorELNS0_4arch9wavefront6targetE1EEEvSJ_.numbered_sgpr, 0
	.set _ZN7rocprim17ROCPRIM_400000_NS6detail17trampoline_kernelINS0_14default_configENS1_38merge_sort_block_merge_config_selectorIiNS0_10empty_typeEEEZZNS1_27merge_sort_block_merge_implIS3_N6thrust23THRUST_200600_302600_NS6detail15normal_iteratorINS9_10device_ptrIiEEEEPS5_m17evens_before_oddsEE10hipError_tT0_T1_T2_jT3_P12ihipStream_tbPNSt15iterator_traitsISI_E10value_typeEPNSO_ISJ_E10value_typeEPSK_NS1_7vsmem_tEENKUlT_SI_SJ_SK_E_clIPiSE_SF_SF_EESH_SX_SI_SJ_SK_EUlSX_E_NS1_11comp_targetILNS1_3genE9ELNS1_11target_archE1100ELNS1_3gpuE3ELNS1_3repE0EEENS1_48merge_mergepath_partition_config_static_selectorELNS0_4arch9wavefront6targetE1EEEvSJ_.num_named_barrier, 0
	.set _ZN7rocprim17ROCPRIM_400000_NS6detail17trampoline_kernelINS0_14default_configENS1_38merge_sort_block_merge_config_selectorIiNS0_10empty_typeEEEZZNS1_27merge_sort_block_merge_implIS3_N6thrust23THRUST_200600_302600_NS6detail15normal_iteratorINS9_10device_ptrIiEEEEPS5_m17evens_before_oddsEE10hipError_tT0_T1_T2_jT3_P12ihipStream_tbPNSt15iterator_traitsISI_E10value_typeEPNSO_ISJ_E10value_typeEPSK_NS1_7vsmem_tEENKUlT_SI_SJ_SK_E_clIPiSE_SF_SF_EESH_SX_SI_SJ_SK_EUlSX_E_NS1_11comp_targetILNS1_3genE9ELNS1_11target_archE1100ELNS1_3gpuE3ELNS1_3repE0EEENS1_48merge_mergepath_partition_config_static_selectorELNS0_4arch9wavefront6targetE1EEEvSJ_.private_seg_size, 0
	.set _ZN7rocprim17ROCPRIM_400000_NS6detail17trampoline_kernelINS0_14default_configENS1_38merge_sort_block_merge_config_selectorIiNS0_10empty_typeEEEZZNS1_27merge_sort_block_merge_implIS3_N6thrust23THRUST_200600_302600_NS6detail15normal_iteratorINS9_10device_ptrIiEEEEPS5_m17evens_before_oddsEE10hipError_tT0_T1_T2_jT3_P12ihipStream_tbPNSt15iterator_traitsISI_E10value_typeEPNSO_ISJ_E10value_typeEPSK_NS1_7vsmem_tEENKUlT_SI_SJ_SK_E_clIPiSE_SF_SF_EESH_SX_SI_SJ_SK_EUlSX_E_NS1_11comp_targetILNS1_3genE9ELNS1_11target_archE1100ELNS1_3gpuE3ELNS1_3repE0EEENS1_48merge_mergepath_partition_config_static_selectorELNS0_4arch9wavefront6targetE1EEEvSJ_.uses_vcc, 0
	.set _ZN7rocprim17ROCPRIM_400000_NS6detail17trampoline_kernelINS0_14default_configENS1_38merge_sort_block_merge_config_selectorIiNS0_10empty_typeEEEZZNS1_27merge_sort_block_merge_implIS3_N6thrust23THRUST_200600_302600_NS6detail15normal_iteratorINS9_10device_ptrIiEEEEPS5_m17evens_before_oddsEE10hipError_tT0_T1_T2_jT3_P12ihipStream_tbPNSt15iterator_traitsISI_E10value_typeEPNSO_ISJ_E10value_typeEPSK_NS1_7vsmem_tEENKUlT_SI_SJ_SK_E_clIPiSE_SF_SF_EESH_SX_SI_SJ_SK_EUlSX_E_NS1_11comp_targetILNS1_3genE9ELNS1_11target_archE1100ELNS1_3gpuE3ELNS1_3repE0EEENS1_48merge_mergepath_partition_config_static_selectorELNS0_4arch9wavefront6targetE1EEEvSJ_.uses_flat_scratch, 0
	.set _ZN7rocprim17ROCPRIM_400000_NS6detail17trampoline_kernelINS0_14default_configENS1_38merge_sort_block_merge_config_selectorIiNS0_10empty_typeEEEZZNS1_27merge_sort_block_merge_implIS3_N6thrust23THRUST_200600_302600_NS6detail15normal_iteratorINS9_10device_ptrIiEEEEPS5_m17evens_before_oddsEE10hipError_tT0_T1_T2_jT3_P12ihipStream_tbPNSt15iterator_traitsISI_E10value_typeEPNSO_ISJ_E10value_typeEPSK_NS1_7vsmem_tEENKUlT_SI_SJ_SK_E_clIPiSE_SF_SF_EESH_SX_SI_SJ_SK_EUlSX_E_NS1_11comp_targetILNS1_3genE9ELNS1_11target_archE1100ELNS1_3gpuE3ELNS1_3repE0EEENS1_48merge_mergepath_partition_config_static_selectorELNS0_4arch9wavefront6targetE1EEEvSJ_.has_dyn_sized_stack, 0
	.set _ZN7rocprim17ROCPRIM_400000_NS6detail17trampoline_kernelINS0_14default_configENS1_38merge_sort_block_merge_config_selectorIiNS0_10empty_typeEEEZZNS1_27merge_sort_block_merge_implIS3_N6thrust23THRUST_200600_302600_NS6detail15normal_iteratorINS9_10device_ptrIiEEEEPS5_m17evens_before_oddsEE10hipError_tT0_T1_T2_jT3_P12ihipStream_tbPNSt15iterator_traitsISI_E10value_typeEPNSO_ISJ_E10value_typeEPSK_NS1_7vsmem_tEENKUlT_SI_SJ_SK_E_clIPiSE_SF_SF_EESH_SX_SI_SJ_SK_EUlSX_E_NS1_11comp_targetILNS1_3genE9ELNS1_11target_archE1100ELNS1_3gpuE3ELNS1_3repE0EEENS1_48merge_mergepath_partition_config_static_selectorELNS0_4arch9wavefront6targetE1EEEvSJ_.has_recursion, 0
	.set _ZN7rocprim17ROCPRIM_400000_NS6detail17trampoline_kernelINS0_14default_configENS1_38merge_sort_block_merge_config_selectorIiNS0_10empty_typeEEEZZNS1_27merge_sort_block_merge_implIS3_N6thrust23THRUST_200600_302600_NS6detail15normal_iteratorINS9_10device_ptrIiEEEEPS5_m17evens_before_oddsEE10hipError_tT0_T1_T2_jT3_P12ihipStream_tbPNSt15iterator_traitsISI_E10value_typeEPNSO_ISJ_E10value_typeEPSK_NS1_7vsmem_tEENKUlT_SI_SJ_SK_E_clIPiSE_SF_SF_EESH_SX_SI_SJ_SK_EUlSX_E_NS1_11comp_targetILNS1_3genE9ELNS1_11target_archE1100ELNS1_3gpuE3ELNS1_3repE0EEENS1_48merge_mergepath_partition_config_static_selectorELNS0_4arch9wavefront6targetE1EEEvSJ_.has_indirect_call, 0
	.section	.AMDGPU.csdata,"",@progbits
; Kernel info:
; codeLenInByte = 0
; TotalNumSgprs: 6
; NumVgprs: 0
; NumAgprs: 0
; TotalNumVgprs: 0
; ScratchSize: 0
; MemoryBound: 0
; FloatMode: 240
; IeeeMode: 1
; LDSByteSize: 0 bytes/workgroup (compile time only)
; SGPRBlocks: 0
; VGPRBlocks: 0
; NumSGPRsForWavesPerEU: 6
; NumVGPRsForWavesPerEU: 1
; AccumOffset: 4
; Occupancy: 8
; WaveLimiterHint : 0
; COMPUTE_PGM_RSRC2:SCRATCH_EN: 0
; COMPUTE_PGM_RSRC2:USER_SGPR: 2
; COMPUTE_PGM_RSRC2:TRAP_HANDLER: 0
; COMPUTE_PGM_RSRC2:TGID_X_EN: 1
; COMPUTE_PGM_RSRC2:TGID_Y_EN: 0
; COMPUTE_PGM_RSRC2:TGID_Z_EN: 0
; COMPUTE_PGM_RSRC2:TIDIG_COMP_CNT: 0
; COMPUTE_PGM_RSRC3_GFX90A:ACCUM_OFFSET: 0
; COMPUTE_PGM_RSRC3_GFX90A:TG_SPLIT: 0
	.section	.text._ZN7rocprim17ROCPRIM_400000_NS6detail17trampoline_kernelINS0_14default_configENS1_38merge_sort_block_merge_config_selectorIiNS0_10empty_typeEEEZZNS1_27merge_sort_block_merge_implIS3_N6thrust23THRUST_200600_302600_NS6detail15normal_iteratorINS9_10device_ptrIiEEEEPS5_m17evens_before_oddsEE10hipError_tT0_T1_T2_jT3_P12ihipStream_tbPNSt15iterator_traitsISI_E10value_typeEPNSO_ISJ_E10value_typeEPSK_NS1_7vsmem_tEENKUlT_SI_SJ_SK_E_clIPiSE_SF_SF_EESH_SX_SI_SJ_SK_EUlSX_E_NS1_11comp_targetILNS1_3genE8ELNS1_11target_archE1030ELNS1_3gpuE2ELNS1_3repE0EEENS1_48merge_mergepath_partition_config_static_selectorELNS0_4arch9wavefront6targetE1EEEvSJ_,"axG",@progbits,_ZN7rocprim17ROCPRIM_400000_NS6detail17trampoline_kernelINS0_14default_configENS1_38merge_sort_block_merge_config_selectorIiNS0_10empty_typeEEEZZNS1_27merge_sort_block_merge_implIS3_N6thrust23THRUST_200600_302600_NS6detail15normal_iteratorINS9_10device_ptrIiEEEEPS5_m17evens_before_oddsEE10hipError_tT0_T1_T2_jT3_P12ihipStream_tbPNSt15iterator_traitsISI_E10value_typeEPNSO_ISJ_E10value_typeEPSK_NS1_7vsmem_tEENKUlT_SI_SJ_SK_E_clIPiSE_SF_SF_EESH_SX_SI_SJ_SK_EUlSX_E_NS1_11comp_targetILNS1_3genE8ELNS1_11target_archE1030ELNS1_3gpuE2ELNS1_3repE0EEENS1_48merge_mergepath_partition_config_static_selectorELNS0_4arch9wavefront6targetE1EEEvSJ_,comdat
	.protected	_ZN7rocprim17ROCPRIM_400000_NS6detail17trampoline_kernelINS0_14default_configENS1_38merge_sort_block_merge_config_selectorIiNS0_10empty_typeEEEZZNS1_27merge_sort_block_merge_implIS3_N6thrust23THRUST_200600_302600_NS6detail15normal_iteratorINS9_10device_ptrIiEEEEPS5_m17evens_before_oddsEE10hipError_tT0_T1_T2_jT3_P12ihipStream_tbPNSt15iterator_traitsISI_E10value_typeEPNSO_ISJ_E10value_typeEPSK_NS1_7vsmem_tEENKUlT_SI_SJ_SK_E_clIPiSE_SF_SF_EESH_SX_SI_SJ_SK_EUlSX_E_NS1_11comp_targetILNS1_3genE8ELNS1_11target_archE1030ELNS1_3gpuE2ELNS1_3repE0EEENS1_48merge_mergepath_partition_config_static_selectorELNS0_4arch9wavefront6targetE1EEEvSJ_ ; -- Begin function _ZN7rocprim17ROCPRIM_400000_NS6detail17trampoline_kernelINS0_14default_configENS1_38merge_sort_block_merge_config_selectorIiNS0_10empty_typeEEEZZNS1_27merge_sort_block_merge_implIS3_N6thrust23THRUST_200600_302600_NS6detail15normal_iteratorINS9_10device_ptrIiEEEEPS5_m17evens_before_oddsEE10hipError_tT0_T1_T2_jT3_P12ihipStream_tbPNSt15iterator_traitsISI_E10value_typeEPNSO_ISJ_E10value_typeEPSK_NS1_7vsmem_tEENKUlT_SI_SJ_SK_E_clIPiSE_SF_SF_EESH_SX_SI_SJ_SK_EUlSX_E_NS1_11comp_targetILNS1_3genE8ELNS1_11target_archE1030ELNS1_3gpuE2ELNS1_3repE0EEENS1_48merge_mergepath_partition_config_static_selectorELNS0_4arch9wavefront6targetE1EEEvSJ_
	.globl	_ZN7rocprim17ROCPRIM_400000_NS6detail17trampoline_kernelINS0_14default_configENS1_38merge_sort_block_merge_config_selectorIiNS0_10empty_typeEEEZZNS1_27merge_sort_block_merge_implIS3_N6thrust23THRUST_200600_302600_NS6detail15normal_iteratorINS9_10device_ptrIiEEEEPS5_m17evens_before_oddsEE10hipError_tT0_T1_T2_jT3_P12ihipStream_tbPNSt15iterator_traitsISI_E10value_typeEPNSO_ISJ_E10value_typeEPSK_NS1_7vsmem_tEENKUlT_SI_SJ_SK_E_clIPiSE_SF_SF_EESH_SX_SI_SJ_SK_EUlSX_E_NS1_11comp_targetILNS1_3genE8ELNS1_11target_archE1030ELNS1_3gpuE2ELNS1_3repE0EEENS1_48merge_mergepath_partition_config_static_selectorELNS0_4arch9wavefront6targetE1EEEvSJ_
	.p2align	8
	.type	_ZN7rocprim17ROCPRIM_400000_NS6detail17trampoline_kernelINS0_14default_configENS1_38merge_sort_block_merge_config_selectorIiNS0_10empty_typeEEEZZNS1_27merge_sort_block_merge_implIS3_N6thrust23THRUST_200600_302600_NS6detail15normal_iteratorINS9_10device_ptrIiEEEEPS5_m17evens_before_oddsEE10hipError_tT0_T1_T2_jT3_P12ihipStream_tbPNSt15iterator_traitsISI_E10value_typeEPNSO_ISJ_E10value_typeEPSK_NS1_7vsmem_tEENKUlT_SI_SJ_SK_E_clIPiSE_SF_SF_EESH_SX_SI_SJ_SK_EUlSX_E_NS1_11comp_targetILNS1_3genE8ELNS1_11target_archE1030ELNS1_3gpuE2ELNS1_3repE0EEENS1_48merge_mergepath_partition_config_static_selectorELNS0_4arch9wavefront6targetE1EEEvSJ_,@function
_ZN7rocprim17ROCPRIM_400000_NS6detail17trampoline_kernelINS0_14default_configENS1_38merge_sort_block_merge_config_selectorIiNS0_10empty_typeEEEZZNS1_27merge_sort_block_merge_implIS3_N6thrust23THRUST_200600_302600_NS6detail15normal_iteratorINS9_10device_ptrIiEEEEPS5_m17evens_before_oddsEE10hipError_tT0_T1_T2_jT3_P12ihipStream_tbPNSt15iterator_traitsISI_E10value_typeEPNSO_ISJ_E10value_typeEPSK_NS1_7vsmem_tEENKUlT_SI_SJ_SK_E_clIPiSE_SF_SF_EESH_SX_SI_SJ_SK_EUlSX_E_NS1_11comp_targetILNS1_3genE8ELNS1_11target_archE1030ELNS1_3gpuE2ELNS1_3repE0EEENS1_48merge_mergepath_partition_config_static_selectorELNS0_4arch9wavefront6targetE1EEEvSJ_: ; @_ZN7rocprim17ROCPRIM_400000_NS6detail17trampoline_kernelINS0_14default_configENS1_38merge_sort_block_merge_config_selectorIiNS0_10empty_typeEEEZZNS1_27merge_sort_block_merge_implIS3_N6thrust23THRUST_200600_302600_NS6detail15normal_iteratorINS9_10device_ptrIiEEEEPS5_m17evens_before_oddsEE10hipError_tT0_T1_T2_jT3_P12ihipStream_tbPNSt15iterator_traitsISI_E10value_typeEPNSO_ISJ_E10value_typeEPSK_NS1_7vsmem_tEENKUlT_SI_SJ_SK_E_clIPiSE_SF_SF_EESH_SX_SI_SJ_SK_EUlSX_E_NS1_11comp_targetILNS1_3genE8ELNS1_11target_archE1030ELNS1_3gpuE2ELNS1_3repE0EEENS1_48merge_mergepath_partition_config_static_selectorELNS0_4arch9wavefront6targetE1EEEvSJ_
; %bb.0:
	.section	.rodata,"a",@progbits
	.p2align	6, 0x0
	.amdhsa_kernel _ZN7rocprim17ROCPRIM_400000_NS6detail17trampoline_kernelINS0_14default_configENS1_38merge_sort_block_merge_config_selectorIiNS0_10empty_typeEEEZZNS1_27merge_sort_block_merge_implIS3_N6thrust23THRUST_200600_302600_NS6detail15normal_iteratorINS9_10device_ptrIiEEEEPS5_m17evens_before_oddsEE10hipError_tT0_T1_T2_jT3_P12ihipStream_tbPNSt15iterator_traitsISI_E10value_typeEPNSO_ISJ_E10value_typeEPSK_NS1_7vsmem_tEENKUlT_SI_SJ_SK_E_clIPiSE_SF_SF_EESH_SX_SI_SJ_SK_EUlSX_E_NS1_11comp_targetILNS1_3genE8ELNS1_11target_archE1030ELNS1_3gpuE2ELNS1_3repE0EEENS1_48merge_mergepath_partition_config_static_selectorELNS0_4arch9wavefront6targetE1EEEvSJ_
		.amdhsa_group_segment_fixed_size 0
		.amdhsa_private_segment_fixed_size 0
		.amdhsa_kernarg_size 48
		.amdhsa_user_sgpr_count 2
		.amdhsa_user_sgpr_dispatch_ptr 0
		.amdhsa_user_sgpr_queue_ptr 0
		.amdhsa_user_sgpr_kernarg_segment_ptr 1
		.amdhsa_user_sgpr_dispatch_id 0
		.amdhsa_user_sgpr_kernarg_preload_length 0
		.amdhsa_user_sgpr_kernarg_preload_offset 0
		.amdhsa_user_sgpr_private_segment_size 0
		.amdhsa_uses_dynamic_stack 0
		.amdhsa_enable_private_segment 0
		.amdhsa_system_sgpr_workgroup_id_x 1
		.amdhsa_system_sgpr_workgroup_id_y 0
		.amdhsa_system_sgpr_workgroup_id_z 0
		.amdhsa_system_sgpr_workgroup_info 0
		.amdhsa_system_vgpr_workitem_id 0
		.amdhsa_next_free_vgpr 1
		.amdhsa_next_free_sgpr 0
		.amdhsa_accum_offset 4
		.amdhsa_reserve_vcc 0
		.amdhsa_float_round_mode_32 0
		.amdhsa_float_round_mode_16_64 0
		.amdhsa_float_denorm_mode_32 3
		.amdhsa_float_denorm_mode_16_64 3
		.amdhsa_dx10_clamp 1
		.amdhsa_ieee_mode 1
		.amdhsa_fp16_overflow 0
		.amdhsa_tg_split 0
		.amdhsa_exception_fp_ieee_invalid_op 0
		.amdhsa_exception_fp_denorm_src 0
		.amdhsa_exception_fp_ieee_div_zero 0
		.amdhsa_exception_fp_ieee_overflow 0
		.amdhsa_exception_fp_ieee_underflow 0
		.amdhsa_exception_fp_ieee_inexact 0
		.amdhsa_exception_int_div_zero 0
	.end_amdhsa_kernel
	.section	.text._ZN7rocprim17ROCPRIM_400000_NS6detail17trampoline_kernelINS0_14default_configENS1_38merge_sort_block_merge_config_selectorIiNS0_10empty_typeEEEZZNS1_27merge_sort_block_merge_implIS3_N6thrust23THRUST_200600_302600_NS6detail15normal_iteratorINS9_10device_ptrIiEEEEPS5_m17evens_before_oddsEE10hipError_tT0_T1_T2_jT3_P12ihipStream_tbPNSt15iterator_traitsISI_E10value_typeEPNSO_ISJ_E10value_typeEPSK_NS1_7vsmem_tEENKUlT_SI_SJ_SK_E_clIPiSE_SF_SF_EESH_SX_SI_SJ_SK_EUlSX_E_NS1_11comp_targetILNS1_3genE8ELNS1_11target_archE1030ELNS1_3gpuE2ELNS1_3repE0EEENS1_48merge_mergepath_partition_config_static_selectorELNS0_4arch9wavefront6targetE1EEEvSJ_,"axG",@progbits,_ZN7rocprim17ROCPRIM_400000_NS6detail17trampoline_kernelINS0_14default_configENS1_38merge_sort_block_merge_config_selectorIiNS0_10empty_typeEEEZZNS1_27merge_sort_block_merge_implIS3_N6thrust23THRUST_200600_302600_NS6detail15normal_iteratorINS9_10device_ptrIiEEEEPS5_m17evens_before_oddsEE10hipError_tT0_T1_T2_jT3_P12ihipStream_tbPNSt15iterator_traitsISI_E10value_typeEPNSO_ISJ_E10value_typeEPSK_NS1_7vsmem_tEENKUlT_SI_SJ_SK_E_clIPiSE_SF_SF_EESH_SX_SI_SJ_SK_EUlSX_E_NS1_11comp_targetILNS1_3genE8ELNS1_11target_archE1030ELNS1_3gpuE2ELNS1_3repE0EEENS1_48merge_mergepath_partition_config_static_selectorELNS0_4arch9wavefront6targetE1EEEvSJ_,comdat
.Lfunc_end415:
	.size	_ZN7rocprim17ROCPRIM_400000_NS6detail17trampoline_kernelINS0_14default_configENS1_38merge_sort_block_merge_config_selectorIiNS0_10empty_typeEEEZZNS1_27merge_sort_block_merge_implIS3_N6thrust23THRUST_200600_302600_NS6detail15normal_iteratorINS9_10device_ptrIiEEEEPS5_m17evens_before_oddsEE10hipError_tT0_T1_T2_jT3_P12ihipStream_tbPNSt15iterator_traitsISI_E10value_typeEPNSO_ISJ_E10value_typeEPSK_NS1_7vsmem_tEENKUlT_SI_SJ_SK_E_clIPiSE_SF_SF_EESH_SX_SI_SJ_SK_EUlSX_E_NS1_11comp_targetILNS1_3genE8ELNS1_11target_archE1030ELNS1_3gpuE2ELNS1_3repE0EEENS1_48merge_mergepath_partition_config_static_selectorELNS0_4arch9wavefront6targetE1EEEvSJ_, .Lfunc_end415-_ZN7rocprim17ROCPRIM_400000_NS6detail17trampoline_kernelINS0_14default_configENS1_38merge_sort_block_merge_config_selectorIiNS0_10empty_typeEEEZZNS1_27merge_sort_block_merge_implIS3_N6thrust23THRUST_200600_302600_NS6detail15normal_iteratorINS9_10device_ptrIiEEEEPS5_m17evens_before_oddsEE10hipError_tT0_T1_T2_jT3_P12ihipStream_tbPNSt15iterator_traitsISI_E10value_typeEPNSO_ISJ_E10value_typeEPSK_NS1_7vsmem_tEENKUlT_SI_SJ_SK_E_clIPiSE_SF_SF_EESH_SX_SI_SJ_SK_EUlSX_E_NS1_11comp_targetILNS1_3genE8ELNS1_11target_archE1030ELNS1_3gpuE2ELNS1_3repE0EEENS1_48merge_mergepath_partition_config_static_selectorELNS0_4arch9wavefront6targetE1EEEvSJ_
                                        ; -- End function
	.set _ZN7rocprim17ROCPRIM_400000_NS6detail17trampoline_kernelINS0_14default_configENS1_38merge_sort_block_merge_config_selectorIiNS0_10empty_typeEEEZZNS1_27merge_sort_block_merge_implIS3_N6thrust23THRUST_200600_302600_NS6detail15normal_iteratorINS9_10device_ptrIiEEEEPS5_m17evens_before_oddsEE10hipError_tT0_T1_T2_jT3_P12ihipStream_tbPNSt15iterator_traitsISI_E10value_typeEPNSO_ISJ_E10value_typeEPSK_NS1_7vsmem_tEENKUlT_SI_SJ_SK_E_clIPiSE_SF_SF_EESH_SX_SI_SJ_SK_EUlSX_E_NS1_11comp_targetILNS1_3genE8ELNS1_11target_archE1030ELNS1_3gpuE2ELNS1_3repE0EEENS1_48merge_mergepath_partition_config_static_selectorELNS0_4arch9wavefront6targetE1EEEvSJ_.num_vgpr, 0
	.set _ZN7rocprim17ROCPRIM_400000_NS6detail17trampoline_kernelINS0_14default_configENS1_38merge_sort_block_merge_config_selectorIiNS0_10empty_typeEEEZZNS1_27merge_sort_block_merge_implIS3_N6thrust23THRUST_200600_302600_NS6detail15normal_iteratorINS9_10device_ptrIiEEEEPS5_m17evens_before_oddsEE10hipError_tT0_T1_T2_jT3_P12ihipStream_tbPNSt15iterator_traitsISI_E10value_typeEPNSO_ISJ_E10value_typeEPSK_NS1_7vsmem_tEENKUlT_SI_SJ_SK_E_clIPiSE_SF_SF_EESH_SX_SI_SJ_SK_EUlSX_E_NS1_11comp_targetILNS1_3genE8ELNS1_11target_archE1030ELNS1_3gpuE2ELNS1_3repE0EEENS1_48merge_mergepath_partition_config_static_selectorELNS0_4arch9wavefront6targetE1EEEvSJ_.num_agpr, 0
	.set _ZN7rocprim17ROCPRIM_400000_NS6detail17trampoline_kernelINS0_14default_configENS1_38merge_sort_block_merge_config_selectorIiNS0_10empty_typeEEEZZNS1_27merge_sort_block_merge_implIS3_N6thrust23THRUST_200600_302600_NS6detail15normal_iteratorINS9_10device_ptrIiEEEEPS5_m17evens_before_oddsEE10hipError_tT0_T1_T2_jT3_P12ihipStream_tbPNSt15iterator_traitsISI_E10value_typeEPNSO_ISJ_E10value_typeEPSK_NS1_7vsmem_tEENKUlT_SI_SJ_SK_E_clIPiSE_SF_SF_EESH_SX_SI_SJ_SK_EUlSX_E_NS1_11comp_targetILNS1_3genE8ELNS1_11target_archE1030ELNS1_3gpuE2ELNS1_3repE0EEENS1_48merge_mergepath_partition_config_static_selectorELNS0_4arch9wavefront6targetE1EEEvSJ_.numbered_sgpr, 0
	.set _ZN7rocprim17ROCPRIM_400000_NS6detail17trampoline_kernelINS0_14default_configENS1_38merge_sort_block_merge_config_selectorIiNS0_10empty_typeEEEZZNS1_27merge_sort_block_merge_implIS3_N6thrust23THRUST_200600_302600_NS6detail15normal_iteratorINS9_10device_ptrIiEEEEPS5_m17evens_before_oddsEE10hipError_tT0_T1_T2_jT3_P12ihipStream_tbPNSt15iterator_traitsISI_E10value_typeEPNSO_ISJ_E10value_typeEPSK_NS1_7vsmem_tEENKUlT_SI_SJ_SK_E_clIPiSE_SF_SF_EESH_SX_SI_SJ_SK_EUlSX_E_NS1_11comp_targetILNS1_3genE8ELNS1_11target_archE1030ELNS1_3gpuE2ELNS1_3repE0EEENS1_48merge_mergepath_partition_config_static_selectorELNS0_4arch9wavefront6targetE1EEEvSJ_.num_named_barrier, 0
	.set _ZN7rocprim17ROCPRIM_400000_NS6detail17trampoline_kernelINS0_14default_configENS1_38merge_sort_block_merge_config_selectorIiNS0_10empty_typeEEEZZNS1_27merge_sort_block_merge_implIS3_N6thrust23THRUST_200600_302600_NS6detail15normal_iteratorINS9_10device_ptrIiEEEEPS5_m17evens_before_oddsEE10hipError_tT0_T1_T2_jT3_P12ihipStream_tbPNSt15iterator_traitsISI_E10value_typeEPNSO_ISJ_E10value_typeEPSK_NS1_7vsmem_tEENKUlT_SI_SJ_SK_E_clIPiSE_SF_SF_EESH_SX_SI_SJ_SK_EUlSX_E_NS1_11comp_targetILNS1_3genE8ELNS1_11target_archE1030ELNS1_3gpuE2ELNS1_3repE0EEENS1_48merge_mergepath_partition_config_static_selectorELNS0_4arch9wavefront6targetE1EEEvSJ_.private_seg_size, 0
	.set _ZN7rocprim17ROCPRIM_400000_NS6detail17trampoline_kernelINS0_14default_configENS1_38merge_sort_block_merge_config_selectorIiNS0_10empty_typeEEEZZNS1_27merge_sort_block_merge_implIS3_N6thrust23THRUST_200600_302600_NS6detail15normal_iteratorINS9_10device_ptrIiEEEEPS5_m17evens_before_oddsEE10hipError_tT0_T1_T2_jT3_P12ihipStream_tbPNSt15iterator_traitsISI_E10value_typeEPNSO_ISJ_E10value_typeEPSK_NS1_7vsmem_tEENKUlT_SI_SJ_SK_E_clIPiSE_SF_SF_EESH_SX_SI_SJ_SK_EUlSX_E_NS1_11comp_targetILNS1_3genE8ELNS1_11target_archE1030ELNS1_3gpuE2ELNS1_3repE0EEENS1_48merge_mergepath_partition_config_static_selectorELNS0_4arch9wavefront6targetE1EEEvSJ_.uses_vcc, 0
	.set _ZN7rocprim17ROCPRIM_400000_NS6detail17trampoline_kernelINS0_14default_configENS1_38merge_sort_block_merge_config_selectorIiNS0_10empty_typeEEEZZNS1_27merge_sort_block_merge_implIS3_N6thrust23THRUST_200600_302600_NS6detail15normal_iteratorINS9_10device_ptrIiEEEEPS5_m17evens_before_oddsEE10hipError_tT0_T1_T2_jT3_P12ihipStream_tbPNSt15iterator_traitsISI_E10value_typeEPNSO_ISJ_E10value_typeEPSK_NS1_7vsmem_tEENKUlT_SI_SJ_SK_E_clIPiSE_SF_SF_EESH_SX_SI_SJ_SK_EUlSX_E_NS1_11comp_targetILNS1_3genE8ELNS1_11target_archE1030ELNS1_3gpuE2ELNS1_3repE0EEENS1_48merge_mergepath_partition_config_static_selectorELNS0_4arch9wavefront6targetE1EEEvSJ_.uses_flat_scratch, 0
	.set _ZN7rocprim17ROCPRIM_400000_NS6detail17trampoline_kernelINS0_14default_configENS1_38merge_sort_block_merge_config_selectorIiNS0_10empty_typeEEEZZNS1_27merge_sort_block_merge_implIS3_N6thrust23THRUST_200600_302600_NS6detail15normal_iteratorINS9_10device_ptrIiEEEEPS5_m17evens_before_oddsEE10hipError_tT0_T1_T2_jT3_P12ihipStream_tbPNSt15iterator_traitsISI_E10value_typeEPNSO_ISJ_E10value_typeEPSK_NS1_7vsmem_tEENKUlT_SI_SJ_SK_E_clIPiSE_SF_SF_EESH_SX_SI_SJ_SK_EUlSX_E_NS1_11comp_targetILNS1_3genE8ELNS1_11target_archE1030ELNS1_3gpuE2ELNS1_3repE0EEENS1_48merge_mergepath_partition_config_static_selectorELNS0_4arch9wavefront6targetE1EEEvSJ_.has_dyn_sized_stack, 0
	.set _ZN7rocprim17ROCPRIM_400000_NS6detail17trampoline_kernelINS0_14default_configENS1_38merge_sort_block_merge_config_selectorIiNS0_10empty_typeEEEZZNS1_27merge_sort_block_merge_implIS3_N6thrust23THRUST_200600_302600_NS6detail15normal_iteratorINS9_10device_ptrIiEEEEPS5_m17evens_before_oddsEE10hipError_tT0_T1_T2_jT3_P12ihipStream_tbPNSt15iterator_traitsISI_E10value_typeEPNSO_ISJ_E10value_typeEPSK_NS1_7vsmem_tEENKUlT_SI_SJ_SK_E_clIPiSE_SF_SF_EESH_SX_SI_SJ_SK_EUlSX_E_NS1_11comp_targetILNS1_3genE8ELNS1_11target_archE1030ELNS1_3gpuE2ELNS1_3repE0EEENS1_48merge_mergepath_partition_config_static_selectorELNS0_4arch9wavefront6targetE1EEEvSJ_.has_recursion, 0
	.set _ZN7rocprim17ROCPRIM_400000_NS6detail17trampoline_kernelINS0_14default_configENS1_38merge_sort_block_merge_config_selectorIiNS0_10empty_typeEEEZZNS1_27merge_sort_block_merge_implIS3_N6thrust23THRUST_200600_302600_NS6detail15normal_iteratorINS9_10device_ptrIiEEEEPS5_m17evens_before_oddsEE10hipError_tT0_T1_T2_jT3_P12ihipStream_tbPNSt15iterator_traitsISI_E10value_typeEPNSO_ISJ_E10value_typeEPSK_NS1_7vsmem_tEENKUlT_SI_SJ_SK_E_clIPiSE_SF_SF_EESH_SX_SI_SJ_SK_EUlSX_E_NS1_11comp_targetILNS1_3genE8ELNS1_11target_archE1030ELNS1_3gpuE2ELNS1_3repE0EEENS1_48merge_mergepath_partition_config_static_selectorELNS0_4arch9wavefront6targetE1EEEvSJ_.has_indirect_call, 0
	.section	.AMDGPU.csdata,"",@progbits
; Kernel info:
; codeLenInByte = 0
; TotalNumSgprs: 6
; NumVgprs: 0
; NumAgprs: 0
; TotalNumVgprs: 0
; ScratchSize: 0
; MemoryBound: 0
; FloatMode: 240
; IeeeMode: 1
; LDSByteSize: 0 bytes/workgroup (compile time only)
; SGPRBlocks: 0
; VGPRBlocks: 0
; NumSGPRsForWavesPerEU: 6
; NumVGPRsForWavesPerEU: 1
; AccumOffset: 4
; Occupancy: 8
; WaveLimiterHint : 0
; COMPUTE_PGM_RSRC2:SCRATCH_EN: 0
; COMPUTE_PGM_RSRC2:USER_SGPR: 2
; COMPUTE_PGM_RSRC2:TRAP_HANDLER: 0
; COMPUTE_PGM_RSRC2:TGID_X_EN: 1
; COMPUTE_PGM_RSRC2:TGID_Y_EN: 0
; COMPUTE_PGM_RSRC2:TGID_Z_EN: 0
; COMPUTE_PGM_RSRC2:TIDIG_COMP_CNT: 0
; COMPUTE_PGM_RSRC3_GFX90A:ACCUM_OFFSET: 0
; COMPUTE_PGM_RSRC3_GFX90A:TG_SPLIT: 0
	.section	.text._ZN7rocprim17ROCPRIM_400000_NS6detail17trampoline_kernelINS0_14default_configENS1_38merge_sort_block_merge_config_selectorIiNS0_10empty_typeEEEZZNS1_27merge_sort_block_merge_implIS3_N6thrust23THRUST_200600_302600_NS6detail15normal_iteratorINS9_10device_ptrIiEEEEPS5_m17evens_before_oddsEE10hipError_tT0_T1_T2_jT3_P12ihipStream_tbPNSt15iterator_traitsISI_E10value_typeEPNSO_ISJ_E10value_typeEPSK_NS1_7vsmem_tEENKUlT_SI_SJ_SK_E_clIPiSE_SF_SF_EESH_SX_SI_SJ_SK_EUlSX_E0_NS1_11comp_targetILNS1_3genE0ELNS1_11target_archE4294967295ELNS1_3gpuE0ELNS1_3repE0EEENS1_38merge_mergepath_config_static_selectorELNS0_4arch9wavefront6targetE1EEEvSJ_,"axG",@progbits,_ZN7rocprim17ROCPRIM_400000_NS6detail17trampoline_kernelINS0_14default_configENS1_38merge_sort_block_merge_config_selectorIiNS0_10empty_typeEEEZZNS1_27merge_sort_block_merge_implIS3_N6thrust23THRUST_200600_302600_NS6detail15normal_iteratorINS9_10device_ptrIiEEEEPS5_m17evens_before_oddsEE10hipError_tT0_T1_T2_jT3_P12ihipStream_tbPNSt15iterator_traitsISI_E10value_typeEPNSO_ISJ_E10value_typeEPSK_NS1_7vsmem_tEENKUlT_SI_SJ_SK_E_clIPiSE_SF_SF_EESH_SX_SI_SJ_SK_EUlSX_E0_NS1_11comp_targetILNS1_3genE0ELNS1_11target_archE4294967295ELNS1_3gpuE0ELNS1_3repE0EEENS1_38merge_mergepath_config_static_selectorELNS0_4arch9wavefront6targetE1EEEvSJ_,comdat
	.protected	_ZN7rocprim17ROCPRIM_400000_NS6detail17trampoline_kernelINS0_14default_configENS1_38merge_sort_block_merge_config_selectorIiNS0_10empty_typeEEEZZNS1_27merge_sort_block_merge_implIS3_N6thrust23THRUST_200600_302600_NS6detail15normal_iteratorINS9_10device_ptrIiEEEEPS5_m17evens_before_oddsEE10hipError_tT0_T1_T2_jT3_P12ihipStream_tbPNSt15iterator_traitsISI_E10value_typeEPNSO_ISJ_E10value_typeEPSK_NS1_7vsmem_tEENKUlT_SI_SJ_SK_E_clIPiSE_SF_SF_EESH_SX_SI_SJ_SK_EUlSX_E0_NS1_11comp_targetILNS1_3genE0ELNS1_11target_archE4294967295ELNS1_3gpuE0ELNS1_3repE0EEENS1_38merge_mergepath_config_static_selectorELNS0_4arch9wavefront6targetE1EEEvSJ_ ; -- Begin function _ZN7rocprim17ROCPRIM_400000_NS6detail17trampoline_kernelINS0_14default_configENS1_38merge_sort_block_merge_config_selectorIiNS0_10empty_typeEEEZZNS1_27merge_sort_block_merge_implIS3_N6thrust23THRUST_200600_302600_NS6detail15normal_iteratorINS9_10device_ptrIiEEEEPS5_m17evens_before_oddsEE10hipError_tT0_T1_T2_jT3_P12ihipStream_tbPNSt15iterator_traitsISI_E10value_typeEPNSO_ISJ_E10value_typeEPSK_NS1_7vsmem_tEENKUlT_SI_SJ_SK_E_clIPiSE_SF_SF_EESH_SX_SI_SJ_SK_EUlSX_E0_NS1_11comp_targetILNS1_3genE0ELNS1_11target_archE4294967295ELNS1_3gpuE0ELNS1_3repE0EEENS1_38merge_mergepath_config_static_selectorELNS0_4arch9wavefront6targetE1EEEvSJ_
	.globl	_ZN7rocprim17ROCPRIM_400000_NS6detail17trampoline_kernelINS0_14default_configENS1_38merge_sort_block_merge_config_selectorIiNS0_10empty_typeEEEZZNS1_27merge_sort_block_merge_implIS3_N6thrust23THRUST_200600_302600_NS6detail15normal_iteratorINS9_10device_ptrIiEEEEPS5_m17evens_before_oddsEE10hipError_tT0_T1_T2_jT3_P12ihipStream_tbPNSt15iterator_traitsISI_E10value_typeEPNSO_ISJ_E10value_typeEPSK_NS1_7vsmem_tEENKUlT_SI_SJ_SK_E_clIPiSE_SF_SF_EESH_SX_SI_SJ_SK_EUlSX_E0_NS1_11comp_targetILNS1_3genE0ELNS1_11target_archE4294967295ELNS1_3gpuE0ELNS1_3repE0EEENS1_38merge_mergepath_config_static_selectorELNS0_4arch9wavefront6targetE1EEEvSJ_
	.p2align	8
	.type	_ZN7rocprim17ROCPRIM_400000_NS6detail17trampoline_kernelINS0_14default_configENS1_38merge_sort_block_merge_config_selectorIiNS0_10empty_typeEEEZZNS1_27merge_sort_block_merge_implIS3_N6thrust23THRUST_200600_302600_NS6detail15normal_iteratorINS9_10device_ptrIiEEEEPS5_m17evens_before_oddsEE10hipError_tT0_T1_T2_jT3_P12ihipStream_tbPNSt15iterator_traitsISI_E10value_typeEPNSO_ISJ_E10value_typeEPSK_NS1_7vsmem_tEENKUlT_SI_SJ_SK_E_clIPiSE_SF_SF_EESH_SX_SI_SJ_SK_EUlSX_E0_NS1_11comp_targetILNS1_3genE0ELNS1_11target_archE4294967295ELNS1_3gpuE0ELNS1_3repE0EEENS1_38merge_mergepath_config_static_selectorELNS0_4arch9wavefront6targetE1EEEvSJ_,@function
_ZN7rocprim17ROCPRIM_400000_NS6detail17trampoline_kernelINS0_14default_configENS1_38merge_sort_block_merge_config_selectorIiNS0_10empty_typeEEEZZNS1_27merge_sort_block_merge_implIS3_N6thrust23THRUST_200600_302600_NS6detail15normal_iteratorINS9_10device_ptrIiEEEEPS5_m17evens_before_oddsEE10hipError_tT0_T1_T2_jT3_P12ihipStream_tbPNSt15iterator_traitsISI_E10value_typeEPNSO_ISJ_E10value_typeEPSK_NS1_7vsmem_tEENKUlT_SI_SJ_SK_E_clIPiSE_SF_SF_EESH_SX_SI_SJ_SK_EUlSX_E0_NS1_11comp_targetILNS1_3genE0ELNS1_11target_archE4294967295ELNS1_3gpuE0ELNS1_3repE0EEENS1_38merge_mergepath_config_static_selectorELNS0_4arch9wavefront6targetE1EEEvSJ_: ; @_ZN7rocprim17ROCPRIM_400000_NS6detail17trampoline_kernelINS0_14default_configENS1_38merge_sort_block_merge_config_selectorIiNS0_10empty_typeEEEZZNS1_27merge_sort_block_merge_implIS3_N6thrust23THRUST_200600_302600_NS6detail15normal_iteratorINS9_10device_ptrIiEEEEPS5_m17evens_before_oddsEE10hipError_tT0_T1_T2_jT3_P12ihipStream_tbPNSt15iterator_traitsISI_E10value_typeEPNSO_ISJ_E10value_typeEPSK_NS1_7vsmem_tEENKUlT_SI_SJ_SK_E_clIPiSE_SF_SF_EESH_SX_SI_SJ_SK_EUlSX_E0_NS1_11comp_targetILNS1_3genE0ELNS1_11target_archE4294967295ELNS1_3gpuE0ELNS1_3repE0EEENS1_38merge_mergepath_config_static_selectorELNS0_4arch9wavefront6targetE1EEEvSJ_
; %bb.0:
	s_load_dwordx2 s[22:23], s[0:1], 0x48
	s_load_dword s5, s[0:1], 0x38
	s_add_u32 s18, s0, 0x48
	s_addc_u32 s19, s1, 0
	s_waitcnt lgkmcnt(0)
	s_mul_i32 s4, s23, s4
	s_add_i32 s3, s4, s3
	s_mul_i32 s3, s3, s22
	s_add_i32 s20, s3, s2
	s_cmp_ge_u32 s20, s5
	s_cbranch_scc1 .LBB416_75
; %bb.1:
	s_load_dwordx2 s[12:13], s[0:1], 0x40
	s_load_dwordx4 s[8:11], s[0:1], 0x8
	s_load_dwordx4 s[4:7], s[0:1], 0x28
	s_mov_b32 s21, 0
	s_lshl_b64 s[0:1], s[20:21], 3
	s_waitcnt lgkmcnt(0)
	s_add_u32 s0, s12, s0
	s_addc_u32 s1, s13, s1
	s_load_dwordx4 s[12:15], s[0:1], 0x0
	s_lshr_b64 s[0:1], s[6:7], 9
	s_and_b32 s0, s0, -2
	s_sub_i32 s30, 0, s0
	s_and_b32 s24, s20, s30
	s_mov_b32 s25, s21
	s_lshl_b64 s[0:1], s[24:25], 10
	s_lshl_b64 s[16:17], s[20:21], 10
	s_sub_u32 s3, s16, s0
	s_subb_u32 s23, s17, s1
	s_lshl_b64 s[24:25], s[24:25], 11
	s_add_u32 s24, s24, s6
	s_addc_u32 s25, s25, s7
	s_add_u32 s3, s24, s3
	s_addc_u32 s23, s25, s23
	s_waitcnt lgkmcnt(0)
	s_sub_u32 s26, s3, s14
	s_subb_u32 s15, s23, s15
	s_add_u32 s26, s26, 0x400
	s_addc_u32 s27, s15, 0
	v_mov_b64_e32 v[2:3], s[26:27]
	v_cmp_lt_u64_e32 vcc, s[4:5], v[2:3]
	s_and_b64 s[28:29], vcc, exec
	s_cselect_b32 s15, s4, s26
	s_or_b32 s26, s20, s30
	s_cmp_lg_u32 s26, -1
	s_cbranch_scc1 .LBB416_3
; %bb.2:
	s_sub_u32 s0, s24, s0
	s_subb_u32 s1, s25, s1
	v_mov_b64_e32 v[2:3], s[0:1]
	v_cmp_lt_u64_e32 vcc, s[4:5], v[2:3]
	s_and_b64 s[14:15], vcc, exec
	s_cselect_b32 s14, s4, s0
	s_add_u32 s0, s0, s6
	s_addc_u32 s1, s1, s7
	v_mov_b64_e32 v[2:3], s[0:1]
	v_cmp_lt_u64_e32 vcc, s[4:5], v[2:3]
	s_and_b64 s[6:7], vcc, exec
	s_cselect_b32 s15, s4, s0
.LBB416_3:
	s_lshr_b64 s[24:25], s[4:5], 10
	s_cmp_lg_u64 s[24:25], s[20:21]
	s_cselect_b64 s[6:7], -1, 0
	s_sub_u32 s0, s3, s12
	s_subb_u32 s1, s23, s13
	v_mov_b64_e32 v[2:3], s[0:1]
	v_cmp_lt_u64_e32 vcc, s[4:5], v[2:3]
	s_and_b64 s[26:27], vcc, exec
	s_cselect_b32 s26, s4, s0
	s_cselect_b32 s27, s5, s1
	s_sub_i32 s5, s14, s12
	s_sub_i32 s14, s15, s26
	s_lshl_b64 s[0:1], s[12:13], 2
	s_add_u32 s0, s8, s0
	s_addc_u32 s1, s9, s1
	s_lshl_b64 s[12:13], s[26:27], 2
	s_add_u32 s8, s8, s12
	s_addc_u32 s9, s9, s13
	s_cmp_lt_u32 s2, s22
	v_mov_b32_e32 v11, 0
	s_cselect_b32 s2, 12, 18
	global_load_dword v1, v11, s[18:19] offset:14
	s_add_u32 s2, s18, s2
	s_addc_u32 s3, s19, 0
	global_load_ushort v2, v11, s[2:3]
	s_cmp_eq_u64 s[24:25], s[20:21]
	v_lshlrev_b32_e32 v10, 2, v0
	s_waitcnt vmcnt(1)
	v_lshrrev_b32_e32 v3, 16, v1
	v_and_b32_e32 v1, 0xffff, v1
	v_mul_lo_u32 v1, v1, v3
	s_waitcnt vmcnt(0)
	v_mul_lo_u32 v1, v1, v2
	v_add_u32_e32 v14, v1, v0
	v_add_u32_e32 v12, v14, v1
	s_cbranch_scc1 .LBB416_5
; %bb.4:
	v_subrev_co_u32_e32 v4, vcc, s5, v0
	v_mov_b32_e32 v5, v11
	v_lshl_add_u64 v[2:3], s[0:1], 0, v[10:11]
	v_lshl_add_u64 v[4:5], v[4:5], 2, s[8:9]
	v_cndmask_b32_e32 v3, v5, v3, vcc
	v_cndmask_b32_e32 v2, v4, v2, vcc
	v_mov_b32_e32 v15, v11
	v_subrev_co_u32_e32 v6, vcc, s5, v14
	v_mov_b32_e32 v7, v11
	v_lshl_add_u64 v[4:5], v[14:15], 2, s[0:1]
	v_lshl_add_u64 v[6:7], v[6:7], 2, s[8:9]
	v_cndmask_b32_e32 v5, v7, v5, vcc
	v_cndmask_b32_e32 v4, v6, v4, vcc
	v_mov_b32_e32 v13, v11
	v_subrev_co_u32_e32 v6, vcc, s5, v12
	v_mov_b32_e32 v7, v11
	global_load_dword v2, v[2:3], off
	v_lshl_add_u64 v[6:7], v[6:7], 2, s[8:9]
	global_load_dword v3, v[4:5], off
	v_lshl_add_u64 v[4:5], v[12:13], 2, s[0:1]
	v_cndmask_b32_e32 v4, v6, v4, vcc
	v_add_u32_e32 v6, v12, v1
	v_cndmask_b32_e32 v5, v7, v5, vcc
	v_mov_b32_e32 v7, v11
	v_subrev_co_u32_e32 v16, vcc, s5, v6
	v_mov_b32_e32 v17, v11
	v_lshl_add_u64 v[8:9], v[6:7], 2, s[0:1]
	v_lshl_add_u64 v[16:17], v[16:17], 2, s[8:9]
	v_cndmask_b32_e32 v9, v17, v9, vcc
	v_cndmask_b32_e32 v8, v16, v8, vcc
	global_load_dword v4, v[4:5], off
	v_mov_b32_e32 v17, v11
	global_load_dword v5, v[8:9], off
	v_add_u32_e32 v8, v6, v1
	v_mov_b32_e32 v9, v11
	v_subrev_co_u32_e32 v16, vcc, s5, v8
	v_lshl_add_u64 v[6:7], v[8:9], 2, s[0:1]
	v_lshl_add_u64 v[16:17], v[16:17], 2, s[8:9]
	v_add_u32_e32 v8, v8, v1
	v_cndmask_b32_e32 v7, v17, v7, vcc
	v_cndmask_b32_e32 v6, v16, v6, vcc
	v_subrev_co_u32_e32 v18, vcc, s5, v8
	v_mov_b32_e32 v19, v11
	v_lshl_add_u64 v[16:17], v[8:9], 2, s[0:1]
	v_lshl_add_u64 v[18:19], v[18:19], 2, s[8:9]
	v_cndmask_b32_e32 v17, v19, v17, vcc
	v_cndmask_b32_e32 v16, v18, v16, vcc
	global_load_dword v6, v[6:7], off
	v_mov_b32_e32 v19, v11
	global_load_dword v7, v[16:17], off
	v_add_u32_e32 v16, v8, v1
	v_mov_b32_e32 v17, v11
	v_subrev_co_u32_e32 v18, vcc, s5, v16
	v_lshl_add_u64 v[8:9], v[16:17], 2, s[0:1]
	v_lshl_add_u64 v[18:19], v[18:19], 2, s[8:9]
	v_add_u32_e32 v16, v16, v1
	v_cndmask_b32_e32 v9, v19, v9, vcc
	v_cndmask_b32_e32 v8, v18, v8, vcc
	v_lshl_add_u64 v[18:19], v[16:17], 2, s[0:1]
	v_subrev_co_u32_e32 v16, vcc, s5, v16
	v_lshl_add_u64 v[16:17], v[16:17], 2, s[8:9]
	s_nop 0
	v_cndmask_b32_e32 v17, v17, v19, vcc
	v_cndmask_b32_e32 v16, v16, v18, vcc
	global_load_dword v8, v[8:9], off
	s_add_i32 s28, s5, s14
	global_load_dword v9, v[16:17], off
	s_cbranch_execz .LBB416_6
	s_branch .LBB416_21
.LBB416_5:
                                        ; implicit-def: $vgpr2_vgpr3_vgpr4_vgpr5_vgpr6_vgpr7_vgpr8_vgpr9
                                        ; implicit-def: $sgpr28
.LBB416_6:
	s_add_i32 s28, s5, s14
	s_waitcnt vmcnt(7)
	v_mov_b32_e32 v2, 0
	v_cmp_gt_u32_e32 vcc, s28, v0
	s_waitcnt vmcnt(6)
	v_mov_b32_e32 v3, v2
	s_waitcnt vmcnt(5)
	v_mov_b32_e32 v4, v2
	;; [unrolled: 2-line block ×7, first 2 shown]
	s_and_saveexec_b64 s[2:3], vcc
	s_cbranch_execnz .LBB416_76
; %bb.7:
	s_or_b64 exec, exec, s[2:3]
	v_cmp_gt_u32_e32 vcc, s28, v14
	s_and_saveexec_b64 s[2:3], vcc
	s_cbranch_execnz .LBB416_77
.LBB416_8:
	s_or_b64 exec, exec, s[2:3]
	v_cmp_gt_u32_e32 vcc, s28, v12
	s_and_saveexec_b64 s[2:3], vcc
	s_cbranch_execz .LBB416_10
.LBB416_9:
	v_mov_b32_e32 v13, 0
	v_subrev_co_u32_e32 v16, vcc, s5, v12
	v_mov_b32_e32 v17, v13
	v_lshl_add_u64 v[14:15], v[12:13], 2, s[0:1]
	v_lshl_add_u64 v[16:17], v[16:17], 2, s[8:9]
	v_cndmask_b32_e32 v15, v17, v15, vcc
	v_cndmask_b32_e32 v14, v16, v14, vcc
	global_load_dword v4, v[14:15], off
.LBB416_10:
	s_or_b64 exec, exec, s[2:3]
	v_add_u32_e32 v12, v12, v1
	v_cmp_gt_u32_e32 vcc, s28, v12
	s_and_saveexec_b64 s[2:3], vcc
	s_cbranch_execz .LBB416_12
; %bb.11:
	v_mov_b32_e32 v13, 0
	v_subrev_co_u32_e32 v16, vcc, s5, v12
	v_mov_b32_e32 v17, v13
	v_lshl_add_u64 v[14:15], v[12:13], 2, s[0:1]
	v_lshl_add_u64 v[16:17], v[16:17], 2, s[8:9]
	v_cndmask_b32_e32 v15, v17, v15, vcc
	v_cndmask_b32_e32 v14, v16, v14, vcc
	global_load_dword v5, v[14:15], off
.LBB416_12:
	s_or_b64 exec, exec, s[2:3]
	v_add_u32_e32 v12, v12, v1
	v_cmp_gt_u32_e32 vcc, s28, v12
	s_and_saveexec_b64 s[2:3], vcc
	s_cbranch_execz .LBB416_14
; %bb.13:
	v_mov_b32_e32 v13, 0
	v_subrev_co_u32_e32 v16, vcc, s5, v12
	v_mov_b32_e32 v17, v13
	v_lshl_add_u64 v[14:15], v[12:13], 2, s[0:1]
	v_lshl_add_u64 v[16:17], v[16:17], 2, s[8:9]
	v_cndmask_b32_e32 v15, v17, v15, vcc
	v_cndmask_b32_e32 v14, v16, v14, vcc
	global_load_dword v6, v[14:15], off
.LBB416_14:
	s_or_b64 exec, exec, s[2:3]
	v_add_u32_e32 v12, v12, v1
	v_cmp_gt_u32_e32 vcc, s28, v12
	s_and_saveexec_b64 s[2:3], vcc
	s_cbranch_execz .LBB416_16
; %bb.15:
	v_mov_b32_e32 v13, 0
	v_subrev_co_u32_e32 v16, vcc, s5, v12
	v_mov_b32_e32 v17, v13
	v_lshl_add_u64 v[14:15], v[12:13], 2, s[0:1]
	v_lshl_add_u64 v[16:17], v[16:17], 2, s[8:9]
	v_cndmask_b32_e32 v15, v17, v15, vcc
	v_cndmask_b32_e32 v14, v16, v14, vcc
	global_load_dword v7, v[14:15], off
.LBB416_16:
	s_or_b64 exec, exec, s[2:3]
	v_add_u32_e32 v12, v12, v1
	v_cmp_gt_u32_e32 vcc, s28, v12
	s_and_saveexec_b64 s[2:3], vcc
	s_cbranch_execz .LBB416_18
; %bb.17:
	v_mov_b32_e32 v13, 0
	v_subrev_co_u32_e32 v16, vcc, s5, v12
	v_mov_b32_e32 v17, v13
	v_lshl_add_u64 v[14:15], v[12:13], 2, s[0:1]
	v_lshl_add_u64 v[16:17], v[16:17], 2, s[8:9]
	v_cndmask_b32_e32 v15, v17, v15, vcc
	v_cndmask_b32_e32 v14, v16, v14, vcc
	global_load_dword v8, v[14:15], off
.LBB416_18:
	s_or_b64 exec, exec, s[2:3]
	v_add_u32_e32 v12, v12, v1
	v_cmp_gt_u32_e32 vcc, s28, v12
	s_and_saveexec_b64 s[2:3], vcc
	s_cbranch_execz .LBB416_20
; %bb.19:
	v_mov_b32_e32 v13, 0
	v_lshl_add_u64 v[14:15], v[12:13], 2, s[0:1]
	v_subrev_co_u32_e32 v12, vcc, s5, v12
	v_lshl_add_u64 v[12:13], v[12:13], 2, s[8:9]
	s_nop 0
	v_cndmask_b32_e32 v13, v13, v15, vcc
	v_cndmask_b32_e32 v12, v12, v14, vcc
	global_load_dword v9, v[12:13], off
.LBB416_20:
	s_or_b64 exec, exec, s[2:3]
.LBB416_21:
	v_lshlrev_b32_e32 v1, 3, v0
	v_min_u32_e32 v12, s28, v1
	v_sub_u32_e64 v11, v12, s14 clamp
	v_min_u32_e32 v13, s5, v12
	v_cmp_lt_u32_e32 vcc, v11, v13
	s_waitcnt vmcnt(0)
	ds_write2st64_b32 v10, v2, v3 offset1:2
	ds_write2st64_b32 v10, v4, v5 offset0:4 offset1:6
	ds_write2st64_b32 v10, v6, v7 offset0:8 offset1:10
	;; [unrolled: 1-line block ×3, first 2 shown]
	s_waitcnt lgkmcnt(0)
	s_barrier
	s_and_saveexec_b64 s[0:1], vcc
	s_cbranch_execz .LBB416_25
; %bb.22:
	v_lshlrev_b32_e32 v14, 2, v12
	v_lshl_add_u32 v14, s5, 2, v14
	s_mov_b64 s[2:3], 0
.LBB416_23:                             ; =>This Inner Loop Header: Depth=1
	v_add_u32_e32 v15, v13, v11
	v_lshrrev_b32_e32 v15, 1, v15
	v_not_b32_e32 v16, v15
	v_lshlrev_b32_e32 v17, 2, v15
	v_lshl_add_u32 v16, v16, 2, v14
	ds_read_b32 v17, v17
	ds_read_b32 v16, v16
	v_add_u32_e32 v18, 1, v15
	s_waitcnt lgkmcnt(1)
	v_lshrrev_b32_e32 v19, 31, v17
	s_waitcnt lgkmcnt(0)
	v_lshrrev_b32_e32 v20, 31, v16
	v_add_u32_e32 v20, v16, v20
	v_add_u32_e32 v19, v17, v19
	v_and_b32_e32 v20, -2, v20
	v_cmp_lt_i32_e32 vcc, v16, v17
	v_and_b32_e32 v19, -2, v19
	v_sub_u32_e32 v16, v16, v20
	v_cndmask_b32_e64 v21, 0, 1, vcc
	v_sub_u32_e32 v17, v17, v19
	v_cmp_eq_u32_e32 vcc, 0, v16
	s_nop 1
	v_cndmask_b32_e64 v19, 0, 1, vcc
	v_cmp_eq_u32_e32 vcc, v16, v17
	s_nop 1
	v_cndmask_b32_e32 v16, v19, v21, vcc
	v_and_b32_e32 v16, 1, v16
	v_cmp_eq_u32_e32 vcc, 1, v16
	s_nop 1
	v_cndmask_b32_e32 v13, v13, v15, vcc
	v_cndmask_b32_e32 v11, v18, v11, vcc
	v_cmp_ge_u32_e32 vcc, v11, v13
	s_or_b64 s[2:3], vcc, s[2:3]
	s_andn2_b64 exec, exec, s[2:3]
	s_cbranch_execnz .LBB416_23
; %bb.24:
	s_or_b64 exec, exec, s[2:3]
.LBB416_25:
	s_or_b64 exec, exec, s[0:1]
	v_sub_u32_e32 v12, v12, v11
	v_add_u32_e32 v12, s5, v12
	v_cmp_ge_u32_e32 vcc, s5, v11
	v_cmp_ge_u32_e64 s[0:1], s28, v12
	s_or_b64 s[0:1], vcc, s[0:1]
	s_and_saveexec_b64 s[2:3], s[0:1]
	s_xor_b64 s[2:3], exec, s[2:3]
	s_cbranch_execz .LBB416_61
; %bb.26:
	v_cmp_le_u32_e32 vcc, s5, v11
	v_cmp_gt_u32_e64 s[0:1], s5, v11
                                        ; implicit-def: $vgpr2
	s_and_saveexec_b64 s[8:9], s[0:1]
; %bb.27:
	v_lshlrev_b32_e32 v2, 2, v11
	ds_read_b32 v2, v2
; %bb.28:
	s_or_b64 exec, exec, s[8:9]
	v_cmp_le_u32_e64 s[8:9], s28, v12
	v_cmp_gt_u32_e64 s[0:1], s28, v12
                                        ; implicit-def: $vgpr8
	s_and_saveexec_b64 s[12:13], s[0:1]
; %bb.29:
	v_lshlrev_b32_e32 v3, 2, v12
	ds_read_b32 v8, v3
; %bb.30:
	s_or_b64 exec, exec, s[12:13]
	s_nor_b64 s[12:13], vcc, s[8:9]
	s_and_saveexec_b64 s[0:1], s[12:13]
	s_cbranch_execz .LBB416_32
; %bb.31:
	s_waitcnt lgkmcnt(0)
	v_lshrrev_b32_e32 v3, 31, v8
	v_add_u32_e32 v3, v8, v3
	v_lshrrev_b32_e32 v4, 31, v2
	v_and_b32_e32 v3, -2, v3
	v_add_u32_e32 v4, v2, v4
	v_sub_u32_e32 v3, v8, v3
	v_and_b32_e32 v4, -2, v4
	v_cmp_ge_i32_e32 vcc, v8, v2
	v_sub_u32_e32 v4, v2, v4
	s_andn2_b64 s[8:9], s[8:9], exec
	v_cndmask_b32_e64 v5, 0, 1, vcc
	v_cmp_ne_u32_e32 vcc, 0, v3
	s_nop 1
	v_cndmask_b32_e64 v6, 0, 1, vcc
	v_cmp_eq_u32_e32 vcc, v3, v4
	s_nop 1
	v_cndmask_b32_e32 v3, v6, v5, vcc
	v_and_b32_e32 v3, 1, v3
	v_cmp_eq_u32_e32 vcc, 1, v3
	s_and_b64 s[12:13], vcc, exec
	s_or_b64 s[8:9], s[8:9], s[12:13]
.LBB416_32:
	s_or_b64 exec, exec, s[0:1]
	v_mov_b32_e32 v4, s28
	v_mov_b32_e32 v5, s5
	v_cndmask_b32_e64 v3, v12, v11, s[8:9]
	v_cndmask_b32_e64 v4, v4, v5, s[8:9]
	v_add_u32_e32 v6, 1, v3
	v_add_u32_e32 v3, -1, v4
	v_min_u32_e32 v3, v6, v3
	v_lshlrev_b32_e32 v3, 2, v3
	ds_read_b32 v4, v3
	v_cndmask_b32_e64 v5, v6, v12, s[8:9]
	v_cndmask_b32_e64 v6, v11, v6, s[8:9]
	v_cmp_gt_u32_e32 vcc, s28, v5
	s_mov_b64 s[12:13], -1
	s_waitcnt lgkmcnt(0)
	v_cndmask_b32_e64 v3, v4, v8, s[8:9]
	v_cndmask_b32_e64 v9, v2, v4, s[8:9]
	s_mov_b64 s[0:1], -1
	s_and_saveexec_b64 s[14:15], vcc
	s_cbranch_execz .LBB416_36
; %bb.33:
	v_cmp_gt_u32_e32 vcc, s5, v6
	s_mov_b64 s[18:19], 0
	s_and_saveexec_b64 s[0:1], vcc
	s_cbranch_execz .LBB416_35
; %bb.34:
	v_lshrrev_b32_e32 v4, 31, v3
	v_add_u32_e32 v4, v3, v4
	v_lshrrev_b32_e32 v7, 31, v9
	v_and_b32_e32 v4, -2, v4
	v_add_u32_e32 v7, v9, v7
	v_sub_u32_e32 v4, v3, v4
	v_and_b32_e32 v7, -2, v7
	v_cmp_ge_i32_e32 vcc, v3, v9
	v_sub_u32_e32 v7, v9, v7
	s_nop 0
	v_cndmask_b32_e64 v11, 0, 1, vcc
	v_cmp_ne_u32_e32 vcc, 0, v4
	s_nop 1
	v_cndmask_b32_e64 v12, 0, 1, vcc
	v_cmp_eq_u32_e32 vcc, v4, v7
	s_nop 1
	v_cndmask_b32_e32 v4, v12, v11, vcc
	v_and_b32_e32 v4, 1, v4
	v_cmp_eq_u32_e32 vcc, 1, v4
	s_and_b64 s[18:19], vcc, exec
.LBB416_35:
	s_or_b64 exec, exec, s[0:1]
	s_orn2_b64 s[0:1], s[18:19], exec
.LBB416_36:
	s_or_b64 exec, exec, s[14:15]
	v_mov_b32_e32 v7, s28
	v_mov_b32_e32 v11, s5
	v_cndmask_b32_e64 v4, v5, v6, s[0:1]
	v_cndmask_b32_e64 v7, v7, v11, s[0:1]
	v_add_u32_e32 v12, 1, v4
	v_add_u32_e32 v4, -1, v7
	v_min_u32_e32 v4, v12, v4
	v_lshlrev_b32_e32 v4, 2, v4
	ds_read_b32 v7, v4
	v_cndmask_b32_e64 v6, v6, v12, s[0:1]
	s_waitcnt lgkmcnt(0)
	v_cndmask_b32_e64 v4, v7, v3, s[0:1]
	v_cndmask_b32_e64 v11, v9, v7, s[0:1]
	;; [unrolled: 1-line block ×3, first 2 shown]
	v_cmp_gt_u32_e32 vcc, s28, v7
	s_and_saveexec_b64 s[14:15], vcc
	s_cbranch_execz .LBB416_40
; %bb.37:
	v_cmp_gt_u32_e32 vcc, s5, v6
	s_mov_b64 s[18:19], 0
	s_and_saveexec_b64 s[12:13], vcc
	s_cbranch_execz .LBB416_39
; %bb.38:
	v_lshrrev_b32_e32 v5, 31, v4
	v_add_u32_e32 v5, v4, v5
	v_lshrrev_b32_e32 v12, 31, v11
	v_and_b32_e32 v5, -2, v5
	v_add_u32_e32 v12, v11, v12
	v_sub_u32_e32 v5, v4, v5
	v_and_b32_e32 v12, -2, v12
	v_cmp_ge_i32_e32 vcc, v4, v11
	v_sub_u32_e32 v12, v11, v12
	s_nop 0
	v_cndmask_b32_e64 v13, 0, 1, vcc
	v_cmp_ne_u32_e32 vcc, 0, v5
	s_nop 1
	v_cndmask_b32_e64 v14, 0, 1, vcc
	v_cmp_eq_u32_e32 vcc, v5, v12
	s_nop 1
	v_cndmask_b32_e32 v5, v14, v13, vcc
	v_and_b32_e32 v5, 1, v5
	v_cmp_eq_u32_e32 vcc, 1, v5
	s_and_b64 s[18:19], vcc, exec
.LBB416_39:
	s_or_b64 exec, exec, s[12:13]
	s_orn2_b64 s[12:13], s[18:19], exec
.LBB416_40:
	s_or_b64 exec, exec, s[14:15]
	v_mov_b32_e32 v12, s28
	v_mov_b32_e32 v13, s5
	v_cndmask_b32_e64 v5, v7, v6, s[12:13]
	v_cndmask_b32_e64 v12, v12, v13, s[12:13]
	v_add_u32_e32 v13, 1, v5
	v_add_u32_e32 v5, -1, v12
	v_min_u32_e32 v5, v13, v5
	v_lshlrev_b32_e32 v5, 2, v5
	ds_read_b32 v12, v5
	v_cndmask_b32_e64 v7, v13, v7, s[12:13]
	v_cndmask_b32_e64 v14, v6, v13, s[12:13]
	v_cmp_gt_u32_e32 vcc, s28, v7
	s_mov_b64 s[18:19], -1
	s_waitcnt lgkmcnt(0)
	v_cndmask_b32_e64 v5, v12, v4, s[12:13]
	v_cndmask_b32_e64 v12, v11, v12, s[12:13]
	s_mov_b64 s[14:15], -1
	s_and_saveexec_b64 s[20:21], vcc
	s_cbranch_execz .LBB416_44
; %bb.41:
	v_cmp_gt_u32_e32 vcc, s5, v14
	s_mov_b64 s[22:23], 0
	s_and_saveexec_b64 s[14:15], vcc
	s_cbranch_execz .LBB416_43
; %bb.42:
	v_lshrrev_b32_e32 v6, 31, v5
	v_add_u32_e32 v6, v5, v6
	v_lshrrev_b32_e32 v13, 31, v12
	v_and_b32_e32 v6, -2, v6
	v_add_u32_e32 v13, v12, v13
	v_sub_u32_e32 v6, v5, v6
	v_and_b32_e32 v13, -2, v13
	v_cmp_ge_i32_e32 vcc, v5, v12
	v_sub_u32_e32 v13, v12, v13
	s_nop 0
	v_cndmask_b32_e64 v15, 0, 1, vcc
	v_cmp_ne_u32_e32 vcc, 0, v6
	s_nop 1
	v_cndmask_b32_e64 v16, 0, 1, vcc
	v_cmp_eq_u32_e32 vcc, v6, v13
	s_nop 1
	v_cndmask_b32_e32 v6, v16, v15, vcc
	v_and_b32_e32 v6, 1, v6
	v_cmp_eq_u32_e32 vcc, 1, v6
	s_and_b64 s[22:23], vcc, exec
.LBB416_43:
	s_or_b64 exec, exec, s[14:15]
	s_orn2_b64 s[14:15], s[22:23], exec
.LBB416_44:
	s_or_b64 exec, exec, s[20:21]
	v_mov_b32_e32 v13, s28
	v_mov_b32_e32 v15, s5
	v_cndmask_b32_e64 v6, v7, v14, s[14:15]
	v_cndmask_b32_e64 v13, v13, v15, s[14:15]
	v_add_u32_e32 v16, 1, v6
	v_add_u32_e32 v6, -1, v13
	v_min_u32_e32 v6, v16, v6
	v_lshlrev_b32_e32 v6, 2, v6
	ds_read_b32 v13, v6
	v_cndmask_b32_e64 v15, v16, v7, s[14:15]
	v_cndmask_b32_e64 v14, v14, v16, s[14:15]
	v_cmp_gt_u32_e32 vcc, s28, v15
	s_waitcnt lgkmcnt(0)
	v_cndmask_b32_e64 v6, v13, v5, s[14:15]
	v_cndmask_b32_e64 v13, v12, v13, s[14:15]
	s_and_saveexec_b64 s[20:21], vcc
	s_cbranch_execz .LBB416_48
; %bb.45:
	v_cmp_gt_u32_e32 vcc, s5, v14
	s_mov_b64 s[22:23], 0
	s_and_saveexec_b64 s[18:19], vcc
	s_cbranch_execz .LBB416_47
; %bb.46:
	v_lshrrev_b32_e32 v7, 31, v6
	v_add_u32_e32 v7, v6, v7
	v_lshrrev_b32_e32 v16, 31, v13
	v_and_b32_e32 v7, -2, v7
	v_add_u32_e32 v16, v13, v16
	v_sub_u32_e32 v7, v6, v7
	v_and_b32_e32 v16, -2, v16
	v_cmp_ge_i32_e32 vcc, v6, v13
	v_sub_u32_e32 v16, v13, v16
	s_nop 0
	v_cndmask_b32_e64 v17, 0, 1, vcc
	v_cmp_ne_u32_e32 vcc, 0, v7
	s_nop 1
	v_cndmask_b32_e64 v18, 0, 1, vcc
	v_cmp_eq_u32_e32 vcc, v7, v16
	s_nop 1
	v_cndmask_b32_e32 v7, v18, v17, vcc
	v_and_b32_e32 v7, 1, v7
	v_cmp_eq_u32_e32 vcc, 1, v7
	s_and_b64 s[22:23], vcc, exec
.LBB416_47:
	s_or_b64 exec, exec, s[18:19]
	s_orn2_b64 s[18:19], s[22:23], exec
.LBB416_48:
	s_or_b64 exec, exec, s[20:21]
	v_mov_b32_e32 v16, s28
	v_mov_b32_e32 v17, s5
	v_cndmask_b32_e64 v7, v15, v14, s[18:19]
	v_cndmask_b32_e64 v16, v16, v17, s[18:19]
	v_add_u32_e32 v18, 1, v7
	v_add_u32_e32 v7, -1, v16
	v_min_u32_e32 v7, v18, v7
	v_lshlrev_b32_e32 v7, 2, v7
	ds_read_b32 v16, v7
	v_cndmask_b32_e64 v17, v18, v15, s[18:19]
	v_cndmask_b32_e64 v19, v14, v18, s[18:19]
	v_cmp_gt_u32_e32 vcc, s28, v17
	s_mov_b64 s[20:21], -1
	s_waitcnt lgkmcnt(0)
	v_cndmask_b32_e64 v7, v16, v6, s[18:19]
	v_cndmask_b32_e64 v16, v13, v16, s[18:19]
	s_mov_b64 s[22:23], -1
	s_and_saveexec_b64 s[24:25], vcc
	s_cbranch_execz .LBB416_52
; %bb.49:
	v_cmp_gt_u32_e32 vcc, s5, v19
	s_mov_b64 s[26:27], 0
	s_and_saveexec_b64 s[22:23], vcc
	s_cbranch_execz .LBB416_51
; %bb.50:
	v_lshrrev_b32_e32 v14, 31, v7
	v_add_u32_e32 v14, v7, v14
	v_lshrrev_b32_e32 v15, 31, v16
	v_and_b32_e32 v14, -2, v14
	v_add_u32_e32 v15, v16, v15
	v_sub_u32_e32 v14, v7, v14
	v_and_b32_e32 v15, -2, v15
	v_cmp_ge_i32_e32 vcc, v7, v16
	v_sub_u32_e32 v15, v16, v15
	s_nop 0
	v_cndmask_b32_e64 v18, 0, 1, vcc
	v_cmp_ne_u32_e32 vcc, 0, v14
	s_nop 1
	v_cndmask_b32_e64 v20, 0, 1, vcc
	v_cmp_eq_u32_e32 vcc, v14, v15
	s_nop 1
	v_cndmask_b32_e32 v14, v20, v18, vcc
	v_and_b32_e32 v14, 1, v14
	v_cmp_eq_u32_e32 vcc, 1, v14
	s_and_b64 s[26:27], vcc, exec
.LBB416_51:
	s_or_b64 exec, exec, s[22:23]
	s_orn2_b64 s[22:23], s[26:27], exec
.LBB416_52:
	s_or_b64 exec, exec, s[24:25]
	v_mov_b32_e32 v15, s28
	v_mov_b32_e32 v18, s5
	v_cndmask_b32_e64 v14, v17, v19, s[22:23]
	v_cndmask_b32_e64 v15, v15, v18, s[22:23]
	v_add_u32_e32 v20, 1, v14
	v_add_u32_e32 v14, -1, v15
	v_min_u32_e32 v14, v20, v14
	v_lshlrev_b32_e32 v14, 2, v14
	ds_read_b32 v15, v14
	v_cndmask_b32_e64 v18, v20, v17, s[22:23]
	v_cndmask_b32_e64 v17, v19, v20, s[22:23]
	v_cmp_gt_u32_e32 vcc, s28, v18
	s_waitcnt lgkmcnt(0)
	v_cndmask_b32_e64 v14, v15, v7, s[22:23]
	v_cndmask_b32_e64 v15, v16, v15, s[22:23]
	s_and_saveexec_b64 s[24:25], vcc
	s_cbranch_execz .LBB416_56
; %bb.53:
	v_cmp_gt_u32_e32 vcc, s5, v17
	s_mov_b64 s[26:27], 0
	s_and_saveexec_b64 s[20:21], vcc
	s_cbranch_execz .LBB416_55
; %bb.54:
	v_lshrrev_b32_e32 v19, 31, v14
	v_add_u32_e32 v19, v14, v19
	v_lshrrev_b32_e32 v20, 31, v15
	v_and_b32_e32 v19, -2, v19
	v_add_u32_e32 v20, v15, v20
	v_sub_u32_e32 v19, v14, v19
	v_and_b32_e32 v20, -2, v20
	v_cmp_ge_i32_e32 vcc, v14, v15
	v_sub_u32_e32 v20, v15, v20
	s_nop 0
	v_cndmask_b32_e64 v21, 0, 1, vcc
	v_cmp_ne_u32_e32 vcc, 0, v19
	s_nop 1
	v_cndmask_b32_e64 v22, 0, 1, vcc
	v_cmp_eq_u32_e32 vcc, v19, v20
	s_nop 1
	v_cndmask_b32_e32 v19, v22, v21, vcc
	v_and_b32_e32 v19, 1, v19
	v_cmp_eq_u32_e32 vcc, 1, v19
	s_and_b64 s[26:27], vcc, exec
.LBB416_55:
	s_or_b64 exec, exec, s[20:21]
	s_orn2_b64 s[20:21], s[26:27], exec
.LBB416_56:
	s_or_b64 exec, exec, s[24:25]
	v_cndmask_b32_e64 v7, v7, v16, s[22:23]
	v_mov_b32_e32 v16, s28
	v_mov_b32_e32 v19, s5
	v_cndmask_b32_e64 v6, v6, v13, s[18:19]
	v_cndmask_b32_e64 v13, v18, v17, s[20:21]
	;; [unrolled: 1-line block ×3, first 2 shown]
	v_add_u32_e32 v13, 1, v13
	v_add_u32_e32 v16, -1, v16
	v_min_u32_e32 v16, v13, v16
	v_lshlrev_b32_e32 v16, 2, v16
	ds_read_b32 v16, v16
	v_cndmask_b32_e64 v2, v8, v2, s[8:9]
	v_cndmask_b32_e64 v8, v13, v18, s[20:21]
	;; [unrolled: 1-line block ×5, first 2 shown]
	s_waitcnt lgkmcnt(0)
	v_cndmask_b32_e64 v9, v15, v16, s[20:21]
	v_cmp_gt_u32_e32 vcc, s28, v8
	s_and_saveexec_b64 s[0:1], vcc
	s_cbranch_execz .LBB416_60
; %bb.57:
	v_cndmask_b32_e64 v11, v17, v13, s[20:21]
	v_cndmask_b32_e64 v8, v16, v14, s[20:21]
	v_cmp_gt_u32_e32 vcc, s5, v11
	s_and_saveexec_b64 s[8:9], vcc
	s_cbranch_execz .LBB416_59
; %bb.58:
	v_lshrrev_b32_e32 v11, 31, v8
	v_add_u32_e32 v11, v8, v11
	v_lshrrev_b32_e32 v12, 31, v9
	v_and_b32_e32 v11, -2, v11
	v_add_u32_e32 v12, v9, v12
	v_sub_u32_e32 v11, v8, v11
	v_and_b32_e32 v12, -2, v12
	v_cmp_ge_i32_e32 vcc, v8, v9
	v_sub_u32_e32 v12, v9, v12
	s_nop 0
	v_cndmask_b32_e64 v13, 0, 1, vcc
	v_cmp_ne_u32_e32 vcc, 0, v11
	s_nop 1
	v_cndmask_b32_e64 v16, 0, 1, vcc
	v_cmp_eq_u32_e32 vcc, v11, v12
	s_nop 1
	v_cndmask_b32_e32 v11, v16, v13, vcc
	v_and_b32_e32 v11, 1, v11
	v_cmp_eq_u32_e32 vcc, 1, v11
	s_nop 1
	v_cndmask_b32_e32 v8, v8, v9, vcc
.LBB416_59:
	s_or_b64 exec, exec, s[8:9]
	v_mov_b32_e32 v9, v8
.LBB416_60:
	s_or_b64 exec, exec, s[0:1]
	v_cndmask_b32_e64 v8, v14, v15, s[20:21]
.LBB416_61:
	s_andn2_saveexec_b64 s[0:1], s[2:3]
	s_or_b64 exec, exec, s[0:1]
	v_and_b32_e32 v11, 0x7c, v0
	v_lshl_add_u32 v1, v1, 2, v11
	s_barrier
	s_barrier
	ds_write2_b32 v1, v2, v3 offset1:1
	ds_write2_b32 v1, v4, v5 offset0:2 offset1:3
	ds_write2_b32 v1, v6, v7 offset0:4 offset1:5
	ds_write2_b32 v1, v8, v9 offset0:6 offset1:7
	v_lshrrev_b32_e32 v1, 3, v0
	v_and_b32_e32 v1, 12, v1
	v_or_b32_e32 v9, 0x80, v0
	v_add_u32_e32 v12, v1, v10
	v_lshrrev_b32_e32 v1, 3, v9
	v_and_b32_e32 v1, 28, v1
	v_or_b32_e32 v8, 0x100, v0
	v_add_u32_e32 v13, v1, v10
	;; [unrolled: 4-line block ×6, first 2 shown]
	v_lshrrev_b32_e32 v1, 3, v4
	v_and_b32_e32 v1, 0x6c, v1
	s_lshl_b64 s[0:1], s[16:17], 2
	v_add_u32_e32 v18, v1, v10
	v_or_b32_e32 v1, 0x380, v0
	s_add_u32 s0, s10, s0
	v_lshrrev_b32_e32 v2, 3, v1
	s_addc_u32 s1, s11, s1
	v_and_b32_e32 v2, 0x7c, v2
	v_mov_b32_e32 v11, 0
	v_add_u32_e32 v19, v2, v10
	v_lshl_add_u64 v[2:3], s[0:1], 0, v[10:11]
	s_and_b64 vcc, exec, s[6:7]
	s_waitcnt lgkmcnt(0)
	s_cbranch_vccz .LBB416_63
; %bb.62:
	s_barrier
	ds_read_b32 v10, v12
	ds_read_b32 v11, v13 offset:512
	ds_read_b32 v20, v14 offset:1024
	;; [unrolled: 1-line block ×7, first 2 shown]
	s_waitcnt lgkmcnt(7)
	global_store_dword v[2:3], v10, off
	s_waitcnt lgkmcnt(6)
	global_store_dword v[2:3], v11, off offset:512
	s_waitcnt lgkmcnt(5)
	global_store_dword v[2:3], v20, off offset:1024
	;; [unrolled: 2-line block ×6, first 2 shown]
	s_mov_b64 s[0:1], -1
	s_cbranch_execz .LBB416_64
	s_branch .LBB416_73
.LBB416_63:
	s_mov_b64 s[0:1], 0
                                        ; implicit-def: $vgpr22
.LBB416_64:
	s_barrier
	s_waitcnt lgkmcnt(0)
	ds_read_b32 v21, v13 offset:512
	ds_read_b32 v20, v14 offset:1024
	;; [unrolled: 1-line block ×7, first 2 shown]
	s_sub_i32 s2, s4, s16
	v_cmp_gt_u32_e32 vcc, s2, v0
	s_and_saveexec_b64 s[0:1], vcc
	s_cbranch_execnz .LBB416_78
; %bb.65:
	s_or_b64 exec, exec, s[0:1]
	v_cmp_gt_u32_e32 vcc, s2, v9
	s_and_saveexec_b64 s[0:1], vcc
	s_cbranch_execnz .LBB416_79
.LBB416_66:
	s_or_b64 exec, exec, s[0:1]
	v_cmp_gt_u32_e32 vcc, s2, v8
	s_and_saveexec_b64 s[0:1], vcc
	s_cbranch_execnz .LBB416_80
.LBB416_67:
	s_or_b64 exec, exec, s[0:1]
	v_cmp_gt_u32_e32 vcc, s2, v7
	s_and_saveexec_b64 s[0:1], vcc
	s_cbranch_execnz .LBB416_81
.LBB416_68:
	s_or_b64 exec, exec, s[0:1]
	v_cmp_gt_u32_e32 vcc, s2, v6
	s_and_saveexec_b64 s[0:1], vcc
	s_cbranch_execnz .LBB416_82
.LBB416_69:
	s_or_b64 exec, exec, s[0:1]
	v_cmp_gt_u32_e32 vcc, s2, v5
	s_and_saveexec_b64 s[0:1], vcc
	s_cbranch_execnz .LBB416_83
.LBB416_70:
	s_or_b64 exec, exec, s[0:1]
	v_cmp_gt_u32_e32 vcc, s2, v4
	s_and_saveexec_b64 s[0:1], vcc
	s_cbranch_execz .LBB416_72
.LBB416_71:
	s_waitcnt lgkmcnt(1)
	global_store_dword v[2:3], v10, off offset:3072
.LBB416_72:
	s_or_b64 exec, exec, s[0:1]
	v_cmp_gt_u32_e64 s[0:1], s2, v1
.LBB416_73:
	s_and_saveexec_b64 s[2:3], s[0:1]
	s_cbranch_execz .LBB416_75
; %bb.74:
	s_waitcnt lgkmcnt(0)
	global_store_dword v[2:3], v22, off offset:3584
.LBB416_75:
	s_endpgm
.LBB416_76:
	v_mov_b32_e32 v11, v2
	v_subrev_co_u32_e32 v6, vcc, s5, v0
	v_mov_b32_e32 v7, v2
	v_lshl_add_u64 v[4:5], s[0:1], 0, v[10:11]
	v_lshl_add_u64 v[6:7], v[6:7], 2, s[8:9]
	v_cndmask_b32_e32 v5, v7, v5, vcc
	v_cndmask_b32_e32 v4, v6, v4, vcc
	global_load_dword v16, v[4:5], off
	v_mov_b32_e32 v17, v2
	v_mov_b32_e32 v18, v2
	;; [unrolled: 1-line block ×7, first 2 shown]
	s_waitcnt vmcnt(0)
	v_mov_b64_e32 v[2:3], v[16:17]
	v_mov_b64_e32 v[4:5], v[18:19]
	;; [unrolled: 1-line block ×4, first 2 shown]
	s_or_b64 exec, exec, s[2:3]
	v_cmp_gt_u32_e32 vcc, s28, v14
	s_and_saveexec_b64 s[2:3], vcc
	s_cbranch_execz .LBB416_8
.LBB416_77:
	v_mov_b32_e32 v15, 0
	v_lshl_add_u64 v[16:17], v[14:15], 2, s[0:1]
	v_subrev_co_u32_e32 v14, vcc, s5, v14
	v_lshl_add_u64 v[14:15], v[14:15], 2, s[8:9]
	s_nop 0
	v_cndmask_b32_e32 v15, v15, v17, vcc
	v_cndmask_b32_e32 v14, v14, v16, vcc
	global_load_dword v3, v[14:15], off
	s_or_b64 exec, exec, s[2:3]
	v_cmp_gt_u32_e32 vcc, s28, v12
	s_and_saveexec_b64 s[2:3], vcc
	s_cbranch_execnz .LBB416_9
	s_branch .LBB416_10
.LBB416_78:
	ds_read_b32 v0, v12
	s_waitcnt lgkmcnt(0)
	global_store_dword v[2:3], v0, off
	s_or_b64 exec, exec, s[0:1]
	v_cmp_gt_u32_e32 vcc, s2, v9
	s_and_saveexec_b64 s[0:1], vcc
	s_cbranch_execz .LBB416_66
.LBB416_79:
	s_waitcnt lgkmcnt(6)
	global_store_dword v[2:3], v21, off offset:512
	s_or_b64 exec, exec, s[0:1]
	v_cmp_gt_u32_e32 vcc, s2, v8
	s_and_saveexec_b64 s[0:1], vcc
	s_cbranch_execz .LBB416_67
.LBB416_80:
	s_waitcnt lgkmcnt(5)
	global_store_dword v[2:3], v20, off offset:1024
	s_or_b64 exec, exec, s[0:1]
	v_cmp_gt_u32_e32 vcc, s2, v7
	s_and_saveexec_b64 s[0:1], vcc
	s_cbranch_execz .LBB416_68
.LBB416_81:
	s_waitcnt lgkmcnt(4)
	global_store_dword v[2:3], v14, off offset:1536
	s_or_b64 exec, exec, s[0:1]
	v_cmp_gt_u32_e32 vcc, s2, v6
	s_and_saveexec_b64 s[0:1], vcc
	s_cbranch_execz .LBB416_69
.LBB416_82:
	s_waitcnt lgkmcnt(3)
	global_store_dword v[2:3], v13, off offset:2048
	s_or_b64 exec, exec, s[0:1]
	v_cmp_gt_u32_e32 vcc, s2, v5
	s_and_saveexec_b64 s[0:1], vcc
	s_cbranch_execz .LBB416_70
.LBB416_83:
	s_waitcnt lgkmcnt(2)
	global_store_dword v[2:3], v11, off offset:2560
	s_or_b64 exec, exec, s[0:1]
	v_cmp_gt_u32_e32 vcc, s2, v4
	s_and_saveexec_b64 s[0:1], vcc
	s_cbranch_execnz .LBB416_71
	s_branch .LBB416_72
	.section	.rodata,"a",@progbits
	.p2align	6, 0x0
	.amdhsa_kernel _ZN7rocprim17ROCPRIM_400000_NS6detail17trampoline_kernelINS0_14default_configENS1_38merge_sort_block_merge_config_selectorIiNS0_10empty_typeEEEZZNS1_27merge_sort_block_merge_implIS3_N6thrust23THRUST_200600_302600_NS6detail15normal_iteratorINS9_10device_ptrIiEEEEPS5_m17evens_before_oddsEE10hipError_tT0_T1_T2_jT3_P12ihipStream_tbPNSt15iterator_traitsISI_E10value_typeEPNSO_ISJ_E10value_typeEPSK_NS1_7vsmem_tEENKUlT_SI_SJ_SK_E_clIPiSE_SF_SF_EESH_SX_SI_SJ_SK_EUlSX_E0_NS1_11comp_targetILNS1_3genE0ELNS1_11target_archE4294967295ELNS1_3gpuE0ELNS1_3repE0EEENS1_38merge_mergepath_config_static_selectorELNS0_4arch9wavefront6targetE1EEEvSJ_
		.amdhsa_group_segment_fixed_size 4224
		.amdhsa_private_segment_fixed_size 0
		.amdhsa_kernarg_size 328
		.amdhsa_user_sgpr_count 2
		.amdhsa_user_sgpr_dispatch_ptr 0
		.amdhsa_user_sgpr_queue_ptr 0
		.amdhsa_user_sgpr_kernarg_segment_ptr 1
		.amdhsa_user_sgpr_dispatch_id 0
		.amdhsa_user_sgpr_kernarg_preload_length 0
		.amdhsa_user_sgpr_kernarg_preload_offset 0
		.amdhsa_user_sgpr_private_segment_size 0
		.amdhsa_uses_dynamic_stack 0
		.amdhsa_enable_private_segment 0
		.amdhsa_system_sgpr_workgroup_id_x 1
		.amdhsa_system_sgpr_workgroup_id_y 1
		.amdhsa_system_sgpr_workgroup_id_z 1
		.amdhsa_system_sgpr_workgroup_info 0
		.amdhsa_system_vgpr_workitem_id 0
		.amdhsa_next_free_vgpr 26
		.amdhsa_next_free_sgpr 31
		.amdhsa_accum_offset 28
		.amdhsa_reserve_vcc 1
		.amdhsa_float_round_mode_32 0
		.amdhsa_float_round_mode_16_64 0
		.amdhsa_float_denorm_mode_32 3
		.amdhsa_float_denorm_mode_16_64 3
		.amdhsa_dx10_clamp 1
		.amdhsa_ieee_mode 1
		.amdhsa_fp16_overflow 0
		.amdhsa_tg_split 0
		.amdhsa_exception_fp_ieee_invalid_op 0
		.amdhsa_exception_fp_denorm_src 0
		.amdhsa_exception_fp_ieee_div_zero 0
		.amdhsa_exception_fp_ieee_overflow 0
		.amdhsa_exception_fp_ieee_underflow 0
		.amdhsa_exception_fp_ieee_inexact 0
		.amdhsa_exception_int_div_zero 0
	.end_amdhsa_kernel
	.section	.text._ZN7rocprim17ROCPRIM_400000_NS6detail17trampoline_kernelINS0_14default_configENS1_38merge_sort_block_merge_config_selectorIiNS0_10empty_typeEEEZZNS1_27merge_sort_block_merge_implIS3_N6thrust23THRUST_200600_302600_NS6detail15normal_iteratorINS9_10device_ptrIiEEEEPS5_m17evens_before_oddsEE10hipError_tT0_T1_T2_jT3_P12ihipStream_tbPNSt15iterator_traitsISI_E10value_typeEPNSO_ISJ_E10value_typeEPSK_NS1_7vsmem_tEENKUlT_SI_SJ_SK_E_clIPiSE_SF_SF_EESH_SX_SI_SJ_SK_EUlSX_E0_NS1_11comp_targetILNS1_3genE0ELNS1_11target_archE4294967295ELNS1_3gpuE0ELNS1_3repE0EEENS1_38merge_mergepath_config_static_selectorELNS0_4arch9wavefront6targetE1EEEvSJ_,"axG",@progbits,_ZN7rocprim17ROCPRIM_400000_NS6detail17trampoline_kernelINS0_14default_configENS1_38merge_sort_block_merge_config_selectorIiNS0_10empty_typeEEEZZNS1_27merge_sort_block_merge_implIS3_N6thrust23THRUST_200600_302600_NS6detail15normal_iteratorINS9_10device_ptrIiEEEEPS5_m17evens_before_oddsEE10hipError_tT0_T1_T2_jT3_P12ihipStream_tbPNSt15iterator_traitsISI_E10value_typeEPNSO_ISJ_E10value_typeEPSK_NS1_7vsmem_tEENKUlT_SI_SJ_SK_E_clIPiSE_SF_SF_EESH_SX_SI_SJ_SK_EUlSX_E0_NS1_11comp_targetILNS1_3genE0ELNS1_11target_archE4294967295ELNS1_3gpuE0ELNS1_3repE0EEENS1_38merge_mergepath_config_static_selectorELNS0_4arch9wavefront6targetE1EEEvSJ_,comdat
.Lfunc_end416:
	.size	_ZN7rocprim17ROCPRIM_400000_NS6detail17trampoline_kernelINS0_14default_configENS1_38merge_sort_block_merge_config_selectorIiNS0_10empty_typeEEEZZNS1_27merge_sort_block_merge_implIS3_N6thrust23THRUST_200600_302600_NS6detail15normal_iteratorINS9_10device_ptrIiEEEEPS5_m17evens_before_oddsEE10hipError_tT0_T1_T2_jT3_P12ihipStream_tbPNSt15iterator_traitsISI_E10value_typeEPNSO_ISJ_E10value_typeEPSK_NS1_7vsmem_tEENKUlT_SI_SJ_SK_E_clIPiSE_SF_SF_EESH_SX_SI_SJ_SK_EUlSX_E0_NS1_11comp_targetILNS1_3genE0ELNS1_11target_archE4294967295ELNS1_3gpuE0ELNS1_3repE0EEENS1_38merge_mergepath_config_static_selectorELNS0_4arch9wavefront6targetE1EEEvSJ_, .Lfunc_end416-_ZN7rocprim17ROCPRIM_400000_NS6detail17trampoline_kernelINS0_14default_configENS1_38merge_sort_block_merge_config_selectorIiNS0_10empty_typeEEEZZNS1_27merge_sort_block_merge_implIS3_N6thrust23THRUST_200600_302600_NS6detail15normal_iteratorINS9_10device_ptrIiEEEEPS5_m17evens_before_oddsEE10hipError_tT0_T1_T2_jT3_P12ihipStream_tbPNSt15iterator_traitsISI_E10value_typeEPNSO_ISJ_E10value_typeEPSK_NS1_7vsmem_tEENKUlT_SI_SJ_SK_E_clIPiSE_SF_SF_EESH_SX_SI_SJ_SK_EUlSX_E0_NS1_11comp_targetILNS1_3genE0ELNS1_11target_archE4294967295ELNS1_3gpuE0ELNS1_3repE0EEENS1_38merge_mergepath_config_static_selectorELNS0_4arch9wavefront6targetE1EEEvSJ_
                                        ; -- End function
	.set _ZN7rocprim17ROCPRIM_400000_NS6detail17trampoline_kernelINS0_14default_configENS1_38merge_sort_block_merge_config_selectorIiNS0_10empty_typeEEEZZNS1_27merge_sort_block_merge_implIS3_N6thrust23THRUST_200600_302600_NS6detail15normal_iteratorINS9_10device_ptrIiEEEEPS5_m17evens_before_oddsEE10hipError_tT0_T1_T2_jT3_P12ihipStream_tbPNSt15iterator_traitsISI_E10value_typeEPNSO_ISJ_E10value_typeEPSK_NS1_7vsmem_tEENKUlT_SI_SJ_SK_E_clIPiSE_SF_SF_EESH_SX_SI_SJ_SK_EUlSX_E0_NS1_11comp_targetILNS1_3genE0ELNS1_11target_archE4294967295ELNS1_3gpuE0ELNS1_3repE0EEENS1_38merge_mergepath_config_static_selectorELNS0_4arch9wavefront6targetE1EEEvSJ_.num_vgpr, 26
	.set _ZN7rocprim17ROCPRIM_400000_NS6detail17trampoline_kernelINS0_14default_configENS1_38merge_sort_block_merge_config_selectorIiNS0_10empty_typeEEEZZNS1_27merge_sort_block_merge_implIS3_N6thrust23THRUST_200600_302600_NS6detail15normal_iteratorINS9_10device_ptrIiEEEEPS5_m17evens_before_oddsEE10hipError_tT0_T1_T2_jT3_P12ihipStream_tbPNSt15iterator_traitsISI_E10value_typeEPNSO_ISJ_E10value_typeEPSK_NS1_7vsmem_tEENKUlT_SI_SJ_SK_E_clIPiSE_SF_SF_EESH_SX_SI_SJ_SK_EUlSX_E0_NS1_11comp_targetILNS1_3genE0ELNS1_11target_archE4294967295ELNS1_3gpuE0ELNS1_3repE0EEENS1_38merge_mergepath_config_static_selectorELNS0_4arch9wavefront6targetE1EEEvSJ_.num_agpr, 0
	.set _ZN7rocprim17ROCPRIM_400000_NS6detail17trampoline_kernelINS0_14default_configENS1_38merge_sort_block_merge_config_selectorIiNS0_10empty_typeEEEZZNS1_27merge_sort_block_merge_implIS3_N6thrust23THRUST_200600_302600_NS6detail15normal_iteratorINS9_10device_ptrIiEEEEPS5_m17evens_before_oddsEE10hipError_tT0_T1_T2_jT3_P12ihipStream_tbPNSt15iterator_traitsISI_E10value_typeEPNSO_ISJ_E10value_typeEPSK_NS1_7vsmem_tEENKUlT_SI_SJ_SK_E_clIPiSE_SF_SF_EESH_SX_SI_SJ_SK_EUlSX_E0_NS1_11comp_targetILNS1_3genE0ELNS1_11target_archE4294967295ELNS1_3gpuE0ELNS1_3repE0EEENS1_38merge_mergepath_config_static_selectorELNS0_4arch9wavefront6targetE1EEEvSJ_.numbered_sgpr, 31
	.set _ZN7rocprim17ROCPRIM_400000_NS6detail17trampoline_kernelINS0_14default_configENS1_38merge_sort_block_merge_config_selectorIiNS0_10empty_typeEEEZZNS1_27merge_sort_block_merge_implIS3_N6thrust23THRUST_200600_302600_NS6detail15normal_iteratorINS9_10device_ptrIiEEEEPS5_m17evens_before_oddsEE10hipError_tT0_T1_T2_jT3_P12ihipStream_tbPNSt15iterator_traitsISI_E10value_typeEPNSO_ISJ_E10value_typeEPSK_NS1_7vsmem_tEENKUlT_SI_SJ_SK_E_clIPiSE_SF_SF_EESH_SX_SI_SJ_SK_EUlSX_E0_NS1_11comp_targetILNS1_3genE0ELNS1_11target_archE4294967295ELNS1_3gpuE0ELNS1_3repE0EEENS1_38merge_mergepath_config_static_selectorELNS0_4arch9wavefront6targetE1EEEvSJ_.num_named_barrier, 0
	.set _ZN7rocprim17ROCPRIM_400000_NS6detail17trampoline_kernelINS0_14default_configENS1_38merge_sort_block_merge_config_selectorIiNS0_10empty_typeEEEZZNS1_27merge_sort_block_merge_implIS3_N6thrust23THRUST_200600_302600_NS6detail15normal_iteratorINS9_10device_ptrIiEEEEPS5_m17evens_before_oddsEE10hipError_tT0_T1_T2_jT3_P12ihipStream_tbPNSt15iterator_traitsISI_E10value_typeEPNSO_ISJ_E10value_typeEPSK_NS1_7vsmem_tEENKUlT_SI_SJ_SK_E_clIPiSE_SF_SF_EESH_SX_SI_SJ_SK_EUlSX_E0_NS1_11comp_targetILNS1_3genE0ELNS1_11target_archE4294967295ELNS1_3gpuE0ELNS1_3repE0EEENS1_38merge_mergepath_config_static_selectorELNS0_4arch9wavefront6targetE1EEEvSJ_.private_seg_size, 0
	.set _ZN7rocprim17ROCPRIM_400000_NS6detail17trampoline_kernelINS0_14default_configENS1_38merge_sort_block_merge_config_selectorIiNS0_10empty_typeEEEZZNS1_27merge_sort_block_merge_implIS3_N6thrust23THRUST_200600_302600_NS6detail15normal_iteratorINS9_10device_ptrIiEEEEPS5_m17evens_before_oddsEE10hipError_tT0_T1_T2_jT3_P12ihipStream_tbPNSt15iterator_traitsISI_E10value_typeEPNSO_ISJ_E10value_typeEPSK_NS1_7vsmem_tEENKUlT_SI_SJ_SK_E_clIPiSE_SF_SF_EESH_SX_SI_SJ_SK_EUlSX_E0_NS1_11comp_targetILNS1_3genE0ELNS1_11target_archE4294967295ELNS1_3gpuE0ELNS1_3repE0EEENS1_38merge_mergepath_config_static_selectorELNS0_4arch9wavefront6targetE1EEEvSJ_.uses_vcc, 1
	.set _ZN7rocprim17ROCPRIM_400000_NS6detail17trampoline_kernelINS0_14default_configENS1_38merge_sort_block_merge_config_selectorIiNS0_10empty_typeEEEZZNS1_27merge_sort_block_merge_implIS3_N6thrust23THRUST_200600_302600_NS6detail15normal_iteratorINS9_10device_ptrIiEEEEPS5_m17evens_before_oddsEE10hipError_tT0_T1_T2_jT3_P12ihipStream_tbPNSt15iterator_traitsISI_E10value_typeEPNSO_ISJ_E10value_typeEPSK_NS1_7vsmem_tEENKUlT_SI_SJ_SK_E_clIPiSE_SF_SF_EESH_SX_SI_SJ_SK_EUlSX_E0_NS1_11comp_targetILNS1_3genE0ELNS1_11target_archE4294967295ELNS1_3gpuE0ELNS1_3repE0EEENS1_38merge_mergepath_config_static_selectorELNS0_4arch9wavefront6targetE1EEEvSJ_.uses_flat_scratch, 0
	.set _ZN7rocprim17ROCPRIM_400000_NS6detail17trampoline_kernelINS0_14default_configENS1_38merge_sort_block_merge_config_selectorIiNS0_10empty_typeEEEZZNS1_27merge_sort_block_merge_implIS3_N6thrust23THRUST_200600_302600_NS6detail15normal_iteratorINS9_10device_ptrIiEEEEPS5_m17evens_before_oddsEE10hipError_tT0_T1_T2_jT3_P12ihipStream_tbPNSt15iterator_traitsISI_E10value_typeEPNSO_ISJ_E10value_typeEPSK_NS1_7vsmem_tEENKUlT_SI_SJ_SK_E_clIPiSE_SF_SF_EESH_SX_SI_SJ_SK_EUlSX_E0_NS1_11comp_targetILNS1_3genE0ELNS1_11target_archE4294967295ELNS1_3gpuE0ELNS1_3repE0EEENS1_38merge_mergepath_config_static_selectorELNS0_4arch9wavefront6targetE1EEEvSJ_.has_dyn_sized_stack, 0
	.set _ZN7rocprim17ROCPRIM_400000_NS6detail17trampoline_kernelINS0_14default_configENS1_38merge_sort_block_merge_config_selectorIiNS0_10empty_typeEEEZZNS1_27merge_sort_block_merge_implIS3_N6thrust23THRUST_200600_302600_NS6detail15normal_iteratorINS9_10device_ptrIiEEEEPS5_m17evens_before_oddsEE10hipError_tT0_T1_T2_jT3_P12ihipStream_tbPNSt15iterator_traitsISI_E10value_typeEPNSO_ISJ_E10value_typeEPSK_NS1_7vsmem_tEENKUlT_SI_SJ_SK_E_clIPiSE_SF_SF_EESH_SX_SI_SJ_SK_EUlSX_E0_NS1_11comp_targetILNS1_3genE0ELNS1_11target_archE4294967295ELNS1_3gpuE0ELNS1_3repE0EEENS1_38merge_mergepath_config_static_selectorELNS0_4arch9wavefront6targetE1EEEvSJ_.has_recursion, 0
	.set _ZN7rocprim17ROCPRIM_400000_NS6detail17trampoline_kernelINS0_14default_configENS1_38merge_sort_block_merge_config_selectorIiNS0_10empty_typeEEEZZNS1_27merge_sort_block_merge_implIS3_N6thrust23THRUST_200600_302600_NS6detail15normal_iteratorINS9_10device_ptrIiEEEEPS5_m17evens_before_oddsEE10hipError_tT0_T1_T2_jT3_P12ihipStream_tbPNSt15iterator_traitsISI_E10value_typeEPNSO_ISJ_E10value_typeEPSK_NS1_7vsmem_tEENKUlT_SI_SJ_SK_E_clIPiSE_SF_SF_EESH_SX_SI_SJ_SK_EUlSX_E0_NS1_11comp_targetILNS1_3genE0ELNS1_11target_archE4294967295ELNS1_3gpuE0ELNS1_3repE0EEENS1_38merge_mergepath_config_static_selectorELNS0_4arch9wavefront6targetE1EEEvSJ_.has_indirect_call, 0
	.section	.AMDGPU.csdata,"",@progbits
; Kernel info:
; codeLenInByte = 4332
; TotalNumSgprs: 37
; NumVgprs: 26
; NumAgprs: 0
; TotalNumVgprs: 26
; ScratchSize: 0
; MemoryBound: 0
; FloatMode: 240
; IeeeMode: 1
; LDSByteSize: 4224 bytes/workgroup (compile time only)
; SGPRBlocks: 4
; VGPRBlocks: 3
; NumSGPRsForWavesPerEU: 37
; NumVGPRsForWavesPerEU: 26
; AccumOffset: 28
; Occupancy: 8
; WaveLimiterHint : 1
; COMPUTE_PGM_RSRC2:SCRATCH_EN: 0
; COMPUTE_PGM_RSRC2:USER_SGPR: 2
; COMPUTE_PGM_RSRC2:TRAP_HANDLER: 0
; COMPUTE_PGM_RSRC2:TGID_X_EN: 1
; COMPUTE_PGM_RSRC2:TGID_Y_EN: 1
; COMPUTE_PGM_RSRC2:TGID_Z_EN: 1
; COMPUTE_PGM_RSRC2:TIDIG_COMP_CNT: 0
; COMPUTE_PGM_RSRC3_GFX90A:ACCUM_OFFSET: 6
; COMPUTE_PGM_RSRC3_GFX90A:TG_SPLIT: 0
	.section	.text._ZN7rocprim17ROCPRIM_400000_NS6detail17trampoline_kernelINS0_14default_configENS1_38merge_sort_block_merge_config_selectorIiNS0_10empty_typeEEEZZNS1_27merge_sort_block_merge_implIS3_N6thrust23THRUST_200600_302600_NS6detail15normal_iteratorINS9_10device_ptrIiEEEEPS5_m17evens_before_oddsEE10hipError_tT0_T1_T2_jT3_P12ihipStream_tbPNSt15iterator_traitsISI_E10value_typeEPNSO_ISJ_E10value_typeEPSK_NS1_7vsmem_tEENKUlT_SI_SJ_SK_E_clIPiSE_SF_SF_EESH_SX_SI_SJ_SK_EUlSX_E0_NS1_11comp_targetILNS1_3genE10ELNS1_11target_archE1201ELNS1_3gpuE5ELNS1_3repE0EEENS1_38merge_mergepath_config_static_selectorELNS0_4arch9wavefront6targetE1EEEvSJ_,"axG",@progbits,_ZN7rocprim17ROCPRIM_400000_NS6detail17trampoline_kernelINS0_14default_configENS1_38merge_sort_block_merge_config_selectorIiNS0_10empty_typeEEEZZNS1_27merge_sort_block_merge_implIS3_N6thrust23THRUST_200600_302600_NS6detail15normal_iteratorINS9_10device_ptrIiEEEEPS5_m17evens_before_oddsEE10hipError_tT0_T1_T2_jT3_P12ihipStream_tbPNSt15iterator_traitsISI_E10value_typeEPNSO_ISJ_E10value_typeEPSK_NS1_7vsmem_tEENKUlT_SI_SJ_SK_E_clIPiSE_SF_SF_EESH_SX_SI_SJ_SK_EUlSX_E0_NS1_11comp_targetILNS1_3genE10ELNS1_11target_archE1201ELNS1_3gpuE5ELNS1_3repE0EEENS1_38merge_mergepath_config_static_selectorELNS0_4arch9wavefront6targetE1EEEvSJ_,comdat
	.protected	_ZN7rocprim17ROCPRIM_400000_NS6detail17trampoline_kernelINS0_14default_configENS1_38merge_sort_block_merge_config_selectorIiNS0_10empty_typeEEEZZNS1_27merge_sort_block_merge_implIS3_N6thrust23THRUST_200600_302600_NS6detail15normal_iteratorINS9_10device_ptrIiEEEEPS5_m17evens_before_oddsEE10hipError_tT0_T1_T2_jT3_P12ihipStream_tbPNSt15iterator_traitsISI_E10value_typeEPNSO_ISJ_E10value_typeEPSK_NS1_7vsmem_tEENKUlT_SI_SJ_SK_E_clIPiSE_SF_SF_EESH_SX_SI_SJ_SK_EUlSX_E0_NS1_11comp_targetILNS1_3genE10ELNS1_11target_archE1201ELNS1_3gpuE5ELNS1_3repE0EEENS1_38merge_mergepath_config_static_selectorELNS0_4arch9wavefront6targetE1EEEvSJ_ ; -- Begin function _ZN7rocprim17ROCPRIM_400000_NS6detail17trampoline_kernelINS0_14default_configENS1_38merge_sort_block_merge_config_selectorIiNS0_10empty_typeEEEZZNS1_27merge_sort_block_merge_implIS3_N6thrust23THRUST_200600_302600_NS6detail15normal_iteratorINS9_10device_ptrIiEEEEPS5_m17evens_before_oddsEE10hipError_tT0_T1_T2_jT3_P12ihipStream_tbPNSt15iterator_traitsISI_E10value_typeEPNSO_ISJ_E10value_typeEPSK_NS1_7vsmem_tEENKUlT_SI_SJ_SK_E_clIPiSE_SF_SF_EESH_SX_SI_SJ_SK_EUlSX_E0_NS1_11comp_targetILNS1_3genE10ELNS1_11target_archE1201ELNS1_3gpuE5ELNS1_3repE0EEENS1_38merge_mergepath_config_static_selectorELNS0_4arch9wavefront6targetE1EEEvSJ_
	.globl	_ZN7rocprim17ROCPRIM_400000_NS6detail17trampoline_kernelINS0_14default_configENS1_38merge_sort_block_merge_config_selectorIiNS0_10empty_typeEEEZZNS1_27merge_sort_block_merge_implIS3_N6thrust23THRUST_200600_302600_NS6detail15normal_iteratorINS9_10device_ptrIiEEEEPS5_m17evens_before_oddsEE10hipError_tT0_T1_T2_jT3_P12ihipStream_tbPNSt15iterator_traitsISI_E10value_typeEPNSO_ISJ_E10value_typeEPSK_NS1_7vsmem_tEENKUlT_SI_SJ_SK_E_clIPiSE_SF_SF_EESH_SX_SI_SJ_SK_EUlSX_E0_NS1_11comp_targetILNS1_3genE10ELNS1_11target_archE1201ELNS1_3gpuE5ELNS1_3repE0EEENS1_38merge_mergepath_config_static_selectorELNS0_4arch9wavefront6targetE1EEEvSJ_
	.p2align	8
	.type	_ZN7rocprim17ROCPRIM_400000_NS6detail17trampoline_kernelINS0_14default_configENS1_38merge_sort_block_merge_config_selectorIiNS0_10empty_typeEEEZZNS1_27merge_sort_block_merge_implIS3_N6thrust23THRUST_200600_302600_NS6detail15normal_iteratorINS9_10device_ptrIiEEEEPS5_m17evens_before_oddsEE10hipError_tT0_T1_T2_jT3_P12ihipStream_tbPNSt15iterator_traitsISI_E10value_typeEPNSO_ISJ_E10value_typeEPSK_NS1_7vsmem_tEENKUlT_SI_SJ_SK_E_clIPiSE_SF_SF_EESH_SX_SI_SJ_SK_EUlSX_E0_NS1_11comp_targetILNS1_3genE10ELNS1_11target_archE1201ELNS1_3gpuE5ELNS1_3repE0EEENS1_38merge_mergepath_config_static_selectorELNS0_4arch9wavefront6targetE1EEEvSJ_,@function
_ZN7rocprim17ROCPRIM_400000_NS6detail17trampoline_kernelINS0_14default_configENS1_38merge_sort_block_merge_config_selectorIiNS0_10empty_typeEEEZZNS1_27merge_sort_block_merge_implIS3_N6thrust23THRUST_200600_302600_NS6detail15normal_iteratorINS9_10device_ptrIiEEEEPS5_m17evens_before_oddsEE10hipError_tT0_T1_T2_jT3_P12ihipStream_tbPNSt15iterator_traitsISI_E10value_typeEPNSO_ISJ_E10value_typeEPSK_NS1_7vsmem_tEENKUlT_SI_SJ_SK_E_clIPiSE_SF_SF_EESH_SX_SI_SJ_SK_EUlSX_E0_NS1_11comp_targetILNS1_3genE10ELNS1_11target_archE1201ELNS1_3gpuE5ELNS1_3repE0EEENS1_38merge_mergepath_config_static_selectorELNS0_4arch9wavefront6targetE1EEEvSJ_: ; @_ZN7rocprim17ROCPRIM_400000_NS6detail17trampoline_kernelINS0_14default_configENS1_38merge_sort_block_merge_config_selectorIiNS0_10empty_typeEEEZZNS1_27merge_sort_block_merge_implIS3_N6thrust23THRUST_200600_302600_NS6detail15normal_iteratorINS9_10device_ptrIiEEEEPS5_m17evens_before_oddsEE10hipError_tT0_T1_T2_jT3_P12ihipStream_tbPNSt15iterator_traitsISI_E10value_typeEPNSO_ISJ_E10value_typeEPSK_NS1_7vsmem_tEENKUlT_SI_SJ_SK_E_clIPiSE_SF_SF_EESH_SX_SI_SJ_SK_EUlSX_E0_NS1_11comp_targetILNS1_3genE10ELNS1_11target_archE1201ELNS1_3gpuE5ELNS1_3repE0EEENS1_38merge_mergepath_config_static_selectorELNS0_4arch9wavefront6targetE1EEEvSJ_
; %bb.0:
	.section	.rodata,"a",@progbits
	.p2align	6, 0x0
	.amdhsa_kernel _ZN7rocprim17ROCPRIM_400000_NS6detail17trampoline_kernelINS0_14default_configENS1_38merge_sort_block_merge_config_selectorIiNS0_10empty_typeEEEZZNS1_27merge_sort_block_merge_implIS3_N6thrust23THRUST_200600_302600_NS6detail15normal_iteratorINS9_10device_ptrIiEEEEPS5_m17evens_before_oddsEE10hipError_tT0_T1_T2_jT3_P12ihipStream_tbPNSt15iterator_traitsISI_E10value_typeEPNSO_ISJ_E10value_typeEPSK_NS1_7vsmem_tEENKUlT_SI_SJ_SK_E_clIPiSE_SF_SF_EESH_SX_SI_SJ_SK_EUlSX_E0_NS1_11comp_targetILNS1_3genE10ELNS1_11target_archE1201ELNS1_3gpuE5ELNS1_3repE0EEENS1_38merge_mergepath_config_static_selectorELNS0_4arch9wavefront6targetE1EEEvSJ_
		.amdhsa_group_segment_fixed_size 0
		.amdhsa_private_segment_fixed_size 0
		.amdhsa_kernarg_size 72
		.amdhsa_user_sgpr_count 2
		.amdhsa_user_sgpr_dispatch_ptr 0
		.amdhsa_user_sgpr_queue_ptr 0
		.amdhsa_user_sgpr_kernarg_segment_ptr 1
		.amdhsa_user_sgpr_dispatch_id 0
		.amdhsa_user_sgpr_kernarg_preload_length 0
		.amdhsa_user_sgpr_kernarg_preload_offset 0
		.amdhsa_user_sgpr_private_segment_size 0
		.amdhsa_uses_dynamic_stack 0
		.amdhsa_enable_private_segment 0
		.amdhsa_system_sgpr_workgroup_id_x 1
		.amdhsa_system_sgpr_workgroup_id_y 0
		.amdhsa_system_sgpr_workgroup_id_z 0
		.amdhsa_system_sgpr_workgroup_info 0
		.amdhsa_system_vgpr_workitem_id 0
		.amdhsa_next_free_vgpr 1
		.amdhsa_next_free_sgpr 0
		.amdhsa_accum_offset 4
		.amdhsa_reserve_vcc 0
		.amdhsa_float_round_mode_32 0
		.amdhsa_float_round_mode_16_64 0
		.amdhsa_float_denorm_mode_32 3
		.amdhsa_float_denorm_mode_16_64 3
		.amdhsa_dx10_clamp 1
		.amdhsa_ieee_mode 1
		.amdhsa_fp16_overflow 0
		.amdhsa_tg_split 0
		.amdhsa_exception_fp_ieee_invalid_op 0
		.amdhsa_exception_fp_denorm_src 0
		.amdhsa_exception_fp_ieee_div_zero 0
		.amdhsa_exception_fp_ieee_overflow 0
		.amdhsa_exception_fp_ieee_underflow 0
		.amdhsa_exception_fp_ieee_inexact 0
		.amdhsa_exception_int_div_zero 0
	.end_amdhsa_kernel
	.section	.text._ZN7rocprim17ROCPRIM_400000_NS6detail17trampoline_kernelINS0_14default_configENS1_38merge_sort_block_merge_config_selectorIiNS0_10empty_typeEEEZZNS1_27merge_sort_block_merge_implIS3_N6thrust23THRUST_200600_302600_NS6detail15normal_iteratorINS9_10device_ptrIiEEEEPS5_m17evens_before_oddsEE10hipError_tT0_T1_T2_jT3_P12ihipStream_tbPNSt15iterator_traitsISI_E10value_typeEPNSO_ISJ_E10value_typeEPSK_NS1_7vsmem_tEENKUlT_SI_SJ_SK_E_clIPiSE_SF_SF_EESH_SX_SI_SJ_SK_EUlSX_E0_NS1_11comp_targetILNS1_3genE10ELNS1_11target_archE1201ELNS1_3gpuE5ELNS1_3repE0EEENS1_38merge_mergepath_config_static_selectorELNS0_4arch9wavefront6targetE1EEEvSJ_,"axG",@progbits,_ZN7rocprim17ROCPRIM_400000_NS6detail17trampoline_kernelINS0_14default_configENS1_38merge_sort_block_merge_config_selectorIiNS0_10empty_typeEEEZZNS1_27merge_sort_block_merge_implIS3_N6thrust23THRUST_200600_302600_NS6detail15normal_iteratorINS9_10device_ptrIiEEEEPS5_m17evens_before_oddsEE10hipError_tT0_T1_T2_jT3_P12ihipStream_tbPNSt15iterator_traitsISI_E10value_typeEPNSO_ISJ_E10value_typeEPSK_NS1_7vsmem_tEENKUlT_SI_SJ_SK_E_clIPiSE_SF_SF_EESH_SX_SI_SJ_SK_EUlSX_E0_NS1_11comp_targetILNS1_3genE10ELNS1_11target_archE1201ELNS1_3gpuE5ELNS1_3repE0EEENS1_38merge_mergepath_config_static_selectorELNS0_4arch9wavefront6targetE1EEEvSJ_,comdat
.Lfunc_end417:
	.size	_ZN7rocprim17ROCPRIM_400000_NS6detail17trampoline_kernelINS0_14default_configENS1_38merge_sort_block_merge_config_selectorIiNS0_10empty_typeEEEZZNS1_27merge_sort_block_merge_implIS3_N6thrust23THRUST_200600_302600_NS6detail15normal_iteratorINS9_10device_ptrIiEEEEPS5_m17evens_before_oddsEE10hipError_tT0_T1_T2_jT3_P12ihipStream_tbPNSt15iterator_traitsISI_E10value_typeEPNSO_ISJ_E10value_typeEPSK_NS1_7vsmem_tEENKUlT_SI_SJ_SK_E_clIPiSE_SF_SF_EESH_SX_SI_SJ_SK_EUlSX_E0_NS1_11comp_targetILNS1_3genE10ELNS1_11target_archE1201ELNS1_3gpuE5ELNS1_3repE0EEENS1_38merge_mergepath_config_static_selectorELNS0_4arch9wavefront6targetE1EEEvSJ_, .Lfunc_end417-_ZN7rocprim17ROCPRIM_400000_NS6detail17trampoline_kernelINS0_14default_configENS1_38merge_sort_block_merge_config_selectorIiNS0_10empty_typeEEEZZNS1_27merge_sort_block_merge_implIS3_N6thrust23THRUST_200600_302600_NS6detail15normal_iteratorINS9_10device_ptrIiEEEEPS5_m17evens_before_oddsEE10hipError_tT0_T1_T2_jT3_P12ihipStream_tbPNSt15iterator_traitsISI_E10value_typeEPNSO_ISJ_E10value_typeEPSK_NS1_7vsmem_tEENKUlT_SI_SJ_SK_E_clIPiSE_SF_SF_EESH_SX_SI_SJ_SK_EUlSX_E0_NS1_11comp_targetILNS1_3genE10ELNS1_11target_archE1201ELNS1_3gpuE5ELNS1_3repE0EEENS1_38merge_mergepath_config_static_selectorELNS0_4arch9wavefront6targetE1EEEvSJ_
                                        ; -- End function
	.set _ZN7rocprim17ROCPRIM_400000_NS6detail17trampoline_kernelINS0_14default_configENS1_38merge_sort_block_merge_config_selectorIiNS0_10empty_typeEEEZZNS1_27merge_sort_block_merge_implIS3_N6thrust23THRUST_200600_302600_NS6detail15normal_iteratorINS9_10device_ptrIiEEEEPS5_m17evens_before_oddsEE10hipError_tT0_T1_T2_jT3_P12ihipStream_tbPNSt15iterator_traitsISI_E10value_typeEPNSO_ISJ_E10value_typeEPSK_NS1_7vsmem_tEENKUlT_SI_SJ_SK_E_clIPiSE_SF_SF_EESH_SX_SI_SJ_SK_EUlSX_E0_NS1_11comp_targetILNS1_3genE10ELNS1_11target_archE1201ELNS1_3gpuE5ELNS1_3repE0EEENS1_38merge_mergepath_config_static_selectorELNS0_4arch9wavefront6targetE1EEEvSJ_.num_vgpr, 0
	.set _ZN7rocprim17ROCPRIM_400000_NS6detail17trampoline_kernelINS0_14default_configENS1_38merge_sort_block_merge_config_selectorIiNS0_10empty_typeEEEZZNS1_27merge_sort_block_merge_implIS3_N6thrust23THRUST_200600_302600_NS6detail15normal_iteratorINS9_10device_ptrIiEEEEPS5_m17evens_before_oddsEE10hipError_tT0_T1_T2_jT3_P12ihipStream_tbPNSt15iterator_traitsISI_E10value_typeEPNSO_ISJ_E10value_typeEPSK_NS1_7vsmem_tEENKUlT_SI_SJ_SK_E_clIPiSE_SF_SF_EESH_SX_SI_SJ_SK_EUlSX_E0_NS1_11comp_targetILNS1_3genE10ELNS1_11target_archE1201ELNS1_3gpuE5ELNS1_3repE0EEENS1_38merge_mergepath_config_static_selectorELNS0_4arch9wavefront6targetE1EEEvSJ_.num_agpr, 0
	.set _ZN7rocprim17ROCPRIM_400000_NS6detail17trampoline_kernelINS0_14default_configENS1_38merge_sort_block_merge_config_selectorIiNS0_10empty_typeEEEZZNS1_27merge_sort_block_merge_implIS3_N6thrust23THRUST_200600_302600_NS6detail15normal_iteratorINS9_10device_ptrIiEEEEPS5_m17evens_before_oddsEE10hipError_tT0_T1_T2_jT3_P12ihipStream_tbPNSt15iterator_traitsISI_E10value_typeEPNSO_ISJ_E10value_typeEPSK_NS1_7vsmem_tEENKUlT_SI_SJ_SK_E_clIPiSE_SF_SF_EESH_SX_SI_SJ_SK_EUlSX_E0_NS1_11comp_targetILNS1_3genE10ELNS1_11target_archE1201ELNS1_3gpuE5ELNS1_3repE0EEENS1_38merge_mergepath_config_static_selectorELNS0_4arch9wavefront6targetE1EEEvSJ_.numbered_sgpr, 0
	.set _ZN7rocprim17ROCPRIM_400000_NS6detail17trampoline_kernelINS0_14default_configENS1_38merge_sort_block_merge_config_selectorIiNS0_10empty_typeEEEZZNS1_27merge_sort_block_merge_implIS3_N6thrust23THRUST_200600_302600_NS6detail15normal_iteratorINS9_10device_ptrIiEEEEPS5_m17evens_before_oddsEE10hipError_tT0_T1_T2_jT3_P12ihipStream_tbPNSt15iterator_traitsISI_E10value_typeEPNSO_ISJ_E10value_typeEPSK_NS1_7vsmem_tEENKUlT_SI_SJ_SK_E_clIPiSE_SF_SF_EESH_SX_SI_SJ_SK_EUlSX_E0_NS1_11comp_targetILNS1_3genE10ELNS1_11target_archE1201ELNS1_3gpuE5ELNS1_3repE0EEENS1_38merge_mergepath_config_static_selectorELNS0_4arch9wavefront6targetE1EEEvSJ_.num_named_barrier, 0
	.set _ZN7rocprim17ROCPRIM_400000_NS6detail17trampoline_kernelINS0_14default_configENS1_38merge_sort_block_merge_config_selectorIiNS0_10empty_typeEEEZZNS1_27merge_sort_block_merge_implIS3_N6thrust23THRUST_200600_302600_NS6detail15normal_iteratorINS9_10device_ptrIiEEEEPS5_m17evens_before_oddsEE10hipError_tT0_T1_T2_jT3_P12ihipStream_tbPNSt15iterator_traitsISI_E10value_typeEPNSO_ISJ_E10value_typeEPSK_NS1_7vsmem_tEENKUlT_SI_SJ_SK_E_clIPiSE_SF_SF_EESH_SX_SI_SJ_SK_EUlSX_E0_NS1_11comp_targetILNS1_3genE10ELNS1_11target_archE1201ELNS1_3gpuE5ELNS1_3repE0EEENS1_38merge_mergepath_config_static_selectorELNS0_4arch9wavefront6targetE1EEEvSJ_.private_seg_size, 0
	.set _ZN7rocprim17ROCPRIM_400000_NS6detail17trampoline_kernelINS0_14default_configENS1_38merge_sort_block_merge_config_selectorIiNS0_10empty_typeEEEZZNS1_27merge_sort_block_merge_implIS3_N6thrust23THRUST_200600_302600_NS6detail15normal_iteratorINS9_10device_ptrIiEEEEPS5_m17evens_before_oddsEE10hipError_tT0_T1_T2_jT3_P12ihipStream_tbPNSt15iterator_traitsISI_E10value_typeEPNSO_ISJ_E10value_typeEPSK_NS1_7vsmem_tEENKUlT_SI_SJ_SK_E_clIPiSE_SF_SF_EESH_SX_SI_SJ_SK_EUlSX_E0_NS1_11comp_targetILNS1_3genE10ELNS1_11target_archE1201ELNS1_3gpuE5ELNS1_3repE0EEENS1_38merge_mergepath_config_static_selectorELNS0_4arch9wavefront6targetE1EEEvSJ_.uses_vcc, 0
	.set _ZN7rocprim17ROCPRIM_400000_NS6detail17trampoline_kernelINS0_14default_configENS1_38merge_sort_block_merge_config_selectorIiNS0_10empty_typeEEEZZNS1_27merge_sort_block_merge_implIS3_N6thrust23THRUST_200600_302600_NS6detail15normal_iteratorINS9_10device_ptrIiEEEEPS5_m17evens_before_oddsEE10hipError_tT0_T1_T2_jT3_P12ihipStream_tbPNSt15iterator_traitsISI_E10value_typeEPNSO_ISJ_E10value_typeEPSK_NS1_7vsmem_tEENKUlT_SI_SJ_SK_E_clIPiSE_SF_SF_EESH_SX_SI_SJ_SK_EUlSX_E0_NS1_11comp_targetILNS1_3genE10ELNS1_11target_archE1201ELNS1_3gpuE5ELNS1_3repE0EEENS1_38merge_mergepath_config_static_selectorELNS0_4arch9wavefront6targetE1EEEvSJ_.uses_flat_scratch, 0
	.set _ZN7rocprim17ROCPRIM_400000_NS6detail17trampoline_kernelINS0_14default_configENS1_38merge_sort_block_merge_config_selectorIiNS0_10empty_typeEEEZZNS1_27merge_sort_block_merge_implIS3_N6thrust23THRUST_200600_302600_NS6detail15normal_iteratorINS9_10device_ptrIiEEEEPS5_m17evens_before_oddsEE10hipError_tT0_T1_T2_jT3_P12ihipStream_tbPNSt15iterator_traitsISI_E10value_typeEPNSO_ISJ_E10value_typeEPSK_NS1_7vsmem_tEENKUlT_SI_SJ_SK_E_clIPiSE_SF_SF_EESH_SX_SI_SJ_SK_EUlSX_E0_NS1_11comp_targetILNS1_3genE10ELNS1_11target_archE1201ELNS1_3gpuE5ELNS1_3repE0EEENS1_38merge_mergepath_config_static_selectorELNS0_4arch9wavefront6targetE1EEEvSJ_.has_dyn_sized_stack, 0
	.set _ZN7rocprim17ROCPRIM_400000_NS6detail17trampoline_kernelINS0_14default_configENS1_38merge_sort_block_merge_config_selectorIiNS0_10empty_typeEEEZZNS1_27merge_sort_block_merge_implIS3_N6thrust23THRUST_200600_302600_NS6detail15normal_iteratorINS9_10device_ptrIiEEEEPS5_m17evens_before_oddsEE10hipError_tT0_T1_T2_jT3_P12ihipStream_tbPNSt15iterator_traitsISI_E10value_typeEPNSO_ISJ_E10value_typeEPSK_NS1_7vsmem_tEENKUlT_SI_SJ_SK_E_clIPiSE_SF_SF_EESH_SX_SI_SJ_SK_EUlSX_E0_NS1_11comp_targetILNS1_3genE10ELNS1_11target_archE1201ELNS1_3gpuE5ELNS1_3repE0EEENS1_38merge_mergepath_config_static_selectorELNS0_4arch9wavefront6targetE1EEEvSJ_.has_recursion, 0
	.set _ZN7rocprim17ROCPRIM_400000_NS6detail17trampoline_kernelINS0_14default_configENS1_38merge_sort_block_merge_config_selectorIiNS0_10empty_typeEEEZZNS1_27merge_sort_block_merge_implIS3_N6thrust23THRUST_200600_302600_NS6detail15normal_iteratorINS9_10device_ptrIiEEEEPS5_m17evens_before_oddsEE10hipError_tT0_T1_T2_jT3_P12ihipStream_tbPNSt15iterator_traitsISI_E10value_typeEPNSO_ISJ_E10value_typeEPSK_NS1_7vsmem_tEENKUlT_SI_SJ_SK_E_clIPiSE_SF_SF_EESH_SX_SI_SJ_SK_EUlSX_E0_NS1_11comp_targetILNS1_3genE10ELNS1_11target_archE1201ELNS1_3gpuE5ELNS1_3repE0EEENS1_38merge_mergepath_config_static_selectorELNS0_4arch9wavefront6targetE1EEEvSJ_.has_indirect_call, 0
	.section	.AMDGPU.csdata,"",@progbits
; Kernel info:
; codeLenInByte = 0
; TotalNumSgprs: 6
; NumVgprs: 0
; NumAgprs: 0
; TotalNumVgprs: 0
; ScratchSize: 0
; MemoryBound: 0
; FloatMode: 240
; IeeeMode: 1
; LDSByteSize: 0 bytes/workgroup (compile time only)
; SGPRBlocks: 0
; VGPRBlocks: 0
; NumSGPRsForWavesPerEU: 6
; NumVGPRsForWavesPerEU: 1
; AccumOffset: 4
; Occupancy: 8
; WaveLimiterHint : 0
; COMPUTE_PGM_RSRC2:SCRATCH_EN: 0
; COMPUTE_PGM_RSRC2:USER_SGPR: 2
; COMPUTE_PGM_RSRC2:TRAP_HANDLER: 0
; COMPUTE_PGM_RSRC2:TGID_X_EN: 1
; COMPUTE_PGM_RSRC2:TGID_Y_EN: 0
; COMPUTE_PGM_RSRC2:TGID_Z_EN: 0
; COMPUTE_PGM_RSRC2:TIDIG_COMP_CNT: 0
; COMPUTE_PGM_RSRC3_GFX90A:ACCUM_OFFSET: 0
; COMPUTE_PGM_RSRC3_GFX90A:TG_SPLIT: 0
	.section	.text._ZN7rocprim17ROCPRIM_400000_NS6detail17trampoline_kernelINS0_14default_configENS1_38merge_sort_block_merge_config_selectorIiNS0_10empty_typeEEEZZNS1_27merge_sort_block_merge_implIS3_N6thrust23THRUST_200600_302600_NS6detail15normal_iteratorINS9_10device_ptrIiEEEEPS5_m17evens_before_oddsEE10hipError_tT0_T1_T2_jT3_P12ihipStream_tbPNSt15iterator_traitsISI_E10value_typeEPNSO_ISJ_E10value_typeEPSK_NS1_7vsmem_tEENKUlT_SI_SJ_SK_E_clIPiSE_SF_SF_EESH_SX_SI_SJ_SK_EUlSX_E0_NS1_11comp_targetILNS1_3genE5ELNS1_11target_archE942ELNS1_3gpuE9ELNS1_3repE0EEENS1_38merge_mergepath_config_static_selectorELNS0_4arch9wavefront6targetE1EEEvSJ_,"axG",@progbits,_ZN7rocprim17ROCPRIM_400000_NS6detail17trampoline_kernelINS0_14default_configENS1_38merge_sort_block_merge_config_selectorIiNS0_10empty_typeEEEZZNS1_27merge_sort_block_merge_implIS3_N6thrust23THRUST_200600_302600_NS6detail15normal_iteratorINS9_10device_ptrIiEEEEPS5_m17evens_before_oddsEE10hipError_tT0_T1_T2_jT3_P12ihipStream_tbPNSt15iterator_traitsISI_E10value_typeEPNSO_ISJ_E10value_typeEPSK_NS1_7vsmem_tEENKUlT_SI_SJ_SK_E_clIPiSE_SF_SF_EESH_SX_SI_SJ_SK_EUlSX_E0_NS1_11comp_targetILNS1_3genE5ELNS1_11target_archE942ELNS1_3gpuE9ELNS1_3repE0EEENS1_38merge_mergepath_config_static_selectorELNS0_4arch9wavefront6targetE1EEEvSJ_,comdat
	.protected	_ZN7rocprim17ROCPRIM_400000_NS6detail17trampoline_kernelINS0_14default_configENS1_38merge_sort_block_merge_config_selectorIiNS0_10empty_typeEEEZZNS1_27merge_sort_block_merge_implIS3_N6thrust23THRUST_200600_302600_NS6detail15normal_iteratorINS9_10device_ptrIiEEEEPS5_m17evens_before_oddsEE10hipError_tT0_T1_T2_jT3_P12ihipStream_tbPNSt15iterator_traitsISI_E10value_typeEPNSO_ISJ_E10value_typeEPSK_NS1_7vsmem_tEENKUlT_SI_SJ_SK_E_clIPiSE_SF_SF_EESH_SX_SI_SJ_SK_EUlSX_E0_NS1_11comp_targetILNS1_3genE5ELNS1_11target_archE942ELNS1_3gpuE9ELNS1_3repE0EEENS1_38merge_mergepath_config_static_selectorELNS0_4arch9wavefront6targetE1EEEvSJ_ ; -- Begin function _ZN7rocprim17ROCPRIM_400000_NS6detail17trampoline_kernelINS0_14default_configENS1_38merge_sort_block_merge_config_selectorIiNS0_10empty_typeEEEZZNS1_27merge_sort_block_merge_implIS3_N6thrust23THRUST_200600_302600_NS6detail15normal_iteratorINS9_10device_ptrIiEEEEPS5_m17evens_before_oddsEE10hipError_tT0_T1_T2_jT3_P12ihipStream_tbPNSt15iterator_traitsISI_E10value_typeEPNSO_ISJ_E10value_typeEPSK_NS1_7vsmem_tEENKUlT_SI_SJ_SK_E_clIPiSE_SF_SF_EESH_SX_SI_SJ_SK_EUlSX_E0_NS1_11comp_targetILNS1_3genE5ELNS1_11target_archE942ELNS1_3gpuE9ELNS1_3repE0EEENS1_38merge_mergepath_config_static_selectorELNS0_4arch9wavefront6targetE1EEEvSJ_
	.globl	_ZN7rocprim17ROCPRIM_400000_NS6detail17trampoline_kernelINS0_14default_configENS1_38merge_sort_block_merge_config_selectorIiNS0_10empty_typeEEEZZNS1_27merge_sort_block_merge_implIS3_N6thrust23THRUST_200600_302600_NS6detail15normal_iteratorINS9_10device_ptrIiEEEEPS5_m17evens_before_oddsEE10hipError_tT0_T1_T2_jT3_P12ihipStream_tbPNSt15iterator_traitsISI_E10value_typeEPNSO_ISJ_E10value_typeEPSK_NS1_7vsmem_tEENKUlT_SI_SJ_SK_E_clIPiSE_SF_SF_EESH_SX_SI_SJ_SK_EUlSX_E0_NS1_11comp_targetILNS1_3genE5ELNS1_11target_archE942ELNS1_3gpuE9ELNS1_3repE0EEENS1_38merge_mergepath_config_static_selectorELNS0_4arch9wavefront6targetE1EEEvSJ_
	.p2align	8
	.type	_ZN7rocprim17ROCPRIM_400000_NS6detail17trampoline_kernelINS0_14default_configENS1_38merge_sort_block_merge_config_selectorIiNS0_10empty_typeEEEZZNS1_27merge_sort_block_merge_implIS3_N6thrust23THRUST_200600_302600_NS6detail15normal_iteratorINS9_10device_ptrIiEEEEPS5_m17evens_before_oddsEE10hipError_tT0_T1_T2_jT3_P12ihipStream_tbPNSt15iterator_traitsISI_E10value_typeEPNSO_ISJ_E10value_typeEPSK_NS1_7vsmem_tEENKUlT_SI_SJ_SK_E_clIPiSE_SF_SF_EESH_SX_SI_SJ_SK_EUlSX_E0_NS1_11comp_targetILNS1_3genE5ELNS1_11target_archE942ELNS1_3gpuE9ELNS1_3repE0EEENS1_38merge_mergepath_config_static_selectorELNS0_4arch9wavefront6targetE1EEEvSJ_,@function
_ZN7rocprim17ROCPRIM_400000_NS6detail17trampoline_kernelINS0_14default_configENS1_38merge_sort_block_merge_config_selectorIiNS0_10empty_typeEEEZZNS1_27merge_sort_block_merge_implIS3_N6thrust23THRUST_200600_302600_NS6detail15normal_iteratorINS9_10device_ptrIiEEEEPS5_m17evens_before_oddsEE10hipError_tT0_T1_T2_jT3_P12ihipStream_tbPNSt15iterator_traitsISI_E10value_typeEPNSO_ISJ_E10value_typeEPSK_NS1_7vsmem_tEENKUlT_SI_SJ_SK_E_clIPiSE_SF_SF_EESH_SX_SI_SJ_SK_EUlSX_E0_NS1_11comp_targetILNS1_3genE5ELNS1_11target_archE942ELNS1_3gpuE9ELNS1_3repE0EEENS1_38merge_mergepath_config_static_selectorELNS0_4arch9wavefront6targetE1EEEvSJ_: ; @_ZN7rocprim17ROCPRIM_400000_NS6detail17trampoline_kernelINS0_14default_configENS1_38merge_sort_block_merge_config_selectorIiNS0_10empty_typeEEEZZNS1_27merge_sort_block_merge_implIS3_N6thrust23THRUST_200600_302600_NS6detail15normal_iteratorINS9_10device_ptrIiEEEEPS5_m17evens_before_oddsEE10hipError_tT0_T1_T2_jT3_P12ihipStream_tbPNSt15iterator_traitsISI_E10value_typeEPNSO_ISJ_E10value_typeEPSK_NS1_7vsmem_tEENKUlT_SI_SJ_SK_E_clIPiSE_SF_SF_EESH_SX_SI_SJ_SK_EUlSX_E0_NS1_11comp_targetILNS1_3genE5ELNS1_11target_archE942ELNS1_3gpuE9ELNS1_3repE0EEENS1_38merge_mergepath_config_static_selectorELNS0_4arch9wavefront6targetE1EEEvSJ_
; %bb.0:
	.section	.rodata,"a",@progbits
	.p2align	6, 0x0
	.amdhsa_kernel _ZN7rocprim17ROCPRIM_400000_NS6detail17trampoline_kernelINS0_14default_configENS1_38merge_sort_block_merge_config_selectorIiNS0_10empty_typeEEEZZNS1_27merge_sort_block_merge_implIS3_N6thrust23THRUST_200600_302600_NS6detail15normal_iteratorINS9_10device_ptrIiEEEEPS5_m17evens_before_oddsEE10hipError_tT0_T1_T2_jT3_P12ihipStream_tbPNSt15iterator_traitsISI_E10value_typeEPNSO_ISJ_E10value_typeEPSK_NS1_7vsmem_tEENKUlT_SI_SJ_SK_E_clIPiSE_SF_SF_EESH_SX_SI_SJ_SK_EUlSX_E0_NS1_11comp_targetILNS1_3genE5ELNS1_11target_archE942ELNS1_3gpuE9ELNS1_3repE0EEENS1_38merge_mergepath_config_static_selectorELNS0_4arch9wavefront6targetE1EEEvSJ_
		.amdhsa_group_segment_fixed_size 0
		.amdhsa_private_segment_fixed_size 0
		.amdhsa_kernarg_size 72
		.amdhsa_user_sgpr_count 2
		.amdhsa_user_sgpr_dispatch_ptr 0
		.amdhsa_user_sgpr_queue_ptr 0
		.amdhsa_user_sgpr_kernarg_segment_ptr 1
		.amdhsa_user_sgpr_dispatch_id 0
		.amdhsa_user_sgpr_kernarg_preload_length 0
		.amdhsa_user_sgpr_kernarg_preload_offset 0
		.amdhsa_user_sgpr_private_segment_size 0
		.amdhsa_uses_dynamic_stack 0
		.amdhsa_enable_private_segment 0
		.amdhsa_system_sgpr_workgroup_id_x 1
		.amdhsa_system_sgpr_workgroup_id_y 0
		.amdhsa_system_sgpr_workgroup_id_z 0
		.amdhsa_system_sgpr_workgroup_info 0
		.amdhsa_system_vgpr_workitem_id 0
		.amdhsa_next_free_vgpr 1
		.amdhsa_next_free_sgpr 0
		.amdhsa_accum_offset 4
		.amdhsa_reserve_vcc 0
		.amdhsa_float_round_mode_32 0
		.amdhsa_float_round_mode_16_64 0
		.amdhsa_float_denorm_mode_32 3
		.amdhsa_float_denorm_mode_16_64 3
		.amdhsa_dx10_clamp 1
		.amdhsa_ieee_mode 1
		.amdhsa_fp16_overflow 0
		.amdhsa_tg_split 0
		.amdhsa_exception_fp_ieee_invalid_op 0
		.amdhsa_exception_fp_denorm_src 0
		.amdhsa_exception_fp_ieee_div_zero 0
		.amdhsa_exception_fp_ieee_overflow 0
		.amdhsa_exception_fp_ieee_underflow 0
		.amdhsa_exception_fp_ieee_inexact 0
		.amdhsa_exception_int_div_zero 0
	.end_amdhsa_kernel
	.section	.text._ZN7rocprim17ROCPRIM_400000_NS6detail17trampoline_kernelINS0_14default_configENS1_38merge_sort_block_merge_config_selectorIiNS0_10empty_typeEEEZZNS1_27merge_sort_block_merge_implIS3_N6thrust23THRUST_200600_302600_NS6detail15normal_iteratorINS9_10device_ptrIiEEEEPS5_m17evens_before_oddsEE10hipError_tT0_T1_T2_jT3_P12ihipStream_tbPNSt15iterator_traitsISI_E10value_typeEPNSO_ISJ_E10value_typeEPSK_NS1_7vsmem_tEENKUlT_SI_SJ_SK_E_clIPiSE_SF_SF_EESH_SX_SI_SJ_SK_EUlSX_E0_NS1_11comp_targetILNS1_3genE5ELNS1_11target_archE942ELNS1_3gpuE9ELNS1_3repE0EEENS1_38merge_mergepath_config_static_selectorELNS0_4arch9wavefront6targetE1EEEvSJ_,"axG",@progbits,_ZN7rocprim17ROCPRIM_400000_NS6detail17trampoline_kernelINS0_14default_configENS1_38merge_sort_block_merge_config_selectorIiNS0_10empty_typeEEEZZNS1_27merge_sort_block_merge_implIS3_N6thrust23THRUST_200600_302600_NS6detail15normal_iteratorINS9_10device_ptrIiEEEEPS5_m17evens_before_oddsEE10hipError_tT0_T1_T2_jT3_P12ihipStream_tbPNSt15iterator_traitsISI_E10value_typeEPNSO_ISJ_E10value_typeEPSK_NS1_7vsmem_tEENKUlT_SI_SJ_SK_E_clIPiSE_SF_SF_EESH_SX_SI_SJ_SK_EUlSX_E0_NS1_11comp_targetILNS1_3genE5ELNS1_11target_archE942ELNS1_3gpuE9ELNS1_3repE0EEENS1_38merge_mergepath_config_static_selectorELNS0_4arch9wavefront6targetE1EEEvSJ_,comdat
.Lfunc_end418:
	.size	_ZN7rocprim17ROCPRIM_400000_NS6detail17trampoline_kernelINS0_14default_configENS1_38merge_sort_block_merge_config_selectorIiNS0_10empty_typeEEEZZNS1_27merge_sort_block_merge_implIS3_N6thrust23THRUST_200600_302600_NS6detail15normal_iteratorINS9_10device_ptrIiEEEEPS5_m17evens_before_oddsEE10hipError_tT0_T1_T2_jT3_P12ihipStream_tbPNSt15iterator_traitsISI_E10value_typeEPNSO_ISJ_E10value_typeEPSK_NS1_7vsmem_tEENKUlT_SI_SJ_SK_E_clIPiSE_SF_SF_EESH_SX_SI_SJ_SK_EUlSX_E0_NS1_11comp_targetILNS1_3genE5ELNS1_11target_archE942ELNS1_3gpuE9ELNS1_3repE0EEENS1_38merge_mergepath_config_static_selectorELNS0_4arch9wavefront6targetE1EEEvSJ_, .Lfunc_end418-_ZN7rocprim17ROCPRIM_400000_NS6detail17trampoline_kernelINS0_14default_configENS1_38merge_sort_block_merge_config_selectorIiNS0_10empty_typeEEEZZNS1_27merge_sort_block_merge_implIS3_N6thrust23THRUST_200600_302600_NS6detail15normal_iteratorINS9_10device_ptrIiEEEEPS5_m17evens_before_oddsEE10hipError_tT0_T1_T2_jT3_P12ihipStream_tbPNSt15iterator_traitsISI_E10value_typeEPNSO_ISJ_E10value_typeEPSK_NS1_7vsmem_tEENKUlT_SI_SJ_SK_E_clIPiSE_SF_SF_EESH_SX_SI_SJ_SK_EUlSX_E0_NS1_11comp_targetILNS1_3genE5ELNS1_11target_archE942ELNS1_3gpuE9ELNS1_3repE0EEENS1_38merge_mergepath_config_static_selectorELNS0_4arch9wavefront6targetE1EEEvSJ_
                                        ; -- End function
	.set _ZN7rocprim17ROCPRIM_400000_NS6detail17trampoline_kernelINS0_14default_configENS1_38merge_sort_block_merge_config_selectorIiNS0_10empty_typeEEEZZNS1_27merge_sort_block_merge_implIS3_N6thrust23THRUST_200600_302600_NS6detail15normal_iteratorINS9_10device_ptrIiEEEEPS5_m17evens_before_oddsEE10hipError_tT0_T1_T2_jT3_P12ihipStream_tbPNSt15iterator_traitsISI_E10value_typeEPNSO_ISJ_E10value_typeEPSK_NS1_7vsmem_tEENKUlT_SI_SJ_SK_E_clIPiSE_SF_SF_EESH_SX_SI_SJ_SK_EUlSX_E0_NS1_11comp_targetILNS1_3genE5ELNS1_11target_archE942ELNS1_3gpuE9ELNS1_3repE0EEENS1_38merge_mergepath_config_static_selectorELNS0_4arch9wavefront6targetE1EEEvSJ_.num_vgpr, 0
	.set _ZN7rocprim17ROCPRIM_400000_NS6detail17trampoline_kernelINS0_14default_configENS1_38merge_sort_block_merge_config_selectorIiNS0_10empty_typeEEEZZNS1_27merge_sort_block_merge_implIS3_N6thrust23THRUST_200600_302600_NS6detail15normal_iteratorINS9_10device_ptrIiEEEEPS5_m17evens_before_oddsEE10hipError_tT0_T1_T2_jT3_P12ihipStream_tbPNSt15iterator_traitsISI_E10value_typeEPNSO_ISJ_E10value_typeEPSK_NS1_7vsmem_tEENKUlT_SI_SJ_SK_E_clIPiSE_SF_SF_EESH_SX_SI_SJ_SK_EUlSX_E0_NS1_11comp_targetILNS1_3genE5ELNS1_11target_archE942ELNS1_3gpuE9ELNS1_3repE0EEENS1_38merge_mergepath_config_static_selectorELNS0_4arch9wavefront6targetE1EEEvSJ_.num_agpr, 0
	.set _ZN7rocprim17ROCPRIM_400000_NS6detail17trampoline_kernelINS0_14default_configENS1_38merge_sort_block_merge_config_selectorIiNS0_10empty_typeEEEZZNS1_27merge_sort_block_merge_implIS3_N6thrust23THRUST_200600_302600_NS6detail15normal_iteratorINS9_10device_ptrIiEEEEPS5_m17evens_before_oddsEE10hipError_tT0_T1_T2_jT3_P12ihipStream_tbPNSt15iterator_traitsISI_E10value_typeEPNSO_ISJ_E10value_typeEPSK_NS1_7vsmem_tEENKUlT_SI_SJ_SK_E_clIPiSE_SF_SF_EESH_SX_SI_SJ_SK_EUlSX_E0_NS1_11comp_targetILNS1_3genE5ELNS1_11target_archE942ELNS1_3gpuE9ELNS1_3repE0EEENS1_38merge_mergepath_config_static_selectorELNS0_4arch9wavefront6targetE1EEEvSJ_.numbered_sgpr, 0
	.set _ZN7rocprim17ROCPRIM_400000_NS6detail17trampoline_kernelINS0_14default_configENS1_38merge_sort_block_merge_config_selectorIiNS0_10empty_typeEEEZZNS1_27merge_sort_block_merge_implIS3_N6thrust23THRUST_200600_302600_NS6detail15normal_iteratorINS9_10device_ptrIiEEEEPS5_m17evens_before_oddsEE10hipError_tT0_T1_T2_jT3_P12ihipStream_tbPNSt15iterator_traitsISI_E10value_typeEPNSO_ISJ_E10value_typeEPSK_NS1_7vsmem_tEENKUlT_SI_SJ_SK_E_clIPiSE_SF_SF_EESH_SX_SI_SJ_SK_EUlSX_E0_NS1_11comp_targetILNS1_3genE5ELNS1_11target_archE942ELNS1_3gpuE9ELNS1_3repE0EEENS1_38merge_mergepath_config_static_selectorELNS0_4arch9wavefront6targetE1EEEvSJ_.num_named_barrier, 0
	.set _ZN7rocprim17ROCPRIM_400000_NS6detail17trampoline_kernelINS0_14default_configENS1_38merge_sort_block_merge_config_selectorIiNS0_10empty_typeEEEZZNS1_27merge_sort_block_merge_implIS3_N6thrust23THRUST_200600_302600_NS6detail15normal_iteratorINS9_10device_ptrIiEEEEPS5_m17evens_before_oddsEE10hipError_tT0_T1_T2_jT3_P12ihipStream_tbPNSt15iterator_traitsISI_E10value_typeEPNSO_ISJ_E10value_typeEPSK_NS1_7vsmem_tEENKUlT_SI_SJ_SK_E_clIPiSE_SF_SF_EESH_SX_SI_SJ_SK_EUlSX_E0_NS1_11comp_targetILNS1_3genE5ELNS1_11target_archE942ELNS1_3gpuE9ELNS1_3repE0EEENS1_38merge_mergepath_config_static_selectorELNS0_4arch9wavefront6targetE1EEEvSJ_.private_seg_size, 0
	.set _ZN7rocprim17ROCPRIM_400000_NS6detail17trampoline_kernelINS0_14default_configENS1_38merge_sort_block_merge_config_selectorIiNS0_10empty_typeEEEZZNS1_27merge_sort_block_merge_implIS3_N6thrust23THRUST_200600_302600_NS6detail15normal_iteratorINS9_10device_ptrIiEEEEPS5_m17evens_before_oddsEE10hipError_tT0_T1_T2_jT3_P12ihipStream_tbPNSt15iterator_traitsISI_E10value_typeEPNSO_ISJ_E10value_typeEPSK_NS1_7vsmem_tEENKUlT_SI_SJ_SK_E_clIPiSE_SF_SF_EESH_SX_SI_SJ_SK_EUlSX_E0_NS1_11comp_targetILNS1_3genE5ELNS1_11target_archE942ELNS1_3gpuE9ELNS1_3repE0EEENS1_38merge_mergepath_config_static_selectorELNS0_4arch9wavefront6targetE1EEEvSJ_.uses_vcc, 0
	.set _ZN7rocprim17ROCPRIM_400000_NS6detail17trampoline_kernelINS0_14default_configENS1_38merge_sort_block_merge_config_selectorIiNS0_10empty_typeEEEZZNS1_27merge_sort_block_merge_implIS3_N6thrust23THRUST_200600_302600_NS6detail15normal_iteratorINS9_10device_ptrIiEEEEPS5_m17evens_before_oddsEE10hipError_tT0_T1_T2_jT3_P12ihipStream_tbPNSt15iterator_traitsISI_E10value_typeEPNSO_ISJ_E10value_typeEPSK_NS1_7vsmem_tEENKUlT_SI_SJ_SK_E_clIPiSE_SF_SF_EESH_SX_SI_SJ_SK_EUlSX_E0_NS1_11comp_targetILNS1_3genE5ELNS1_11target_archE942ELNS1_3gpuE9ELNS1_3repE0EEENS1_38merge_mergepath_config_static_selectorELNS0_4arch9wavefront6targetE1EEEvSJ_.uses_flat_scratch, 0
	.set _ZN7rocprim17ROCPRIM_400000_NS6detail17trampoline_kernelINS0_14default_configENS1_38merge_sort_block_merge_config_selectorIiNS0_10empty_typeEEEZZNS1_27merge_sort_block_merge_implIS3_N6thrust23THRUST_200600_302600_NS6detail15normal_iteratorINS9_10device_ptrIiEEEEPS5_m17evens_before_oddsEE10hipError_tT0_T1_T2_jT3_P12ihipStream_tbPNSt15iterator_traitsISI_E10value_typeEPNSO_ISJ_E10value_typeEPSK_NS1_7vsmem_tEENKUlT_SI_SJ_SK_E_clIPiSE_SF_SF_EESH_SX_SI_SJ_SK_EUlSX_E0_NS1_11comp_targetILNS1_3genE5ELNS1_11target_archE942ELNS1_3gpuE9ELNS1_3repE0EEENS1_38merge_mergepath_config_static_selectorELNS0_4arch9wavefront6targetE1EEEvSJ_.has_dyn_sized_stack, 0
	.set _ZN7rocprim17ROCPRIM_400000_NS6detail17trampoline_kernelINS0_14default_configENS1_38merge_sort_block_merge_config_selectorIiNS0_10empty_typeEEEZZNS1_27merge_sort_block_merge_implIS3_N6thrust23THRUST_200600_302600_NS6detail15normal_iteratorINS9_10device_ptrIiEEEEPS5_m17evens_before_oddsEE10hipError_tT0_T1_T2_jT3_P12ihipStream_tbPNSt15iterator_traitsISI_E10value_typeEPNSO_ISJ_E10value_typeEPSK_NS1_7vsmem_tEENKUlT_SI_SJ_SK_E_clIPiSE_SF_SF_EESH_SX_SI_SJ_SK_EUlSX_E0_NS1_11comp_targetILNS1_3genE5ELNS1_11target_archE942ELNS1_3gpuE9ELNS1_3repE0EEENS1_38merge_mergepath_config_static_selectorELNS0_4arch9wavefront6targetE1EEEvSJ_.has_recursion, 0
	.set _ZN7rocprim17ROCPRIM_400000_NS6detail17trampoline_kernelINS0_14default_configENS1_38merge_sort_block_merge_config_selectorIiNS0_10empty_typeEEEZZNS1_27merge_sort_block_merge_implIS3_N6thrust23THRUST_200600_302600_NS6detail15normal_iteratorINS9_10device_ptrIiEEEEPS5_m17evens_before_oddsEE10hipError_tT0_T1_T2_jT3_P12ihipStream_tbPNSt15iterator_traitsISI_E10value_typeEPNSO_ISJ_E10value_typeEPSK_NS1_7vsmem_tEENKUlT_SI_SJ_SK_E_clIPiSE_SF_SF_EESH_SX_SI_SJ_SK_EUlSX_E0_NS1_11comp_targetILNS1_3genE5ELNS1_11target_archE942ELNS1_3gpuE9ELNS1_3repE0EEENS1_38merge_mergepath_config_static_selectorELNS0_4arch9wavefront6targetE1EEEvSJ_.has_indirect_call, 0
	.section	.AMDGPU.csdata,"",@progbits
; Kernel info:
; codeLenInByte = 0
; TotalNumSgprs: 6
; NumVgprs: 0
; NumAgprs: 0
; TotalNumVgprs: 0
; ScratchSize: 0
; MemoryBound: 0
; FloatMode: 240
; IeeeMode: 1
; LDSByteSize: 0 bytes/workgroup (compile time only)
; SGPRBlocks: 0
; VGPRBlocks: 0
; NumSGPRsForWavesPerEU: 6
; NumVGPRsForWavesPerEU: 1
; AccumOffset: 4
; Occupancy: 8
; WaveLimiterHint : 0
; COMPUTE_PGM_RSRC2:SCRATCH_EN: 0
; COMPUTE_PGM_RSRC2:USER_SGPR: 2
; COMPUTE_PGM_RSRC2:TRAP_HANDLER: 0
; COMPUTE_PGM_RSRC2:TGID_X_EN: 1
; COMPUTE_PGM_RSRC2:TGID_Y_EN: 0
; COMPUTE_PGM_RSRC2:TGID_Z_EN: 0
; COMPUTE_PGM_RSRC2:TIDIG_COMP_CNT: 0
; COMPUTE_PGM_RSRC3_GFX90A:ACCUM_OFFSET: 0
; COMPUTE_PGM_RSRC3_GFX90A:TG_SPLIT: 0
	.section	.text._ZN7rocprim17ROCPRIM_400000_NS6detail17trampoline_kernelINS0_14default_configENS1_38merge_sort_block_merge_config_selectorIiNS0_10empty_typeEEEZZNS1_27merge_sort_block_merge_implIS3_N6thrust23THRUST_200600_302600_NS6detail15normal_iteratorINS9_10device_ptrIiEEEEPS5_m17evens_before_oddsEE10hipError_tT0_T1_T2_jT3_P12ihipStream_tbPNSt15iterator_traitsISI_E10value_typeEPNSO_ISJ_E10value_typeEPSK_NS1_7vsmem_tEENKUlT_SI_SJ_SK_E_clIPiSE_SF_SF_EESH_SX_SI_SJ_SK_EUlSX_E0_NS1_11comp_targetILNS1_3genE4ELNS1_11target_archE910ELNS1_3gpuE8ELNS1_3repE0EEENS1_38merge_mergepath_config_static_selectorELNS0_4arch9wavefront6targetE1EEEvSJ_,"axG",@progbits,_ZN7rocprim17ROCPRIM_400000_NS6detail17trampoline_kernelINS0_14default_configENS1_38merge_sort_block_merge_config_selectorIiNS0_10empty_typeEEEZZNS1_27merge_sort_block_merge_implIS3_N6thrust23THRUST_200600_302600_NS6detail15normal_iteratorINS9_10device_ptrIiEEEEPS5_m17evens_before_oddsEE10hipError_tT0_T1_T2_jT3_P12ihipStream_tbPNSt15iterator_traitsISI_E10value_typeEPNSO_ISJ_E10value_typeEPSK_NS1_7vsmem_tEENKUlT_SI_SJ_SK_E_clIPiSE_SF_SF_EESH_SX_SI_SJ_SK_EUlSX_E0_NS1_11comp_targetILNS1_3genE4ELNS1_11target_archE910ELNS1_3gpuE8ELNS1_3repE0EEENS1_38merge_mergepath_config_static_selectorELNS0_4arch9wavefront6targetE1EEEvSJ_,comdat
	.protected	_ZN7rocprim17ROCPRIM_400000_NS6detail17trampoline_kernelINS0_14default_configENS1_38merge_sort_block_merge_config_selectorIiNS0_10empty_typeEEEZZNS1_27merge_sort_block_merge_implIS3_N6thrust23THRUST_200600_302600_NS6detail15normal_iteratorINS9_10device_ptrIiEEEEPS5_m17evens_before_oddsEE10hipError_tT0_T1_T2_jT3_P12ihipStream_tbPNSt15iterator_traitsISI_E10value_typeEPNSO_ISJ_E10value_typeEPSK_NS1_7vsmem_tEENKUlT_SI_SJ_SK_E_clIPiSE_SF_SF_EESH_SX_SI_SJ_SK_EUlSX_E0_NS1_11comp_targetILNS1_3genE4ELNS1_11target_archE910ELNS1_3gpuE8ELNS1_3repE0EEENS1_38merge_mergepath_config_static_selectorELNS0_4arch9wavefront6targetE1EEEvSJ_ ; -- Begin function _ZN7rocprim17ROCPRIM_400000_NS6detail17trampoline_kernelINS0_14default_configENS1_38merge_sort_block_merge_config_selectorIiNS0_10empty_typeEEEZZNS1_27merge_sort_block_merge_implIS3_N6thrust23THRUST_200600_302600_NS6detail15normal_iteratorINS9_10device_ptrIiEEEEPS5_m17evens_before_oddsEE10hipError_tT0_T1_T2_jT3_P12ihipStream_tbPNSt15iterator_traitsISI_E10value_typeEPNSO_ISJ_E10value_typeEPSK_NS1_7vsmem_tEENKUlT_SI_SJ_SK_E_clIPiSE_SF_SF_EESH_SX_SI_SJ_SK_EUlSX_E0_NS1_11comp_targetILNS1_3genE4ELNS1_11target_archE910ELNS1_3gpuE8ELNS1_3repE0EEENS1_38merge_mergepath_config_static_selectorELNS0_4arch9wavefront6targetE1EEEvSJ_
	.globl	_ZN7rocprim17ROCPRIM_400000_NS6detail17trampoline_kernelINS0_14default_configENS1_38merge_sort_block_merge_config_selectorIiNS0_10empty_typeEEEZZNS1_27merge_sort_block_merge_implIS3_N6thrust23THRUST_200600_302600_NS6detail15normal_iteratorINS9_10device_ptrIiEEEEPS5_m17evens_before_oddsEE10hipError_tT0_T1_T2_jT3_P12ihipStream_tbPNSt15iterator_traitsISI_E10value_typeEPNSO_ISJ_E10value_typeEPSK_NS1_7vsmem_tEENKUlT_SI_SJ_SK_E_clIPiSE_SF_SF_EESH_SX_SI_SJ_SK_EUlSX_E0_NS1_11comp_targetILNS1_3genE4ELNS1_11target_archE910ELNS1_3gpuE8ELNS1_3repE0EEENS1_38merge_mergepath_config_static_selectorELNS0_4arch9wavefront6targetE1EEEvSJ_
	.p2align	8
	.type	_ZN7rocprim17ROCPRIM_400000_NS6detail17trampoline_kernelINS0_14default_configENS1_38merge_sort_block_merge_config_selectorIiNS0_10empty_typeEEEZZNS1_27merge_sort_block_merge_implIS3_N6thrust23THRUST_200600_302600_NS6detail15normal_iteratorINS9_10device_ptrIiEEEEPS5_m17evens_before_oddsEE10hipError_tT0_T1_T2_jT3_P12ihipStream_tbPNSt15iterator_traitsISI_E10value_typeEPNSO_ISJ_E10value_typeEPSK_NS1_7vsmem_tEENKUlT_SI_SJ_SK_E_clIPiSE_SF_SF_EESH_SX_SI_SJ_SK_EUlSX_E0_NS1_11comp_targetILNS1_3genE4ELNS1_11target_archE910ELNS1_3gpuE8ELNS1_3repE0EEENS1_38merge_mergepath_config_static_selectorELNS0_4arch9wavefront6targetE1EEEvSJ_,@function
_ZN7rocprim17ROCPRIM_400000_NS6detail17trampoline_kernelINS0_14default_configENS1_38merge_sort_block_merge_config_selectorIiNS0_10empty_typeEEEZZNS1_27merge_sort_block_merge_implIS3_N6thrust23THRUST_200600_302600_NS6detail15normal_iteratorINS9_10device_ptrIiEEEEPS5_m17evens_before_oddsEE10hipError_tT0_T1_T2_jT3_P12ihipStream_tbPNSt15iterator_traitsISI_E10value_typeEPNSO_ISJ_E10value_typeEPSK_NS1_7vsmem_tEENKUlT_SI_SJ_SK_E_clIPiSE_SF_SF_EESH_SX_SI_SJ_SK_EUlSX_E0_NS1_11comp_targetILNS1_3genE4ELNS1_11target_archE910ELNS1_3gpuE8ELNS1_3repE0EEENS1_38merge_mergepath_config_static_selectorELNS0_4arch9wavefront6targetE1EEEvSJ_: ; @_ZN7rocprim17ROCPRIM_400000_NS6detail17trampoline_kernelINS0_14default_configENS1_38merge_sort_block_merge_config_selectorIiNS0_10empty_typeEEEZZNS1_27merge_sort_block_merge_implIS3_N6thrust23THRUST_200600_302600_NS6detail15normal_iteratorINS9_10device_ptrIiEEEEPS5_m17evens_before_oddsEE10hipError_tT0_T1_T2_jT3_P12ihipStream_tbPNSt15iterator_traitsISI_E10value_typeEPNSO_ISJ_E10value_typeEPSK_NS1_7vsmem_tEENKUlT_SI_SJ_SK_E_clIPiSE_SF_SF_EESH_SX_SI_SJ_SK_EUlSX_E0_NS1_11comp_targetILNS1_3genE4ELNS1_11target_archE910ELNS1_3gpuE8ELNS1_3repE0EEENS1_38merge_mergepath_config_static_selectorELNS0_4arch9wavefront6targetE1EEEvSJ_
; %bb.0:
	.section	.rodata,"a",@progbits
	.p2align	6, 0x0
	.amdhsa_kernel _ZN7rocprim17ROCPRIM_400000_NS6detail17trampoline_kernelINS0_14default_configENS1_38merge_sort_block_merge_config_selectorIiNS0_10empty_typeEEEZZNS1_27merge_sort_block_merge_implIS3_N6thrust23THRUST_200600_302600_NS6detail15normal_iteratorINS9_10device_ptrIiEEEEPS5_m17evens_before_oddsEE10hipError_tT0_T1_T2_jT3_P12ihipStream_tbPNSt15iterator_traitsISI_E10value_typeEPNSO_ISJ_E10value_typeEPSK_NS1_7vsmem_tEENKUlT_SI_SJ_SK_E_clIPiSE_SF_SF_EESH_SX_SI_SJ_SK_EUlSX_E0_NS1_11comp_targetILNS1_3genE4ELNS1_11target_archE910ELNS1_3gpuE8ELNS1_3repE0EEENS1_38merge_mergepath_config_static_selectorELNS0_4arch9wavefront6targetE1EEEvSJ_
		.amdhsa_group_segment_fixed_size 0
		.amdhsa_private_segment_fixed_size 0
		.amdhsa_kernarg_size 72
		.amdhsa_user_sgpr_count 2
		.amdhsa_user_sgpr_dispatch_ptr 0
		.amdhsa_user_sgpr_queue_ptr 0
		.amdhsa_user_sgpr_kernarg_segment_ptr 1
		.amdhsa_user_sgpr_dispatch_id 0
		.amdhsa_user_sgpr_kernarg_preload_length 0
		.amdhsa_user_sgpr_kernarg_preload_offset 0
		.amdhsa_user_sgpr_private_segment_size 0
		.amdhsa_uses_dynamic_stack 0
		.amdhsa_enable_private_segment 0
		.amdhsa_system_sgpr_workgroup_id_x 1
		.amdhsa_system_sgpr_workgroup_id_y 0
		.amdhsa_system_sgpr_workgroup_id_z 0
		.amdhsa_system_sgpr_workgroup_info 0
		.amdhsa_system_vgpr_workitem_id 0
		.amdhsa_next_free_vgpr 1
		.amdhsa_next_free_sgpr 0
		.amdhsa_accum_offset 4
		.amdhsa_reserve_vcc 0
		.amdhsa_float_round_mode_32 0
		.amdhsa_float_round_mode_16_64 0
		.amdhsa_float_denorm_mode_32 3
		.amdhsa_float_denorm_mode_16_64 3
		.amdhsa_dx10_clamp 1
		.amdhsa_ieee_mode 1
		.amdhsa_fp16_overflow 0
		.amdhsa_tg_split 0
		.amdhsa_exception_fp_ieee_invalid_op 0
		.amdhsa_exception_fp_denorm_src 0
		.amdhsa_exception_fp_ieee_div_zero 0
		.amdhsa_exception_fp_ieee_overflow 0
		.amdhsa_exception_fp_ieee_underflow 0
		.amdhsa_exception_fp_ieee_inexact 0
		.amdhsa_exception_int_div_zero 0
	.end_amdhsa_kernel
	.section	.text._ZN7rocprim17ROCPRIM_400000_NS6detail17trampoline_kernelINS0_14default_configENS1_38merge_sort_block_merge_config_selectorIiNS0_10empty_typeEEEZZNS1_27merge_sort_block_merge_implIS3_N6thrust23THRUST_200600_302600_NS6detail15normal_iteratorINS9_10device_ptrIiEEEEPS5_m17evens_before_oddsEE10hipError_tT0_T1_T2_jT3_P12ihipStream_tbPNSt15iterator_traitsISI_E10value_typeEPNSO_ISJ_E10value_typeEPSK_NS1_7vsmem_tEENKUlT_SI_SJ_SK_E_clIPiSE_SF_SF_EESH_SX_SI_SJ_SK_EUlSX_E0_NS1_11comp_targetILNS1_3genE4ELNS1_11target_archE910ELNS1_3gpuE8ELNS1_3repE0EEENS1_38merge_mergepath_config_static_selectorELNS0_4arch9wavefront6targetE1EEEvSJ_,"axG",@progbits,_ZN7rocprim17ROCPRIM_400000_NS6detail17trampoline_kernelINS0_14default_configENS1_38merge_sort_block_merge_config_selectorIiNS0_10empty_typeEEEZZNS1_27merge_sort_block_merge_implIS3_N6thrust23THRUST_200600_302600_NS6detail15normal_iteratorINS9_10device_ptrIiEEEEPS5_m17evens_before_oddsEE10hipError_tT0_T1_T2_jT3_P12ihipStream_tbPNSt15iterator_traitsISI_E10value_typeEPNSO_ISJ_E10value_typeEPSK_NS1_7vsmem_tEENKUlT_SI_SJ_SK_E_clIPiSE_SF_SF_EESH_SX_SI_SJ_SK_EUlSX_E0_NS1_11comp_targetILNS1_3genE4ELNS1_11target_archE910ELNS1_3gpuE8ELNS1_3repE0EEENS1_38merge_mergepath_config_static_selectorELNS0_4arch9wavefront6targetE1EEEvSJ_,comdat
.Lfunc_end419:
	.size	_ZN7rocprim17ROCPRIM_400000_NS6detail17trampoline_kernelINS0_14default_configENS1_38merge_sort_block_merge_config_selectorIiNS0_10empty_typeEEEZZNS1_27merge_sort_block_merge_implIS3_N6thrust23THRUST_200600_302600_NS6detail15normal_iteratorINS9_10device_ptrIiEEEEPS5_m17evens_before_oddsEE10hipError_tT0_T1_T2_jT3_P12ihipStream_tbPNSt15iterator_traitsISI_E10value_typeEPNSO_ISJ_E10value_typeEPSK_NS1_7vsmem_tEENKUlT_SI_SJ_SK_E_clIPiSE_SF_SF_EESH_SX_SI_SJ_SK_EUlSX_E0_NS1_11comp_targetILNS1_3genE4ELNS1_11target_archE910ELNS1_3gpuE8ELNS1_3repE0EEENS1_38merge_mergepath_config_static_selectorELNS0_4arch9wavefront6targetE1EEEvSJ_, .Lfunc_end419-_ZN7rocprim17ROCPRIM_400000_NS6detail17trampoline_kernelINS0_14default_configENS1_38merge_sort_block_merge_config_selectorIiNS0_10empty_typeEEEZZNS1_27merge_sort_block_merge_implIS3_N6thrust23THRUST_200600_302600_NS6detail15normal_iteratorINS9_10device_ptrIiEEEEPS5_m17evens_before_oddsEE10hipError_tT0_T1_T2_jT3_P12ihipStream_tbPNSt15iterator_traitsISI_E10value_typeEPNSO_ISJ_E10value_typeEPSK_NS1_7vsmem_tEENKUlT_SI_SJ_SK_E_clIPiSE_SF_SF_EESH_SX_SI_SJ_SK_EUlSX_E0_NS1_11comp_targetILNS1_3genE4ELNS1_11target_archE910ELNS1_3gpuE8ELNS1_3repE0EEENS1_38merge_mergepath_config_static_selectorELNS0_4arch9wavefront6targetE1EEEvSJ_
                                        ; -- End function
	.set _ZN7rocprim17ROCPRIM_400000_NS6detail17trampoline_kernelINS0_14default_configENS1_38merge_sort_block_merge_config_selectorIiNS0_10empty_typeEEEZZNS1_27merge_sort_block_merge_implIS3_N6thrust23THRUST_200600_302600_NS6detail15normal_iteratorINS9_10device_ptrIiEEEEPS5_m17evens_before_oddsEE10hipError_tT0_T1_T2_jT3_P12ihipStream_tbPNSt15iterator_traitsISI_E10value_typeEPNSO_ISJ_E10value_typeEPSK_NS1_7vsmem_tEENKUlT_SI_SJ_SK_E_clIPiSE_SF_SF_EESH_SX_SI_SJ_SK_EUlSX_E0_NS1_11comp_targetILNS1_3genE4ELNS1_11target_archE910ELNS1_3gpuE8ELNS1_3repE0EEENS1_38merge_mergepath_config_static_selectorELNS0_4arch9wavefront6targetE1EEEvSJ_.num_vgpr, 0
	.set _ZN7rocprim17ROCPRIM_400000_NS6detail17trampoline_kernelINS0_14default_configENS1_38merge_sort_block_merge_config_selectorIiNS0_10empty_typeEEEZZNS1_27merge_sort_block_merge_implIS3_N6thrust23THRUST_200600_302600_NS6detail15normal_iteratorINS9_10device_ptrIiEEEEPS5_m17evens_before_oddsEE10hipError_tT0_T1_T2_jT3_P12ihipStream_tbPNSt15iterator_traitsISI_E10value_typeEPNSO_ISJ_E10value_typeEPSK_NS1_7vsmem_tEENKUlT_SI_SJ_SK_E_clIPiSE_SF_SF_EESH_SX_SI_SJ_SK_EUlSX_E0_NS1_11comp_targetILNS1_3genE4ELNS1_11target_archE910ELNS1_3gpuE8ELNS1_3repE0EEENS1_38merge_mergepath_config_static_selectorELNS0_4arch9wavefront6targetE1EEEvSJ_.num_agpr, 0
	.set _ZN7rocprim17ROCPRIM_400000_NS6detail17trampoline_kernelINS0_14default_configENS1_38merge_sort_block_merge_config_selectorIiNS0_10empty_typeEEEZZNS1_27merge_sort_block_merge_implIS3_N6thrust23THRUST_200600_302600_NS6detail15normal_iteratorINS9_10device_ptrIiEEEEPS5_m17evens_before_oddsEE10hipError_tT0_T1_T2_jT3_P12ihipStream_tbPNSt15iterator_traitsISI_E10value_typeEPNSO_ISJ_E10value_typeEPSK_NS1_7vsmem_tEENKUlT_SI_SJ_SK_E_clIPiSE_SF_SF_EESH_SX_SI_SJ_SK_EUlSX_E0_NS1_11comp_targetILNS1_3genE4ELNS1_11target_archE910ELNS1_3gpuE8ELNS1_3repE0EEENS1_38merge_mergepath_config_static_selectorELNS0_4arch9wavefront6targetE1EEEvSJ_.numbered_sgpr, 0
	.set _ZN7rocprim17ROCPRIM_400000_NS6detail17trampoline_kernelINS0_14default_configENS1_38merge_sort_block_merge_config_selectorIiNS0_10empty_typeEEEZZNS1_27merge_sort_block_merge_implIS3_N6thrust23THRUST_200600_302600_NS6detail15normal_iteratorINS9_10device_ptrIiEEEEPS5_m17evens_before_oddsEE10hipError_tT0_T1_T2_jT3_P12ihipStream_tbPNSt15iterator_traitsISI_E10value_typeEPNSO_ISJ_E10value_typeEPSK_NS1_7vsmem_tEENKUlT_SI_SJ_SK_E_clIPiSE_SF_SF_EESH_SX_SI_SJ_SK_EUlSX_E0_NS1_11comp_targetILNS1_3genE4ELNS1_11target_archE910ELNS1_3gpuE8ELNS1_3repE0EEENS1_38merge_mergepath_config_static_selectorELNS0_4arch9wavefront6targetE1EEEvSJ_.num_named_barrier, 0
	.set _ZN7rocprim17ROCPRIM_400000_NS6detail17trampoline_kernelINS0_14default_configENS1_38merge_sort_block_merge_config_selectorIiNS0_10empty_typeEEEZZNS1_27merge_sort_block_merge_implIS3_N6thrust23THRUST_200600_302600_NS6detail15normal_iteratorINS9_10device_ptrIiEEEEPS5_m17evens_before_oddsEE10hipError_tT0_T1_T2_jT3_P12ihipStream_tbPNSt15iterator_traitsISI_E10value_typeEPNSO_ISJ_E10value_typeEPSK_NS1_7vsmem_tEENKUlT_SI_SJ_SK_E_clIPiSE_SF_SF_EESH_SX_SI_SJ_SK_EUlSX_E0_NS1_11comp_targetILNS1_3genE4ELNS1_11target_archE910ELNS1_3gpuE8ELNS1_3repE0EEENS1_38merge_mergepath_config_static_selectorELNS0_4arch9wavefront6targetE1EEEvSJ_.private_seg_size, 0
	.set _ZN7rocprim17ROCPRIM_400000_NS6detail17trampoline_kernelINS0_14default_configENS1_38merge_sort_block_merge_config_selectorIiNS0_10empty_typeEEEZZNS1_27merge_sort_block_merge_implIS3_N6thrust23THRUST_200600_302600_NS6detail15normal_iteratorINS9_10device_ptrIiEEEEPS5_m17evens_before_oddsEE10hipError_tT0_T1_T2_jT3_P12ihipStream_tbPNSt15iterator_traitsISI_E10value_typeEPNSO_ISJ_E10value_typeEPSK_NS1_7vsmem_tEENKUlT_SI_SJ_SK_E_clIPiSE_SF_SF_EESH_SX_SI_SJ_SK_EUlSX_E0_NS1_11comp_targetILNS1_3genE4ELNS1_11target_archE910ELNS1_3gpuE8ELNS1_3repE0EEENS1_38merge_mergepath_config_static_selectorELNS0_4arch9wavefront6targetE1EEEvSJ_.uses_vcc, 0
	.set _ZN7rocprim17ROCPRIM_400000_NS6detail17trampoline_kernelINS0_14default_configENS1_38merge_sort_block_merge_config_selectorIiNS0_10empty_typeEEEZZNS1_27merge_sort_block_merge_implIS3_N6thrust23THRUST_200600_302600_NS6detail15normal_iteratorINS9_10device_ptrIiEEEEPS5_m17evens_before_oddsEE10hipError_tT0_T1_T2_jT3_P12ihipStream_tbPNSt15iterator_traitsISI_E10value_typeEPNSO_ISJ_E10value_typeEPSK_NS1_7vsmem_tEENKUlT_SI_SJ_SK_E_clIPiSE_SF_SF_EESH_SX_SI_SJ_SK_EUlSX_E0_NS1_11comp_targetILNS1_3genE4ELNS1_11target_archE910ELNS1_3gpuE8ELNS1_3repE0EEENS1_38merge_mergepath_config_static_selectorELNS0_4arch9wavefront6targetE1EEEvSJ_.uses_flat_scratch, 0
	.set _ZN7rocprim17ROCPRIM_400000_NS6detail17trampoline_kernelINS0_14default_configENS1_38merge_sort_block_merge_config_selectorIiNS0_10empty_typeEEEZZNS1_27merge_sort_block_merge_implIS3_N6thrust23THRUST_200600_302600_NS6detail15normal_iteratorINS9_10device_ptrIiEEEEPS5_m17evens_before_oddsEE10hipError_tT0_T1_T2_jT3_P12ihipStream_tbPNSt15iterator_traitsISI_E10value_typeEPNSO_ISJ_E10value_typeEPSK_NS1_7vsmem_tEENKUlT_SI_SJ_SK_E_clIPiSE_SF_SF_EESH_SX_SI_SJ_SK_EUlSX_E0_NS1_11comp_targetILNS1_3genE4ELNS1_11target_archE910ELNS1_3gpuE8ELNS1_3repE0EEENS1_38merge_mergepath_config_static_selectorELNS0_4arch9wavefront6targetE1EEEvSJ_.has_dyn_sized_stack, 0
	.set _ZN7rocprim17ROCPRIM_400000_NS6detail17trampoline_kernelINS0_14default_configENS1_38merge_sort_block_merge_config_selectorIiNS0_10empty_typeEEEZZNS1_27merge_sort_block_merge_implIS3_N6thrust23THRUST_200600_302600_NS6detail15normal_iteratorINS9_10device_ptrIiEEEEPS5_m17evens_before_oddsEE10hipError_tT0_T1_T2_jT3_P12ihipStream_tbPNSt15iterator_traitsISI_E10value_typeEPNSO_ISJ_E10value_typeEPSK_NS1_7vsmem_tEENKUlT_SI_SJ_SK_E_clIPiSE_SF_SF_EESH_SX_SI_SJ_SK_EUlSX_E0_NS1_11comp_targetILNS1_3genE4ELNS1_11target_archE910ELNS1_3gpuE8ELNS1_3repE0EEENS1_38merge_mergepath_config_static_selectorELNS0_4arch9wavefront6targetE1EEEvSJ_.has_recursion, 0
	.set _ZN7rocprim17ROCPRIM_400000_NS6detail17trampoline_kernelINS0_14default_configENS1_38merge_sort_block_merge_config_selectorIiNS0_10empty_typeEEEZZNS1_27merge_sort_block_merge_implIS3_N6thrust23THRUST_200600_302600_NS6detail15normal_iteratorINS9_10device_ptrIiEEEEPS5_m17evens_before_oddsEE10hipError_tT0_T1_T2_jT3_P12ihipStream_tbPNSt15iterator_traitsISI_E10value_typeEPNSO_ISJ_E10value_typeEPSK_NS1_7vsmem_tEENKUlT_SI_SJ_SK_E_clIPiSE_SF_SF_EESH_SX_SI_SJ_SK_EUlSX_E0_NS1_11comp_targetILNS1_3genE4ELNS1_11target_archE910ELNS1_3gpuE8ELNS1_3repE0EEENS1_38merge_mergepath_config_static_selectorELNS0_4arch9wavefront6targetE1EEEvSJ_.has_indirect_call, 0
	.section	.AMDGPU.csdata,"",@progbits
; Kernel info:
; codeLenInByte = 0
; TotalNumSgprs: 6
; NumVgprs: 0
; NumAgprs: 0
; TotalNumVgprs: 0
; ScratchSize: 0
; MemoryBound: 0
; FloatMode: 240
; IeeeMode: 1
; LDSByteSize: 0 bytes/workgroup (compile time only)
; SGPRBlocks: 0
; VGPRBlocks: 0
; NumSGPRsForWavesPerEU: 6
; NumVGPRsForWavesPerEU: 1
; AccumOffset: 4
; Occupancy: 8
; WaveLimiterHint : 0
; COMPUTE_PGM_RSRC2:SCRATCH_EN: 0
; COMPUTE_PGM_RSRC2:USER_SGPR: 2
; COMPUTE_PGM_RSRC2:TRAP_HANDLER: 0
; COMPUTE_PGM_RSRC2:TGID_X_EN: 1
; COMPUTE_PGM_RSRC2:TGID_Y_EN: 0
; COMPUTE_PGM_RSRC2:TGID_Z_EN: 0
; COMPUTE_PGM_RSRC2:TIDIG_COMP_CNT: 0
; COMPUTE_PGM_RSRC3_GFX90A:ACCUM_OFFSET: 0
; COMPUTE_PGM_RSRC3_GFX90A:TG_SPLIT: 0
	.section	.text._ZN7rocprim17ROCPRIM_400000_NS6detail17trampoline_kernelINS0_14default_configENS1_38merge_sort_block_merge_config_selectorIiNS0_10empty_typeEEEZZNS1_27merge_sort_block_merge_implIS3_N6thrust23THRUST_200600_302600_NS6detail15normal_iteratorINS9_10device_ptrIiEEEEPS5_m17evens_before_oddsEE10hipError_tT0_T1_T2_jT3_P12ihipStream_tbPNSt15iterator_traitsISI_E10value_typeEPNSO_ISJ_E10value_typeEPSK_NS1_7vsmem_tEENKUlT_SI_SJ_SK_E_clIPiSE_SF_SF_EESH_SX_SI_SJ_SK_EUlSX_E0_NS1_11comp_targetILNS1_3genE3ELNS1_11target_archE908ELNS1_3gpuE7ELNS1_3repE0EEENS1_38merge_mergepath_config_static_selectorELNS0_4arch9wavefront6targetE1EEEvSJ_,"axG",@progbits,_ZN7rocprim17ROCPRIM_400000_NS6detail17trampoline_kernelINS0_14default_configENS1_38merge_sort_block_merge_config_selectorIiNS0_10empty_typeEEEZZNS1_27merge_sort_block_merge_implIS3_N6thrust23THRUST_200600_302600_NS6detail15normal_iteratorINS9_10device_ptrIiEEEEPS5_m17evens_before_oddsEE10hipError_tT0_T1_T2_jT3_P12ihipStream_tbPNSt15iterator_traitsISI_E10value_typeEPNSO_ISJ_E10value_typeEPSK_NS1_7vsmem_tEENKUlT_SI_SJ_SK_E_clIPiSE_SF_SF_EESH_SX_SI_SJ_SK_EUlSX_E0_NS1_11comp_targetILNS1_3genE3ELNS1_11target_archE908ELNS1_3gpuE7ELNS1_3repE0EEENS1_38merge_mergepath_config_static_selectorELNS0_4arch9wavefront6targetE1EEEvSJ_,comdat
	.protected	_ZN7rocprim17ROCPRIM_400000_NS6detail17trampoline_kernelINS0_14default_configENS1_38merge_sort_block_merge_config_selectorIiNS0_10empty_typeEEEZZNS1_27merge_sort_block_merge_implIS3_N6thrust23THRUST_200600_302600_NS6detail15normal_iteratorINS9_10device_ptrIiEEEEPS5_m17evens_before_oddsEE10hipError_tT0_T1_T2_jT3_P12ihipStream_tbPNSt15iterator_traitsISI_E10value_typeEPNSO_ISJ_E10value_typeEPSK_NS1_7vsmem_tEENKUlT_SI_SJ_SK_E_clIPiSE_SF_SF_EESH_SX_SI_SJ_SK_EUlSX_E0_NS1_11comp_targetILNS1_3genE3ELNS1_11target_archE908ELNS1_3gpuE7ELNS1_3repE0EEENS1_38merge_mergepath_config_static_selectorELNS0_4arch9wavefront6targetE1EEEvSJ_ ; -- Begin function _ZN7rocprim17ROCPRIM_400000_NS6detail17trampoline_kernelINS0_14default_configENS1_38merge_sort_block_merge_config_selectorIiNS0_10empty_typeEEEZZNS1_27merge_sort_block_merge_implIS3_N6thrust23THRUST_200600_302600_NS6detail15normal_iteratorINS9_10device_ptrIiEEEEPS5_m17evens_before_oddsEE10hipError_tT0_T1_T2_jT3_P12ihipStream_tbPNSt15iterator_traitsISI_E10value_typeEPNSO_ISJ_E10value_typeEPSK_NS1_7vsmem_tEENKUlT_SI_SJ_SK_E_clIPiSE_SF_SF_EESH_SX_SI_SJ_SK_EUlSX_E0_NS1_11comp_targetILNS1_3genE3ELNS1_11target_archE908ELNS1_3gpuE7ELNS1_3repE0EEENS1_38merge_mergepath_config_static_selectorELNS0_4arch9wavefront6targetE1EEEvSJ_
	.globl	_ZN7rocprim17ROCPRIM_400000_NS6detail17trampoline_kernelINS0_14default_configENS1_38merge_sort_block_merge_config_selectorIiNS0_10empty_typeEEEZZNS1_27merge_sort_block_merge_implIS3_N6thrust23THRUST_200600_302600_NS6detail15normal_iteratorINS9_10device_ptrIiEEEEPS5_m17evens_before_oddsEE10hipError_tT0_T1_T2_jT3_P12ihipStream_tbPNSt15iterator_traitsISI_E10value_typeEPNSO_ISJ_E10value_typeEPSK_NS1_7vsmem_tEENKUlT_SI_SJ_SK_E_clIPiSE_SF_SF_EESH_SX_SI_SJ_SK_EUlSX_E0_NS1_11comp_targetILNS1_3genE3ELNS1_11target_archE908ELNS1_3gpuE7ELNS1_3repE0EEENS1_38merge_mergepath_config_static_selectorELNS0_4arch9wavefront6targetE1EEEvSJ_
	.p2align	8
	.type	_ZN7rocprim17ROCPRIM_400000_NS6detail17trampoline_kernelINS0_14default_configENS1_38merge_sort_block_merge_config_selectorIiNS0_10empty_typeEEEZZNS1_27merge_sort_block_merge_implIS3_N6thrust23THRUST_200600_302600_NS6detail15normal_iteratorINS9_10device_ptrIiEEEEPS5_m17evens_before_oddsEE10hipError_tT0_T1_T2_jT3_P12ihipStream_tbPNSt15iterator_traitsISI_E10value_typeEPNSO_ISJ_E10value_typeEPSK_NS1_7vsmem_tEENKUlT_SI_SJ_SK_E_clIPiSE_SF_SF_EESH_SX_SI_SJ_SK_EUlSX_E0_NS1_11comp_targetILNS1_3genE3ELNS1_11target_archE908ELNS1_3gpuE7ELNS1_3repE0EEENS1_38merge_mergepath_config_static_selectorELNS0_4arch9wavefront6targetE1EEEvSJ_,@function
_ZN7rocprim17ROCPRIM_400000_NS6detail17trampoline_kernelINS0_14default_configENS1_38merge_sort_block_merge_config_selectorIiNS0_10empty_typeEEEZZNS1_27merge_sort_block_merge_implIS3_N6thrust23THRUST_200600_302600_NS6detail15normal_iteratorINS9_10device_ptrIiEEEEPS5_m17evens_before_oddsEE10hipError_tT0_T1_T2_jT3_P12ihipStream_tbPNSt15iterator_traitsISI_E10value_typeEPNSO_ISJ_E10value_typeEPSK_NS1_7vsmem_tEENKUlT_SI_SJ_SK_E_clIPiSE_SF_SF_EESH_SX_SI_SJ_SK_EUlSX_E0_NS1_11comp_targetILNS1_3genE3ELNS1_11target_archE908ELNS1_3gpuE7ELNS1_3repE0EEENS1_38merge_mergepath_config_static_selectorELNS0_4arch9wavefront6targetE1EEEvSJ_: ; @_ZN7rocprim17ROCPRIM_400000_NS6detail17trampoline_kernelINS0_14default_configENS1_38merge_sort_block_merge_config_selectorIiNS0_10empty_typeEEEZZNS1_27merge_sort_block_merge_implIS3_N6thrust23THRUST_200600_302600_NS6detail15normal_iteratorINS9_10device_ptrIiEEEEPS5_m17evens_before_oddsEE10hipError_tT0_T1_T2_jT3_P12ihipStream_tbPNSt15iterator_traitsISI_E10value_typeEPNSO_ISJ_E10value_typeEPSK_NS1_7vsmem_tEENKUlT_SI_SJ_SK_E_clIPiSE_SF_SF_EESH_SX_SI_SJ_SK_EUlSX_E0_NS1_11comp_targetILNS1_3genE3ELNS1_11target_archE908ELNS1_3gpuE7ELNS1_3repE0EEENS1_38merge_mergepath_config_static_selectorELNS0_4arch9wavefront6targetE1EEEvSJ_
; %bb.0:
	.section	.rodata,"a",@progbits
	.p2align	6, 0x0
	.amdhsa_kernel _ZN7rocprim17ROCPRIM_400000_NS6detail17trampoline_kernelINS0_14default_configENS1_38merge_sort_block_merge_config_selectorIiNS0_10empty_typeEEEZZNS1_27merge_sort_block_merge_implIS3_N6thrust23THRUST_200600_302600_NS6detail15normal_iteratorINS9_10device_ptrIiEEEEPS5_m17evens_before_oddsEE10hipError_tT0_T1_T2_jT3_P12ihipStream_tbPNSt15iterator_traitsISI_E10value_typeEPNSO_ISJ_E10value_typeEPSK_NS1_7vsmem_tEENKUlT_SI_SJ_SK_E_clIPiSE_SF_SF_EESH_SX_SI_SJ_SK_EUlSX_E0_NS1_11comp_targetILNS1_3genE3ELNS1_11target_archE908ELNS1_3gpuE7ELNS1_3repE0EEENS1_38merge_mergepath_config_static_selectorELNS0_4arch9wavefront6targetE1EEEvSJ_
		.amdhsa_group_segment_fixed_size 0
		.amdhsa_private_segment_fixed_size 0
		.amdhsa_kernarg_size 72
		.amdhsa_user_sgpr_count 2
		.amdhsa_user_sgpr_dispatch_ptr 0
		.amdhsa_user_sgpr_queue_ptr 0
		.amdhsa_user_sgpr_kernarg_segment_ptr 1
		.amdhsa_user_sgpr_dispatch_id 0
		.amdhsa_user_sgpr_kernarg_preload_length 0
		.amdhsa_user_sgpr_kernarg_preload_offset 0
		.amdhsa_user_sgpr_private_segment_size 0
		.amdhsa_uses_dynamic_stack 0
		.amdhsa_enable_private_segment 0
		.amdhsa_system_sgpr_workgroup_id_x 1
		.amdhsa_system_sgpr_workgroup_id_y 0
		.amdhsa_system_sgpr_workgroup_id_z 0
		.amdhsa_system_sgpr_workgroup_info 0
		.amdhsa_system_vgpr_workitem_id 0
		.amdhsa_next_free_vgpr 1
		.amdhsa_next_free_sgpr 0
		.amdhsa_accum_offset 4
		.amdhsa_reserve_vcc 0
		.amdhsa_float_round_mode_32 0
		.amdhsa_float_round_mode_16_64 0
		.amdhsa_float_denorm_mode_32 3
		.amdhsa_float_denorm_mode_16_64 3
		.amdhsa_dx10_clamp 1
		.amdhsa_ieee_mode 1
		.amdhsa_fp16_overflow 0
		.amdhsa_tg_split 0
		.amdhsa_exception_fp_ieee_invalid_op 0
		.amdhsa_exception_fp_denorm_src 0
		.amdhsa_exception_fp_ieee_div_zero 0
		.amdhsa_exception_fp_ieee_overflow 0
		.amdhsa_exception_fp_ieee_underflow 0
		.amdhsa_exception_fp_ieee_inexact 0
		.amdhsa_exception_int_div_zero 0
	.end_amdhsa_kernel
	.section	.text._ZN7rocprim17ROCPRIM_400000_NS6detail17trampoline_kernelINS0_14default_configENS1_38merge_sort_block_merge_config_selectorIiNS0_10empty_typeEEEZZNS1_27merge_sort_block_merge_implIS3_N6thrust23THRUST_200600_302600_NS6detail15normal_iteratorINS9_10device_ptrIiEEEEPS5_m17evens_before_oddsEE10hipError_tT0_T1_T2_jT3_P12ihipStream_tbPNSt15iterator_traitsISI_E10value_typeEPNSO_ISJ_E10value_typeEPSK_NS1_7vsmem_tEENKUlT_SI_SJ_SK_E_clIPiSE_SF_SF_EESH_SX_SI_SJ_SK_EUlSX_E0_NS1_11comp_targetILNS1_3genE3ELNS1_11target_archE908ELNS1_3gpuE7ELNS1_3repE0EEENS1_38merge_mergepath_config_static_selectorELNS0_4arch9wavefront6targetE1EEEvSJ_,"axG",@progbits,_ZN7rocprim17ROCPRIM_400000_NS6detail17trampoline_kernelINS0_14default_configENS1_38merge_sort_block_merge_config_selectorIiNS0_10empty_typeEEEZZNS1_27merge_sort_block_merge_implIS3_N6thrust23THRUST_200600_302600_NS6detail15normal_iteratorINS9_10device_ptrIiEEEEPS5_m17evens_before_oddsEE10hipError_tT0_T1_T2_jT3_P12ihipStream_tbPNSt15iterator_traitsISI_E10value_typeEPNSO_ISJ_E10value_typeEPSK_NS1_7vsmem_tEENKUlT_SI_SJ_SK_E_clIPiSE_SF_SF_EESH_SX_SI_SJ_SK_EUlSX_E0_NS1_11comp_targetILNS1_3genE3ELNS1_11target_archE908ELNS1_3gpuE7ELNS1_3repE0EEENS1_38merge_mergepath_config_static_selectorELNS0_4arch9wavefront6targetE1EEEvSJ_,comdat
.Lfunc_end420:
	.size	_ZN7rocprim17ROCPRIM_400000_NS6detail17trampoline_kernelINS0_14default_configENS1_38merge_sort_block_merge_config_selectorIiNS0_10empty_typeEEEZZNS1_27merge_sort_block_merge_implIS3_N6thrust23THRUST_200600_302600_NS6detail15normal_iteratorINS9_10device_ptrIiEEEEPS5_m17evens_before_oddsEE10hipError_tT0_T1_T2_jT3_P12ihipStream_tbPNSt15iterator_traitsISI_E10value_typeEPNSO_ISJ_E10value_typeEPSK_NS1_7vsmem_tEENKUlT_SI_SJ_SK_E_clIPiSE_SF_SF_EESH_SX_SI_SJ_SK_EUlSX_E0_NS1_11comp_targetILNS1_3genE3ELNS1_11target_archE908ELNS1_3gpuE7ELNS1_3repE0EEENS1_38merge_mergepath_config_static_selectorELNS0_4arch9wavefront6targetE1EEEvSJ_, .Lfunc_end420-_ZN7rocprim17ROCPRIM_400000_NS6detail17trampoline_kernelINS0_14default_configENS1_38merge_sort_block_merge_config_selectorIiNS0_10empty_typeEEEZZNS1_27merge_sort_block_merge_implIS3_N6thrust23THRUST_200600_302600_NS6detail15normal_iteratorINS9_10device_ptrIiEEEEPS5_m17evens_before_oddsEE10hipError_tT0_T1_T2_jT3_P12ihipStream_tbPNSt15iterator_traitsISI_E10value_typeEPNSO_ISJ_E10value_typeEPSK_NS1_7vsmem_tEENKUlT_SI_SJ_SK_E_clIPiSE_SF_SF_EESH_SX_SI_SJ_SK_EUlSX_E0_NS1_11comp_targetILNS1_3genE3ELNS1_11target_archE908ELNS1_3gpuE7ELNS1_3repE0EEENS1_38merge_mergepath_config_static_selectorELNS0_4arch9wavefront6targetE1EEEvSJ_
                                        ; -- End function
	.set _ZN7rocprim17ROCPRIM_400000_NS6detail17trampoline_kernelINS0_14default_configENS1_38merge_sort_block_merge_config_selectorIiNS0_10empty_typeEEEZZNS1_27merge_sort_block_merge_implIS3_N6thrust23THRUST_200600_302600_NS6detail15normal_iteratorINS9_10device_ptrIiEEEEPS5_m17evens_before_oddsEE10hipError_tT0_T1_T2_jT3_P12ihipStream_tbPNSt15iterator_traitsISI_E10value_typeEPNSO_ISJ_E10value_typeEPSK_NS1_7vsmem_tEENKUlT_SI_SJ_SK_E_clIPiSE_SF_SF_EESH_SX_SI_SJ_SK_EUlSX_E0_NS1_11comp_targetILNS1_3genE3ELNS1_11target_archE908ELNS1_3gpuE7ELNS1_3repE0EEENS1_38merge_mergepath_config_static_selectorELNS0_4arch9wavefront6targetE1EEEvSJ_.num_vgpr, 0
	.set _ZN7rocprim17ROCPRIM_400000_NS6detail17trampoline_kernelINS0_14default_configENS1_38merge_sort_block_merge_config_selectorIiNS0_10empty_typeEEEZZNS1_27merge_sort_block_merge_implIS3_N6thrust23THRUST_200600_302600_NS6detail15normal_iteratorINS9_10device_ptrIiEEEEPS5_m17evens_before_oddsEE10hipError_tT0_T1_T2_jT3_P12ihipStream_tbPNSt15iterator_traitsISI_E10value_typeEPNSO_ISJ_E10value_typeEPSK_NS1_7vsmem_tEENKUlT_SI_SJ_SK_E_clIPiSE_SF_SF_EESH_SX_SI_SJ_SK_EUlSX_E0_NS1_11comp_targetILNS1_3genE3ELNS1_11target_archE908ELNS1_3gpuE7ELNS1_3repE0EEENS1_38merge_mergepath_config_static_selectorELNS0_4arch9wavefront6targetE1EEEvSJ_.num_agpr, 0
	.set _ZN7rocprim17ROCPRIM_400000_NS6detail17trampoline_kernelINS0_14default_configENS1_38merge_sort_block_merge_config_selectorIiNS0_10empty_typeEEEZZNS1_27merge_sort_block_merge_implIS3_N6thrust23THRUST_200600_302600_NS6detail15normal_iteratorINS9_10device_ptrIiEEEEPS5_m17evens_before_oddsEE10hipError_tT0_T1_T2_jT3_P12ihipStream_tbPNSt15iterator_traitsISI_E10value_typeEPNSO_ISJ_E10value_typeEPSK_NS1_7vsmem_tEENKUlT_SI_SJ_SK_E_clIPiSE_SF_SF_EESH_SX_SI_SJ_SK_EUlSX_E0_NS1_11comp_targetILNS1_3genE3ELNS1_11target_archE908ELNS1_3gpuE7ELNS1_3repE0EEENS1_38merge_mergepath_config_static_selectorELNS0_4arch9wavefront6targetE1EEEvSJ_.numbered_sgpr, 0
	.set _ZN7rocprim17ROCPRIM_400000_NS6detail17trampoline_kernelINS0_14default_configENS1_38merge_sort_block_merge_config_selectorIiNS0_10empty_typeEEEZZNS1_27merge_sort_block_merge_implIS3_N6thrust23THRUST_200600_302600_NS6detail15normal_iteratorINS9_10device_ptrIiEEEEPS5_m17evens_before_oddsEE10hipError_tT0_T1_T2_jT3_P12ihipStream_tbPNSt15iterator_traitsISI_E10value_typeEPNSO_ISJ_E10value_typeEPSK_NS1_7vsmem_tEENKUlT_SI_SJ_SK_E_clIPiSE_SF_SF_EESH_SX_SI_SJ_SK_EUlSX_E0_NS1_11comp_targetILNS1_3genE3ELNS1_11target_archE908ELNS1_3gpuE7ELNS1_3repE0EEENS1_38merge_mergepath_config_static_selectorELNS0_4arch9wavefront6targetE1EEEvSJ_.num_named_barrier, 0
	.set _ZN7rocprim17ROCPRIM_400000_NS6detail17trampoline_kernelINS0_14default_configENS1_38merge_sort_block_merge_config_selectorIiNS0_10empty_typeEEEZZNS1_27merge_sort_block_merge_implIS3_N6thrust23THRUST_200600_302600_NS6detail15normal_iteratorINS9_10device_ptrIiEEEEPS5_m17evens_before_oddsEE10hipError_tT0_T1_T2_jT3_P12ihipStream_tbPNSt15iterator_traitsISI_E10value_typeEPNSO_ISJ_E10value_typeEPSK_NS1_7vsmem_tEENKUlT_SI_SJ_SK_E_clIPiSE_SF_SF_EESH_SX_SI_SJ_SK_EUlSX_E0_NS1_11comp_targetILNS1_3genE3ELNS1_11target_archE908ELNS1_3gpuE7ELNS1_3repE0EEENS1_38merge_mergepath_config_static_selectorELNS0_4arch9wavefront6targetE1EEEvSJ_.private_seg_size, 0
	.set _ZN7rocprim17ROCPRIM_400000_NS6detail17trampoline_kernelINS0_14default_configENS1_38merge_sort_block_merge_config_selectorIiNS0_10empty_typeEEEZZNS1_27merge_sort_block_merge_implIS3_N6thrust23THRUST_200600_302600_NS6detail15normal_iteratorINS9_10device_ptrIiEEEEPS5_m17evens_before_oddsEE10hipError_tT0_T1_T2_jT3_P12ihipStream_tbPNSt15iterator_traitsISI_E10value_typeEPNSO_ISJ_E10value_typeEPSK_NS1_7vsmem_tEENKUlT_SI_SJ_SK_E_clIPiSE_SF_SF_EESH_SX_SI_SJ_SK_EUlSX_E0_NS1_11comp_targetILNS1_3genE3ELNS1_11target_archE908ELNS1_3gpuE7ELNS1_3repE0EEENS1_38merge_mergepath_config_static_selectorELNS0_4arch9wavefront6targetE1EEEvSJ_.uses_vcc, 0
	.set _ZN7rocprim17ROCPRIM_400000_NS6detail17trampoline_kernelINS0_14default_configENS1_38merge_sort_block_merge_config_selectorIiNS0_10empty_typeEEEZZNS1_27merge_sort_block_merge_implIS3_N6thrust23THRUST_200600_302600_NS6detail15normal_iteratorINS9_10device_ptrIiEEEEPS5_m17evens_before_oddsEE10hipError_tT0_T1_T2_jT3_P12ihipStream_tbPNSt15iterator_traitsISI_E10value_typeEPNSO_ISJ_E10value_typeEPSK_NS1_7vsmem_tEENKUlT_SI_SJ_SK_E_clIPiSE_SF_SF_EESH_SX_SI_SJ_SK_EUlSX_E0_NS1_11comp_targetILNS1_3genE3ELNS1_11target_archE908ELNS1_3gpuE7ELNS1_3repE0EEENS1_38merge_mergepath_config_static_selectorELNS0_4arch9wavefront6targetE1EEEvSJ_.uses_flat_scratch, 0
	.set _ZN7rocprim17ROCPRIM_400000_NS6detail17trampoline_kernelINS0_14default_configENS1_38merge_sort_block_merge_config_selectorIiNS0_10empty_typeEEEZZNS1_27merge_sort_block_merge_implIS3_N6thrust23THRUST_200600_302600_NS6detail15normal_iteratorINS9_10device_ptrIiEEEEPS5_m17evens_before_oddsEE10hipError_tT0_T1_T2_jT3_P12ihipStream_tbPNSt15iterator_traitsISI_E10value_typeEPNSO_ISJ_E10value_typeEPSK_NS1_7vsmem_tEENKUlT_SI_SJ_SK_E_clIPiSE_SF_SF_EESH_SX_SI_SJ_SK_EUlSX_E0_NS1_11comp_targetILNS1_3genE3ELNS1_11target_archE908ELNS1_3gpuE7ELNS1_3repE0EEENS1_38merge_mergepath_config_static_selectorELNS0_4arch9wavefront6targetE1EEEvSJ_.has_dyn_sized_stack, 0
	.set _ZN7rocprim17ROCPRIM_400000_NS6detail17trampoline_kernelINS0_14default_configENS1_38merge_sort_block_merge_config_selectorIiNS0_10empty_typeEEEZZNS1_27merge_sort_block_merge_implIS3_N6thrust23THRUST_200600_302600_NS6detail15normal_iteratorINS9_10device_ptrIiEEEEPS5_m17evens_before_oddsEE10hipError_tT0_T1_T2_jT3_P12ihipStream_tbPNSt15iterator_traitsISI_E10value_typeEPNSO_ISJ_E10value_typeEPSK_NS1_7vsmem_tEENKUlT_SI_SJ_SK_E_clIPiSE_SF_SF_EESH_SX_SI_SJ_SK_EUlSX_E0_NS1_11comp_targetILNS1_3genE3ELNS1_11target_archE908ELNS1_3gpuE7ELNS1_3repE0EEENS1_38merge_mergepath_config_static_selectorELNS0_4arch9wavefront6targetE1EEEvSJ_.has_recursion, 0
	.set _ZN7rocprim17ROCPRIM_400000_NS6detail17trampoline_kernelINS0_14default_configENS1_38merge_sort_block_merge_config_selectorIiNS0_10empty_typeEEEZZNS1_27merge_sort_block_merge_implIS3_N6thrust23THRUST_200600_302600_NS6detail15normal_iteratorINS9_10device_ptrIiEEEEPS5_m17evens_before_oddsEE10hipError_tT0_T1_T2_jT3_P12ihipStream_tbPNSt15iterator_traitsISI_E10value_typeEPNSO_ISJ_E10value_typeEPSK_NS1_7vsmem_tEENKUlT_SI_SJ_SK_E_clIPiSE_SF_SF_EESH_SX_SI_SJ_SK_EUlSX_E0_NS1_11comp_targetILNS1_3genE3ELNS1_11target_archE908ELNS1_3gpuE7ELNS1_3repE0EEENS1_38merge_mergepath_config_static_selectorELNS0_4arch9wavefront6targetE1EEEvSJ_.has_indirect_call, 0
	.section	.AMDGPU.csdata,"",@progbits
; Kernel info:
; codeLenInByte = 0
; TotalNumSgprs: 6
; NumVgprs: 0
; NumAgprs: 0
; TotalNumVgprs: 0
; ScratchSize: 0
; MemoryBound: 0
; FloatMode: 240
; IeeeMode: 1
; LDSByteSize: 0 bytes/workgroup (compile time only)
; SGPRBlocks: 0
; VGPRBlocks: 0
; NumSGPRsForWavesPerEU: 6
; NumVGPRsForWavesPerEU: 1
; AccumOffset: 4
; Occupancy: 8
; WaveLimiterHint : 0
; COMPUTE_PGM_RSRC2:SCRATCH_EN: 0
; COMPUTE_PGM_RSRC2:USER_SGPR: 2
; COMPUTE_PGM_RSRC2:TRAP_HANDLER: 0
; COMPUTE_PGM_RSRC2:TGID_X_EN: 1
; COMPUTE_PGM_RSRC2:TGID_Y_EN: 0
; COMPUTE_PGM_RSRC2:TGID_Z_EN: 0
; COMPUTE_PGM_RSRC2:TIDIG_COMP_CNT: 0
; COMPUTE_PGM_RSRC3_GFX90A:ACCUM_OFFSET: 0
; COMPUTE_PGM_RSRC3_GFX90A:TG_SPLIT: 0
	.section	.text._ZN7rocprim17ROCPRIM_400000_NS6detail17trampoline_kernelINS0_14default_configENS1_38merge_sort_block_merge_config_selectorIiNS0_10empty_typeEEEZZNS1_27merge_sort_block_merge_implIS3_N6thrust23THRUST_200600_302600_NS6detail15normal_iteratorINS9_10device_ptrIiEEEEPS5_m17evens_before_oddsEE10hipError_tT0_T1_T2_jT3_P12ihipStream_tbPNSt15iterator_traitsISI_E10value_typeEPNSO_ISJ_E10value_typeEPSK_NS1_7vsmem_tEENKUlT_SI_SJ_SK_E_clIPiSE_SF_SF_EESH_SX_SI_SJ_SK_EUlSX_E0_NS1_11comp_targetILNS1_3genE2ELNS1_11target_archE906ELNS1_3gpuE6ELNS1_3repE0EEENS1_38merge_mergepath_config_static_selectorELNS0_4arch9wavefront6targetE1EEEvSJ_,"axG",@progbits,_ZN7rocprim17ROCPRIM_400000_NS6detail17trampoline_kernelINS0_14default_configENS1_38merge_sort_block_merge_config_selectorIiNS0_10empty_typeEEEZZNS1_27merge_sort_block_merge_implIS3_N6thrust23THRUST_200600_302600_NS6detail15normal_iteratorINS9_10device_ptrIiEEEEPS5_m17evens_before_oddsEE10hipError_tT0_T1_T2_jT3_P12ihipStream_tbPNSt15iterator_traitsISI_E10value_typeEPNSO_ISJ_E10value_typeEPSK_NS1_7vsmem_tEENKUlT_SI_SJ_SK_E_clIPiSE_SF_SF_EESH_SX_SI_SJ_SK_EUlSX_E0_NS1_11comp_targetILNS1_3genE2ELNS1_11target_archE906ELNS1_3gpuE6ELNS1_3repE0EEENS1_38merge_mergepath_config_static_selectorELNS0_4arch9wavefront6targetE1EEEvSJ_,comdat
	.protected	_ZN7rocprim17ROCPRIM_400000_NS6detail17trampoline_kernelINS0_14default_configENS1_38merge_sort_block_merge_config_selectorIiNS0_10empty_typeEEEZZNS1_27merge_sort_block_merge_implIS3_N6thrust23THRUST_200600_302600_NS6detail15normal_iteratorINS9_10device_ptrIiEEEEPS5_m17evens_before_oddsEE10hipError_tT0_T1_T2_jT3_P12ihipStream_tbPNSt15iterator_traitsISI_E10value_typeEPNSO_ISJ_E10value_typeEPSK_NS1_7vsmem_tEENKUlT_SI_SJ_SK_E_clIPiSE_SF_SF_EESH_SX_SI_SJ_SK_EUlSX_E0_NS1_11comp_targetILNS1_3genE2ELNS1_11target_archE906ELNS1_3gpuE6ELNS1_3repE0EEENS1_38merge_mergepath_config_static_selectorELNS0_4arch9wavefront6targetE1EEEvSJ_ ; -- Begin function _ZN7rocprim17ROCPRIM_400000_NS6detail17trampoline_kernelINS0_14default_configENS1_38merge_sort_block_merge_config_selectorIiNS0_10empty_typeEEEZZNS1_27merge_sort_block_merge_implIS3_N6thrust23THRUST_200600_302600_NS6detail15normal_iteratorINS9_10device_ptrIiEEEEPS5_m17evens_before_oddsEE10hipError_tT0_T1_T2_jT3_P12ihipStream_tbPNSt15iterator_traitsISI_E10value_typeEPNSO_ISJ_E10value_typeEPSK_NS1_7vsmem_tEENKUlT_SI_SJ_SK_E_clIPiSE_SF_SF_EESH_SX_SI_SJ_SK_EUlSX_E0_NS1_11comp_targetILNS1_3genE2ELNS1_11target_archE906ELNS1_3gpuE6ELNS1_3repE0EEENS1_38merge_mergepath_config_static_selectorELNS0_4arch9wavefront6targetE1EEEvSJ_
	.globl	_ZN7rocprim17ROCPRIM_400000_NS6detail17trampoline_kernelINS0_14default_configENS1_38merge_sort_block_merge_config_selectorIiNS0_10empty_typeEEEZZNS1_27merge_sort_block_merge_implIS3_N6thrust23THRUST_200600_302600_NS6detail15normal_iteratorINS9_10device_ptrIiEEEEPS5_m17evens_before_oddsEE10hipError_tT0_T1_T2_jT3_P12ihipStream_tbPNSt15iterator_traitsISI_E10value_typeEPNSO_ISJ_E10value_typeEPSK_NS1_7vsmem_tEENKUlT_SI_SJ_SK_E_clIPiSE_SF_SF_EESH_SX_SI_SJ_SK_EUlSX_E0_NS1_11comp_targetILNS1_3genE2ELNS1_11target_archE906ELNS1_3gpuE6ELNS1_3repE0EEENS1_38merge_mergepath_config_static_selectorELNS0_4arch9wavefront6targetE1EEEvSJ_
	.p2align	8
	.type	_ZN7rocprim17ROCPRIM_400000_NS6detail17trampoline_kernelINS0_14default_configENS1_38merge_sort_block_merge_config_selectorIiNS0_10empty_typeEEEZZNS1_27merge_sort_block_merge_implIS3_N6thrust23THRUST_200600_302600_NS6detail15normal_iteratorINS9_10device_ptrIiEEEEPS5_m17evens_before_oddsEE10hipError_tT0_T1_T2_jT3_P12ihipStream_tbPNSt15iterator_traitsISI_E10value_typeEPNSO_ISJ_E10value_typeEPSK_NS1_7vsmem_tEENKUlT_SI_SJ_SK_E_clIPiSE_SF_SF_EESH_SX_SI_SJ_SK_EUlSX_E0_NS1_11comp_targetILNS1_3genE2ELNS1_11target_archE906ELNS1_3gpuE6ELNS1_3repE0EEENS1_38merge_mergepath_config_static_selectorELNS0_4arch9wavefront6targetE1EEEvSJ_,@function
_ZN7rocprim17ROCPRIM_400000_NS6detail17trampoline_kernelINS0_14default_configENS1_38merge_sort_block_merge_config_selectorIiNS0_10empty_typeEEEZZNS1_27merge_sort_block_merge_implIS3_N6thrust23THRUST_200600_302600_NS6detail15normal_iteratorINS9_10device_ptrIiEEEEPS5_m17evens_before_oddsEE10hipError_tT0_T1_T2_jT3_P12ihipStream_tbPNSt15iterator_traitsISI_E10value_typeEPNSO_ISJ_E10value_typeEPSK_NS1_7vsmem_tEENKUlT_SI_SJ_SK_E_clIPiSE_SF_SF_EESH_SX_SI_SJ_SK_EUlSX_E0_NS1_11comp_targetILNS1_3genE2ELNS1_11target_archE906ELNS1_3gpuE6ELNS1_3repE0EEENS1_38merge_mergepath_config_static_selectorELNS0_4arch9wavefront6targetE1EEEvSJ_: ; @_ZN7rocprim17ROCPRIM_400000_NS6detail17trampoline_kernelINS0_14default_configENS1_38merge_sort_block_merge_config_selectorIiNS0_10empty_typeEEEZZNS1_27merge_sort_block_merge_implIS3_N6thrust23THRUST_200600_302600_NS6detail15normal_iteratorINS9_10device_ptrIiEEEEPS5_m17evens_before_oddsEE10hipError_tT0_T1_T2_jT3_P12ihipStream_tbPNSt15iterator_traitsISI_E10value_typeEPNSO_ISJ_E10value_typeEPSK_NS1_7vsmem_tEENKUlT_SI_SJ_SK_E_clIPiSE_SF_SF_EESH_SX_SI_SJ_SK_EUlSX_E0_NS1_11comp_targetILNS1_3genE2ELNS1_11target_archE906ELNS1_3gpuE6ELNS1_3repE0EEENS1_38merge_mergepath_config_static_selectorELNS0_4arch9wavefront6targetE1EEEvSJ_
; %bb.0:
	.section	.rodata,"a",@progbits
	.p2align	6, 0x0
	.amdhsa_kernel _ZN7rocprim17ROCPRIM_400000_NS6detail17trampoline_kernelINS0_14default_configENS1_38merge_sort_block_merge_config_selectorIiNS0_10empty_typeEEEZZNS1_27merge_sort_block_merge_implIS3_N6thrust23THRUST_200600_302600_NS6detail15normal_iteratorINS9_10device_ptrIiEEEEPS5_m17evens_before_oddsEE10hipError_tT0_T1_T2_jT3_P12ihipStream_tbPNSt15iterator_traitsISI_E10value_typeEPNSO_ISJ_E10value_typeEPSK_NS1_7vsmem_tEENKUlT_SI_SJ_SK_E_clIPiSE_SF_SF_EESH_SX_SI_SJ_SK_EUlSX_E0_NS1_11comp_targetILNS1_3genE2ELNS1_11target_archE906ELNS1_3gpuE6ELNS1_3repE0EEENS1_38merge_mergepath_config_static_selectorELNS0_4arch9wavefront6targetE1EEEvSJ_
		.amdhsa_group_segment_fixed_size 0
		.amdhsa_private_segment_fixed_size 0
		.amdhsa_kernarg_size 72
		.amdhsa_user_sgpr_count 2
		.amdhsa_user_sgpr_dispatch_ptr 0
		.amdhsa_user_sgpr_queue_ptr 0
		.amdhsa_user_sgpr_kernarg_segment_ptr 1
		.amdhsa_user_sgpr_dispatch_id 0
		.amdhsa_user_sgpr_kernarg_preload_length 0
		.amdhsa_user_sgpr_kernarg_preload_offset 0
		.amdhsa_user_sgpr_private_segment_size 0
		.amdhsa_uses_dynamic_stack 0
		.amdhsa_enable_private_segment 0
		.amdhsa_system_sgpr_workgroup_id_x 1
		.amdhsa_system_sgpr_workgroup_id_y 0
		.amdhsa_system_sgpr_workgroup_id_z 0
		.amdhsa_system_sgpr_workgroup_info 0
		.amdhsa_system_vgpr_workitem_id 0
		.amdhsa_next_free_vgpr 1
		.amdhsa_next_free_sgpr 0
		.amdhsa_accum_offset 4
		.amdhsa_reserve_vcc 0
		.amdhsa_float_round_mode_32 0
		.amdhsa_float_round_mode_16_64 0
		.amdhsa_float_denorm_mode_32 3
		.amdhsa_float_denorm_mode_16_64 3
		.amdhsa_dx10_clamp 1
		.amdhsa_ieee_mode 1
		.amdhsa_fp16_overflow 0
		.amdhsa_tg_split 0
		.amdhsa_exception_fp_ieee_invalid_op 0
		.amdhsa_exception_fp_denorm_src 0
		.amdhsa_exception_fp_ieee_div_zero 0
		.amdhsa_exception_fp_ieee_overflow 0
		.amdhsa_exception_fp_ieee_underflow 0
		.amdhsa_exception_fp_ieee_inexact 0
		.amdhsa_exception_int_div_zero 0
	.end_amdhsa_kernel
	.section	.text._ZN7rocprim17ROCPRIM_400000_NS6detail17trampoline_kernelINS0_14default_configENS1_38merge_sort_block_merge_config_selectorIiNS0_10empty_typeEEEZZNS1_27merge_sort_block_merge_implIS3_N6thrust23THRUST_200600_302600_NS6detail15normal_iteratorINS9_10device_ptrIiEEEEPS5_m17evens_before_oddsEE10hipError_tT0_T1_T2_jT3_P12ihipStream_tbPNSt15iterator_traitsISI_E10value_typeEPNSO_ISJ_E10value_typeEPSK_NS1_7vsmem_tEENKUlT_SI_SJ_SK_E_clIPiSE_SF_SF_EESH_SX_SI_SJ_SK_EUlSX_E0_NS1_11comp_targetILNS1_3genE2ELNS1_11target_archE906ELNS1_3gpuE6ELNS1_3repE0EEENS1_38merge_mergepath_config_static_selectorELNS0_4arch9wavefront6targetE1EEEvSJ_,"axG",@progbits,_ZN7rocprim17ROCPRIM_400000_NS6detail17trampoline_kernelINS0_14default_configENS1_38merge_sort_block_merge_config_selectorIiNS0_10empty_typeEEEZZNS1_27merge_sort_block_merge_implIS3_N6thrust23THRUST_200600_302600_NS6detail15normal_iteratorINS9_10device_ptrIiEEEEPS5_m17evens_before_oddsEE10hipError_tT0_T1_T2_jT3_P12ihipStream_tbPNSt15iterator_traitsISI_E10value_typeEPNSO_ISJ_E10value_typeEPSK_NS1_7vsmem_tEENKUlT_SI_SJ_SK_E_clIPiSE_SF_SF_EESH_SX_SI_SJ_SK_EUlSX_E0_NS1_11comp_targetILNS1_3genE2ELNS1_11target_archE906ELNS1_3gpuE6ELNS1_3repE0EEENS1_38merge_mergepath_config_static_selectorELNS0_4arch9wavefront6targetE1EEEvSJ_,comdat
.Lfunc_end421:
	.size	_ZN7rocprim17ROCPRIM_400000_NS6detail17trampoline_kernelINS0_14default_configENS1_38merge_sort_block_merge_config_selectorIiNS0_10empty_typeEEEZZNS1_27merge_sort_block_merge_implIS3_N6thrust23THRUST_200600_302600_NS6detail15normal_iteratorINS9_10device_ptrIiEEEEPS5_m17evens_before_oddsEE10hipError_tT0_T1_T2_jT3_P12ihipStream_tbPNSt15iterator_traitsISI_E10value_typeEPNSO_ISJ_E10value_typeEPSK_NS1_7vsmem_tEENKUlT_SI_SJ_SK_E_clIPiSE_SF_SF_EESH_SX_SI_SJ_SK_EUlSX_E0_NS1_11comp_targetILNS1_3genE2ELNS1_11target_archE906ELNS1_3gpuE6ELNS1_3repE0EEENS1_38merge_mergepath_config_static_selectorELNS0_4arch9wavefront6targetE1EEEvSJ_, .Lfunc_end421-_ZN7rocprim17ROCPRIM_400000_NS6detail17trampoline_kernelINS0_14default_configENS1_38merge_sort_block_merge_config_selectorIiNS0_10empty_typeEEEZZNS1_27merge_sort_block_merge_implIS3_N6thrust23THRUST_200600_302600_NS6detail15normal_iteratorINS9_10device_ptrIiEEEEPS5_m17evens_before_oddsEE10hipError_tT0_T1_T2_jT3_P12ihipStream_tbPNSt15iterator_traitsISI_E10value_typeEPNSO_ISJ_E10value_typeEPSK_NS1_7vsmem_tEENKUlT_SI_SJ_SK_E_clIPiSE_SF_SF_EESH_SX_SI_SJ_SK_EUlSX_E0_NS1_11comp_targetILNS1_3genE2ELNS1_11target_archE906ELNS1_3gpuE6ELNS1_3repE0EEENS1_38merge_mergepath_config_static_selectorELNS0_4arch9wavefront6targetE1EEEvSJ_
                                        ; -- End function
	.set _ZN7rocprim17ROCPRIM_400000_NS6detail17trampoline_kernelINS0_14default_configENS1_38merge_sort_block_merge_config_selectorIiNS0_10empty_typeEEEZZNS1_27merge_sort_block_merge_implIS3_N6thrust23THRUST_200600_302600_NS6detail15normal_iteratorINS9_10device_ptrIiEEEEPS5_m17evens_before_oddsEE10hipError_tT0_T1_T2_jT3_P12ihipStream_tbPNSt15iterator_traitsISI_E10value_typeEPNSO_ISJ_E10value_typeEPSK_NS1_7vsmem_tEENKUlT_SI_SJ_SK_E_clIPiSE_SF_SF_EESH_SX_SI_SJ_SK_EUlSX_E0_NS1_11comp_targetILNS1_3genE2ELNS1_11target_archE906ELNS1_3gpuE6ELNS1_3repE0EEENS1_38merge_mergepath_config_static_selectorELNS0_4arch9wavefront6targetE1EEEvSJ_.num_vgpr, 0
	.set _ZN7rocprim17ROCPRIM_400000_NS6detail17trampoline_kernelINS0_14default_configENS1_38merge_sort_block_merge_config_selectorIiNS0_10empty_typeEEEZZNS1_27merge_sort_block_merge_implIS3_N6thrust23THRUST_200600_302600_NS6detail15normal_iteratorINS9_10device_ptrIiEEEEPS5_m17evens_before_oddsEE10hipError_tT0_T1_T2_jT3_P12ihipStream_tbPNSt15iterator_traitsISI_E10value_typeEPNSO_ISJ_E10value_typeEPSK_NS1_7vsmem_tEENKUlT_SI_SJ_SK_E_clIPiSE_SF_SF_EESH_SX_SI_SJ_SK_EUlSX_E0_NS1_11comp_targetILNS1_3genE2ELNS1_11target_archE906ELNS1_3gpuE6ELNS1_3repE0EEENS1_38merge_mergepath_config_static_selectorELNS0_4arch9wavefront6targetE1EEEvSJ_.num_agpr, 0
	.set _ZN7rocprim17ROCPRIM_400000_NS6detail17trampoline_kernelINS0_14default_configENS1_38merge_sort_block_merge_config_selectorIiNS0_10empty_typeEEEZZNS1_27merge_sort_block_merge_implIS3_N6thrust23THRUST_200600_302600_NS6detail15normal_iteratorINS9_10device_ptrIiEEEEPS5_m17evens_before_oddsEE10hipError_tT0_T1_T2_jT3_P12ihipStream_tbPNSt15iterator_traitsISI_E10value_typeEPNSO_ISJ_E10value_typeEPSK_NS1_7vsmem_tEENKUlT_SI_SJ_SK_E_clIPiSE_SF_SF_EESH_SX_SI_SJ_SK_EUlSX_E0_NS1_11comp_targetILNS1_3genE2ELNS1_11target_archE906ELNS1_3gpuE6ELNS1_3repE0EEENS1_38merge_mergepath_config_static_selectorELNS0_4arch9wavefront6targetE1EEEvSJ_.numbered_sgpr, 0
	.set _ZN7rocprim17ROCPRIM_400000_NS6detail17trampoline_kernelINS0_14default_configENS1_38merge_sort_block_merge_config_selectorIiNS0_10empty_typeEEEZZNS1_27merge_sort_block_merge_implIS3_N6thrust23THRUST_200600_302600_NS6detail15normal_iteratorINS9_10device_ptrIiEEEEPS5_m17evens_before_oddsEE10hipError_tT0_T1_T2_jT3_P12ihipStream_tbPNSt15iterator_traitsISI_E10value_typeEPNSO_ISJ_E10value_typeEPSK_NS1_7vsmem_tEENKUlT_SI_SJ_SK_E_clIPiSE_SF_SF_EESH_SX_SI_SJ_SK_EUlSX_E0_NS1_11comp_targetILNS1_3genE2ELNS1_11target_archE906ELNS1_3gpuE6ELNS1_3repE0EEENS1_38merge_mergepath_config_static_selectorELNS0_4arch9wavefront6targetE1EEEvSJ_.num_named_barrier, 0
	.set _ZN7rocprim17ROCPRIM_400000_NS6detail17trampoline_kernelINS0_14default_configENS1_38merge_sort_block_merge_config_selectorIiNS0_10empty_typeEEEZZNS1_27merge_sort_block_merge_implIS3_N6thrust23THRUST_200600_302600_NS6detail15normal_iteratorINS9_10device_ptrIiEEEEPS5_m17evens_before_oddsEE10hipError_tT0_T1_T2_jT3_P12ihipStream_tbPNSt15iterator_traitsISI_E10value_typeEPNSO_ISJ_E10value_typeEPSK_NS1_7vsmem_tEENKUlT_SI_SJ_SK_E_clIPiSE_SF_SF_EESH_SX_SI_SJ_SK_EUlSX_E0_NS1_11comp_targetILNS1_3genE2ELNS1_11target_archE906ELNS1_3gpuE6ELNS1_3repE0EEENS1_38merge_mergepath_config_static_selectorELNS0_4arch9wavefront6targetE1EEEvSJ_.private_seg_size, 0
	.set _ZN7rocprim17ROCPRIM_400000_NS6detail17trampoline_kernelINS0_14default_configENS1_38merge_sort_block_merge_config_selectorIiNS0_10empty_typeEEEZZNS1_27merge_sort_block_merge_implIS3_N6thrust23THRUST_200600_302600_NS6detail15normal_iteratorINS9_10device_ptrIiEEEEPS5_m17evens_before_oddsEE10hipError_tT0_T1_T2_jT3_P12ihipStream_tbPNSt15iterator_traitsISI_E10value_typeEPNSO_ISJ_E10value_typeEPSK_NS1_7vsmem_tEENKUlT_SI_SJ_SK_E_clIPiSE_SF_SF_EESH_SX_SI_SJ_SK_EUlSX_E0_NS1_11comp_targetILNS1_3genE2ELNS1_11target_archE906ELNS1_3gpuE6ELNS1_3repE0EEENS1_38merge_mergepath_config_static_selectorELNS0_4arch9wavefront6targetE1EEEvSJ_.uses_vcc, 0
	.set _ZN7rocprim17ROCPRIM_400000_NS6detail17trampoline_kernelINS0_14default_configENS1_38merge_sort_block_merge_config_selectorIiNS0_10empty_typeEEEZZNS1_27merge_sort_block_merge_implIS3_N6thrust23THRUST_200600_302600_NS6detail15normal_iteratorINS9_10device_ptrIiEEEEPS5_m17evens_before_oddsEE10hipError_tT0_T1_T2_jT3_P12ihipStream_tbPNSt15iterator_traitsISI_E10value_typeEPNSO_ISJ_E10value_typeEPSK_NS1_7vsmem_tEENKUlT_SI_SJ_SK_E_clIPiSE_SF_SF_EESH_SX_SI_SJ_SK_EUlSX_E0_NS1_11comp_targetILNS1_3genE2ELNS1_11target_archE906ELNS1_3gpuE6ELNS1_3repE0EEENS1_38merge_mergepath_config_static_selectorELNS0_4arch9wavefront6targetE1EEEvSJ_.uses_flat_scratch, 0
	.set _ZN7rocprim17ROCPRIM_400000_NS6detail17trampoline_kernelINS0_14default_configENS1_38merge_sort_block_merge_config_selectorIiNS0_10empty_typeEEEZZNS1_27merge_sort_block_merge_implIS3_N6thrust23THRUST_200600_302600_NS6detail15normal_iteratorINS9_10device_ptrIiEEEEPS5_m17evens_before_oddsEE10hipError_tT0_T1_T2_jT3_P12ihipStream_tbPNSt15iterator_traitsISI_E10value_typeEPNSO_ISJ_E10value_typeEPSK_NS1_7vsmem_tEENKUlT_SI_SJ_SK_E_clIPiSE_SF_SF_EESH_SX_SI_SJ_SK_EUlSX_E0_NS1_11comp_targetILNS1_3genE2ELNS1_11target_archE906ELNS1_3gpuE6ELNS1_3repE0EEENS1_38merge_mergepath_config_static_selectorELNS0_4arch9wavefront6targetE1EEEvSJ_.has_dyn_sized_stack, 0
	.set _ZN7rocprim17ROCPRIM_400000_NS6detail17trampoline_kernelINS0_14default_configENS1_38merge_sort_block_merge_config_selectorIiNS0_10empty_typeEEEZZNS1_27merge_sort_block_merge_implIS3_N6thrust23THRUST_200600_302600_NS6detail15normal_iteratorINS9_10device_ptrIiEEEEPS5_m17evens_before_oddsEE10hipError_tT0_T1_T2_jT3_P12ihipStream_tbPNSt15iterator_traitsISI_E10value_typeEPNSO_ISJ_E10value_typeEPSK_NS1_7vsmem_tEENKUlT_SI_SJ_SK_E_clIPiSE_SF_SF_EESH_SX_SI_SJ_SK_EUlSX_E0_NS1_11comp_targetILNS1_3genE2ELNS1_11target_archE906ELNS1_3gpuE6ELNS1_3repE0EEENS1_38merge_mergepath_config_static_selectorELNS0_4arch9wavefront6targetE1EEEvSJ_.has_recursion, 0
	.set _ZN7rocprim17ROCPRIM_400000_NS6detail17trampoline_kernelINS0_14default_configENS1_38merge_sort_block_merge_config_selectorIiNS0_10empty_typeEEEZZNS1_27merge_sort_block_merge_implIS3_N6thrust23THRUST_200600_302600_NS6detail15normal_iteratorINS9_10device_ptrIiEEEEPS5_m17evens_before_oddsEE10hipError_tT0_T1_T2_jT3_P12ihipStream_tbPNSt15iterator_traitsISI_E10value_typeEPNSO_ISJ_E10value_typeEPSK_NS1_7vsmem_tEENKUlT_SI_SJ_SK_E_clIPiSE_SF_SF_EESH_SX_SI_SJ_SK_EUlSX_E0_NS1_11comp_targetILNS1_3genE2ELNS1_11target_archE906ELNS1_3gpuE6ELNS1_3repE0EEENS1_38merge_mergepath_config_static_selectorELNS0_4arch9wavefront6targetE1EEEvSJ_.has_indirect_call, 0
	.section	.AMDGPU.csdata,"",@progbits
; Kernel info:
; codeLenInByte = 0
; TotalNumSgprs: 6
; NumVgprs: 0
; NumAgprs: 0
; TotalNumVgprs: 0
; ScratchSize: 0
; MemoryBound: 0
; FloatMode: 240
; IeeeMode: 1
; LDSByteSize: 0 bytes/workgroup (compile time only)
; SGPRBlocks: 0
; VGPRBlocks: 0
; NumSGPRsForWavesPerEU: 6
; NumVGPRsForWavesPerEU: 1
; AccumOffset: 4
; Occupancy: 8
; WaveLimiterHint : 0
; COMPUTE_PGM_RSRC2:SCRATCH_EN: 0
; COMPUTE_PGM_RSRC2:USER_SGPR: 2
; COMPUTE_PGM_RSRC2:TRAP_HANDLER: 0
; COMPUTE_PGM_RSRC2:TGID_X_EN: 1
; COMPUTE_PGM_RSRC2:TGID_Y_EN: 0
; COMPUTE_PGM_RSRC2:TGID_Z_EN: 0
; COMPUTE_PGM_RSRC2:TIDIG_COMP_CNT: 0
; COMPUTE_PGM_RSRC3_GFX90A:ACCUM_OFFSET: 0
; COMPUTE_PGM_RSRC3_GFX90A:TG_SPLIT: 0
	.section	.text._ZN7rocprim17ROCPRIM_400000_NS6detail17trampoline_kernelINS0_14default_configENS1_38merge_sort_block_merge_config_selectorIiNS0_10empty_typeEEEZZNS1_27merge_sort_block_merge_implIS3_N6thrust23THRUST_200600_302600_NS6detail15normal_iteratorINS9_10device_ptrIiEEEEPS5_m17evens_before_oddsEE10hipError_tT0_T1_T2_jT3_P12ihipStream_tbPNSt15iterator_traitsISI_E10value_typeEPNSO_ISJ_E10value_typeEPSK_NS1_7vsmem_tEENKUlT_SI_SJ_SK_E_clIPiSE_SF_SF_EESH_SX_SI_SJ_SK_EUlSX_E0_NS1_11comp_targetILNS1_3genE9ELNS1_11target_archE1100ELNS1_3gpuE3ELNS1_3repE0EEENS1_38merge_mergepath_config_static_selectorELNS0_4arch9wavefront6targetE1EEEvSJ_,"axG",@progbits,_ZN7rocprim17ROCPRIM_400000_NS6detail17trampoline_kernelINS0_14default_configENS1_38merge_sort_block_merge_config_selectorIiNS0_10empty_typeEEEZZNS1_27merge_sort_block_merge_implIS3_N6thrust23THRUST_200600_302600_NS6detail15normal_iteratorINS9_10device_ptrIiEEEEPS5_m17evens_before_oddsEE10hipError_tT0_T1_T2_jT3_P12ihipStream_tbPNSt15iterator_traitsISI_E10value_typeEPNSO_ISJ_E10value_typeEPSK_NS1_7vsmem_tEENKUlT_SI_SJ_SK_E_clIPiSE_SF_SF_EESH_SX_SI_SJ_SK_EUlSX_E0_NS1_11comp_targetILNS1_3genE9ELNS1_11target_archE1100ELNS1_3gpuE3ELNS1_3repE0EEENS1_38merge_mergepath_config_static_selectorELNS0_4arch9wavefront6targetE1EEEvSJ_,comdat
	.protected	_ZN7rocprim17ROCPRIM_400000_NS6detail17trampoline_kernelINS0_14default_configENS1_38merge_sort_block_merge_config_selectorIiNS0_10empty_typeEEEZZNS1_27merge_sort_block_merge_implIS3_N6thrust23THRUST_200600_302600_NS6detail15normal_iteratorINS9_10device_ptrIiEEEEPS5_m17evens_before_oddsEE10hipError_tT0_T1_T2_jT3_P12ihipStream_tbPNSt15iterator_traitsISI_E10value_typeEPNSO_ISJ_E10value_typeEPSK_NS1_7vsmem_tEENKUlT_SI_SJ_SK_E_clIPiSE_SF_SF_EESH_SX_SI_SJ_SK_EUlSX_E0_NS1_11comp_targetILNS1_3genE9ELNS1_11target_archE1100ELNS1_3gpuE3ELNS1_3repE0EEENS1_38merge_mergepath_config_static_selectorELNS0_4arch9wavefront6targetE1EEEvSJ_ ; -- Begin function _ZN7rocprim17ROCPRIM_400000_NS6detail17trampoline_kernelINS0_14default_configENS1_38merge_sort_block_merge_config_selectorIiNS0_10empty_typeEEEZZNS1_27merge_sort_block_merge_implIS3_N6thrust23THRUST_200600_302600_NS6detail15normal_iteratorINS9_10device_ptrIiEEEEPS5_m17evens_before_oddsEE10hipError_tT0_T1_T2_jT3_P12ihipStream_tbPNSt15iterator_traitsISI_E10value_typeEPNSO_ISJ_E10value_typeEPSK_NS1_7vsmem_tEENKUlT_SI_SJ_SK_E_clIPiSE_SF_SF_EESH_SX_SI_SJ_SK_EUlSX_E0_NS1_11comp_targetILNS1_3genE9ELNS1_11target_archE1100ELNS1_3gpuE3ELNS1_3repE0EEENS1_38merge_mergepath_config_static_selectorELNS0_4arch9wavefront6targetE1EEEvSJ_
	.globl	_ZN7rocprim17ROCPRIM_400000_NS6detail17trampoline_kernelINS0_14default_configENS1_38merge_sort_block_merge_config_selectorIiNS0_10empty_typeEEEZZNS1_27merge_sort_block_merge_implIS3_N6thrust23THRUST_200600_302600_NS6detail15normal_iteratorINS9_10device_ptrIiEEEEPS5_m17evens_before_oddsEE10hipError_tT0_T1_T2_jT3_P12ihipStream_tbPNSt15iterator_traitsISI_E10value_typeEPNSO_ISJ_E10value_typeEPSK_NS1_7vsmem_tEENKUlT_SI_SJ_SK_E_clIPiSE_SF_SF_EESH_SX_SI_SJ_SK_EUlSX_E0_NS1_11comp_targetILNS1_3genE9ELNS1_11target_archE1100ELNS1_3gpuE3ELNS1_3repE0EEENS1_38merge_mergepath_config_static_selectorELNS0_4arch9wavefront6targetE1EEEvSJ_
	.p2align	8
	.type	_ZN7rocprim17ROCPRIM_400000_NS6detail17trampoline_kernelINS0_14default_configENS1_38merge_sort_block_merge_config_selectorIiNS0_10empty_typeEEEZZNS1_27merge_sort_block_merge_implIS3_N6thrust23THRUST_200600_302600_NS6detail15normal_iteratorINS9_10device_ptrIiEEEEPS5_m17evens_before_oddsEE10hipError_tT0_T1_T2_jT3_P12ihipStream_tbPNSt15iterator_traitsISI_E10value_typeEPNSO_ISJ_E10value_typeEPSK_NS1_7vsmem_tEENKUlT_SI_SJ_SK_E_clIPiSE_SF_SF_EESH_SX_SI_SJ_SK_EUlSX_E0_NS1_11comp_targetILNS1_3genE9ELNS1_11target_archE1100ELNS1_3gpuE3ELNS1_3repE0EEENS1_38merge_mergepath_config_static_selectorELNS0_4arch9wavefront6targetE1EEEvSJ_,@function
_ZN7rocprim17ROCPRIM_400000_NS6detail17trampoline_kernelINS0_14default_configENS1_38merge_sort_block_merge_config_selectorIiNS0_10empty_typeEEEZZNS1_27merge_sort_block_merge_implIS3_N6thrust23THRUST_200600_302600_NS6detail15normal_iteratorINS9_10device_ptrIiEEEEPS5_m17evens_before_oddsEE10hipError_tT0_T1_T2_jT3_P12ihipStream_tbPNSt15iterator_traitsISI_E10value_typeEPNSO_ISJ_E10value_typeEPSK_NS1_7vsmem_tEENKUlT_SI_SJ_SK_E_clIPiSE_SF_SF_EESH_SX_SI_SJ_SK_EUlSX_E0_NS1_11comp_targetILNS1_3genE9ELNS1_11target_archE1100ELNS1_3gpuE3ELNS1_3repE0EEENS1_38merge_mergepath_config_static_selectorELNS0_4arch9wavefront6targetE1EEEvSJ_: ; @_ZN7rocprim17ROCPRIM_400000_NS6detail17trampoline_kernelINS0_14default_configENS1_38merge_sort_block_merge_config_selectorIiNS0_10empty_typeEEEZZNS1_27merge_sort_block_merge_implIS3_N6thrust23THRUST_200600_302600_NS6detail15normal_iteratorINS9_10device_ptrIiEEEEPS5_m17evens_before_oddsEE10hipError_tT0_T1_T2_jT3_P12ihipStream_tbPNSt15iterator_traitsISI_E10value_typeEPNSO_ISJ_E10value_typeEPSK_NS1_7vsmem_tEENKUlT_SI_SJ_SK_E_clIPiSE_SF_SF_EESH_SX_SI_SJ_SK_EUlSX_E0_NS1_11comp_targetILNS1_3genE9ELNS1_11target_archE1100ELNS1_3gpuE3ELNS1_3repE0EEENS1_38merge_mergepath_config_static_selectorELNS0_4arch9wavefront6targetE1EEEvSJ_
; %bb.0:
	.section	.rodata,"a",@progbits
	.p2align	6, 0x0
	.amdhsa_kernel _ZN7rocprim17ROCPRIM_400000_NS6detail17trampoline_kernelINS0_14default_configENS1_38merge_sort_block_merge_config_selectorIiNS0_10empty_typeEEEZZNS1_27merge_sort_block_merge_implIS3_N6thrust23THRUST_200600_302600_NS6detail15normal_iteratorINS9_10device_ptrIiEEEEPS5_m17evens_before_oddsEE10hipError_tT0_T1_T2_jT3_P12ihipStream_tbPNSt15iterator_traitsISI_E10value_typeEPNSO_ISJ_E10value_typeEPSK_NS1_7vsmem_tEENKUlT_SI_SJ_SK_E_clIPiSE_SF_SF_EESH_SX_SI_SJ_SK_EUlSX_E0_NS1_11comp_targetILNS1_3genE9ELNS1_11target_archE1100ELNS1_3gpuE3ELNS1_3repE0EEENS1_38merge_mergepath_config_static_selectorELNS0_4arch9wavefront6targetE1EEEvSJ_
		.amdhsa_group_segment_fixed_size 0
		.amdhsa_private_segment_fixed_size 0
		.amdhsa_kernarg_size 72
		.amdhsa_user_sgpr_count 2
		.amdhsa_user_sgpr_dispatch_ptr 0
		.amdhsa_user_sgpr_queue_ptr 0
		.amdhsa_user_sgpr_kernarg_segment_ptr 1
		.amdhsa_user_sgpr_dispatch_id 0
		.amdhsa_user_sgpr_kernarg_preload_length 0
		.amdhsa_user_sgpr_kernarg_preload_offset 0
		.amdhsa_user_sgpr_private_segment_size 0
		.amdhsa_uses_dynamic_stack 0
		.amdhsa_enable_private_segment 0
		.amdhsa_system_sgpr_workgroup_id_x 1
		.amdhsa_system_sgpr_workgroup_id_y 0
		.amdhsa_system_sgpr_workgroup_id_z 0
		.amdhsa_system_sgpr_workgroup_info 0
		.amdhsa_system_vgpr_workitem_id 0
		.amdhsa_next_free_vgpr 1
		.amdhsa_next_free_sgpr 0
		.amdhsa_accum_offset 4
		.amdhsa_reserve_vcc 0
		.amdhsa_float_round_mode_32 0
		.amdhsa_float_round_mode_16_64 0
		.amdhsa_float_denorm_mode_32 3
		.amdhsa_float_denorm_mode_16_64 3
		.amdhsa_dx10_clamp 1
		.amdhsa_ieee_mode 1
		.amdhsa_fp16_overflow 0
		.amdhsa_tg_split 0
		.amdhsa_exception_fp_ieee_invalid_op 0
		.amdhsa_exception_fp_denorm_src 0
		.amdhsa_exception_fp_ieee_div_zero 0
		.amdhsa_exception_fp_ieee_overflow 0
		.amdhsa_exception_fp_ieee_underflow 0
		.amdhsa_exception_fp_ieee_inexact 0
		.amdhsa_exception_int_div_zero 0
	.end_amdhsa_kernel
	.section	.text._ZN7rocprim17ROCPRIM_400000_NS6detail17trampoline_kernelINS0_14default_configENS1_38merge_sort_block_merge_config_selectorIiNS0_10empty_typeEEEZZNS1_27merge_sort_block_merge_implIS3_N6thrust23THRUST_200600_302600_NS6detail15normal_iteratorINS9_10device_ptrIiEEEEPS5_m17evens_before_oddsEE10hipError_tT0_T1_T2_jT3_P12ihipStream_tbPNSt15iterator_traitsISI_E10value_typeEPNSO_ISJ_E10value_typeEPSK_NS1_7vsmem_tEENKUlT_SI_SJ_SK_E_clIPiSE_SF_SF_EESH_SX_SI_SJ_SK_EUlSX_E0_NS1_11comp_targetILNS1_3genE9ELNS1_11target_archE1100ELNS1_3gpuE3ELNS1_3repE0EEENS1_38merge_mergepath_config_static_selectorELNS0_4arch9wavefront6targetE1EEEvSJ_,"axG",@progbits,_ZN7rocprim17ROCPRIM_400000_NS6detail17trampoline_kernelINS0_14default_configENS1_38merge_sort_block_merge_config_selectorIiNS0_10empty_typeEEEZZNS1_27merge_sort_block_merge_implIS3_N6thrust23THRUST_200600_302600_NS6detail15normal_iteratorINS9_10device_ptrIiEEEEPS5_m17evens_before_oddsEE10hipError_tT0_T1_T2_jT3_P12ihipStream_tbPNSt15iterator_traitsISI_E10value_typeEPNSO_ISJ_E10value_typeEPSK_NS1_7vsmem_tEENKUlT_SI_SJ_SK_E_clIPiSE_SF_SF_EESH_SX_SI_SJ_SK_EUlSX_E0_NS1_11comp_targetILNS1_3genE9ELNS1_11target_archE1100ELNS1_3gpuE3ELNS1_3repE0EEENS1_38merge_mergepath_config_static_selectorELNS0_4arch9wavefront6targetE1EEEvSJ_,comdat
.Lfunc_end422:
	.size	_ZN7rocprim17ROCPRIM_400000_NS6detail17trampoline_kernelINS0_14default_configENS1_38merge_sort_block_merge_config_selectorIiNS0_10empty_typeEEEZZNS1_27merge_sort_block_merge_implIS3_N6thrust23THRUST_200600_302600_NS6detail15normal_iteratorINS9_10device_ptrIiEEEEPS5_m17evens_before_oddsEE10hipError_tT0_T1_T2_jT3_P12ihipStream_tbPNSt15iterator_traitsISI_E10value_typeEPNSO_ISJ_E10value_typeEPSK_NS1_7vsmem_tEENKUlT_SI_SJ_SK_E_clIPiSE_SF_SF_EESH_SX_SI_SJ_SK_EUlSX_E0_NS1_11comp_targetILNS1_3genE9ELNS1_11target_archE1100ELNS1_3gpuE3ELNS1_3repE0EEENS1_38merge_mergepath_config_static_selectorELNS0_4arch9wavefront6targetE1EEEvSJ_, .Lfunc_end422-_ZN7rocprim17ROCPRIM_400000_NS6detail17trampoline_kernelINS0_14default_configENS1_38merge_sort_block_merge_config_selectorIiNS0_10empty_typeEEEZZNS1_27merge_sort_block_merge_implIS3_N6thrust23THRUST_200600_302600_NS6detail15normal_iteratorINS9_10device_ptrIiEEEEPS5_m17evens_before_oddsEE10hipError_tT0_T1_T2_jT3_P12ihipStream_tbPNSt15iterator_traitsISI_E10value_typeEPNSO_ISJ_E10value_typeEPSK_NS1_7vsmem_tEENKUlT_SI_SJ_SK_E_clIPiSE_SF_SF_EESH_SX_SI_SJ_SK_EUlSX_E0_NS1_11comp_targetILNS1_3genE9ELNS1_11target_archE1100ELNS1_3gpuE3ELNS1_3repE0EEENS1_38merge_mergepath_config_static_selectorELNS0_4arch9wavefront6targetE1EEEvSJ_
                                        ; -- End function
	.set _ZN7rocprim17ROCPRIM_400000_NS6detail17trampoline_kernelINS0_14default_configENS1_38merge_sort_block_merge_config_selectorIiNS0_10empty_typeEEEZZNS1_27merge_sort_block_merge_implIS3_N6thrust23THRUST_200600_302600_NS6detail15normal_iteratorINS9_10device_ptrIiEEEEPS5_m17evens_before_oddsEE10hipError_tT0_T1_T2_jT3_P12ihipStream_tbPNSt15iterator_traitsISI_E10value_typeEPNSO_ISJ_E10value_typeEPSK_NS1_7vsmem_tEENKUlT_SI_SJ_SK_E_clIPiSE_SF_SF_EESH_SX_SI_SJ_SK_EUlSX_E0_NS1_11comp_targetILNS1_3genE9ELNS1_11target_archE1100ELNS1_3gpuE3ELNS1_3repE0EEENS1_38merge_mergepath_config_static_selectorELNS0_4arch9wavefront6targetE1EEEvSJ_.num_vgpr, 0
	.set _ZN7rocprim17ROCPRIM_400000_NS6detail17trampoline_kernelINS0_14default_configENS1_38merge_sort_block_merge_config_selectorIiNS0_10empty_typeEEEZZNS1_27merge_sort_block_merge_implIS3_N6thrust23THRUST_200600_302600_NS6detail15normal_iteratorINS9_10device_ptrIiEEEEPS5_m17evens_before_oddsEE10hipError_tT0_T1_T2_jT3_P12ihipStream_tbPNSt15iterator_traitsISI_E10value_typeEPNSO_ISJ_E10value_typeEPSK_NS1_7vsmem_tEENKUlT_SI_SJ_SK_E_clIPiSE_SF_SF_EESH_SX_SI_SJ_SK_EUlSX_E0_NS1_11comp_targetILNS1_3genE9ELNS1_11target_archE1100ELNS1_3gpuE3ELNS1_3repE0EEENS1_38merge_mergepath_config_static_selectorELNS0_4arch9wavefront6targetE1EEEvSJ_.num_agpr, 0
	.set _ZN7rocprim17ROCPRIM_400000_NS6detail17trampoline_kernelINS0_14default_configENS1_38merge_sort_block_merge_config_selectorIiNS0_10empty_typeEEEZZNS1_27merge_sort_block_merge_implIS3_N6thrust23THRUST_200600_302600_NS6detail15normal_iteratorINS9_10device_ptrIiEEEEPS5_m17evens_before_oddsEE10hipError_tT0_T1_T2_jT3_P12ihipStream_tbPNSt15iterator_traitsISI_E10value_typeEPNSO_ISJ_E10value_typeEPSK_NS1_7vsmem_tEENKUlT_SI_SJ_SK_E_clIPiSE_SF_SF_EESH_SX_SI_SJ_SK_EUlSX_E0_NS1_11comp_targetILNS1_3genE9ELNS1_11target_archE1100ELNS1_3gpuE3ELNS1_3repE0EEENS1_38merge_mergepath_config_static_selectorELNS0_4arch9wavefront6targetE1EEEvSJ_.numbered_sgpr, 0
	.set _ZN7rocprim17ROCPRIM_400000_NS6detail17trampoline_kernelINS0_14default_configENS1_38merge_sort_block_merge_config_selectorIiNS0_10empty_typeEEEZZNS1_27merge_sort_block_merge_implIS3_N6thrust23THRUST_200600_302600_NS6detail15normal_iteratorINS9_10device_ptrIiEEEEPS5_m17evens_before_oddsEE10hipError_tT0_T1_T2_jT3_P12ihipStream_tbPNSt15iterator_traitsISI_E10value_typeEPNSO_ISJ_E10value_typeEPSK_NS1_7vsmem_tEENKUlT_SI_SJ_SK_E_clIPiSE_SF_SF_EESH_SX_SI_SJ_SK_EUlSX_E0_NS1_11comp_targetILNS1_3genE9ELNS1_11target_archE1100ELNS1_3gpuE3ELNS1_3repE0EEENS1_38merge_mergepath_config_static_selectorELNS0_4arch9wavefront6targetE1EEEvSJ_.num_named_barrier, 0
	.set _ZN7rocprim17ROCPRIM_400000_NS6detail17trampoline_kernelINS0_14default_configENS1_38merge_sort_block_merge_config_selectorIiNS0_10empty_typeEEEZZNS1_27merge_sort_block_merge_implIS3_N6thrust23THRUST_200600_302600_NS6detail15normal_iteratorINS9_10device_ptrIiEEEEPS5_m17evens_before_oddsEE10hipError_tT0_T1_T2_jT3_P12ihipStream_tbPNSt15iterator_traitsISI_E10value_typeEPNSO_ISJ_E10value_typeEPSK_NS1_7vsmem_tEENKUlT_SI_SJ_SK_E_clIPiSE_SF_SF_EESH_SX_SI_SJ_SK_EUlSX_E0_NS1_11comp_targetILNS1_3genE9ELNS1_11target_archE1100ELNS1_3gpuE3ELNS1_3repE0EEENS1_38merge_mergepath_config_static_selectorELNS0_4arch9wavefront6targetE1EEEvSJ_.private_seg_size, 0
	.set _ZN7rocprim17ROCPRIM_400000_NS6detail17trampoline_kernelINS0_14default_configENS1_38merge_sort_block_merge_config_selectorIiNS0_10empty_typeEEEZZNS1_27merge_sort_block_merge_implIS3_N6thrust23THRUST_200600_302600_NS6detail15normal_iteratorINS9_10device_ptrIiEEEEPS5_m17evens_before_oddsEE10hipError_tT0_T1_T2_jT3_P12ihipStream_tbPNSt15iterator_traitsISI_E10value_typeEPNSO_ISJ_E10value_typeEPSK_NS1_7vsmem_tEENKUlT_SI_SJ_SK_E_clIPiSE_SF_SF_EESH_SX_SI_SJ_SK_EUlSX_E0_NS1_11comp_targetILNS1_3genE9ELNS1_11target_archE1100ELNS1_3gpuE3ELNS1_3repE0EEENS1_38merge_mergepath_config_static_selectorELNS0_4arch9wavefront6targetE1EEEvSJ_.uses_vcc, 0
	.set _ZN7rocprim17ROCPRIM_400000_NS6detail17trampoline_kernelINS0_14default_configENS1_38merge_sort_block_merge_config_selectorIiNS0_10empty_typeEEEZZNS1_27merge_sort_block_merge_implIS3_N6thrust23THRUST_200600_302600_NS6detail15normal_iteratorINS9_10device_ptrIiEEEEPS5_m17evens_before_oddsEE10hipError_tT0_T1_T2_jT3_P12ihipStream_tbPNSt15iterator_traitsISI_E10value_typeEPNSO_ISJ_E10value_typeEPSK_NS1_7vsmem_tEENKUlT_SI_SJ_SK_E_clIPiSE_SF_SF_EESH_SX_SI_SJ_SK_EUlSX_E0_NS1_11comp_targetILNS1_3genE9ELNS1_11target_archE1100ELNS1_3gpuE3ELNS1_3repE0EEENS1_38merge_mergepath_config_static_selectorELNS0_4arch9wavefront6targetE1EEEvSJ_.uses_flat_scratch, 0
	.set _ZN7rocprim17ROCPRIM_400000_NS6detail17trampoline_kernelINS0_14default_configENS1_38merge_sort_block_merge_config_selectorIiNS0_10empty_typeEEEZZNS1_27merge_sort_block_merge_implIS3_N6thrust23THRUST_200600_302600_NS6detail15normal_iteratorINS9_10device_ptrIiEEEEPS5_m17evens_before_oddsEE10hipError_tT0_T1_T2_jT3_P12ihipStream_tbPNSt15iterator_traitsISI_E10value_typeEPNSO_ISJ_E10value_typeEPSK_NS1_7vsmem_tEENKUlT_SI_SJ_SK_E_clIPiSE_SF_SF_EESH_SX_SI_SJ_SK_EUlSX_E0_NS1_11comp_targetILNS1_3genE9ELNS1_11target_archE1100ELNS1_3gpuE3ELNS1_3repE0EEENS1_38merge_mergepath_config_static_selectorELNS0_4arch9wavefront6targetE1EEEvSJ_.has_dyn_sized_stack, 0
	.set _ZN7rocprim17ROCPRIM_400000_NS6detail17trampoline_kernelINS0_14default_configENS1_38merge_sort_block_merge_config_selectorIiNS0_10empty_typeEEEZZNS1_27merge_sort_block_merge_implIS3_N6thrust23THRUST_200600_302600_NS6detail15normal_iteratorINS9_10device_ptrIiEEEEPS5_m17evens_before_oddsEE10hipError_tT0_T1_T2_jT3_P12ihipStream_tbPNSt15iterator_traitsISI_E10value_typeEPNSO_ISJ_E10value_typeEPSK_NS1_7vsmem_tEENKUlT_SI_SJ_SK_E_clIPiSE_SF_SF_EESH_SX_SI_SJ_SK_EUlSX_E0_NS1_11comp_targetILNS1_3genE9ELNS1_11target_archE1100ELNS1_3gpuE3ELNS1_3repE0EEENS1_38merge_mergepath_config_static_selectorELNS0_4arch9wavefront6targetE1EEEvSJ_.has_recursion, 0
	.set _ZN7rocprim17ROCPRIM_400000_NS6detail17trampoline_kernelINS0_14default_configENS1_38merge_sort_block_merge_config_selectorIiNS0_10empty_typeEEEZZNS1_27merge_sort_block_merge_implIS3_N6thrust23THRUST_200600_302600_NS6detail15normal_iteratorINS9_10device_ptrIiEEEEPS5_m17evens_before_oddsEE10hipError_tT0_T1_T2_jT3_P12ihipStream_tbPNSt15iterator_traitsISI_E10value_typeEPNSO_ISJ_E10value_typeEPSK_NS1_7vsmem_tEENKUlT_SI_SJ_SK_E_clIPiSE_SF_SF_EESH_SX_SI_SJ_SK_EUlSX_E0_NS1_11comp_targetILNS1_3genE9ELNS1_11target_archE1100ELNS1_3gpuE3ELNS1_3repE0EEENS1_38merge_mergepath_config_static_selectorELNS0_4arch9wavefront6targetE1EEEvSJ_.has_indirect_call, 0
	.section	.AMDGPU.csdata,"",@progbits
; Kernel info:
; codeLenInByte = 0
; TotalNumSgprs: 6
; NumVgprs: 0
; NumAgprs: 0
; TotalNumVgprs: 0
; ScratchSize: 0
; MemoryBound: 0
; FloatMode: 240
; IeeeMode: 1
; LDSByteSize: 0 bytes/workgroup (compile time only)
; SGPRBlocks: 0
; VGPRBlocks: 0
; NumSGPRsForWavesPerEU: 6
; NumVGPRsForWavesPerEU: 1
; AccumOffset: 4
; Occupancy: 8
; WaveLimiterHint : 0
; COMPUTE_PGM_RSRC2:SCRATCH_EN: 0
; COMPUTE_PGM_RSRC2:USER_SGPR: 2
; COMPUTE_PGM_RSRC2:TRAP_HANDLER: 0
; COMPUTE_PGM_RSRC2:TGID_X_EN: 1
; COMPUTE_PGM_RSRC2:TGID_Y_EN: 0
; COMPUTE_PGM_RSRC2:TGID_Z_EN: 0
; COMPUTE_PGM_RSRC2:TIDIG_COMP_CNT: 0
; COMPUTE_PGM_RSRC3_GFX90A:ACCUM_OFFSET: 0
; COMPUTE_PGM_RSRC3_GFX90A:TG_SPLIT: 0
	.section	.text._ZN7rocprim17ROCPRIM_400000_NS6detail17trampoline_kernelINS0_14default_configENS1_38merge_sort_block_merge_config_selectorIiNS0_10empty_typeEEEZZNS1_27merge_sort_block_merge_implIS3_N6thrust23THRUST_200600_302600_NS6detail15normal_iteratorINS9_10device_ptrIiEEEEPS5_m17evens_before_oddsEE10hipError_tT0_T1_T2_jT3_P12ihipStream_tbPNSt15iterator_traitsISI_E10value_typeEPNSO_ISJ_E10value_typeEPSK_NS1_7vsmem_tEENKUlT_SI_SJ_SK_E_clIPiSE_SF_SF_EESH_SX_SI_SJ_SK_EUlSX_E0_NS1_11comp_targetILNS1_3genE8ELNS1_11target_archE1030ELNS1_3gpuE2ELNS1_3repE0EEENS1_38merge_mergepath_config_static_selectorELNS0_4arch9wavefront6targetE1EEEvSJ_,"axG",@progbits,_ZN7rocprim17ROCPRIM_400000_NS6detail17trampoline_kernelINS0_14default_configENS1_38merge_sort_block_merge_config_selectorIiNS0_10empty_typeEEEZZNS1_27merge_sort_block_merge_implIS3_N6thrust23THRUST_200600_302600_NS6detail15normal_iteratorINS9_10device_ptrIiEEEEPS5_m17evens_before_oddsEE10hipError_tT0_T1_T2_jT3_P12ihipStream_tbPNSt15iterator_traitsISI_E10value_typeEPNSO_ISJ_E10value_typeEPSK_NS1_7vsmem_tEENKUlT_SI_SJ_SK_E_clIPiSE_SF_SF_EESH_SX_SI_SJ_SK_EUlSX_E0_NS1_11comp_targetILNS1_3genE8ELNS1_11target_archE1030ELNS1_3gpuE2ELNS1_3repE0EEENS1_38merge_mergepath_config_static_selectorELNS0_4arch9wavefront6targetE1EEEvSJ_,comdat
	.protected	_ZN7rocprim17ROCPRIM_400000_NS6detail17trampoline_kernelINS0_14default_configENS1_38merge_sort_block_merge_config_selectorIiNS0_10empty_typeEEEZZNS1_27merge_sort_block_merge_implIS3_N6thrust23THRUST_200600_302600_NS6detail15normal_iteratorINS9_10device_ptrIiEEEEPS5_m17evens_before_oddsEE10hipError_tT0_T1_T2_jT3_P12ihipStream_tbPNSt15iterator_traitsISI_E10value_typeEPNSO_ISJ_E10value_typeEPSK_NS1_7vsmem_tEENKUlT_SI_SJ_SK_E_clIPiSE_SF_SF_EESH_SX_SI_SJ_SK_EUlSX_E0_NS1_11comp_targetILNS1_3genE8ELNS1_11target_archE1030ELNS1_3gpuE2ELNS1_3repE0EEENS1_38merge_mergepath_config_static_selectorELNS0_4arch9wavefront6targetE1EEEvSJ_ ; -- Begin function _ZN7rocprim17ROCPRIM_400000_NS6detail17trampoline_kernelINS0_14default_configENS1_38merge_sort_block_merge_config_selectorIiNS0_10empty_typeEEEZZNS1_27merge_sort_block_merge_implIS3_N6thrust23THRUST_200600_302600_NS6detail15normal_iteratorINS9_10device_ptrIiEEEEPS5_m17evens_before_oddsEE10hipError_tT0_T1_T2_jT3_P12ihipStream_tbPNSt15iterator_traitsISI_E10value_typeEPNSO_ISJ_E10value_typeEPSK_NS1_7vsmem_tEENKUlT_SI_SJ_SK_E_clIPiSE_SF_SF_EESH_SX_SI_SJ_SK_EUlSX_E0_NS1_11comp_targetILNS1_3genE8ELNS1_11target_archE1030ELNS1_3gpuE2ELNS1_3repE0EEENS1_38merge_mergepath_config_static_selectorELNS0_4arch9wavefront6targetE1EEEvSJ_
	.globl	_ZN7rocprim17ROCPRIM_400000_NS6detail17trampoline_kernelINS0_14default_configENS1_38merge_sort_block_merge_config_selectorIiNS0_10empty_typeEEEZZNS1_27merge_sort_block_merge_implIS3_N6thrust23THRUST_200600_302600_NS6detail15normal_iteratorINS9_10device_ptrIiEEEEPS5_m17evens_before_oddsEE10hipError_tT0_T1_T2_jT3_P12ihipStream_tbPNSt15iterator_traitsISI_E10value_typeEPNSO_ISJ_E10value_typeEPSK_NS1_7vsmem_tEENKUlT_SI_SJ_SK_E_clIPiSE_SF_SF_EESH_SX_SI_SJ_SK_EUlSX_E0_NS1_11comp_targetILNS1_3genE8ELNS1_11target_archE1030ELNS1_3gpuE2ELNS1_3repE0EEENS1_38merge_mergepath_config_static_selectorELNS0_4arch9wavefront6targetE1EEEvSJ_
	.p2align	8
	.type	_ZN7rocprim17ROCPRIM_400000_NS6detail17trampoline_kernelINS0_14default_configENS1_38merge_sort_block_merge_config_selectorIiNS0_10empty_typeEEEZZNS1_27merge_sort_block_merge_implIS3_N6thrust23THRUST_200600_302600_NS6detail15normal_iteratorINS9_10device_ptrIiEEEEPS5_m17evens_before_oddsEE10hipError_tT0_T1_T2_jT3_P12ihipStream_tbPNSt15iterator_traitsISI_E10value_typeEPNSO_ISJ_E10value_typeEPSK_NS1_7vsmem_tEENKUlT_SI_SJ_SK_E_clIPiSE_SF_SF_EESH_SX_SI_SJ_SK_EUlSX_E0_NS1_11comp_targetILNS1_3genE8ELNS1_11target_archE1030ELNS1_3gpuE2ELNS1_3repE0EEENS1_38merge_mergepath_config_static_selectorELNS0_4arch9wavefront6targetE1EEEvSJ_,@function
_ZN7rocprim17ROCPRIM_400000_NS6detail17trampoline_kernelINS0_14default_configENS1_38merge_sort_block_merge_config_selectorIiNS0_10empty_typeEEEZZNS1_27merge_sort_block_merge_implIS3_N6thrust23THRUST_200600_302600_NS6detail15normal_iteratorINS9_10device_ptrIiEEEEPS5_m17evens_before_oddsEE10hipError_tT0_T1_T2_jT3_P12ihipStream_tbPNSt15iterator_traitsISI_E10value_typeEPNSO_ISJ_E10value_typeEPSK_NS1_7vsmem_tEENKUlT_SI_SJ_SK_E_clIPiSE_SF_SF_EESH_SX_SI_SJ_SK_EUlSX_E0_NS1_11comp_targetILNS1_3genE8ELNS1_11target_archE1030ELNS1_3gpuE2ELNS1_3repE0EEENS1_38merge_mergepath_config_static_selectorELNS0_4arch9wavefront6targetE1EEEvSJ_: ; @_ZN7rocprim17ROCPRIM_400000_NS6detail17trampoline_kernelINS0_14default_configENS1_38merge_sort_block_merge_config_selectorIiNS0_10empty_typeEEEZZNS1_27merge_sort_block_merge_implIS3_N6thrust23THRUST_200600_302600_NS6detail15normal_iteratorINS9_10device_ptrIiEEEEPS5_m17evens_before_oddsEE10hipError_tT0_T1_T2_jT3_P12ihipStream_tbPNSt15iterator_traitsISI_E10value_typeEPNSO_ISJ_E10value_typeEPSK_NS1_7vsmem_tEENKUlT_SI_SJ_SK_E_clIPiSE_SF_SF_EESH_SX_SI_SJ_SK_EUlSX_E0_NS1_11comp_targetILNS1_3genE8ELNS1_11target_archE1030ELNS1_3gpuE2ELNS1_3repE0EEENS1_38merge_mergepath_config_static_selectorELNS0_4arch9wavefront6targetE1EEEvSJ_
; %bb.0:
	.section	.rodata,"a",@progbits
	.p2align	6, 0x0
	.amdhsa_kernel _ZN7rocprim17ROCPRIM_400000_NS6detail17trampoline_kernelINS0_14default_configENS1_38merge_sort_block_merge_config_selectorIiNS0_10empty_typeEEEZZNS1_27merge_sort_block_merge_implIS3_N6thrust23THRUST_200600_302600_NS6detail15normal_iteratorINS9_10device_ptrIiEEEEPS5_m17evens_before_oddsEE10hipError_tT0_T1_T2_jT3_P12ihipStream_tbPNSt15iterator_traitsISI_E10value_typeEPNSO_ISJ_E10value_typeEPSK_NS1_7vsmem_tEENKUlT_SI_SJ_SK_E_clIPiSE_SF_SF_EESH_SX_SI_SJ_SK_EUlSX_E0_NS1_11comp_targetILNS1_3genE8ELNS1_11target_archE1030ELNS1_3gpuE2ELNS1_3repE0EEENS1_38merge_mergepath_config_static_selectorELNS0_4arch9wavefront6targetE1EEEvSJ_
		.amdhsa_group_segment_fixed_size 0
		.amdhsa_private_segment_fixed_size 0
		.amdhsa_kernarg_size 72
		.amdhsa_user_sgpr_count 2
		.amdhsa_user_sgpr_dispatch_ptr 0
		.amdhsa_user_sgpr_queue_ptr 0
		.amdhsa_user_sgpr_kernarg_segment_ptr 1
		.amdhsa_user_sgpr_dispatch_id 0
		.amdhsa_user_sgpr_kernarg_preload_length 0
		.amdhsa_user_sgpr_kernarg_preload_offset 0
		.amdhsa_user_sgpr_private_segment_size 0
		.amdhsa_uses_dynamic_stack 0
		.amdhsa_enable_private_segment 0
		.amdhsa_system_sgpr_workgroup_id_x 1
		.amdhsa_system_sgpr_workgroup_id_y 0
		.amdhsa_system_sgpr_workgroup_id_z 0
		.amdhsa_system_sgpr_workgroup_info 0
		.amdhsa_system_vgpr_workitem_id 0
		.amdhsa_next_free_vgpr 1
		.amdhsa_next_free_sgpr 0
		.amdhsa_accum_offset 4
		.amdhsa_reserve_vcc 0
		.amdhsa_float_round_mode_32 0
		.amdhsa_float_round_mode_16_64 0
		.amdhsa_float_denorm_mode_32 3
		.amdhsa_float_denorm_mode_16_64 3
		.amdhsa_dx10_clamp 1
		.amdhsa_ieee_mode 1
		.amdhsa_fp16_overflow 0
		.amdhsa_tg_split 0
		.amdhsa_exception_fp_ieee_invalid_op 0
		.amdhsa_exception_fp_denorm_src 0
		.amdhsa_exception_fp_ieee_div_zero 0
		.amdhsa_exception_fp_ieee_overflow 0
		.amdhsa_exception_fp_ieee_underflow 0
		.amdhsa_exception_fp_ieee_inexact 0
		.amdhsa_exception_int_div_zero 0
	.end_amdhsa_kernel
	.section	.text._ZN7rocprim17ROCPRIM_400000_NS6detail17trampoline_kernelINS0_14default_configENS1_38merge_sort_block_merge_config_selectorIiNS0_10empty_typeEEEZZNS1_27merge_sort_block_merge_implIS3_N6thrust23THRUST_200600_302600_NS6detail15normal_iteratorINS9_10device_ptrIiEEEEPS5_m17evens_before_oddsEE10hipError_tT0_T1_T2_jT3_P12ihipStream_tbPNSt15iterator_traitsISI_E10value_typeEPNSO_ISJ_E10value_typeEPSK_NS1_7vsmem_tEENKUlT_SI_SJ_SK_E_clIPiSE_SF_SF_EESH_SX_SI_SJ_SK_EUlSX_E0_NS1_11comp_targetILNS1_3genE8ELNS1_11target_archE1030ELNS1_3gpuE2ELNS1_3repE0EEENS1_38merge_mergepath_config_static_selectorELNS0_4arch9wavefront6targetE1EEEvSJ_,"axG",@progbits,_ZN7rocprim17ROCPRIM_400000_NS6detail17trampoline_kernelINS0_14default_configENS1_38merge_sort_block_merge_config_selectorIiNS0_10empty_typeEEEZZNS1_27merge_sort_block_merge_implIS3_N6thrust23THRUST_200600_302600_NS6detail15normal_iteratorINS9_10device_ptrIiEEEEPS5_m17evens_before_oddsEE10hipError_tT0_T1_T2_jT3_P12ihipStream_tbPNSt15iterator_traitsISI_E10value_typeEPNSO_ISJ_E10value_typeEPSK_NS1_7vsmem_tEENKUlT_SI_SJ_SK_E_clIPiSE_SF_SF_EESH_SX_SI_SJ_SK_EUlSX_E0_NS1_11comp_targetILNS1_3genE8ELNS1_11target_archE1030ELNS1_3gpuE2ELNS1_3repE0EEENS1_38merge_mergepath_config_static_selectorELNS0_4arch9wavefront6targetE1EEEvSJ_,comdat
.Lfunc_end423:
	.size	_ZN7rocprim17ROCPRIM_400000_NS6detail17trampoline_kernelINS0_14default_configENS1_38merge_sort_block_merge_config_selectorIiNS0_10empty_typeEEEZZNS1_27merge_sort_block_merge_implIS3_N6thrust23THRUST_200600_302600_NS6detail15normal_iteratorINS9_10device_ptrIiEEEEPS5_m17evens_before_oddsEE10hipError_tT0_T1_T2_jT3_P12ihipStream_tbPNSt15iterator_traitsISI_E10value_typeEPNSO_ISJ_E10value_typeEPSK_NS1_7vsmem_tEENKUlT_SI_SJ_SK_E_clIPiSE_SF_SF_EESH_SX_SI_SJ_SK_EUlSX_E0_NS1_11comp_targetILNS1_3genE8ELNS1_11target_archE1030ELNS1_3gpuE2ELNS1_3repE0EEENS1_38merge_mergepath_config_static_selectorELNS0_4arch9wavefront6targetE1EEEvSJ_, .Lfunc_end423-_ZN7rocprim17ROCPRIM_400000_NS6detail17trampoline_kernelINS0_14default_configENS1_38merge_sort_block_merge_config_selectorIiNS0_10empty_typeEEEZZNS1_27merge_sort_block_merge_implIS3_N6thrust23THRUST_200600_302600_NS6detail15normal_iteratorINS9_10device_ptrIiEEEEPS5_m17evens_before_oddsEE10hipError_tT0_T1_T2_jT3_P12ihipStream_tbPNSt15iterator_traitsISI_E10value_typeEPNSO_ISJ_E10value_typeEPSK_NS1_7vsmem_tEENKUlT_SI_SJ_SK_E_clIPiSE_SF_SF_EESH_SX_SI_SJ_SK_EUlSX_E0_NS1_11comp_targetILNS1_3genE8ELNS1_11target_archE1030ELNS1_3gpuE2ELNS1_3repE0EEENS1_38merge_mergepath_config_static_selectorELNS0_4arch9wavefront6targetE1EEEvSJ_
                                        ; -- End function
	.set _ZN7rocprim17ROCPRIM_400000_NS6detail17trampoline_kernelINS0_14default_configENS1_38merge_sort_block_merge_config_selectorIiNS0_10empty_typeEEEZZNS1_27merge_sort_block_merge_implIS3_N6thrust23THRUST_200600_302600_NS6detail15normal_iteratorINS9_10device_ptrIiEEEEPS5_m17evens_before_oddsEE10hipError_tT0_T1_T2_jT3_P12ihipStream_tbPNSt15iterator_traitsISI_E10value_typeEPNSO_ISJ_E10value_typeEPSK_NS1_7vsmem_tEENKUlT_SI_SJ_SK_E_clIPiSE_SF_SF_EESH_SX_SI_SJ_SK_EUlSX_E0_NS1_11comp_targetILNS1_3genE8ELNS1_11target_archE1030ELNS1_3gpuE2ELNS1_3repE0EEENS1_38merge_mergepath_config_static_selectorELNS0_4arch9wavefront6targetE1EEEvSJ_.num_vgpr, 0
	.set _ZN7rocprim17ROCPRIM_400000_NS6detail17trampoline_kernelINS0_14default_configENS1_38merge_sort_block_merge_config_selectorIiNS0_10empty_typeEEEZZNS1_27merge_sort_block_merge_implIS3_N6thrust23THRUST_200600_302600_NS6detail15normal_iteratorINS9_10device_ptrIiEEEEPS5_m17evens_before_oddsEE10hipError_tT0_T1_T2_jT3_P12ihipStream_tbPNSt15iterator_traitsISI_E10value_typeEPNSO_ISJ_E10value_typeEPSK_NS1_7vsmem_tEENKUlT_SI_SJ_SK_E_clIPiSE_SF_SF_EESH_SX_SI_SJ_SK_EUlSX_E0_NS1_11comp_targetILNS1_3genE8ELNS1_11target_archE1030ELNS1_3gpuE2ELNS1_3repE0EEENS1_38merge_mergepath_config_static_selectorELNS0_4arch9wavefront6targetE1EEEvSJ_.num_agpr, 0
	.set _ZN7rocprim17ROCPRIM_400000_NS6detail17trampoline_kernelINS0_14default_configENS1_38merge_sort_block_merge_config_selectorIiNS0_10empty_typeEEEZZNS1_27merge_sort_block_merge_implIS3_N6thrust23THRUST_200600_302600_NS6detail15normal_iteratorINS9_10device_ptrIiEEEEPS5_m17evens_before_oddsEE10hipError_tT0_T1_T2_jT3_P12ihipStream_tbPNSt15iterator_traitsISI_E10value_typeEPNSO_ISJ_E10value_typeEPSK_NS1_7vsmem_tEENKUlT_SI_SJ_SK_E_clIPiSE_SF_SF_EESH_SX_SI_SJ_SK_EUlSX_E0_NS1_11comp_targetILNS1_3genE8ELNS1_11target_archE1030ELNS1_3gpuE2ELNS1_3repE0EEENS1_38merge_mergepath_config_static_selectorELNS0_4arch9wavefront6targetE1EEEvSJ_.numbered_sgpr, 0
	.set _ZN7rocprim17ROCPRIM_400000_NS6detail17trampoline_kernelINS0_14default_configENS1_38merge_sort_block_merge_config_selectorIiNS0_10empty_typeEEEZZNS1_27merge_sort_block_merge_implIS3_N6thrust23THRUST_200600_302600_NS6detail15normal_iteratorINS9_10device_ptrIiEEEEPS5_m17evens_before_oddsEE10hipError_tT0_T1_T2_jT3_P12ihipStream_tbPNSt15iterator_traitsISI_E10value_typeEPNSO_ISJ_E10value_typeEPSK_NS1_7vsmem_tEENKUlT_SI_SJ_SK_E_clIPiSE_SF_SF_EESH_SX_SI_SJ_SK_EUlSX_E0_NS1_11comp_targetILNS1_3genE8ELNS1_11target_archE1030ELNS1_3gpuE2ELNS1_3repE0EEENS1_38merge_mergepath_config_static_selectorELNS0_4arch9wavefront6targetE1EEEvSJ_.num_named_barrier, 0
	.set _ZN7rocprim17ROCPRIM_400000_NS6detail17trampoline_kernelINS0_14default_configENS1_38merge_sort_block_merge_config_selectorIiNS0_10empty_typeEEEZZNS1_27merge_sort_block_merge_implIS3_N6thrust23THRUST_200600_302600_NS6detail15normal_iteratorINS9_10device_ptrIiEEEEPS5_m17evens_before_oddsEE10hipError_tT0_T1_T2_jT3_P12ihipStream_tbPNSt15iterator_traitsISI_E10value_typeEPNSO_ISJ_E10value_typeEPSK_NS1_7vsmem_tEENKUlT_SI_SJ_SK_E_clIPiSE_SF_SF_EESH_SX_SI_SJ_SK_EUlSX_E0_NS1_11comp_targetILNS1_3genE8ELNS1_11target_archE1030ELNS1_3gpuE2ELNS1_3repE0EEENS1_38merge_mergepath_config_static_selectorELNS0_4arch9wavefront6targetE1EEEvSJ_.private_seg_size, 0
	.set _ZN7rocprim17ROCPRIM_400000_NS6detail17trampoline_kernelINS0_14default_configENS1_38merge_sort_block_merge_config_selectorIiNS0_10empty_typeEEEZZNS1_27merge_sort_block_merge_implIS3_N6thrust23THRUST_200600_302600_NS6detail15normal_iteratorINS9_10device_ptrIiEEEEPS5_m17evens_before_oddsEE10hipError_tT0_T1_T2_jT3_P12ihipStream_tbPNSt15iterator_traitsISI_E10value_typeEPNSO_ISJ_E10value_typeEPSK_NS1_7vsmem_tEENKUlT_SI_SJ_SK_E_clIPiSE_SF_SF_EESH_SX_SI_SJ_SK_EUlSX_E0_NS1_11comp_targetILNS1_3genE8ELNS1_11target_archE1030ELNS1_3gpuE2ELNS1_3repE0EEENS1_38merge_mergepath_config_static_selectorELNS0_4arch9wavefront6targetE1EEEvSJ_.uses_vcc, 0
	.set _ZN7rocprim17ROCPRIM_400000_NS6detail17trampoline_kernelINS0_14default_configENS1_38merge_sort_block_merge_config_selectorIiNS0_10empty_typeEEEZZNS1_27merge_sort_block_merge_implIS3_N6thrust23THRUST_200600_302600_NS6detail15normal_iteratorINS9_10device_ptrIiEEEEPS5_m17evens_before_oddsEE10hipError_tT0_T1_T2_jT3_P12ihipStream_tbPNSt15iterator_traitsISI_E10value_typeEPNSO_ISJ_E10value_typeEPSK_NS1_7vsmem_tEENKUlT_SI_SJ_SK_E_clIPiSE_SF_SF_EESH_SX_SI_SJ_SK_EUlSX_E0_NS1_11comp_targetILNS1_3genE8ELNS1_11target_archE1030ELNS1_3gpuE2ELNS1_3repE0EEENS1_38merge_mergepath_config_static_selectorELNS0_4arch9wavefront6targetE1EEEvSJ_.uses_flat_scratch, 0
	.set _ZN7rocprim17ROCPRIM_400000_NS6detail17trampoline_kernelINS0_14default_configENS1_38merge_sort_block_merge_config_selectorIiNS0_10empty_typeEEEZZNS1_27merge_sort_block_merge_implIS3_N6thrust23THRUST_200600_302600_NS6detail15normal_iteratorINS9_10device_ptrIiEEEEPS5_m17evens_before_oddsEE10hipError_tT0_T1_T2_jT3_P12ihipStream_tbPNSt15iterator_traitsISI_E10value_typeEPNSO_ISJ_E10value_typeEPSK_NS1_7vsmem_tEENKUlT_SI_SJ_SK_E_clIPiSE_SF_SF_EESH_SX_SI_SJ_SK_EUlSX_E0_NS1_11comp_targetILNS1_3genE8ELNS1_11target_archE1030ELNS1_3gpuE2ELNS1_3repE0EEENS1_38merge_mergepath_config_static_selectorELNS0_4arch9wavefront6targetE1EEEvSJ_.has_dyn_sized_stack, 0
	.set _ZN7rocprim17ROCPRIM_400000_NS6detail17trampoline_kernelINS0_14default_configENS1_38merge_sort_block_merge_config_selectorIiNS0_10empty_typeEEEZZNS1_27merge_sort_block_merge_implIS3_N6thrust23THRUST_200600_302600_NS6detail15normal_iteratorINS9_10device_ptrIiEEEEPS5_m17evens_before_oddsEE10hipError_tT0_T1_T2_jT3_P12ihipStream_tbPNSt15iterator_traitsISI_E10value_typeEPNSO_ISJ_E10value_typeEPSK_NS1_7vsmem_tEENKUlT_SI_SJ_SK_E_clIPiSE_SF_SF_EESH_SX_SI_SJ_SK_EUlSX_E0_NS1_11comp_targetILNS1_3genE8ELNS1_11target_archE1030ELNS1_3gpuE2ELNS1_3repE0EEENS1_38merge_mergepath_config_static_selectorELNS0_4arch9wavefront6targetE1EEEvSJ_.has_recursion, 0
	.set _ZN7rocprim17ROCPRIM_400000_NS6detail17trampoline_kernelINS0_14default_configENS1_38merge_sort_block_merge_config_selectorIiNS0_10empty_typeEEEZZNS1_27merge_sort_block_merge_implIS3_N6thrust23THRUST_200600_302600_NS6detail15normal_iteratorINS9_10device_ptrIiEEEEPS5_m17evens_before_oddsEE10hipError_tT0_T1_T2_jT3_P12ihipStream_tbPNSt15iterator_traitsISI_E10value_typeEPNSO_ISJ_E10value_typeEPSK_NS1_7vsmem_tEENKUlT_SI_SJ_SK_E_clIPiSE_SF_SF_EESH_SX_SI_SJ_SK_EUlSX_E0_NS1_11comp_targetILNS1_3genE8ELNS1_11target_archE1030ELNS1_3gpuE2ELNS1_3repE0EEENS1_38merge_mergepath_config_static_selectorELNS0_4arch9wavefront6targetE1EEEvSJ_.has_indirect_call, 0
	.section	.AMDGPU.csdata,"",@progbits
; Kernel info:
; codeLenInByte = 0
; TotalNumSgprs: 6
; NumVgprs: 0
; NumAgprs: 0
; TotalNumVgprs: 0
; ScratchSize: 0
; MemoryBound: 0
; FloatMode: 240
; IeeeMode: 1
; LDSByteSize: 0 bytes/workgroup (compile time only)
; SGPRBlocks: 0
; VGPRBlocks: 0
; NumSGPRsForWavesPerEU: 6
; NumVGPRsForWavesPerEU: 1
; AccumOffset: 4
; Occupancy: 8
; WaveLimiterHint : 0
; COMPUTE_PGM_RSRC2:SCRATCH_EN: 0
; COMPUTE_PGM_RSRC2:USER_SGPR: 2
; COMPUTE_PGM_RSRC2:TRAP_HANDLER: 0
; COMPUTE_PGM_RSRC2:TGID_X_EN: 1
; COMPUTE_PGM_RSRC2:TGID_Y_EN: 0
; COMPUTE_PGM_RSRC2:TGID_Z_EN: 0
; COMPUTE_PGM_RSRC2:TIDIG_COMP_CNT: 0
; COMPUTE_PGM_RSRC3_GFX90A:ACCUM_OFFSET: 0
; COMPUTE_PGM_RSRC3_GFX90A:TG_SPLIT: 0
	.section	.text._ZN7rocprim17ROCPRIM_400000_NS6detail17trampoline_kernelINS0_14default_configENS1_38merge_sort_block_merge_config_selectorIiNS0_10empty_typeEEEZZNS1_27merge_sort_block_merge_implIS3_N6thrust23THRUST_200600_302600_NS6detail15normal_iteratorINS9_10device_ptrIiEEEEPS5_m17evens_before_oddsEE10hipError_tT0_T1_T2_jT3_P12ihipStream_tbPNSt15iterator_traitsISI_E10value_typeEPNSO_ISJ_E10value_typeEPSK_NS1_7vsmem_tEENKUlT_SI_SJ_SK_E_clIPiSE_SF_SF_EESH_SX_SI_SJ_SK_EUlSX_E1_NS1_11comp_targetILNS1_3genE0ELNS1_11target_archE4294967295ELNS1_3gpuE0ELNS1_3repE0EEENS1_36merge_oddeven_config_static_selectorELNS0_4arch9wavefront6targetE1EEEvSJ_,"axG",@progbits,_ZN7rocprim17ROCPRIM_400000_NS6detail17trampoline_kernelINS0_14default_configENS1_38merge_sort_block_merge_config_selectorIiNS0_10empty_typeEEEZZNS1_27merge_sort_block_merge_implIS3_N6thrust23THRUST_200600_302600_NS6detail15normal_iteratorINS9_10device_ptrIiEEEEPS5_m17evens_before_oddsEE10hipError_tT0_T1_T2_jT3_P12ihipStream_tbPNSt15iterator_traitsISI_E10value_typeEPNSO_ISJ_E10value_typeEPSK_NS1_7vsmem_tEENKUlT_SI_SJ_SK_E_clIPiSE_SF_SF_EESH_SX_SI_SJ_SK_EUlSX_E1_NS1_11comp_targetILNS1_3genE0ELNS1_11target_archE4294967295ELNS1_3gpuE0ELNS1_3repE0EEENS1_36merge_oddeven_config_static_selectorELNS0_4arch9wavefront6targetE1EEEvSJ_,comdat
	.protected	_ZN7rocprim17ROCPRIM_400000_NS6detail17trampoline_kernelINS0_14default_configENS1_38merge_sort_block_merge_config_selectorIiNS0_10empty_typeEEEZZNS1_27merge_sort_block_merge_implIS3_N6thrust23THRUST_200600_302600_NS6detail15normal_iteratorINS9_10device_ptrIiEEEEPS5_m17evens_before_oddsEE10hipError_tT0_T1_T2_jT3_P12ihipStream_tbPNSt15iterator_traitsISI_E10value_typeEPNSO_ISJ_E10value_typeEPSK_NS1_7vsmem_tEENKUlT_SI_SJ_SK_E_clIPiSE_SF_SF_EESH_SX_SI_SJ_SK_EUlSX_E1_NS1_11comp_targetILNS1_3genE0ELNS1_11target_archE4294967295ELNS1_3gpuE0ELNS1_3repE0EEENS1_36merge_oddeven_config_static_selectorELNS0_4arch9wavefront6targetE1EEEvSJ_ ; -- Begin function _ZN7rocprim17ROCPRIM_400000_NS6detail17trampoline_kernelINS0_14default_configENS1_38merge_sort_block_merge_config_selectorIiNS0_10empty_typeEEEZZNS1_27merge_sort_block_merge_implIS3_N6thrust23THRUST_200600_302600_NS6detail15normal_iteratorINS9_10device_ptrIiEEEEPS5_m17evens_before_oddsEE10hipError_tT0_T1_T2_jT3_P12ihipStream_tbPNSt15iterator_traitsISI_E10value_typeEPNSO_ISJ_E10value_typeEPSK_NS1_7vsmem_tEENKUlT_SI_SJ_SK_E_clIPiSE_SF_SF_EESH_SX_SI_SJ_SK_EUlSX_E1_NS1_11comp_targetILNS1_3genE0ELNS1_11target_archE4294967295ELNS1_3gpuE0ELNS1_3repE0EEENS1_36merge_oddeven_config_static_selectorELNS0_4arch9wavefront6targetE1EEEvSJ_
	.globl	_ZN7rocprim17ROCPRIM_400000_NS6detail17trampoline_kernelINS0_14default_configENS1_38merge_sort_block_merge_config_selectorIiNS0_10empty_typeEEEZZNS1_27merge_sort_block_merge_implIS3_N6thrust23THRUST_200600_302600_NS6detail15normal_iteratorINS9_10device_ptrIiEEEEPS5_m17evens_before_oddsEE10hipError_tT0_T1_T2_jT3_P12ihipStream_tbPNSt15iterator_traitsISI_E10value_typeEPNSO_ISJ_E10value_typeEPSK_NS1_7vsmem_tEENKUlT_SI_SJ_SK_E_clIPiSE_SF_SF_EESH_SX_SI_SJ_SK_EUlSX_E1_NS1_11comp_targetILNS1_3genE0ELNS1_11target_archE4294967295ELNS1_3gpuE0ELNS1_3repE0EEENS1_36merge_oddeven_config_static_selectorELNS0_4arch9wavefront6targetE1EEEvSJ_
	.p2align	8
	.type	_ZN7rocprim17ROCPRIM_400000_NS6detail17trampoline_kernelINS0_14default_configENS1_38merge_sort_block_merge_config_selectorIiNS0_10empty_typeEEEZZNS1_27merge_sort_block_merge_implIS3_N6thrust23THRUST_200600_302600_NS6detail15normal_iteratorINS9_10device_ptrIiEEEEPS5_m17evens_before_oddsEE10hipError_tT0_T1_T2_jT3_P12ihipStream_tbPNSt15iterator_traitsISI_E10value_typeEPNSO_ISJ_E10value_typeEPSK_NS1_7vsmem_tEENKUlT_SI_SJ_SK_E_clIPiSE_SF_SF_EESH_SX_SI_SJ_SK_EUlSX_E1_NS1_11comp_targetILNS1_3genE0ELNS1_11target_archE4294967295ELNS1_3gpuE0ELNS1_3repE0EEENS1_36merge_oddeven_config_static_selectorELNS0_4arch9wavefront6targetE1EEEvSJ_,@function
_ZN7rocprim17ROCPRIM_400000_NS6detail17trampoline_kernelINS0_14default_configENS1_38merge_sort_block_merge_config_selectorIiNS0_10empty_typeEEEZZNS1_27merge_sort_block_merge_implIS3_N6thrust23THRUST_200600_302600_NS6detail15normal_iteratorINS9_10device_ptrIiEEEEPS5_m17evens_before_oddsEE10hipError_tT0_T1_T2_jT3_P12ihipStream_tbPNSt15iterator_traitsISI_E10value_typeEPNSO_ISJ_E10value_typeEPSK_NS1_7vsmem_tEENKUlT_SI_SJ_SK_E_clIPiSE_SF_SF_EESH_SX_SI_SJ_SK_EUlSX_E1_NS1_11comp_targetILNS1_3genE0ELNS1_11target_archE4294967295ELNS1_3gpuE0ELNS1_3repE0EEENS1_36merge_oddeven_config_static_selectorELNS0_4arch9wavefront6targetE1EEEvSJ_: ; @_ZN7rocprim17ROCPRIM_400000_NS6detail17trampoline_kernelINS0_14default_configENS1_38merge_sort_block_merge_config_selectorIiNS0_10empty_typeEEEZZNS1_27merge_sort_block_merge_implIS3_N6thrust23THRUST_200600_302600_NS6detail15normal_iteratorINS9_10device_ptrIiEEEEPS5_m17evens_before_oddsEE10hipError_tT0_T1_T2_jT3_P12ihipStream_tbPNSt15iterator_traitsISI_E10value_typeEPNSO_ISJ_E10value_typeEPSK_NS1_7vsmem_tEENKUlT_SI_SJ_SK_E_clIPiSE_SF_SF_EESH_SX_SI_SJ_SK_EUlSX_E1_NS1_11comp_targetILNS1_3genE0ELNS1_11target_archE4294967295ELNS1_3gpuE0ELNS1_3repE0EEENS1_36merge_oddeven_config_static_selectorELNS0_4arch9wavefront6targetE1EEEvSJ_
; %bb.0:
	s_load_dword s3, s[0:1], 0x20
	s_waitcnt lgkmcnt(0)
	s_lshr_b32 s4, s3, 8
	s_cmp_lg_u32 s2, s4
	s_cselect_b64 s[12:13], -1, 0
	s_cmp_eq_u32 s2, s4
	s_cselect_b64 s[14:15], -1, 0
	s_lshl_b32 s16, s2, 8
	s_sub_i32 s4, s3, s16
	v_cmp_gt_u32_e64 s[4:5], s4, v0
	s_or_b64 s[6:7], s[12:13], s[4:5]
	s_and_saveexec_b64 s[8:9], s[6:7]
	s_cbranch_execz .LBB424_28
; %bb.1:
	s_load_dwordx4 s[8:11], s[0:1], 0x0
	s_load_dword s18, s[0:1], 0x28
	s_mov_b32 s17, 0
	s_lshl_b64 s[0:1], s[16:17], 2
	v_lshlrev_b32_e32 v1, 2, v0
	s_waitcnt lgkmcnt(0)
	s_add_u32 s0, s8, s0
	s_addc_u32 s1, s9, s1
	global_load_dword v2, v1, s[0:1]
	s_lshr_b32 s0, s18, 8
	s_sub_i32 s1, 0, s0
	s_and_b32 s1, s2, s1
	s_and_b32 s0, s1, s0
	s_cmp_lg_u32 s0, 0
	s_cselect_b64 s[6:7], -1, 0
	s_lshl_b32 s2, s1, 8
	s_sub_i32 s1, 0, s18
	s_cmp_eq_u32 s0, 0
	s_cselect_b32 s22, s18, s1
	s_add_i32 s22, s22, s2
	s_cmp_lt_u32 s22, s3
	v_add_u32_e32 v0, s16, v0
	s_cbranch_scc1 .LBB424_3
; %bb.2:
	v_cmp_gt_u32_e32 vcc, s3, v0
	s_or_b64 s[12:13], vcc, s[12:13]
	s_and_b64 s[12:13], s[12:13], exec
	s_cbranch_execz .LBB424_4
	s_branch .LBB424_26
.LBB424_3:
	s_mov_b64 s[12:13], 0
.LBB424_4:
	s_min_u32 s23, s22, s3
	s_add_i32 s0, s23, s18
	s_min_u32 s24, s0, s3
	s_min_u32 s0, s2, s23
	s_add_i32 s2, s2, s23
	v_subrev_u32_e32 v0, s2, v0
	v_add_u32_e32 v3, s0, v0
	s_waitcnt vmcnt(0)
	v_lshrrev_b32_e32 v0, 31, v2
	v_add_u32_e32 v0, v2, v0
	v_and_b32_e32 v0, -2, v0
	v_sub_u32_e32 v4, v2, v0
	v_cmp_ne_u32_e64 s[0:1], 0, v4
	s_and_b64 vcc, exec, s[14:15]
	s_cbranch_vccz .LBB424_13
; %bb.5:
                                        ; implicit-def: $vgpr0
	s_and_saveexec_b64 s[14:15], s[4:5]
	s_cbranch_execz .LBB424_16
; %bb.6:
	s_cmp_ge_u32 s22, s24
	v_mov_b32_e32 v5, s23
	s_cbranch_scc1 .LBB424_15
; %bb.7:
	v_cndmask_b32_e64 v0, 0, 1, s[6:7]
	s_mov_b64 s[16:17], 0
	v_mov_b32_e32 v6, s24
	v_mov_b32_e32 v5, s23
	;; [unrolled: 1-line block ×3, first 2 shown]
	v_cmp_ne_u32_e64 s[2:3], 1, v0
	v_cndmask_b32_e64 v7, 0, 1, s[0:1]
	s_branch .LBB424_9
.LBB424_8:                              ;   in Loop: Header=BB424_9 Depth=1
	v_add_u32_e32 v8, 1, v0
	v_cndmask_b32_e64 v6, v0, v6, s[18:19]
	v_cndmask_b32_e64 v5, v5, v8, s[18:19]
	v_cmp_ge_u32_e32 vcc, v5, v6
	s_or_b64 s[16:17], vcc, s[16:17]
	s_andn2_b64 exec, exec, s[16:17]
	s_cbranch_execz .LBB424_14
.LBB424_9:                              ; =>This Inner Loop Header: Depth=1
	v_add_u32_e32 v0, v5, v6
	v_lshrrev_b32_e32 v0, 1, v0
	v_lshl_add_u64 v[8:9], v[0:1], 2, s[8:9]
	global_load_dword v8, v[8:9], off
	s_and_b64 vcc, exec, s[2:3]
	s_mov_b64 s[20:21], -1
                                        ; implicit-def: $sgpr18_sgpr19
	s_waitcnt vmcnt(0)
	v_lshrrev_b32_e32 v9, 31, v8
	v_add_u32_e32 v9, v8, v9
	v_and_b32_e32 v9, -2, v9
	v_sub_u32_e32 v9, v8, v9
	v_cmp_eq_u32_e64 s[4:5], v9, v4
	s_cbranch_vccnz .LBB424_11
; %bb.10:                               ;   in Loop: Header=BB424_9 Depth=1
	v_cmp_ge_i32_e32 vcc, v2, v8
	s_mov_b64 s[20:21], 0
	s_nop 0
	v_cndmask_b32_e64 v10, 0, 1, vcc
	v_cndmask_b32_e64 v10, v7, v10, s[4:5]
	v_and_b32_e32 v10, 1, v10
	v_cmp_eq_u32_e64 s[18:19], 1, v10
.LBB424_11:                             ;   in Loop: Header=BB424_9 Depth=1
	s_andn2_b64 vcc, exec, s[20:21]
	s_cbranch_vccnz .LBB424_8
; %bb.12:                               ;   in Loop: Header=BB424_9 Depth=1
	v_cmp_lt_i32_e32 vcc, v8, v2
	s_nop 1
	v_cndmask_b32_e64 v8, 0, 1, vcc
	v_cmp_eq_u32_e32 vcc, 0, v9
	s_nop 1
	v_cndmask_b32_e64 v9, 0, 1, vcc
	v_cndmask_b32_e64 v8, v9, v8, s[4:5]
	v_and_b32_e32 v8, 1, v8
	v_cmp_eq_u32_e32 vcc, 1, v8
	s_andn2_b64 s[4:5], s[18:19], exec
	s_and_b64 s[18:19], vcc, exec
	s_or_b64 s[18:19], s[4:5], s[18:19]
	s_branch .LBB424_8
.LBB424_13:
                                        ; implicit-def: $vgpr0
	s_cbranch_execnz .LBB424_17
	s_branch .LBB424_26
.LBB424_14:
	s_or_b64 exec, exec, s[16:17]
.LBB424_15:
	v_add_u32_e32 v0, v5, v3
	s_or_b64 s[12:13], s[12:13], exec
.LBB424_16:
	s_or_b64 exec, exec, s[14:15]
	s_branch .LBB424_26
.LBB424_17:
	s_cmp_ge_u32 s22, s24
	v_mov_b32_e32 v5, s23
	s_cbranch_scc1 .LBB424_25
; %bb.18:
	v_cndmask_b32_e64 v0, 0, 1, s[6:7]
	s_mov_b64 s[4:5], 0
	v_mov_b32_e32 v6, s24
	v_mov_b32_e32 v5, s23
	;; [unrolled: 1-line block ×3, first 2 shown]
	v_cmp_ne_u32_e64 s[2:3], 1, v0
	v_cndmask_b32_e64 v7, 0, 1, s[0:1]
	s_branch .LBB424_20
.LBB424_19:                             ;   in Loop: Header=BB424_20 Depth=1
	v_add_u32_e32 v8, 1, v0
	v_cndmask_b32_e64 v6, v0, v6, s[6:7]
	v_cndmask_b32_e64 v5, v5, v8, s[6:7]
	v_cmp_ge_u32_e32 vcc, v5, v6
	s_or_b64 s[4:5], vcc, s[4:5]
	s_andn2_b64 exec, exec, s[4:5]
	s_cbranch_execz .LBB424_24
.LBB424_20:                             ; =>This Inner Loop Header: Depth=1
	v_add_u32_e32 v0, v5, v6
	v_lshrrev_b32_e32 v0, 1, v0
	v_lshl_add_u64 v[8:9], v[0:1], 2, s[8:9]
	global_load_dword v8, v[8:9], off
	s_and_b64 vcc, exec, s[2:3]
	s_mov_b64 s[12:13], -1
                                        ; implicit-def: $sgpr6_sgpr7
	s_waitcnt vmcnt(0)
	v_lshrrev_b32_e32 v9, 31, v8
	v_add_u32_e32 v9, v8, v9
	v_and_b32_e32 v9, -2, v9
	v_sub_u32_e32 v9, v8, v9
	v_cmp_eq_u32_e64 s[0:1], v9, v4
	s_cbranch_vccnz .LBB424_22
; %bb.21:                               ;   in Loop: Header=BB424_20 Depth=1
	v_cmp_ge_i32_e32 vcc, v2, v8
	s_mov_b64 s[12:13], 0
	s_nop 0
	v_cndmask_b32_e64 v10, 0, 1, vcc
	v_cndmask_b32_e64 v10, v7, v10, s[0:1]
	v_and_b32_e32 v10, 1, v10
	v_cmp_eq_u32_e64 s[6:7], 1, v10
.LBB424_22:                             ;   in Loop: Header=BB424_20 Depth=1
	s_andn2_b64 vcc, exec, s[12:13]
	s_cbranch_vccnz .LBB424_19
; %bb.23:                               ;   in Loop: Header=BB424_20 Depth=1
	v_cmp_lt_i32_e32 vcc, v8, v2
	s_nop 1
	v_cndmask_b32_e64 v8, 0, 1, vcc
	v_cmp_eq_u32_e32 vcc, 0, v9
	s_nop 1
	v_cndmask_b32_e64 v9, 0, 1, vcc
	v_cndmask_b32_e64 v8, v9, v8, s[0:1]
	v_and_b32_e32 v8, 1, v8
	v_cmp_eq_u32_e32 vcc, 1, v8
	s_andn2_b64 s[0:1], s[6:7], exec
	s_and_b64 s[6:7], vcc, exec
	s_or_b64 s[6:7], s[0:1], s[6:7]
	s_branch .LBB424_19
.LBB424_24:
	s_or_b64 exec, exec, s[4:5]
.LBB424_25:
	v_add_u32_e32 v0, v5, v3
	s_mov_b64 s[12:13], -1
.LBB424_26:
	s_and_b64 exec, exec, s[12:13]
	s_cbranch_execz .LBB424_28
; %bb.27:
	v_mov_b32_e32 v4, s10
	v_mov_b32_e32 v5, s11
	;; [unrolled: 1-line block ×3, first 2 shown]
	v_lshl_add_u64 v[0:1], v[0:1], 2, v[4:5]
	s_waitcnt vmcnt(0)
	global_store_dword v[0:1], v2, off
.LBB424_28:
	s_endpgm
	.section	.rodata,"a",@progbits
	.p2align	6, 0x0
	.amdhsa_kernel _ZN7rocprim17ROCPRIM_400000_NS6detail17trampoline_kernelINS0_14default_configENS1_38merge_sort_block_merge_config_selectorIiNS0_10empty_typeEEEZZNS1_27merge_sort_block_merge_implIS3_N6thrust23THRUST_200600_302600_NS6detail15normal_iteratorINS9_10device_ptrIiEEEEPS5_m17evens_before_oddsEE10hipError_tT0_T1_T2_jT3_P12ihipStream_tbPNSt15iterator_traitsISI_E10value_typeEPNSO_ISJ_E10value_typeEPSK_NS1_7vsmem_tEENKUlT_SI_SJ_SK_E_clIPiSE_SF_SF_EESH_SX_SI_SJ_SK_EUlSX_E1_NS1_11comp_targetILNS1_3genE0ELNS1_11target_archE4294967295ELNS1_3gpuE0ELNS1_3repE0EEENS1_36merge_oddeven_config_static_selectorELNS0_4arch9wavefront6targetE1EEEvSJ_
		.amdhsa_group_segment_fixed_size 0
		.amdhsa_private_segment_fixed_size 0
		.amdhsa_kernarg_size 56
		.amdhsa_user_sgpr_count 2
		.amdhsa_user_sgpr_dispatch_ptr 0
		.amdhsa_user_sgpr_queue_ptr 0
		.amdhsa_user_sgpr_kernarg_segment_ptr 1
		.amdhsa_user_sgpr_dispatch_id 0
		.amdhsa_user_sgpr_kernarg_preload_length 0
		.amdhsa_user_sgpr_kernarg_preload_offset 0
		.amdhsa_user_sgpr_private_segment_size 0
		.amdhsa_uses_dynamic_stack 0
		.amdhsa_enable_private_segment 0
		.amdhsa_system_sgpr_workgroup_id_x 1
		.amdhsa_system_sgpr_workgroup_id_y 0
		.amdhsa_system_sgpr_workgroup_id_z 0
		.amdhsa_system_sgpr_workgroup_info 0
		.amdhsa_system_vgpr_workitem_id 0
		.amdhsa_next_free_vgpr 11
		.amdhsa_next_free_sgpr 25
		.amdhsa_accum_offset 12
		.amdhsa_reserve_vcc 1
		.amdhsa_float_round_mode_32 0
		.amdhsa_float_round_mode_16_64 0
		.amdhsa_float_denorm_mode_32 3
		.amdhsa_float_denorm_mode_16_64 3
		.amdhsa_dx10_clamp 1
		.amdhsa_ieee_mode 1
		.amdhsa_fp16_overflow 0
		.amdhsa_tg_split 0
		.amdhsa_exception_fp_ieee_invalid_op 0
		.amdhsa_exception_fp_denorm_src 0
		.amdhsa_exception_fp_ieee_div_zero 0
		.amdhsa_exception_fp_ieee_overflow 0
		.amdhsa_exception_fp_ieee_underflow 0
		.amdhsa_exception_fp_ieee_inexact 0
		.amdhsa_exception_int_div_zero 0
	.end_amdhsa_kernel
	.section	.text._ZN7rocprim17ROCPRIM_400000_NS6detail17trampoline_kernelINS0_14default_configENS1_38merge_sort_block_merge_config_selectorIiNS0_10empty_typeEEEZZNS1_27merge_sort_block_merge_implIS3_N6thrust23THRUST_200600_302600_NS6detail15normal_iteratorINS9_10device_ptrIiEEEEPS5_m17evens_before_oddsEE10hipError_tT0_T1_T2_jT3_P12ihipStream_tbPNSt15iterator_traitsISI_E10value_typeEPNSO_ISJ_E10value_typeEPSK_NS1_7vsmem_tEENKUlT_SI_SJ_SK_E_clIPiSE_SF_SF_EESH_SX_SI_SJ_SK_EUlSX_E1_NS1_11comp_targetILNS1_3genE0ELNS1_11target_archE4294967295ELNS1_3gpuE0ELNS1_3repE0EEENS1_36merge_oddeven_config_static_selectorELNS0_4arch9wavefront6targetE1EEEvSJ_,"axG",@progbits,_ZN7rocprim17ROCPRIM_400000_NS6detail17trampoline_kernelINS0_14default_configENS1_38merge_sort_block_merge_config_selectorIiNS0_10empty_typeEEEZZNS1_27merge_sort_block_merge_implIS3_N6thrust23THRUST_200600_302600_NS6detail15normal_iteratorINS9_10device_ptrIiEEEEPS5_m17evens_before_oddsEE10hipError_tT0_T1_T2_jT3_P12ihipStream_tbPNSt15iterator_traitsISI_E10value_typeEPNSO_ISJ_E10value_typeEPSK_NS1_7vsmem_tEENKUlT_SI_SJ_SK_E_clIPiSE_SF_SF_EESH_SX_SI_SJ_SK_EUlSX_E1_NS1_11comp_targetILNS1_3genE0ELNS1_11target_archE4294967295ELNS1_3gpuE0ELNS1_3repE0EEENS1_36merge_oddeven_config_static_selectorELNS0_4arch9wavefront6targetE1EEEvSJ_,comdat
.Lfunc_end424:
	.size	_ZN7rocprim17ROCPRIM_400000_NS6detail17trampoline_kernelINS0_14default_configENS1_38merge_sort_block_merge_config_selectorIiNS0_10empty_typeEEEZZNS1_27merge_sort_block_merge_implIS3_N6thrust23THRUST_200600_302600_NS6detail15normal_iteratorINS9_10device_ptrIiEEEEPS5_m17evens_before_oddsEE10hipError_tT0_T1_T2_jT3_P12ihipStream_tbPNSt15iterator_traitsISI_E10value_typeEPNSO_ISJ_E10value_typeEPSK_NS1_7vsmem_tEENKUlT_SI_SJ_SK_E_clIPiSE_SF_SF_EESH_SX_SI_SJ_SK_EUlSX_E1_NS1_11comp_targetILNS1_3genE0ELNS1_11target_archE4294967295ELNS1_3gpuE0ELNS1_3repE0EEENS1_36merge_oddeven_config_static_selectorELNS0_4arch9wavefront6targetE1EEEvSJ_, .Lfunc_end424-_ZN7rocprim17ROCPRIM_400000_NS6detail17trampoline_kernelINS0_14default_configENS1_38merge_sort_block_merge_config_selectorIiNS0_10empty_typeEEEZZNS1_27merge_sort_block_merge_implIS3_N6thrust23THRUST_200600_302600_NS6detail15normal_iteratorINS9_10device_ptrIiEEEEPS5_m17evens_before_oddsEE10hipError_tT0_T1_T2_jT3_P12ihipStream_tbPNSt15iterator_traitsISI_E10value_typeEPNSO_ISJ_E10value_typeEPSK_NS1_7vsmem_tEENKUlT_SI_SJ_SK_E_clIPiSE_SF_SF_EESH_SX_SI_SJ_SK_EUlSX_E1_NS1_11comp_targetILNS1_3genE0ELNS1_11target_archE4294967295ELNS1_3gpuE0ELNS1_3repE0EEENS1_36merge_oddeven_config_static_selectorELNS0_4arch9wavefront6targetE1EEEvSJ_
                                        ; -- End function
	.set _ZN7rocprim17ROCPRIM_400000_NS6detail17trampoline_kernelINS0_14default_configENS1_38merge_sort_block_merge_config_selectorIiNS0_10empty_typeEEEZZNS1_27merge_sort_block_merge_implIS3_N6thrust23THRUST_200600_302600_NS6detail15normal_iteratorINS9_10device_ptrIiEEEEPS5_m17evens_before_oddsEE10hipError_tT0_T1_T2_jT3_P12ihipStream_tbPNSt15iterator_traitsISI_E10value_typeEPNSO_ISJ_E10value_typeEPSK_NS1_7vsmem_tEENKUlT_SI_SJ_SK_E_clIPiSE_SF_SF_EESH_SX_SI_SJ_SK_EUlSX_E1_NS1_11comp_targetILNS1_3genE0ELNS1_11target_archE4294967295ELNS1_3gpuE0ELNS1_3repE0EEENS1_36merge_oddeven_config_static_selectorELNS0_4arch9wavefront6targetE1EEEvSJ_.num_vgpr, 11
	.set _ZN7rocprim17ROCPRIM_400000_NS6detail17trampoline_kernelINS0_14default_configENS1_38merge_sort_block_merge_config_selectorIiNS0_10empty_typeEEEZZNS1_27merge_sort_block_merge_implIS3_N6thrust23THRUST_200600_302600_NS6detail15normal_iteratorINS9_10device_ptrIiEEEEPS5_m17evens_before_oddsEE10hipError_tT0_T1_T2_jT3_P12ihipStream_tbPNSt15iterator_traitsISI_E10value_typeEPNSO_ISJ_E10value_typeEPSK_NS1_7vsmem_tEENKUlT_SI_SJ_SK_E_clIPiSE_SF_SF_EESH_SX_SI_SJ_SK_EUlSX_E1_NS1_11comp_targetILNS1_3genE0ELNS1_11target_archE4294967295ELNS1_3gpuE0ELNS1_3repE0EEENS1_36merge_oddeven_config_static_selectorELNS0_4arch9wavefront6targetE1EEEvSJ_.num_agpr, 0
	.set _ZN7rocprim17ROCPRIM_400000_NS6detail17trampoline_kernelINS0_14default_configENS1_38merge_sort_block_merge_config_selectorIiNS0_10empty_typeEEEZZNS1_27merge_sort_block_merge_implIS3_N6thrust23THRUST_200600_302600_NS6detail15normal_iteratorINS9_10device_ptrIiEEEEPS5_m17evens_before_oddsEE10hipError_tT0_T1_T2_jT3_P12ihipStream_tbPNSt15iterator_traitsISI_E10value_typeEPNSO_ISJ_E10value_typeEPSK_NS1_7vsmem_tEENKUlT_SI_SJ_SK_E_clIPiSE_SF_SF_EESH_SX_SI_SJ_SK_EUlSX_E1_NS1_11comp_targetILNS1_3genE0ELNS1_11target_archE4294967295ELNS1_3gpuE0ELNS1_3repE0EEENS1_36merge_oddeven_config_static_selectorELNS0_4arch9wavefront6targetE1EEEvSJ_.numbered_sgpr, 25
	.set _ZN7rocprim17ROCPRIM_400000_NS6detail17trampoline_kernelINS0_14default_configENS1_38merge_sort_block_merge_config_selectorIiNS0_10empty_typeEEEZZNS1_27merge_sort_block_merge_implIS3_N6thrust23THRUST_200600_302600_NS6detail15normal_iteratorINS9_10device_ptrIiEEEEPS5_m17evens_before_oddsEE10hipError_tT0_T1_T2_jT3_P12ihipStream_tbPNSt15iterator_traitsISI_E10value_typeEPNSO_ISJ_E10value_typeEPSK_NS1_7vsmem_tEENKUlT_SI_SJ_SK_E_clIPiSE_SF_SF_EESH_SX_SI_SJ_SK_EUlSX_E1_NS1_11comp_targetILNS1_3genE0ELNS1_11target_archE4294967295ELNS1_3gpuE0ELNS1_3repE0EEENS1_36merge_oddeven_config_static_selectorELNS0_4arch9wavefront6targetE1EEEvSJ_.num_named_barrier, 0
	.set _ZN7rocprim17ROCPRIM_400000_NS6detail17trampoline_kernelINS0_14default_configENS1_38merge_sort_block_merge_config_selectorIiNS0_10empty_typeEEEZZNS1_27merge_sort_block_merge_implIS3_N6thrust23THRUST_200600_302600_NS6detail15normal_iteratorINS9_10device_ptrIiEEEEPS5_m17evens_before_oddsEE10hipError_tT0_T1_T2_jT3_P12ihipStream_tbPNSt15iterator_traitsISI_E10value_typeEPNSO_ISJ_E10value_typeEPSK_NS1_7vsmem_tEENKUlT_SI_SJ_SK_E_clIPiSE_SF_SF_EESH_SX_SI_SJ_SK_EUlSX_E1_NS1_11comp_targetILNS1_3genE0ELNS1_11target_archE4294967295ELNS1_3gpuE0ELNS1_3repE0EEENS1_36merge_oddeven_config_static_selectorELNS0_4arch9wavefront6targetE1EEEvSJ_.private_seg_size, 0
	.set _ZN7rocprim17ROCPRIM_400000_NS6detail17trampoline_kernelINS0_14default_configENS1_38merge_sort_block_merge_config_selectorIiNS0_10empty_typeEEEZZNS1_27merge_sort_block_merge_implIS3_N6thrust23THRUST_200600_302600_NS6detail15normal_iteratorINS9_10device_ptrIiEEEEPS5_m17evens_before_oddsEE10hipError_tT0_T1_T2_jT3_P12ihipStream_tbPNSt15iterator_traitsISI_E10value_typeEPNSO_ISJ_E10value_typeEPSK_NS1_7vsmem_tEENKUlT_SI_SJ_SK_E_clIPiSE_SF_SF_EESH_SX_SI_SJ_SK_EUlSX_E1_NS1_11comp_targetILNS1_3genE0ELNS1_11target_archE4294967295ELNS1_3gpuE0ELNS1_3repE0EEENS1_36merge_oddeven_config_static_selectorELNS0_4arch9wavefront6targetE1EEEvSJ_.uses_vcc, 1
	.set _ZN7rocprim17ROCPRIM_400000_NS6detail17trampoline_kernelINS0_14default_configENS1_38merge_sort_block_merge_config_selectorIiNS0_10empty_typeEEEZZNS1_27merge_sort_block_merge_implIS3_N6thrust23THRUST_200600_302600_NS6detail15normal_iteratorINS9_10device_ptrIiEEEEPS5_m17evens_before_oddsEE10hipError_tT0_T1_T2_jT3_P12ihipStream_tbPNSt15iterator_traitsISI_E10value_typeEPNSO_ISJ_E10value_typeEPSK_NS1_7vsmem_tEENKUlT_SI_SJ_SK_E_clIPiSE_SF_SF_EESH_SX_SI_SJ_SK_EUlSX_E1_NS1_11comp_targetILNS1_3genE0ELNS1_11target_archE4294967295ELNS1_3gpuE0ELNS1_3repE0EEENS1_36merge_oddeven_config_static_selectorELNS0_4arch9wavefront6targetE1EEEvSJ_.uses_flat_scratch, 0
	.set _ZN7rocprim17ROCPRIM_400000_NS6detail17trampoline_kernelINS0_14default_configENS1_38merge_sort_block_merge_config_selectorIiNS0_10empty_typeEEEZZNS1_27merge_sort_block_merge_implIS3_N6thrust23THRUST_200600_302600_NS6detail15normal_iteratorINS9_10device_ptrIiEEEEPS5_m17evens_before_oddsEE10hipError_tT0_T1_T2_jT3_P12ihipStream_tbPNSt15iterator_traitsISI_E10value_typeEPNSO_ISJ_E10value_typeEPSK_NS1_7vsmem_tEENKUlT_SI_SJ_SK_E_clIPiSE_SF_SF_EESH_SX_SI_SJ_SK_EUlSX_E1_NS1_11comp_targetILNS1_3genE0ELNS1_11target_archE4294967295ELNS1_3gpuE0ELNS1_3repE0EEENS1_36merge_oddeven_config_static_selectorELNS0_4arch9wavefront6targetE1EEEvSJ_.has_dyn_sized_stack, 0
	.set _ZN7rocprim17ROCPRIM_400000_NS6detail17trampoline_kernelINS0_14default_configENS1_38merge_sort_block_merge_config_selectorIiNS0_10empty_typeEEEZZNS1_27merge_sort_block_merge_implIS3_N6thrust23THRUST_200600_302600_NS6detail15normal_iteratorINS9_10device_ptrIiEEEEPS5_m17evens_before_oddsEE10hipError_tT0_T1_T2_jT3_P12ihipStream_tbPNSt15iterator_traitsISI_E10value_typeEPNSO_ISJ_E10value_typeEPSK_NS1_7vsmem_tEENKUlT_SI_SJ_SK_E_clIPiSE_SF_SF_EESH_SX_SI_SJ_SK_EUlSX_E1_NS1_11comp_targetILNS1_3genE0ELNS1_11target_archE4294967295ELNS1_3gpuE0ELNS1_3repE0EEENS1_36merge_oddeven_config_static_selectorELNS0_4arch9wavefront6targetE1EEEvSJ_.has_recursion, 0
	.set _ZN7rocprim17ROCPRIM_400000_NS6detail17trampoline_kernelINS0_14default_configENS1_38merge_sort_block_merge_config_selectorIiNS0_10empty_typeEEEZZNS1_27merge_sort_block_merge_implIS3_N6thrust23THRUST_200600_302600_NS6detail15normal_iteratorINS9_10device_ptrIiEEEEPS5_m17evens_before_oddsEE10hipError_tT0_T1_T2_jT3_P12ihipStream_tbPNSt15iterator_traitsISI_E10value_typeEPNSO_ISJ_E10value_typeEPSK_NS1_7vsmem_tEENKUlT_SI_SJ_SK_E_clIPiSE_SF_SF_EESH_SX_SI_SJ_SK_EUlSX_E1_NS1_11comp_targetILNS1_3genE0ELNS1_11target_archE4294967295ELNS1_3gpuE0ELNS1_3repE0EEENS1_36merge_oddeven_config_static_selectorELNS0_4arch9wavefront6targetE1EEEvSJ_.has_indirect_call, 0
	.section	.AMDGPU.csdata,"",@progbits
; Kernel info:
; codeLenInByte = 880
; TotalNumSgprs: 31
; NumVgprs: 11
; NumAgprs: 0
; TotalNumVgprs: 11
; ScratchSize: 0
; MemoryBound: 0
; FloatMode: 240
; IeeeMode: 1
; LDSByteSize: 0 bytes/workgroup (compile time only)
; SGPRBlocks: 3
; VGPRBlocks: 1
; NumSGPRsForWavesPerEU: 31
; NumVGPRsForWavesPerEU: 11
; AccumOffset: 12
; Occupancy: 8
; WaveLimiterHint : 0
; COMPUTE_PGM_RSRC2:SCRATCH_EN: 0
; COMPUTE_PGM_RSRC2:USER_SGPR: 2
; COMPUTE_PGM_RSRC2:TRAP_HANDLER: 0
; COMPUTE_PGM_RSRC2:TGID_X_EN: 1
; COMPUTE_PGM_RSRC2:TGID_Y_EN: 0
; COMPUTE_PGM_RSRC2:TGID_Z_EN: 0
; COMPUTE_PGM_RSRC2:TIDIG_COMP_CNT: 0
; COMPUTE_PGM_RSRC3_GFX90A:ACCUM_OFFSET: 2
; COMPUTE_PGM_RSRC3_GFX90A:TG_SPLIT: 0
	.section	.text._ZN7rocprim17ROCPRIM_400000_NS6detail17trampoline_kernelINS0_14default_configENS1_38merge_sort_block_merge_config_selectorIiNS0_10empty_typeEEEZZNS1_27merge_sort_block_merge_implIS3_N6thrust23THRUST_200600_302600_NS6detail15normal_iteratorINS9_10device_ptrIiEEEEPS5_m17evens_before_oddsEE10hipError_tT0_T1_T2_jT3_P12ihipStream_tbPNSt15iterator_traitsISI_E10value_typeEPNSO_ISJ_E10value_typeEPSK_NS1_7vsmem_tEENKUlT_SI_SJ_SK_E_clIPiSE_SF_SF_EESH_SX_SI_SJ_SK_EUlSX_E1_NS1_11comp_targetILNS1_3genE10ELNS1_11target_archE1201ELNS1_3gpuE5ELNS1_3repE0EEENS1_36merge_oddeven_config_static_selectorELNS0_4arch9wavefront6targetE1EEEvSJ_,"axG",@progbits,_ZN7rocprim17ROCPRIM_400000_NS6detail17trampoline_kernelINS0_14default_configENS1_38merge_sort_block_merge_config_selectorIiNS0_10empty_typeEEEZZNS1_27merge_sort_block_merge_implIS3_N6thrust23THRUST_200600_302600_NS6detail15normal_iteratorINS9_10device_ptrIiEEEEPS5_m17evens_before_oddsEE10hipError_tT0_T1_T2_jT3_P12ihipStream_tbPNSt15iterator_traitsISI_E10value_typeEPNSO_ISJ_E10value_typeEPSK_NS1_7vsmem_tEENKUlT_SI_SJ_SK_E_clIPiSE_SF_SF_EESH_SX_SI_SJ_SK_EUlSX_E1_NS1_11comp_targetILNS1_3genE10ELNS1_11target_archE1201ELNS1_3gpuE5ELNS1_3repE0EEENS1_36merge_oddeven_config_static_selectorELNS0_4arch9wavefront6targetE1EEEvSJ_,comdat
	.protected	_ZN7rocprim17ROCPRIM_400000_NS6detail17trampoline_kernelINS0_14default_configENS1_38merge_sort_block_merge_config_selectorIiNS0_10empty_typeEEEZZNS1_27merge_sort_block_merge_implIS3_N6thrust23THRUST_200600_302600_NS6detail15normal_iteratorINS9_10device_ptrIiEEEEPS5_m17evens_before_oddsEE10hipError_tT0_T1_T2_jT3_P12ihipStream_tbPNSt15iterator_traitsISI_E10value_typeEPNSO_ISJ_E10value_typeEPSK_NS1_7vsmem_tEENKUlT_SI_SJ_SK_E_clIPiSE_SF_SF_EESH_SX_SI_SJ_SK_EUlSX_E1_NS1_11comp_targetILNS1_3genE10ELNS1_11target_archE1201ELNS1_3gpuE5ELNS1_3repE0EEENS1_36merge_oddeven_config_static_selectorELNS0_4arch9wavefront6targetE1EEEvSJ_ ; -- Begin function _ZN7rocprim17ROCPRIM_400000_NS6detail17trampoline_kernelINS0_14default_configENS1_38merge_sort_block_merge_config_selectorIiNS0_10empty_typeEEEZZNS1_27merge_sort_block_merge_implIS3_N6thrust23THRUST_200600_302600_NS6detail15normal_iteratorINS9_10device_ptrIiEEEEPS5_m17evens_before_oddsEE10hipError_tT0_T1_T2_jT3_P12ihipStream_tbPNSt15iterator_traitsISI_E10value_typeEPNSO_ISJ_E10value_typeEPSK_NS1_7vsmem_tEENKUlT_SI_SJ_SK_E_clIPiSE_SF_SF_EESH_SX_SI_SJ_SK_EUlSX_E1_NS1_11comp_targetILNS1_3genE10ELNS1_11target_archE1201ELNS1_3gpuE5ELNS1_3repE0EEENS1_36merge_oddeven_config_static_selectorELNS0_4arch9wavefront6targetE1EEEvSJ_
	.globl	_ZN7rocprim17ROCPRIM_400000_NS6detail17trampoline_kernelINS0_14default_configENS1_38merge_sort_block_merge_config_selectorIiNS0_10empty_typeEEEZZNS1_27merge_sort_block_merge_implIS3_N6thrust23THRUST_200600_302600_NS6detail15normal_iteratorINS9_10device_ptrIiEEEEPS5_m17evens_before_oddsEE10hipError_tT0_T1_T2_jT3_P12ihipStream_tbPNSt15iterator_traitsISI_E10value_typeEPNSO_ISJ_E10value_typeEPSK_NS1_7vsmem_tEENKUlT_SI_SJ_SK_E_clIPiSE_SF_SF_EESH_SX_SI_SJ_SK_EUlSX_E1_NS1_11comp_targetILNS1_3genE10ELNS1_11target_archE1201ELNS1_3gpuE5ELNS1_3repE0EEENS1_36merge_oddeven_config_static_selectorELNS0_4arch9wavefront6targetE1EEEvSJ_
	.p2align	8
	.type	_ZN7rocprim17ROCPRIM_400000_NS6detail17trampoline_kernelINS0_14default_configENS1_38merge_sort_block_merge_config_selectorIiNS0_10empty_typeEEEZZNS1_27merge_sort_block_merge_implIS3_N6thrust23THRUST_200600_302600_NS6detail15normal_iteratorINS9_10device_ptrIiEEEEPS5_m17evens_before_oddsEE10hipError_tT0_T1_T2_jT3_P12ihipStream_tbPNSt15iterator_traitsISI_E10value_typeEPNSO_ISJ_E10value_typeEPSK_NS1_7vsmem_tEENKUlT_SI_SJ_SK_E_clIPiSE_SF_SF_EESH_SX_SI_SJ_SK_EUlSX_E1_NS1_11comp_targetILNS1_3genE10ELNS1_11target_archE1201ELNS1_3gpuE5ELNS1_3repE0EEENS1_36merge_oddeven_config_static_selectorELNS0_4arch9wavefront6targetE1EEEvSJ_,@function
_ZN7rocprim17ROCPRIM_400000_NS6detail17trampoline_kernelINS0_14default_configENS1_38merge_sort_block_merge_config_selectorIiNS0_10empty_typeEEEZZNS1_27merge_sort_block_merge_implIS3_N6thrust23THRUST_200600_302600_NS6detail15normal_iteratorINS9_10device_ptrIiEEEEPS5_m17evens_before_oddsEE10hipError_tT0_T1_T2_jT3_P12ihipStream_tbPNSt15iterator_traitsISI_E10value_typeEPNSO_ISJ_E10value_typeEPSK_NS1_7vsmem_tEENKUlT_SI_SJ_SK_E_clIPiSE_SF_SF_EESH_SX_SI_SJ_SK_EUlSX_E1_NS1_11comp_targetILNS1_3genE10ELNS1_11target_archE1201ELNS1_3gpuE5ELNS1_3repE0EEENS1_36merge_oddeven_config_static_selectorELNS0_4arch9wavefront6targetE1EEEvSJ_: ; @_ZN7rocprim17ROCPRIM_400000_NS6detail17trampoline_kernelINS0_14default_configENS1_38merge_sort_block_merge_config_selectorIiNS0_10empty_typeEEEZZNS1_27merge_sort_block_merge_implIS3_N6thrust23THRUST_200600_302600_NS6detail15normal_iteratorINS9_10device_ptrIiEEEEPS5_m17evens_before_oddsEE10hipError_tT0_T1_T2_jT3_P12ihipStream_tbPNSt15iterator_traitsISI_E10value_typeEPNSO_ISJ_E10value_typeEPSK_NS1_7vsmem_tEENKUlT_SI_SJ_SK_E_clIPiSE_SF_SF_EESH_SX_SI_SJ_SK_EUlSX_E1_NS1_11comp_targetILNS1_3genE10ELNS1_11target_archE1201ELNS1_3gpuE5ELNS1_3repE0EEENS1_36merge_oddeven_config_static_selectorELNS0_4arch9wavefront6targetE1EEEvSJ_
; %bb.0:
	.section	.rodata,"a",@progbits
	.p2align	6, 0x0
	.amdhsa_kernel _ZN7rocprim17ROCPRIM_400000_NS6detail17trampoline_kernelINS0_14default_configENS1_38merge_sort_block_merge_config_selectorIiNS0_10empty_typeEEEZZNS1_27merge_sort_block_merge_implIS3_N6thrust23THRUST_200600_302600_NS6detail15normal_iteratorINS9_10device_ptrIiEEEEPS5_m17evens_before_oddsEE10hipError_tT0_T1_T2_jT3_P12ihipStream_tbPNSt15iterator_traitsISI_E10value_typeEPNSO_ISJ_E10value_typeEPSK_NS1_7vsmem_tEENKUlT_SI_SJ_SK_E_clIPiSE_SF_SF_EESH_SX_SI_SJ_SK_EUlSX_E1_NS1_11comp_targetILNS1_3genE10ELNS1_11target_archE1201ELNS1_3gpuE5ELNS1_3repE0EEENS1_36merge_oddeven_config_static_selectorELNS0_4arch9wavefront6targetE1EEEvSJ_
		.amdhsa_group_segment_fixed_size 0
		.amdhsa_private_segment_fixed_size 0
		.amdhsa_kernarg_size 56
		.amdhsa_user_sgpr_count 2
		.amdhsa_user_sgpr_dispatch_ptr 0
		.amdhsa_user_sgpr_queue_ptr 0
		.amdhsa_user_sgpr_kernarg_segment_ptr 1
		.amdhsa_user_sgpr_dispatch_id 0
		.amdhsa_user_sgpr_kernarg_preload_length 0
		.amdhsa_user_sgpr_kernarg_preload_offset 0
		.amdhsa_user_sgpr_private_segment_size 0
		.amdhsa_uses_dynamic_stack 0
		.amdhsa_enable_private_segment 0
		.amdhsa_system_sgpr_workgroup_id_x 1
		.amdhsa_system_sgpr_workgroup_id_y 0
		.amdhsa_system_sgpr_workgroup_id_z 0
		.amdhsa_system_sgpr_workgroup_info 0
		.amdhsa_system_vgpr_workitem_id 0
		.amdhsa_next_free_vgpr 1
		.amdhsa_next_free_sgpr 0
		.amdhsa_accum_offset 4
		.amdhsa_reserve_vcc 0
		.amdhsa_float_round_mode_32 0
		.amdhsa_float_round_mode_16_64 0
		.amdhsa_float_denorm_mode_32 3
		.amdhsa_float_denorm_mode_16_64 3
		.amdhsa_dx10_clamp 1
		.amdhsa_ieee_mode 1
		.amdhsa_fp16_overflow 0
		.amdhsa_tg_split 0
		.amdhsa_exception_fp_ieee_invalid_op 0
		.amdhsa_exception_fp_denorm_src 0
		.amdhsa_exception_fp_ieee_div_zero 0
		.amdhsa_exception_fp_ieee_overflow 0
		.amdhsa_exception_fp_ieee_underflow 0
		.amdhsa_exception_fp_ieee_inexact 0
		.amdhsa_exception_int_div_zero 0
	.end_amdhsa_kernel
	.section	.text._ZN7rocprim17ROCPRIM_400000_NS6detail17trampoline_kernelINS0_14default_configENS1_38merge_sort_block_merge_config_selectorIiNS0_10empty_typeEEEZZNS1_27merge_sort_block_merge_implIS3_N6thrust23THRUST_200600_302600_NS6detail15normal_iteratorINS9_10device_ptrIiEEEEPS5_m17evens_before_oddsEE10hipError_tT0_T1_T2_jT3_P12ihipStream_tbPNSt15iterator_traitsISI_E10value_typeEPNSO_ISJ_E10value_typeEPSK_NS1_7vsmem_tEENKUlT_SI_SJ_SK_E_clIPiSE_SF_SF_EESH_SX_SI_SJ_SK_EUlSX_E1_NS1_11comp_targetILNS1_3genE10ELNS1_11target_archE1201ELNS1_3gpuE5ELNS1_3repE0EEENS1_36merge_oddeven_config_static_selectorELNS0_4arch9wavefront6targetE1EEEvSJ_,"axG",@progbits,_ZN7rocprim17ROCPRIM_400000_NS6detail17trampoline_kernelINS0_14default_configENS1_38merge_sort_block_merge_config_selectorIiNS0_10empty_typeEEEZZNS1_27merge_sort_block_merge_implIS3_N6thrust23THRUST_200600_302600_NS6detail15normal_iteratorINS9_10device_ptrIiEEEEPS5_m17evens_before_oddsEE10hipError_tT0_T1_T2_jT3_P12ihipStream_tbPNSt15iterator_traitsISI_E10value_typeEPNSO_ISJ_E10value_typeEPSK_NS1_7vsmem_tEENKUlT_SI_SJ_SK_E_clIPiSE_SF_SF_EESH_SX_SI_SJ_SK_EUlSX_E1_NS1_11comp_targetILNS1_3genE10ELNS1_11target_archE1201ELNS1_3gpuE5ELNS1_3repE0EEENS1_36merge_oddeven_config_static_selectorELNS0_4arch9wavefront6targetE1EEEvSJ_,comdat
.Lfunc_end425:
	.size	_ZN7rocprim17ROCPRIM_400000_NS6detail17trampoline_kernelINS0_14default_configENS1_38merge_sort_block_merge_config_selectorIiNS0_10empty_typeEEEZZNS1_27merge_sort_block_merge_implIS3_N6thrust23THRUST_200600_302600_NS6detail15normal_iteratorINS9_10device_ptrIiEEEEPS5_m17evens_before_oddsEE10hipError_tT0_T1_T2_jT3_P12ihipStream_tbPNSt15iterator_traitsISI_E10value_typeEPNSO_ISJ_E10value_typeEPSK_NS1_7vsmem_tEENKUlT_SI_SJ_SK_E_clIPiSE_SF_SF_EESH_SX_SI_SJ_SK_EUlSX_E1_NS1_11comp_targetILNS1_3genE10ELNS1_11target_archE1201ELNS1_3gpuE5ELNS1_3repE0EEENS1_36merge_oddeven_config_static_selectorELNS0_4arch9wavefront6targetE1EEEvSJ_, .Lfunc_end425-_ZN7rocprim17ROCPRIM_400000_NS6detail17trampoline_kernelINS0_14default_configENS1_38merge_sort_block_merge_config_selectorIiNS0_10empty_typeEEEZZNS1_27merge_sort_block_merge_implIS3_N6thrust23THRUST_200600_302600_NS6detail15normal_iteratorINS9_10device_ptrIiEEEEPS5_m17evens_before_oddsEE10hipError_tT0_T1_T2_jT3_P12ihipStream_tbPNSt15iterator_traitsISI_E10value_typeEPNSO_ISJ_E10value_typeEPSK_NS1_7vsmem_tEENKUlT_SI_SJ_SK_E_clIPiSE_SF_SF_EESH_SX_SI_SJ_SK_EUlSX_E1_NS1_11comp_targetILNS1_3genE10ELNS1_11target_archE1201ELNS1_3gpuE5ELNS1_3repE0EEENS1_36merge_oddeven_config_static_selectorELNS0_4arch9wavefront6targetE1EEEvSJ_
                                        ; -- End function
	.set _ZN7rocprim17ROCPRIM_400000_NS6detail17trampoline_kernelINS0_14default_configENS1_38merge_sort_block_merge_config_selectorIiNS0_10empty_typeEEEZZNS1_27merge_sort_block_merge_implIS3_N6thrust23THRUST_200600_302600_NS6detail15normal_iteratorINS9_10device_ptrIiEEEEPS5_m17evens_before_oddsEE10hipError_tT0_T1_T2_jT3_P12ihipStream_tbPNSt15iterator_traitsISI_E10value_typeEPNSO_ISJ_E10value_typeEPSK_NS1_7vsmem_tEENKUlT_SI_SJ_SK_E_clIPiSE_SF_SF_EESH_SX_SI_SJ_SK_EUlSX_E1_NS1_11comp_targetILNS1_3genE10ELNS1_11target_archE1201ELNS1_3gpuE5ELNS1_3repE0EEENS1_36merge_oddeven_config_static_selectorELNS0_4arch9wavefront6targetE1EEEvSJ_.num_vgpr, 0
	.set _ZN7rocprim17ROCPRIM_400000_NS6detail17trampoline_kernelINS0_14default_configENS1_38merge_sort_block_merge_config_selectorIiNS0_10empty_typeEEEZZNS1_27merge_sort_block_merge_implIS3_N6thrust23THRUST_200600_302600_NS6detail15normal_iteratorINS9_10device_ptrIiEEEEPS5_m17evens_before_oddsEE10hipError_tT0_T1_T2_jT3_P12ihipStream_tbPNSt15iterator_traitsISI_E10value_typeEPNSO_ISJ_E10value_typeEPSK_NS1_7vsmem_tEENKUlT_SI_SJ_SK_E_clIPiSE_SF_SF_EESH_SX_SI_SJ_SK_EUlSX_E1_NS1_11comp_targetILNS1_3genE10ELNS1_11target_archE1201ELNS1_3gpuE5ELNS1_3repE0EEENS1_36merge_oddeven_config_static_selectorELNS0_4arch9wavefront6targetE1EEEvSJ_.num_agpr, 0
	.set _ZN7rocprim17ROCPRIM_400000_NS6detail17trampoline_kernelINS0_14default_configENS1_38merge_sort_block_merge_config_selectorIiNS0_10empty_typeEEEZZNS1_27merge_sort_block_merge_implIS3_N6thrust23THRUST_200600_302600_NS6detail15normal_iteratorINS9_10device_ptrIiEEEEPS5_m17evens_before_oddsEE10hipError_tT0_T1_T2_jT3_P12ihipStream_tbPNSt15iterator_traitsISI_E10value_typeEPNSO_ISJ_E10value_typeEPSK_NS1_7vsmem_tEENKUlT_SI_SJ_SK_E_clIPiSE_SF_SF_EESH_SX_SI_SJ_SK_EUlSX_E1_NS1_11comp_targetILNS1_3genE10ELNS1_11target_archE1201ELNS1_3gpuE5ELNS1_3repE0EEENS1_36merge_oddeven_config_static_selectorELNS0_4arch9wavefront6targetE1EEEvSJ_.numbered_sgpr, 0
	.set _ZN7rocprim17ROCPRIM_400000_NS6detail17trampoline_kernelINS0_14default_configENS1_38merge_sort_block_merge_config_selectorIiNS0_10empty_typeEEEZZNS1_27merge_sort_block_merge_implIS3_N6thrust23THRUST_200600_302600_NS6detail15normal_iteratorINS9_10device_ptrIiEEEEPS5_m17evens_before_oddsEE10hipError_tT0_T1_T2_jT3_P12ihipStream_tbPNSt15iterator_traitsISI_E10value_typeEPNSO_ISJ_E10value_typeEPSK_NS1_7vsmem_tEENKUlT_SI_SJ_SK_E_clIPiSE_SF_SF_EESH_SX_SI_SJ_SK_EUlSX_E1_NS1_11comp_targetILNS1_3genE10ELNS1_11target_archE1201ELNS1_3gpuE5ELNS1_3repE0EEENS1_36merge_oddeven_config_static_selectorELNS0_4arch9wavefront6targetE1EEEvSJ_.num_named_barrier, 0
	.set _ZN7rocprim17ROCPRIM_400000_NS6detail17trampoline_kernelINS0_14default_configENS1_38merge_sort_block_merge_config_selectorIiNS0_10empty_typeEEEZZNS1_27merge_sort_block_merge_implIS3_N6thrust23THRUST_200600_302600_NS6detail15normal_iteratorINS9_10device_ptrIiEEEEPS5_m17evens_before_oddsEE10hipError_tT0_T1_T2_jT3_P12ihipStream_tbPNSt15iterator_traitsISI_E10value_typeEPNSO_ISJ_E10value_typeEPSK_NS1_7vsmem_tEENKUlT_SI_SJ_SK_E_clIPiSE_SF_SF_EESH_SX_SI_SJ_SK_EUlSX_E1_NS1_11comp_targetILNS1_3genE10ELNS1_11target_archE1201ELNS1_3gpuE5ELNS1_3repE0EEENS1_36merge_oddeven_config_static_selectorELNS0_4arch9wavefront6targetE1EEEvSJ_.private_seg_size, 0
	.set _ZN7rocprim17ROCPRIM_400000_NS6detail17trampoline_kernelINS0_14default_configENS1_38merge_sort_block_merge_config_selectorIiNS0_10empty_typeEEEZZNS1_27merge_sort_block_merge_implIS3_N6thrust23THRUST_200600_302600_NS6detail15normal_iteratorINS9_10device_ptrIiEEEEPS5_m17evens_before_oddsEE10hipError_tT0_T1_T2_jT3_P12ihipStream_tbPNSt15iterator_traitsISI_E10value_typeEPNSO_ISJ_E10value_typeEPSK_NS1_7vsmem_tEENKUlT_SI_SJ_SK_E_clIPiSE_SF_SF_EESH_SX_SI_SJ_SK_EUlSX_E1_NS1_11comp_targetILNS1_3genE10ELNS1_11target_archE1201ELNS1_3gpuE5ELNS1_3repE0EEENS1_36merge_oddeven_config_static_selectorELNS0_4arch9wavefront6targetE1EEEvSJ_.uses_vcc, 0
	.set _ZN7rocprim17ROCPRIM_400000_NS6detail17trampoline_kernelINS0_14default_configENS1_38merge_sort_block_merge_config_selectorIiNS0_10empty_typeEEEZZNS1_27merge_sort_block_merge_implIS3_N6thrust23THRUST_200600_302600_NS6detail15normal_iteratorINS9_10device_ptrIiEEEEPS5_m17evens_before_oddsEE10hipError_tT0_T1_T2_jT3_P12ihipStream_tbPNSt15iterator_traitsISI_E10value_typeEPNSO_ISJ_E10value_typeEPSK_NS1_7vsmem_tEENKUlT_SI_SJ_SK_E_clIPiSE_SF_SF_EESH_SX_SI_SJ_SK_EUlSX_E1_NS1_11comp_targetILNS1_3genE10ELNS1_11target_archE1201ELNS1_3gpuE5ELNS1_3repE0EEENS1_36merge_oddeven_config_static_selectorELNS0_4arch9wavefront6targetE1EEEvSJ_.uses_flat_scratch, 0
	.set _ZN7rocprim17ROCPRIM_400000_NS6detail17trampoline_kernelINS0_14default_configENS1_38merge_sort_block_merge_config_selectorIiNS0_10empty_typeEEEZZNS1_27merge_sort_block_merge_implIS3_N6thrust23THRUST_200600_302600_NS6detail15normal_iteratorINS9_10device_ptrIiEEEEPS5_m17evens_before_oddsEE10hipError_tT0_T1_T2_jT3_P12ihipStream_tbPNSt15iterator_traitsISI_E10value_typeEPNSO_ISJ_E10value_typeEPSK_NS1_7vsmem_tEENKUlT_SI_SJ_SK_E_clIPiSE_SF_SF_EESH_SX_SI_SJ_SK_EUlSX_E1_NS1_11comp_targetILNS1_3genE10ELNS1_11target_archE1201ELNS1_3gpuE5ELNS1_3repE0EEENS1_36merge_oddeven_config_static_selectorELNS0_4arch9wavefront6targetE1EEEvSJ_.has_dyn_sized_stack, 0
	.set _ZN7rocprim17ROCPRIM_400000_NS6detail17trampoline_kernelINS0_14default_configENS1_38merge_sort_block_merge_config_selectorIiNS0_10empty_typeEEEZZNS1_27merge_sort_block_merge_implIS3_N6thrust23THRUST_200600_302600_NS6detail15normal_iteratorINS9_10device_ptrIiEEEEPS5_m17evens_before_oddsEE10hipError_tT0_T1_T2_jT3_P12ihipStream_tbPNSt15iterator_traitsISI_E10value_typeEPNSO_ISJ_E10value_typeEPSK_NS1_7vsmem_tEENKUlT_SI_SJ_SK_E_clIPiSE_SF_SF_EESH_SX_SI_SJ_SK_EUlSX_E1_NS1_11comp_targetILNS1_3genE10ELNS1_11target_archE1201ELNS1_3gpuE5ELNS1_3repE0EEENS1_36merge_oddeven_config_static_selectorELNS0_4arch9wavefront6targetE1EEEvSJ_.has_recursion, 0
	.set _ZN7rocprim17ROCPRIM_400000_NS6detail17trampoline_kernelINS0_14default_configENS1_38merge_sort_block_merge_config_selectorIiNS0_10empty_typeEEEZZNS1_27merge_sort_block_merge_implIS3_N6thrust23THRUST_200600_302600_NS6detail15normal_iteratorINS9_10device_ptrIiEEEEPS5_m17evens_before_oddsEE10hipError_tT0_T1_T2_jT3_P12ihipStream_tbPNSt15iterator_traitsISI_E10value_typeEPNSO_ISJ_E10value_typeEPSK_NS1_7vsmem_tEENKUlT_SI_SJ_SK_E_clIPiSE_SF_SF_EESH_SX_SI_SJ_SK_EUlSX_E1_NS1_11comp_targetILNS1_3genE10ELNS1_11target_archE1201ELNS1_3gpuE5ELNS1_3repE0EEENS1_36merge_oddeven_config_static_selectorELNS0_4arch9wavefront6targetE1EEEvSJ_.has_indirect_call, 0
	.section	.AMDGPU.csdata,"",@progbits
; Kernel info:
; codeLenInByte = 0
; TotalNumSgprs: 6
; NumVgprs: 0
; NumAgprs: 0
; TotalNumVgprs: 0
; ScratchSize: 0
; MemoryBound: 0
; FloatMode: 240
; IeeeMode: 1
; LDSByteSize: 0 bytes/workgroup (compile time only)
; SGPRBlocks: 0
; VGPRBlocks: 0
; NumSGPRsForWavesPerEU: 6
; NumVGPRsForWavesPerEU: 1
; AccumOffset: 4
; Occupancy: 8
; WaveLimiterHint : 0
; COMPUTE_PGM_RSRC2:SCRATCH_EN: 0
; COMPUTE_PGM_RSRC2:USER_SGPR: 2
; COMPUTE_PGM_RSRC2:TRAP_HANDLER: 0
; COMPUTE_PGM_RSRC2:TGID_X_EN: 1
; COMPUTE_PGM_RSRC2:TGID_Y_EN: 0
; COMPUTE_PGM_RSRC2:TGID_Z_EN: 0
; COMPUTE_PGM_RSRC2:TIDIG_COMP_CNT: 0
; COMPUTE_PGM_RSRC3_GFX90A:ACCUM_OFFSET: 0
; COMPUTE_PGM_RSRC3_GFX90A:TG_SPLIT: 0
	.section	.text._ZN7rocprim17ROCPRIM_400000_NS6detail17trampoline_kernelINS0_14default_configENS1_38merge_sort_block_merge_config_selectorIiNS0_10empty_typeEEEZZNS1_27merge_sort_block_merge_implIS3_N6thrust23THRUST_200600_302600_NS6detail15normal_iteratorINS9_10device_ptrIiEEEEPS5_m17evens_before_oddsEE10hipError_tT0_T1_T2_jT3_P12ihipStream_tbPNSt15iterator_traitsISI_E10value_typeEPNSO_ISJ_E10value_typeEPSK_NS1_7vsmem_tEENKUlT_SI_SJ_SK_E_clIPiSE_SF_SF_EESH_SX_SI_SJ_SK_EUlSX_E1_NS1_11comp_targetILNS1_3genE5ELNS1_11target_archE942ELNS1_3gpuE9ELNS1_3repE0EEENS1_36merge_oddeven_config_static_selectorELNS0_4arch9wavefront6targetE1EEEvSJ_,"axG",@progbits,_ZN7rocprim17ROCPRIM_400000_NS6detail17trampoline_kernelINS0_14default_configENS1_38merge_sort_block_merge_config_selectorIiNS0_10empty_typeEEEZZNS1_27merge_sort_block_merge_implIS3_N6thrust23THRUST_200600_302600_NS6detail15normal_iteratorINS9_10device_ptrIiEEEEPS5_m17evens_before_oddsEE10hipError_tT0_T1_T2_jT3_P12ihipStream_tbPNSt15iterator_traitsISI_E10value_typeEPNSO_ISJ_E10value_typeEPSK_NS1_7vsmem_tEENKUlT_SI_SJ_SK_E_clIPiSE_SF_SF_EESH_SX_SI_SJ_SK_EUlSX_E1_NS1_11comp_targetILNS1_3genE5ELNS1_11target_archE942ELNS1_3gpuE9ELNS1_3repE0EEENS1_36merge_oddeven_config_static_selectorELNS0_4arch9wavefront6targetE1EEEvSJ_,comdat
	.protected	_ZN7rocprim17ROCPRIM_400000_NS6detail17trampoline_kernelINS0_14default_configENS1_38merge_sort_block_merge_config_selectorIiNS0_10empty_typeEEEZZNS1_27merge_sort_block_merge_implIS3_N6thrust23THRUST_200600_302600_NS6detail15normal_iteratorINS9_10device_ptrIiEEEEPS5_m17evens_before_oddsEE10hipError_tT0_T1_T2_jT3_P12ihipStream_tbPNSt15iterator_traitsISI_E10value_typeEPNSO_ISJ_E10value_typeEPSK_NS1_7vsmem_tEENKUlT_SI_SJ_SK_E_clIPiSE_SF_SF_EESH_SX_SI_SJ_SK_EUlSX_E1_NS1_11comp_targetILNS1_3genE5ELNS1_11target_archE942ELNS1_3gpuE9ELNS1_3repE0EEENS1_36merge_oddeven_config_static_selectorELNS0_4arch9wavefront6targetE1EEEvSJ_ ; -- Begin function _ZN7rocprim17ROCPRIM_400000_NS6detail17trampoline_kernelINS0_14default_configENS1_38merge_sort_block_merge_config_selectorIiNS0_10empty_typeEEEZZNS1_27merge_sort_block_merge_implIS3_N6thrust23THRUST_200600_302600_NS6detail15normal_iteratorINS9_10device_ptrIiEEEEPS5_m17evens_before_oddsEE10hipError_tT0_T1_T2_jT3_P12ihipStream_tbPNSt15iterator_traitsISI_E10value_typeEPNSO_ISJ_E10value_typeEPSK_NS1_7vsmem_tEENKUlT_SI_SJ_SK_E_clIPiSE_SF_SF_EESH_SX_SI_SJ_SK_EUlSX_E1_NS1_11comp_targetILNS1_3genE5ELNS1_11target_archE942ELNS1_3gpuE9ELNS1_3repE0EEENS1_36merge_oddeven_config_static_selectorELNS0_4arch9wavefront6targetE1EEEvSJ_
	.globl	_ZN7rocprim17ROCPRIM_400000_NS6detail17trampoline_kernelINS0_14default_configENS1_38merge_sort_block_merge_config_selectorIiNS0_10empty_typeEEEZZNS1_27merge_sort_block_merge_implIS3_N6thrust23THRUST_200600_302600_NS6detail15normal_iteratorINS9_10device_ptrIiEEEEPS5_m17evens_before_oddsEE10hipError_tT0_T1_T2_jT3_P12ihipStream_tbPNSt15iterator_traitsISI_E10value_typeEPNSO_ISJ_E10value_typeEPSK_NS1_7vsmem_tEENKUlT_SI_SJ_SK_E_clIPiSE_SF_SF_EESH_SX_SI_SJ_SK_EUlSX_E1_NS1_11comp_targetILNS1_3genE5ELNS1_11target_archE942ELNS1_3gpuE9ELNS1_3repE0EEENS1_36merge_oddeven_config_static_selectorELNS0_4arch9wavefront6targetE1EEEvSJ_
	.p2align	8
	.type	_ZN7rocprim17ROCPRIM_400000_NS6detail17trampoline_kernelINS0_14default_configENS1_38merge_sort_block_merge_config_selectorIiNS0_10empty_typeEEEZZNS1_27merge_sort_block_merge_implIS3_N6thrust23THRUST_200600_302600_NS6detail15normal_iteratorINS9_10device_ptrIiEEEEPS5_m17evens_before_oddsEE10hipError_tT0_T1_T2_jT3_P12ihipStream_tbPNSt15iterator_traitsISI_E10value_typeEPNSO_ISJ_E10value_typeEPSK_NS1_7vsmem_tEENKUlT_SI_SJ_SK_E_clIPiSE_SF_SF_EESH_SX_SI_SJ_SK_EUlSX_E1_NS1_11comp_targetILNS1_3genE5ELNS1_11target_archE942ELNS1_3gpuE9ELNS1_3repE0EEENS1_36merge_oddeven_config_static_selectorELNS0_4arch9wavefront6targetE1EEEvSJ_,@function
_ZN7rocprim17ROCPRIM_400000_NS6detail17trampoline_kernelINS0_14default_configENS1_38merge_sort_block_merge_config_selectorIiNS0_10empty_typeEEEZZNS1_27merge_sort_block_merge_implIS3_N6thrust23THRUST_200600_302600_NS6detail15normal_iteratorINS9_10device_ptrIiEEEEPS5_m17evens_before_oddsEE10hipError_tT0_T1_T2_jT3_P12ihipStream_tbPNSt15iterator_traitsISI_E10value_typeEPNSO_ISJ_E10value_typeEPSK_NS1_7vsmem_tEENKUlT_SI_SJ_SK_E_clIPiSE_SF_SF_EESH_SX_SI_SJ_SK_EUlSX_E1_NS1_11comp_targetILNS1_3genE5ELNS1_11target_archE942ELNS1_3gpuE9ELNS1_3repE0EEENS1_36merge_oddeven_config_static_selectorELNS0_4arch9wavefront6targetE1EEEvSJ_: ; @_ZN7rocprim17ROCPRIM_400000_NS6detail17trampoline_kernelINS0_14default_configENS1_38merge_sort_block_merge_config_selectorIiNS0_10empty_typeEEEZZNS1_27merge_sort_block_merge_implIS3_N6thrust23THRUST_200600_302600_NS6detail15normal_iteratorINS9_10device_ptrIiEEEEPS5_m17evens_before_oddsEE10hipError_tT0_T1_T2_jT3_P12ihipStream_tbPNSt15iterator_traitsISI_E10value_typeEPNSO_ISJ_E10value_typeEPSK_NS1_7vsmem_tEENKUlT_SI_SJ_SK_E_clIPiSE_SF_SF_EESH_SX_SI_SJ_SK_EUlSX_E1_NS1_11comp_targetILNS1_3genE5ELNS1_11target_archE942ELNS1_3gpuE9ELNS1_3repE0EEENS1_36merge_oddeven_config_static_selectorELNS0_4arch9wavefront6targetE1EEEvSJ_
; %bb.0:
	.section	.rodata,"a",@progbits
	.p2align	6, 0x0
	.amdhsa_kernel _ZN7rocprim17ROCPRIM_400000_NS6detail17trampoline_kernelINS0_14default_configENS1_38merge_sort_block_merge_config_selectorIiNS0_10empty_typeEEEZZNS1_27merge_sort_block_merge_implIS3_N6thrust23THRUST_200600_302600_NS6detail15normal_iteratorINS9_10device_ptrIiEEEEPS5_m17evens_before_oddsEE10hipError_tT0_T1_T2_jT3_P12ihipStream_tbPNSt15iterator_traitsISI_E10value_typeEPNSO_ISJ_E10value_typeEPSK_NS1_7vsmem_tEENKUlT_SI_SJ_SK_E_clIPiSE_SF_SF_EESH_SX_SI_SJ_SK_EUlSX_E1_NS1_11comp_targetILNS1_3genE5ELNS1_11target_archE942ELNS1_3gpuE9ELNS1_3repE0EEENS1_36merge_oddeven_config_static_selectorELNS0_4arch9wavefront6targetE1EEEvSJ_
		.amdhsa_group_segment_fixed_size 0
		.amdhsa_private_segment_fixed_size 0
		.amdhsa_kernarg_size 56
		.amdhsa_user_sgpr_count 2
		.amdhsa_user_sgpr_dispatch_ptr 0
		.amdhsa_user_sgpr_queue_ptr 0
		.amdhsa_user_sgpr_kernarg_segment_ptr 1
		.amdhsa_user_sgpr_dispatch_id 0
		.amdhsa_user_sgpr_kernarg_preload_length 0
		.amdhsa_user_sgpr_kernarg_preload_offset 0
		.amdhsa_user_sgpr_private_segment_size 0
		.amdhsa_uses_dynamic_stack 0
		.amdhsa_enable_private_segment 0
		.amdhsa_system_sgpr_workgroup_id_x 1
		.amdhsa_system_sgpr_workgroup_id_y 0
		.amdhsa_system_sgpr_workgroup_id_z 0
		.amdhsa_system_sgpr_workgroup_info 0
		.amdhsa_system_vgpr_workitem_id 0
		.amdhsa_next_free_vgpr 1
		.amdhsa_next_free_sgpr 0
		.amdhsa_accum_offset 4
		.amdhsa_reserve_vcc 0
		.amdhsa_float_round_mode_32 0
		.amdhsa_float_round_mode_16_64 0
		.amdhsa_float_denorm_mode_32 3
		.amdhsa_float_denorm_mode_16_64 3
		.amdhsa_dx10_clamp 1
		.amdhsa_ieee_mode 1
		.amdhsa_fp16_overflow 0
		.amdhsa_tg_split 0
		.amdhsa_exception_fp_ieee_invalid_op 0
		.amdhsa_exception_fp_denorm_src 0
		.amdhsa_exception_fp_ieee_div_zero 0
		.amdhsa_exception_fp_ieee_overflow 0
		.amdhsa_exception_fp_ieee_underflow 0
		.amdhsa_exception_fp_ieee_inexact 0
		.amdhsa_exception_int_div_zero 0
	.end_amdhsa_kernel
	.section	.text._ZN7rocprim17ROCPRIM_400000_NS6detail17trampoline_kernelINS0_14default_configENS1_38merge_sort_block_merge_config_selectorIiNS0_10empty_typeEEEZZNS1_27merge_sort_block_merge_implIS3_N6thrust23THRUST_200600_302600_NS6detail15normal_iteratorINS9_10device_ptrIiEEEEPS5_m17evens_before_oddsEE10hipError_tT0_T1_T2_jT3_P12ihipStream_tbPNSt15iterator_traitsISI_E10value_typeEPNSO_ISJ_E10value_typeEPSK_NS1_7vsmem_tEENKUlT_SI_SJ_SK_E_clIPiSE_SF_SF_EESH_SX_SI_SJ_SK_EUlSX_E1_NS1_11comp_targetILNS1_3genE5ELNS1_11target_archE942ELNS1_3gpuE9ELNS1_3repE0EEENS1_36merge_oddeven_config_static_selectorELNS0_4arch9wavefront6targetE1EEEvSJ_,"axG",@progbits,_ZN7rocprim17ROCPRIM_400000_NS6detail17trampoline_kernelINS0_14default_configENS1_38merge_sort_block_merge_config_selectorIiNS0_10empty_typeEEEZZNS1_27merge_sort_block_merge_implIS3_N6thrust23THRUST_200600_302600_NS6detail15normal_iteratorINS9_10device_ptrIiEEEEPS5_m17evens_before_oddsEE10hipError_tT0_T1_T2_jT3_P12ihipStream_tbPNSt15iterator_traitsISI_E10value_typeEPNSO_ISJ_E10value_typeEPSK_NS1_7vsmem_tEENKUlT_SI_SJ_SK_E_clIPiSE_SF_SF_EESH_SX_SI_SJ_SK_EUlSX_E1_NS1_11comp_targetILNS1_3genE5ELNS1_11target_archE942ELNS1_3gpuE9ELNS1_3repE0EEENS1_36merge_oddeven_config_static_selectorELNS0_4arch9wavefront6targetE1EEEvSJ_,comdat
.Lfunc_end426:
	.size	_ZN7rocprim17ROCPRIM_400000_NS6detail17trampoline_kernelINS0_14default_configENS1_38merge_sort_block_merge_config_selectorIiNS0_10empty_typeEEEZZNS1_27merge_sort_block_merge_implIS3_N6thrust23THRUST_200600_302600_NS6detail15normal_iteratorINS9_10device_ptrIiEEEEPS5_m17evens_before_oddsEE10hipError_tT0_T1_T2_jT3_P12ihipStream_tbPNSt15iterator_traitsISI_E10value_typeEPNSO_ISJ_E10value_typeEPSK_NS1_7vsmem_tEENKUlT_SI_SJ_SK_E_clIPiSE_SF_SF_EESH_SX_SI_SJ_SK_EUlSX_E1_NS1_11comp_targetILNS1_3genE5ELNS1_11target_archE942ELNS1_3gpuE9ELNS1_3repE0EEENS1_36merge_oddeven_config_static_selectorELNS0_4arch9wavefront6targetE1EEEvSJ_, .Lfunc_end426-_ZN7rocprim17ROCPRIM_400000_NS6detail17trampoline_kernelINS0_14default_configENS1_38merge_sort_block_merge_config_selectorIiNS0_10empty_typeEEEZZNS1_27merge_sort_block_merge_implIS3_N6thrust23THRUST_200600_302600_NS6detail15normal_iteratorINS9_10device_ptrIiEEEEPS5_m17evens_before_oddsEE10hipError_tT0_T1_T2_jT3_P12ihipStream_tbPNSt15iterator_traitsISI_E10value_typeEPNSO_ISJ_E10value_typeEPSK_NS1_7vsmem_tEENKUlT_SI_SJ_SK_E_clIPiSE_SF_SF_EESH_SX_SI_SJ_SK_EUlSX_E1_NS1_11comp_targetILNS1_3genE5ELNS1_11target_archE942ELNS1_3gpuE9ELNS1_3repE0EEENS1_36merge_oddeven_config_static_selectorELNS0_4arch9wavefront6targetE1EEEvSJ_
                                        ; -- End function
	.set _ZN7rocprim17ROCPRIM_400000_NS6detail17trampoline_kernelINS0_14default_configENS1_38merge_sort_block_merge_config_selectorIiNS0_10empty_typeEEEZZNS1_27merge_sort_block_merge_implIS3_N6thrust23THRUST_200600_302600_NS6detail15normal_iteratorINS9_10device_ptrIiEEEEPS5_m17evens_before_oddsEE10hipError_tT0_T1_T2_jT3_P12ihipStream_tbPNSt15iterator_traitsISI_E10value_typeEPNSO_ISJ_E10value_typeEPSK_NS1_7vsmem_tEENKUlT_SI_SJ_SK_E_clIPiSE_SF_SF_EESH_SX_SI_SJ_SK_EUlSX_E1_NS1_11comp_targetILNS1_3genE5ELNS1_11target_archE942ELNS1_3gpuE9ELNS1_3repE0EEENS1_36merge_oddeven_config_static_selectorELNS0_4arch9wavefront6targetE1EEEvSJ_.num_vgpr, 0
	.set _ZN7rocprim17ROCPRIM_400000_NS6detail17trampoline_kernelINS0_14default_configENS1_38merge_sort_block_merge_config_selectorIiNS0_10empty_typeEEEZZNS1_27merge_sort_block_merge_implIS3_N6thrust23THRUST_200600_302600_NS6detail15normal_iteratorINS9_10device_ptrIiEEEEPS5_m17evens_before_oddsEE10hipError_tT0_T1_T2_jT3_P12ihipStream_tbPNSt15iterator_traitsISI_E10value_typeEPNSO_ISJ_E10value_typeEPSK_NS1_7vsmem_tEENKUlT_SI_SJ_SK_E_clIPiSE_SF_SF_EESH_SX_SI_SJ_SK_EUlSX_E1_NS1_11comp_targetILNS1_3genE5ELNS1_11target_archE942ELNS1_3gpuE9ELNS1_3repE0EEENS1_36merge_oddeven_config_static_selectorELNS0_4arch9wavefront6targetE1EEEvSJ_.num_agpr, 0
	.set _ZN7rocprim17ROCPRIM_400000_NS6detail17trampoline_kernelINS0_14default_configENS1_38merge_sort_block_merge_config_selectorIiNS0_10empty_typeEEEZZNS1_27merge_sort_block_merge_implIS3_N6thrust23THRUST_200600_302600_NS6detail15normal_iteratorINS9_10device_ptrIiEEEEPS5_m17evens_before_oddsEE10hipError_tT0_T1_T2_jT3_P12ihipStream_tbPNSt15iterator_traitsISI_E10value_typeEPNSO_ISJ_E10value_typeEPSK_NS1_7vsmem_tEENKUlT_SI_SJ_SK_E_clIPiSE_SF_SF_EESH_SX_SI_SJ_SK_EUlSX_E1_NS1_11comp_targetILNS1_3genE5ELNS1_11target_archE942ELNS1_3gpuE9ELNS1_3repE0EEENS1_36merge_oddeven_config_static_selectorELNS0_4arch9wavefront6targetE1EEEvSJ_.numbered_sgpr, 0
	.set _ZN7rocprim17ROCPRIM_400000_NS6detail17trampoline_kernelINS0_14default_configENS1_38merge_sort_block_merge_config_selectorIiNS0_10empty_typeEEEZZNS1_27merge_sort_block_merge_implIS3_N6thrust23THRUST_200600_302600_NS6detail15normal_iteratorINS9_10device_ptrIiEEEEPS5_m17evens_before_oddsEE10hipError_tT0_T1_T2_jT3_P12ihipStream_tbPNSt15iterator_traitsISI_E10value_typeEPNSO_ISJ_E10value_typeEPSK_NS1_7vsmem_tEENKUlT_SI_SJ_SK_E_clIPiSE_SF_SF_EESH_SX_SI_SJ_SK_EUlSX_E1_NS1_11comp_targetILNS1_3genE5ELNS1_11target_archE942ELNS1_3gpuE9ELNS1_3repE0EEENS1_36merge_oddeven_config_static_selectorELNS0_4arch9wavefront6targetE1EEEvSJ_.num_named_barrier, 0
	.set _ZN7rocprim17ROCPRIM_400000_NS6detail17trampoline_kernelINS0_14default_configENS1_38merge_sort_block_merge_config_selectorIiNS0_10empty_typeEEEZZNS1_27merge_sort_block_merge_implIS3_N6thrust23THRUST_200600_302600_NS6detail15normal_iteratorINS9_10device_ptrIiEEEEPS5_m17evens_before_oddsEE10hipError_tT0_T1_T2_jT3_P12ihipStream_tbPNSt15iterator_traitsISI_E10value_typeEPNSO_ISJ_E10value_typeEPSK_NS1_7vsmem_tEENKUlT_SI_SJ_SK_E_clIPiSE_SF_SF_EESH_SX_SI_SJ_SK_EUlSX_E1_NS1_11comp_targetILNS1_3genE5ELNS1_11target_archE942ELNS1_3gpuE9ELNS1_3repE0EEENS1_36merge_oddeven_config_static_selectorELNS0_4arch9wavefront6targetE1EEEvSJ_.private_seg_size, 0
	.set _ZN7rocprim17ROCPRIM_400000_NS6detail17trampoline_kernelINS0_14default_configENS1_38merge_sort_block_merge_config_selectorIiNS0_10empty_typeEEEZZNS1_27merge_sort_block_merge_implIS3_N6thrust23THRUST_200600_302600_NS6detail15normal_iteratorINS9_10device_ptrIiEEEEPS5_m17evens_before_oddsEE10hipError_tT0_T1_T2_jT3_P12ihipStream_tbPNSt15iterator_traitsISI_E10value_typeEPNSO_ISJ_E10value_typeEPSK_NS1_7vsmem_tEENKUlT_SI_SJ_SK_E_clIPiSE_SF_SF_EESH_SX_SI_SJ_SK_EUlSX_E1_NS1_11comp_targetILNS1_3genE5ELNS1_11target_archE942ELNS1_3gpuE9ELNS1_3repE0EEENS1_36merge_oddeven_config_static_selectorELNS0_4arch9wavefront6targetE1EEEvSJ_.uses_vcc, 0
	.set _ZN7rocprim17ROCPRIM_400000_NS6detail17trampoline_kernelINS0_14default_configENS1_38merge_sort_block_merge_config_selectorIiNS0_10empty_typeEEEZZNS1_27merge_sort_block_merge_implIS3_N6thrust23THRUST_200600_302600_NS6detail15normal_iteratorINS9_10device_ptrIiEEEEPS5_m17evens_before_oddsEE10hipError_tT0_T1_T2_jT3_P12ihipStream_tbPNSt15iterator_traitsISI_E10value_typeEPNSO_ISJ_E10value_typeEPSK_NS1_7vsmem_tEENKUlT_SI_SJ_SK_E_clIPiSE_SF_SF_EESH_SX_SI_SJ_SK_EUlSX_E1_NS1_11comp_targetILNS1_3genE5ELNS1_11target_archE942ELNS1_3gpuE9ELNS1_3repE0EEENS1_36merge_oddeven_config_static_selectorELNS0_4arch9wavefront6targetE1EEEvSJ_.uses_flat_scratch, 0
	.set _ZN7rocprim17ROCPRIM_400000_NS6detail17trampoline_kernelINS0_14default_configENS1_38merge_sort_block_merge_config_selectorIiNS0_10empty_typeEEEZZNS1_27merge_sort_block_merge_implIS3_N6thrust23THRUST_200600_302600_NS6detail15normal_iteratorINS9_10device_ptrIiEEEEPS5_m17evens_before_oddsEE10hipError_tT0_T1_T2_jT3_P12ihipStream_tbPNSt15iterator_traitsISI_E10value_typeEPNSO_ISJ_E10value_typeEPSK_NS1_7vsmem_tEENKUlT_SI_SJ_SK_E_clIPiSE_SF_SF_EESH_SX_SI_SJ_SK_EUlSX_E1_NS1_11comp_targetILNS1_3genE5ELNS1_11target_archE942ELNS1_3gpuE9ELNS1_3repE0EEENS1_36merge_oddeven_config_static_selectorELNS0_4arch9wavefront6targetE1EEEvSJ_.has_dyn_sized_stack, 0
	.set _ZN7rocprim17ROCPRIM_400000_NS6detail17trampoline_kernelINS0_14default_configENS1_38merge_sort_block_merge_config_selectorIiNS0_10empty_typeEEEZZNS1_27merge_sort_block_merge_implIS3_N6thrust23THRUST_200600_302600_NS6detail15normal_iteratorINS9_10device_ptrIiEEEEPS5_m17evens_before_oddsEE10hipError_tT0_T1_T2_jT3_P12ihipStream_tbPNSt15iterator_traitsISI_E10value_typeEPNSO_ISJ_E10value_typeEPSK_NS1_7vsmem_tEENKUlT_SI_SJ_SK_E_clIPiSE_SF_SF_EESH_SX_SI_SJ_SK_EUlSX_E1_NS1_11comp_targetILNS1_3genE5ELNS1_11target_archE942ELNS1_3gpuE9ELNS1_3repE0EEENS1_36merge_oddeven_config_static_selectorELNS0_4arch9wavefront6targetE1EEEvSJ_.has_recursion, 0
	.set _ZN7rocprim17ROCPRIM_400000_NS6detail17trampoline_kernelINS0_14default_configENS1_38merge_sort_block_merge_config_selectorIiNS0_10empty_typeEEEZZNS1_27merge_sort_block_merge_implIS3_N6thrust23THRUST_200600_302600_NS6detail15normal_iteratorINS9_10device_ptrIiEEEEPS5_m17evens_before_oddsEE10hipError_tT0_T1_T2_jT3_P12ihipStream_tbPNSt15iterator_traitsISI_E10value_typeEPNSO_ISJ_E10value_typeEPSK_NS1_7vsmem_tEENKUlT_SI_SJ_SK_E_clIPiSE_SF_SF_EESH_SX_SI_SJ_SK_EUlSX_E1_NS1_11comp_targetILNS1_3genE5ELNS1_11target_archE942ELNS1_3gpuE9ELNS1_3repE0EEENS1_36merge_oddeven_config_static_selectorELNS0_4arch9wavefront6targetE1EEEvSJ_.has_indirect_call, 0
	.section	.AMDGPU.csdata,"",@progbits
; Kernel info:
; codeLenInByte = 0
; TotalNumSgprs: 6
; NumVgprs: 0
; NumAgprs: 0
; TotalNumVgprs: 0
; ScratchSize: 0
; MemoryBound: 0
; FloatMode: 240
; IeeeMode: 1
; LDSByteSize: 0 bytes/workgroup (compile time only)
; SGPRBlocks: 0
; VGPRBlocks: 0
; NumSGPRsForWavesPerEU: 6
; NumVGPRsForWavesPerEU: 1
; AccumOffset: 4
; Occupancy: 8
; WaveLimiterHint : 0
; COMPUTE_PGM_RSRC2:SCRATCH_EN: 0
; COMPUTE_PGM_RSRC2:USER_SGPR: 2
; COMPUTE_PGM_RSRC2:TRAP_HANDLER: 0
; COMPUTE_PGM_RSRC2:TGID_X_EN: 1
; COMPUTE_PGM_RSRC2:TGID_Y_EN: 0
; COMPUTE_PGM_RSRC2:TGID_Z_EN: 0
; COMPUTE_PGM_RSRC2:TIDIG_COMP_CNT: 0
; COMPUTE_PGM_RSRC3_GFX90A:ACCUM_OFFSET: 0
; COMPUTE_PGM_RSRC3_GFX90A:TG_SPLIT: 0
	.section	.text._ZN7rocprim17ROCPRIM_400000_NS6detail17trampoline_kernelINS0_14default_configENS1_38merge_sort_block_merge_config_selectorIiNS0_10empty_typeEEEZZNS1_27merge_sort_block_merge_implIS3_N6thrust23THRUST_200600_302600_NS6detail15normal_iteratorINS9_10device_ptrIiEEEEPS5_m17evens_before_oddsEE10hipError_tT0_T1_T2_jT3_P12ihipStream_tbPNSt15iterator_traitsISI_E10value_typeEPNSO_ISJ_E10value_typeEPSK_NS1_7vsmem_tEENKUlT_SI_SJ_SK_E_clIPiSE_SF_SF_EESH_SX_SI_SJ_SK_EUlSX_E1_NS1_11comp_targetILNS1_3genE4ELNS1_11target_archE910ELNS1_3gpuE8ELNS1_3repE0EEENS1_36merge_oddeven_config_static_selectorELNS0_4arch9wavefront6targetE1EEEvSJ_,"axG",@progbits,_ZN7rocprim17ROCPRIM_400000_NS6detail17trampoline_kernelINS0_14default_configENS1_38merge_sort_block_merge_config_selectorIiNS0_10empty_typeEEEZZNS1_27merge_sort_block_merge_implIS3_N6thrust23THRUST_200600_302600_NS6detail15normal_iteratorINS9_10device_ptrIiEEEEPS5_m17evens_before_oddsEE10hipError_tT0_T1_T2_jT3_P12ihipStream_tbPNSt15iterator_traitsISI_E10value_typeEPNSO_ISJ_E10value_typeEPSK_NS1_7vsmem_tEENKUlT_SI_SJ_SK_E_clIPiSE_SF_SF_EESH_SX_SI_SJ_SK_EUlSX_E1_NS1_11comp_targetILNS1_3genE4ELNS1_11target_archE910ELNS1_3gpuE8ELNS1_3repE0EEENS1_36merge_oddeven_config_static_selectorELNS0_4arch9wavefront6targetE1EEEvSJ_,comdat
	.protected	_ZN7rocprim17ROCPRIM_400000_NS6detail17trampoline_kernelINS0_14default_configENS1_38merge_sort_block_merge_config_selectorIiNS0_10empty_typeEEEZZNS1_27merge_sort_block_merge_implIS3_N6thrust23THRUST_200600_302600_NS6detail15normal_iteratorINS9_10device_ptrIiEEEEPS5_m17evens_before_oddsEE10hipError_tT0_T1_T2_jT3_P12ihipStream_tbPNSt15iterator_traitsISI_E10value_typeEPNSO_ISJ_E10value_typeEPSK_NS1_7vsmem_tEENKUlT_SI_SJ_SK_E_clIPiSE_SF_SF_EESH_SX_SI_SJ_SK_EUlSX_E1_NS1_11comp_targetILNS1_3genE4ELNS1_11target_archE910ELNS1_3gpuE8ELNS1_3repE0EEENS1_36merge_oddeven_config_static_selectorELNS0_4arch9wavefront6targetE1EEEvSJ_ ; -- Begin function _ZN7rocprim17ROCPRIM_400000_NS6detail17trampoline_kernelINS0_14default_configENS1_38merge_sort_block_merge_config_selectorIiNS0_10empty_typeEEEZZNS1_27merge_sort_block_merge_implIS3_N6thrust23THRUST_200600_302600_NS6detail15normal_iteratorINS9_10device_ptrIiEEEEPS5_m17evens_before_oddsEE10hipError_tT0_T1_T2_jT3_P12ihipStream_tbPNSt15iterator_traitsISI_E10value_typeEPNSO_ISJ_E10value_typeEPSK_NS1_7vsmem_tEENKUlT_SI_SJ_SK_E_clIPiSE_SF_SF_EESH_SX_SI_SJ_SK_EUlSX_E1_NS1_11comp_targetILNS1_3genE4ELNS1_11target_archE910ELNS1_3gpuE8ELNS1_3repE0EEENS1_36merge_oddeven_config_static_selectorELNS0_4arch9wavefront6targetE1EEEvSJ_
	.globl	_ZN7rocprim17ROCPRIM_400000_NS6detail17trampoline_kernelINS0_14default_configENS1_38merge_sort_block_merge_config_selectorIiNS0_10empty_typeEEEZZNS1_27merge_sort_block_merge_implIS3_N6thrust23THRUST_200600_302600_NS6detail15normal_iteratorINS9_10device_ptrIiEEEEPS5_m17evens_before_oddsEE10hipError_tT0_T1_T2_jT3_P12ihipStream_tbPNSt15iterator_traitsISI_E10value_typeEPNSO_ISJ_E10value_typeEPSK_NS1_7vsmem_tEENKUlT_SI_SJ_SK_E_clIPiSE_SF_SF_EESH_SX_SI_SJ_SK_EUlSX_E1_NS1_11comp_targetILNS1_3genE4ELNS1_11target_archE910ELNS1_3gpuE8ELNS1_3repE0EEENS1_36merge_oddeven_config_static_selectorELNS0_4arch9wavefront6targetE1EEEvSJ_
	.p2align	8
	.type	_ZN7rocprim17ROCPRIM_400000_NS6detail17trampoline_kernelINS0_14default_configENS1_38merge_sort_block_merge_config_selectorIiNS0_10empty_typeEEEZZNS1_27merge_sort_block_merge_implIS3_N6thrust23THRUST_200600_302600_NS6detail15normal_iteratorINS9_10device_ptrIiEEEEPS5_m17evens_before_oddsEE10hipError_tT0_T1_T2_jT3_P12ihipStream_tbPNSt15iterator_traitsISI_E10value_typeEPNSO_ISJ_E10value_typeEPSK_NS1_7vsmem_tEENKUlT_SI_SJ_SK_E_clIPiSE_SF_SF_EESH_SX_SI_SJ_SK_EUlSX_E1_NS1_11comp_targetILNS1_3genE4ELNS1_11target_archE910ELNS1_3gpuE8ELNS1_3repE0EEENS1_36merge_oddeven_config_static_selectorELNS0_4arch9wavefront6targetE1EEEvSJ_,@function
_ZN7rocprim17ROCPRIM_400000_NS6detail17trampoline_kernelINS0_14default_configENS1_38merge_sort_block_merge_config_selectorIiNS0_10empty_typeEEEZZNS1_27merge_sort_block_merge_implIS3_N6thrust23THRUST_200600_302600_NS6detail15normal_iteratorINS9_10device_ptrIiEEEEPS5_m17evens_before_oddsEE10hipError_tT0_T1_T2_jT3_P12ihipStream_tbPNSt15iterator_traitsISI_E10value_typeEPNSO_ISJ_E10value_typeEPSK_NS1_7vsmem_tEENKUlT_SI_SJ_SK_E_clIPiSE_SF_SF_EESH_SX_SI_SJ_SK_EUlSX_E1_NS1_11comp_targetILNS1_3genE4ELNS1_11target_archE910ELNS1_3gpuE8ELNS1_3repE0EEENS1_36merge_oddeven_config_static_selectorELNS0_4arch9wavefront6targetE1EEEvSJ_: ; @_ZN7rocprim17ROCPRIM_400000_NS6detail17trampoline_kernelINS0_14default_configENS1_38merge_sort_block_merge_config_selectorIiNS0_10empty_typeEEEZZNS1_27merge_sort_block_merge_implIS3_N6thrust23THRUST_200600_302600_NS6detail15normal_iteratorINS9_10device_ptrIiEEEEPS5_m17evens_before_oddsEE10hipError_tT0_T1_T2_jT3_P12ihipStream_tbPNSt15iterator_traitsISI_E10value_typeEPNSO_ISJ_E10value_typeEPSK_NS1_7vsmem_tEENKUlT_SI_SJ_SK_E_clIPiSE_SF_SF_EESH_SX_SI_SJ_SK_EUlSX_E1_NS1_11comp_targetILNS1_3genE4ELNS1_11target_archE910ELNS1_3gpuE8ELNS1_3repE0EEENS1_36merge_oddeven_config_static_selectorELNS0_4arch9wavefront6targetE1EEEvSJ_
; %bb.0:
	.section	.rodata,"a",@progbits
	.p2align	6, 0x0
	.amdhsa_kernel _ZN7rocprim17ROCPRIM_400000_NS6detail17trampoline_kernelINS0_14default_configENS1_38merge_sort_block_merge_config_selectorIiNS0_10empty_typeEEEZZNS1_27merge_sort_block_merge_implIS3_N6thrust23THRUST_200600_302600_NS6detail15normal_iteratorINS9_10device_ptrIiEEEEPS5_m17evens_before_oddsEE10hipError_tT0_T1_T2_jT3_P12ihipStream_tbPNSt15iterator_traitsISI_E10value_typeEPNSO_ISJ_E10value_typeEPSK_NS1_7vsmem_tEENKUlT_SI_SJ_SK_E_clIPiSE_SF_SF_EESH_SX_SI_SJ_SK_EUlSX_E1_NS1_11comp_targetILNS1_3genE4ELNS1_11target_archE910ELNS1_3gpuE8ELNS1_3repE0EEENS1_36merge_oddeven_config_static_selectorELNS0_4arch9wavefront6targetE1EEEvSJ_
		.amdhsa_group_segment_fixed_size 0
		.amdhsa_private_segment_fixed_size 0
		.amdhsa_kernarg_size 56
		.amdhsa_user_sgpr_count 2
		.amdhsa_user_sgpr_dispatch_ptr 0
		.amdhsa_user_sgpr_queue_ptr 0
		.amdhsa_user_sgpr_kernarg_segment_ptr 1
		.amdhsa_user_sgpr_dispatch_id 0
		.amdhsa_user_sgpr_kernarg_preload_length 0
		.amdhsa_user_sgpr_kernarg_preload_offset 0
		.amdhsa_user_sgpr_private_segment_size 0
		.amdhsa_uses_dynamic_stack 0
		.amdhsa_enable_private_segment 0
		.amdhsa_system_sgpr_workgroup_id_x 1
		.amdhsa_system_sgpr_workgroup_id_y 0
		.amdhsa_system_sgpr_workgroup_id_z 0
		.amdhsa_system_sgpr_workgroup_info 0
		.amdhsa_system_vgpr_workitem_id 0
		.amdhsa_next_free_vgpr 1
		.amdhsa_next_free_sgpr 0
		.amdhsa_accum_offset 4
		.amdhsa_reserve_vcc 0
		.amdhsa_float_round_mode_32 0
		.amdhsa_float_round_mode_16_64 0
		.amdhsa_float_denorm_mode_32 3
		.amdhsa_float_denorm_mode_16_64 3
		.amdhsa_dx10_clamp 1
		.amdhsa_ieee_mode 1
		.amdhsa_fp16_overflow 0
		.amdhsa_tg_split 0
		.amdhsa_exception_fp_ieee_invalid_op 0
		.amdhsa_exception_fp_denorm_src 0
		.amdhsa_exception_fp_ieee_div_zero 0
		.amdhsa_exception_fp_ieee_overflow 0
		.amdhsa_exception_fp_ieee_underflow 0
		.amdhsa_exception_fp_ieee_inexact 0
		.amdhsa_exception_int_div_zero 0
	.end_amdhsa_kernel
	.section	.text._ZN7rocprim17ROCPRIM_400000_NS6detail17trampoline_kernelINS0_14default_configENS1_38merge_sort_block_merge_config_selectorIiNS0_10empty_typeEEEZZNS1_27merge_sort_block_merge_implIS3_N6thrust23THRUST_200600_302600_NS6detail15normal_iteratorINS9_10device_ptrIiEEEEPS5_m17evens_before_oddsEE10hipError_tT0_T1_T2_jT3_P12ihipStream_tbPNSt15iterator_traitsISI_E10value_typeEPNSO_ISJ_E10value_typeEPSK_NS1_7vsmem_tEENKUlT_SI_SJ_SK_E_clIPiSE_SF_SF_EESH_SX_SI_SJ_SK_EUlSX_E1_NS1_11comp_targetILNS1_3genE4ELNS1_11target_archE910ELNS1_3gpuE8ELNS1_3repE0EEENS1_36merge_oddeven_config_static_selectorELNS0_4arch9wavefront6targetE1EEEvSJ_,"axG",@progbits,_ZN7rocprim17ROCPRIM_400000_NS6detail17trampoline_kernelINS0_14default_configENS1_38merge_sort_block_merge_config_selectorIiNS0_10empty_typeEEEZZNS1_27merge_sort_block_merge_implIS3_N6thrust23THRUST_200600_302600_NS6detail15normal_iteratorINS9_10device_ptrIiEEEEPS5_m17evens_before_oddsEE10hipError_tT0_T1_T2_jT3_P12ihipStream_tbPNSt15iterator_traitsISI_E10value_typeEPNSO_ISJ_E10value_typeEPSK_NS1_7vsmem_tEENKUlT_SI_SJ_SK_E_clIPiSE_SF_SF_EESH_SX_SI_SJ_SK_EUlSX_E1_NS1_11comp_targetILNS1_3genE4ELNS1_11target_archE910ELNS1_3gpuE8ELNS1_3repE0EEENS1_36merge_oddeven_config_static_selectorELNS0_4arch9wavefront6targetE1EEEvSJ_,comdat
.Lfunc_end427:
	.size	_ZN7rocprim17ROCPRIM_400000_NS6detail17trampoline_kernelINS0_14default_configENS1_38merge_sort_block_merge_config_selectorIiNS0_10empty_typeEEEZZNS1_27merge_sort_block_merge_implIS3_N6thrust23THRUST_200600_302600_NS6detail15normal_iteratorINS9_10device_ptrIiEEEEPS5_m17evens_before_oddsEE10hipError_tT0_T1_T2_jT3_P12ihipStream_tbPNSt15iterator_traitsISI_E10value_typeEPNSO_ISJ_E10value_typeEPSK_NS1_7vsmem_tEENKUlT_SI_SJ_SK_E_clIPiSE_SF_SF_EESH_SX_SI_SJ_SK_EUlSX_E1_NS1_11comp_targetILNS1_3genE4ELNS1_11target_archE910ELNS1_3gpuE8ELNS1_3repE0EEENS1_36merge_oddeven_config_static_selectorELNS0_4arch9wavefront6targetE1EEEvSJ_, .Lfunc_end427-_ZN7rocprim17ROCPRIM_400000_NS6detail17trampoline_kernelINS0_14default_configENS1_38merge_sort_block_merge_config_selectorIiNS0_10empty_typeEEEZZNS1_27merge_sort_block_merge_implIS3_N6thrust23THRUST_200600_302600_NS6detail15normal_iteratorINS9_10device_ptrIiEEEEPS5_m17evens_before_oddsEE10hipError_tT0_T1_T2_jT3_P12ihipStream_tbPNSt15iterator_traitsISI_E10value_typeEPNSO_ISJ_E10value_typeEPSK_NS1_7vsmem_tEENKUlT_SI_SJ_SK_E_clIPiSE_SF_SF_EESH_SX_SI_SJ_SK_EUlSX_E1_NS1_11comp_targetILNS1_3genE4ELNS1_11target_archE910ELNS1_3gpuE8ELNS1_3repE0EEENS1_36merge_oddeven_config_static_selectorELNS0_4arch9wavefront6targetE1EEEvSJ_
                                        ; -- End function
	.set _ZN7rocprim17ROCPRIM_400000_NS6detail17trampoline_kernelINS0_14default_configENS1_38merge_sort_block_merge_config_selectorIiNS0_10empty_typeEEEZZNS1_27merge_sort_block_merge_implIS3_N6thrust23THRUST_200600_302600_NS6detail15normal_iteratorINS9_10device_ptrIiEEEEPS5_m17evens_before_oddsEE10hipError_tT0_T1_T2_jT3_P12ihipStream_tbPNSt15iterator_traitsISI_E10value_typeEPNSO_ISJ_E10value_typeEPSK_NS1_7vsmem_tEENKUlT_SI_SJ_SK_E_clIPiSE_SF_SF_EESH_SX_SI_SJ_SK_EUlSX_E1_NS1_11comp_targetILNS1_3genE4ELNS1_11target_archE910ELNS1_3gpuE8ELNS1_3repE0EEENS1_36merge_oddeven_config_static_selectorELNS0_4arch9wavefront6targetE1EEEvSJ_.num_vgpr, 0
	.set _ZN7rocprim17ROCPRIM_400000_NS6detail17trampoline_kernelINS0_14default_configENS1_38merge_sort_block_merge_config_selectorIiNS0_10empty_typeEEEZZNS1_27merge_sort_block_merge_implIS3_N6thrust23THRUST_200600_302600_NS6detail15normal_iteratorINS9_10device_ptrIiEEEEPS5_m17evens_before_oddsEE10hipError_tT0_T1_T2_jT3_P12ihipStream_tbPNSt15iterator_traitsISI_E10value_typeEPNSO_ISJ_E10value_typeEPSK_NS1_7vsmem_tEENKUlT_SI_SJ_SK_E_clIPiSE_SF_SF_EESH_SX_SI_SJ_SK_EUlSX_E1_NS1_11comp_targetILNS1_3genE4ELNS1_11target_archE910ELNS1_3gpuE8ELNS1_3repE0EEENS1_36merge_oddeven_config_static_selectorELNS0_4arch9wavefront6targetE1EEEvSJ_.num_agpr, 0
	.set _ZN7rocprim17ROCPRIM_400000_NS6detail17trampoline_kernelINS0_14default_configENS1_38merge_sort_block_merge_config_selectorIiNS0_10empty_typeEEEZZNS1_27merge_sort_block_merge_implIS3_N6thrust23THRUST_200600_302600_NS6detail15normal_iteratorINS9_10device_ptrIiEEEEPS5_m17evens_before_oddsEE10hipError_tT0_T1_T2_jT3_P12ihipStream_tbPNSt15iterator_traitsISI_E10value_typeEPNSO_ISJ_E10value_typeEPSK_NS1_7vsmem_tEENKUlT_SI_SJ_SK_E_clIPiSE_SF_SF_EESH_SX_SI_SJ_SK_EUlSX_E1_NS1_11comp_targetILNS1_3genE4ELNS1_11target_archE910ELNS1_3gpuE8ELNS1_3repE0EEENS1_36merge_oddeven_config_static_selectorELNS0_4arch9wavefront6targetE1EEEvSJ_.numbered_sgpr, 0
	.set _ZN7rocprim17ROCPRIM_400000_NS6detail17trampoline_kernelINS0_14default_configENS1_38merge_sort_block_merge_config_selectorIiNS0_10empty_typeEEEZZNS1_27merge_sort_block_merge_implIS3_N6thrust23THRUST_200600_302600_NS6detail15normal_iteratorINS9_10device_ptrIiEEEEPS5_m17evens_before_oddsEE10hipError_tT0_T1_T2_jT3_P12ihipStream_tbPNSt15iterator_traitsISI_E10value_typeEPNSO_ISJ_E10value_typeEPSK_NS1_7vsmem_tEENKUlT_SI_SJ_SK_E_clIPiSE_SF_SF_EESH_SX_SI_SJ_SK_EUlSX_E1_NS1_11comp_targetILNS1_3genE4ELNS1_11target_archE910ELNS1_3gpuE8ELNS1_3repE0EEENS1_36merge_oddeven_config_static_selectorELNS0_4arch9wavefront6targetE1EEEvSJ_.num_named_barrier, 0
	.set _ZN7rocprim17ROCPRIM_400000_NS6detail17trampoline_kernelINS0_14default_configENS1_38merge_sort_block_merge_config_selectorIiNS0_10empty_typeEEEZZNS1_27merge_sort_block_merge_implIS3_N6thrust23THRUST_200600_302600_NS6detail15normal_iteratorINS9_10device_ptrIiEEEEPS5_m17evens_before_oddsEE10hipError_tT0_T1_T2_jT3_P12ihipStream_tbPNSt15iterator_traitsISI_E10value_typeEPNSO_ISJ_E10value_typeEPSK_NS1_7vsmem_tEENKUlT_SI_SJ_SK_E_clIPiSE_SF_SF_EESH_SX_SI_SJ_SK_EUlSX_E1_NS1_11comp_targetILNS1_3genE4ELNS1_11target_archE910ELNS1_3gpuE8ELNS1_3repE0EEENS1_36merge_oddeven_config_static_selectorELNS0_4arch9wavefront6targetE1EEEvSJ_.private_seg_size, 0
	.set _ZN7rocprim17ROCPRIM_400000_NS6detail17trampoline_kernelINS0_14default_configENS1_38merge_sort_block_merge_config_selectorIiNS0_10empty_typeEEEZZNS1_27merge_sort_block_merge_implIS3_N6thrust23THRUST_200600_302600_NS6detail15normal_iteratorINS9_10device_ptrIiEEEEPS5_m17evens_before_oddsEE10hipError_tT0_T1_T2_jT3_P12ihipStream_tbPNSt15iterator_traitsISI_E10value_typeEPNSO_ISJ_E10value_typeEPSK_NS1_7vsmem_tEENKUlT_SI_SJ_SK_E_clIPiSE_SF_SF_EESH_SX_SI_SJ_SK_EUlSX_E1_NS1_11comp_targetILNS1_3genE4ELNS1_11target_archE910ELNS1_3gpuE8ELNS1_3repE0EEENS1_36merge_oddeven_config_static_selectorELNS0_4arch9wavefront6targetE1EEEvSJ_.uses_vcc, 0
	.set _ZN7rocprim17ROCPRIM_400000_NS6detail17trampoline_kernelINS0_14default_configENS1_38merge_sort_block_merge_config_selectorIiNS0_10empty_typeEEEZZNS1_27merge_sort_block_merge_implIS3_N6thrust23THRUST_200600_302600_NS6detail15normal_iteratorINS9_10device_ptrIiEEEEPS5_m17evens_before_oddsEE10hipError_tT0_T1_T2_jT3_P12ihipStream_tbPNSt15iterator_traitsISI_E10value_typeEPNSO_ISJ_E10value_typeEPSK_NS1_7vsmem_tEENKUlT_SI_SJ_SK_E_clIPiSE_SF_SF_EESH_SX_SI_SJ_SK_EUlSX_E1_NS1_11comp_targetILNS1_3genE4ELNS1_11target_archE910ELNS1_3gpuE8ELNS1_3repE0EEENS1_36merge_oddeven_config_static_selectorELNS0_4arch9wavefront6targetE1EEEvSJ_.uses_flat_scratch, 0
	.set _ZN7rocprim17ROCPRIM_400000_NS6detail17trampoline_kernelINS0_14default_configENS1_38merge_sort_block_merge_config_selectorIiNS0_10empty_typeEEEZZNS1_27merge_sort_block_merge_implIS3_N6thrust23THRUST_200600_302600_NS6detail15normal_iteratorINS9_10device_ptrIiEEEEPS5_m17evens_before_oddsEE10hipError_tT0_T1_T2_jT3_P12ihipStream_tbPNSt15iterator_traitsISI_E10value_typeEPNSO_ISJ_E10value_typeEPSK_NS1_7vsmem_tEENKUlT_SI_SJ_SK_E_clIPiSE_SF_SF_EESH_SX_SI_SJ_SK_EUlSX_E1_NS1_11comp_targetILNS1_3genE4ELNS1_11target_archE910ELNS1_3gpuE8ELNS1_3repE0EEENS1_36merge_oddeven_config_static_selectorELNS0_4arch9wavefront6targetE1EEEvSJ_.has_dyn_sized_stack, 0
	.set _ZN7rocprim17ROCPRIM_400000_NS6detail17trampoline_kernelINS0_14default_configENS1_38merge_sort_block_merge_config_selectorIiNS0_10empty_typeEEEZZNS1_27merge_sort_block_merge_implIS3_N6thrust23THRUST_200600_302600_NS6detail15normal_iteratorINS9_10device_ptrIiEEEEPS5_m17evens_before_oddsEE10hipError_tT0_T1_T2_jT3_P12ihipStream_tbPNSt15iterator_traitsISI_E10value_typeEPNSO_ISJ_E10value_typeEPSK_NS1_7vsmem_tEENKUlT_SI_SJ_SK_E_clIPiSE_SF_SF_EESH_SX_SI_SJ_SK_EUlSX_E1_NS1_11comp_targetILNS1_3genE4ELNS1_11target_archE910ELNS1_3gpuE8ELNS1_3repE0EEENS1_36merge_oddeven_config_static_selectorELNS0_4arch9wavefront6targetE1EEEvSJ_.has_recursion, 0
	.set _ZN7rocprim17ROCPRIM_400000_NS6detail17trampoline_kernelINS0_14default_configENS1_38merge_sort_block_merge_config_selectorIiNS0_10empty_typeEEEZZNS1_27merge_sort_block_merge_implIS3_N6thrust23THRUST_200600_302600_NS6detail15normal_iteratorINS9_10device_ptrIiEEEEPS5_m17evens_before_oddsEE10hipError_tT0_T1_T2_jT3_P12ihipStream_tbPNSt15iterator_traitsISI_E10value_typeEPNSO_ISJ_E10value_typeEPSK_NS1_7vsmem_tEENKUlT_SI_SJ_SK_E_clIPiSE_SF_SF_EESH_SX_SI_SJ_SK_EUlSX_E1_NS1_11comp_targetILNS1_3genE4ELNS1_11target_archE910ELNS1_3gpuE8ELNS1_3repE0EEENS1_36merge_oddeven_config_static_selectorELNS0_4arch9wavefront6targetE1EEEvSJ_.has_indirect_call, 0
	.section	.AMDGPU.csdata,"",@progbits
; Kernel info:
; codeLenInByte = 0
; TotalNumSgprs: 6
; NumVgprs: 0
; NumAgprs: 0
; TotalNumVgprs: 0
; ScratchSize: 0
; MemoryBound: 0
; FloatMode: 240
; IeeeMode: 1
; LDSByteSize: 0 bytes/workgroup (compile time only)
; SGPRBlocks: 0
; VGPRBlocks: 0
; NumSGPRsForWavesPerEU: 6
; NumVGPRsForWavesPerEU: 1
; AccumOffset: 4
; Occupancy: 8
; WaveLimiterHint : 0
; COMPUTE_PGM_RSRC2:SCRATCH_EN: 0
; COMPUTE_PGM_RSRC2:USER_SGPR: 2
; COMPUTE_PGM_RSRC2:TRAP_HANDLER: 0
; COMPUTE_PGM_RSRC2:TGID_X_EN: 1
; COMPUTE_PGM_RSRC2:TGID_Y_EN: 0
; COMPUTE_PGM_RSRC2:TGID_Z_EN: 0
; COMPUTE_PGM_RSRC2:TIDIG_COMP_CNT: 0
; COMPUTE_PGM_RSRC3_GFX90A:ACCUM_OFFSET: 0
; COMPUTE_PGM_RSRC3_GFX90A:TG_SPLIT: 0
	.section	.text._ZN7rocprim17ROCPRIM_400000_NS6detail17trampoline_kernelINS0_14default_configENS1_38merge_sort_block_merge_config_selectorIiNS0_10empty_typeEEEZZNS1_27merge_sort_block_merge_implIS3_N6thrust23THRUST_200600_302600_NS6detail15normal_iteratorINS9_10device_ptrIiEEEEPS5_m17evens_before_oddsEE10hipError_tT0_T1_T2_jT3_P12ihipStream_tbPNSt15iterator_traitsISI_E10value_typeEPNSO_ISJ_E10value_typeEPSK_NS1_7vsmem_tEENKUlT_SI_SJ_SK_E_clIPiSE_SF_SF_EESH_SX_SI_SJ_SK_EUlSX_E1_NS1_11comp_targetILNS1_3genE3ELNS1_11target_archE908ELNS1_3gpuE7ELNS1_3repE0EEENS1_36merge_oddeven_config_static_selectorELNS0_4arch9wavefront6targetE1EEEvSJ_,"axG",@progbits,_ZN7rocprim17ROCPRIM_400000_NS6detail17trampoline_kernelINS0_14default_configENS1_38merge_sort_block_merge_config_selectorIiNS0_10empty_typeEEEZZNS1_27merge_sort_block_merge_implIS3_N6thrust23THRUST_200600_302600_NS6detail15normal_iteratorINS9_10device_ptrIiEEEEPS5_m17evens_before_oddsEE10hipError_tT0_T1_T2_jT3_P12ihipStream_tbPNSt15iterator_traitsISI_E10value_typeEPNSO_ISJ_E10value_typeEPSK_NS1_7vsmem_tEENKUlT_SI_SJ_SK_E_clIPiSE_SF_SF_EESH_SX_SI_SJ_SK_EUlSX_E1_NS1_11comp_targetILNS1_3genE3ELNS1_11target_archE908ELNS1_3gpuE7ELNS1_3repE0EEENS1_36merge_oddeven_config_static_selectorELNS0_4arch9wavefront6targetE1EEEvSJ_,comdat
	.protected	_ZN7rocprim17ROCPRIM_400000_NS6detail17trampoline_kernelINS0_14default_configENS1_38merge_sort_block_merge_config_selectorIiNS0_10empty_typeEEEZZNS1_27merge_sort_block_merge_implIS3_N6thrust23THRUST_200600_302600_NS6detail15normal_iteratorINS9_10device_ptrIiEEEEPS5_m17evens_before_oddsEE10hipError_tT0_T1_T2_jT3_P12ihipStream_tbPNSt15iterator_traitsISI_E10value_typeEPNSO_ISJ_E10value_typeEPSK_NS1_7vsmem_tEENKUlT_SI_SJ_SK_E_clIPiSE_SF_SF_EESH_SX_SI_SJ_SK_EUlSX_E1_NS1_11comp_targetILNS1_3genE3ELNS1_11target_archE908ELNS1_3gpuE7ELNS1_3repE0EEENS1_36merge_oddeven_config_static_selectorELNS0_4arch9wavefront6targetE1EEEvSJ_ ; -- Begin function _ZN7rocprim17ROCPRIM_400000_NS6detail17trampoline_kernelINS0_14default_configENS1_38merge_sort_block_merge_config_selectorIiNS0_10empty_typeEEEZZNS1_27merge_sort_block_merge_implIS3_N6thrust23THRUST_200600_302600_NS6detail15normal_iteratorINS9_10device_ptrIiEEEEPS5_m17evens_before_oddsEE10hipError_tT0_T1_T2_jT3_P12ihipStream_tbPNSt15iterator_traitsISI_E10value_typeEPNSO_ISJ_E10value_typeEPSK_NS1_7vsmem_tEENKUlT_SI_SJ_SK_E_clIPiSE_SF_SF_EESH_SX_SI_SJ_SK_EUlSX_E1_NS1_11comp_targetILNS1_3genE3ELNS1_11target_archE908ELNS1_3gpuE7ELNS1_3repE0EEENS1_36merge_oddeven_config_static_selectorELNS0_4arch9wavefront6targetE1EEEvSJ_
	.globl	_ZN7rocprim17ROCPRIM_400000_NS6detail17trampoline_kernelINS0_14default_configENS1_38merge_sort_block_merge_config_selectorIiNS0_10empty_typeEEEZZNS1_27merge_sort_block_merge_implIS3_N6thrust23THRUST_200600_302600_NS6detail15normal_iteratorINS9_10device_ptrIiEEEEPS5_m17evens_before_oddsEE10hipError_tT0_T1_T2_jT3_P12ihipStream_tbPNSt15iterator_traitsISI_E10value_typeEPNSO_ISJ_E10value_typeEPSK_NS1_7vsmem_tEENKUlT_SI_SJ_SK_E_clIPiSE_SF_SF_EESH_SX_SI_SJ_SK_EUlSX_E1_NS1_11comp_targetILNS1_3genE3ELNS1_11target_archE908ELNS1_3gpuE7ELNS1_3repE0EEENS1_36merge_oddeven_config_static_selectorELNS0_4arch9wavefront6targetE1EEEvSJ_
	.p2align	8
	.type	_ZN7rocprim17ROCPRIM_400000_NS6detail17trampoline_kernelINS0_14default_configENS1_38merge_sort_block_merge_config_selectorIiNS0_10empty_typeEEEZZNS1_27merge_sort_block_merge_implIS3_N6thrust23THRUST_200600_302600_NS6detail15normal_iteratorINS9_10device_ptrIiEEEEPS5_m17evens_before_oddsEE10hipError_tT0_T1_T2_jT3_P12ihipStream_tbPNSt15iterator_traitsISI_E10value_typeEPNSO_ISJ_E10value_typeEPSK_NS1_7vsmem_tEENKUlT_SI_SJ_SK_E_clIPiSE_SF_SF_EESH_SX_SI_SJ_SK_EUlSX_E1_NS1_11comp_targetILNS1_3genE3ELNS1_11target_archE908ELNS1_3gpuE7ELNS1_3repE0EEENS1_36merge_oddeven_config_static_selectorELNS0_4arch9wavefront6targetE1EEEvSJ_,@function
_ZN7rocprim17ROCPRIM_400000_NS6detail17trampoline_kernelINS0_14default_configENS1_38merge_sort_block_merge_config_selectorIiNS0_10empty_typeEEEZZNS1_27merge_sort_block_merge_implIS3_N6thrust23THRUST_200600_302600_NS6detail15normal_iteratorINS9_10device_ptrIiEEEEPS5_m17evens_before_oddsEE10hipError_tT0_T1_T2_jT3_P12ihipStream_tbPNSt15iterator_traitsISI_E10value_typeEPNSO_ISJ_E10value_typeEPSK_NS1_7vsmem_tEENKUlT_SI_SJ_SK_E_clIPiSE_SF_SF_EESH_SX_SI_SJ_SK_EUlSX_E1_NS1_11comp_targetILNS1_3genE3ELNS1_11target_archE908ELNS1_3gpuE7ELNS1_3repE0EEENS1_36merge_oddeven_config_static_selectorELNS0_4arch9wavefront6targetE1EEEvSJ_: ; @_ZN7rocprim17ROCPRIM_400000_NS6detail17trampoline_kernelINS0_14default_configENS1_38merge_sort_block_merge_config_selectorIiNS0_10empty_typeEEEZZNS1_27merge_sort_block_merge_implIS3_N6thrust23THRUST_200600_302600_NS6detail15normal_iteratorINS9_10device_ptrIiEEEEPS5_m17evens_before_oddsEE10hipError_tT0_T1_T2_jT3_P12ihipStream_tbPNSt15iterator_traitsISI_E10value_typeEPNSO_ISJ_E10value_typeEPSK_NS1_7vsmem_tEENKUlT_SI_SJ_SK_E_clIPiSE_SF_SF_EESH_SX_SI_SJ_SK_EUlSX_E1_NS1_11comp_targetILNS1_3genE3ELNS1_11target_archE908ELNS1_3gpuE7ELNS1_3repE0EEENS1_36merge_oddeven_config_static_selectorELNS0_4arch9wavefront6targetE1EEEvSJ_
; %bb.0:
	.section	.rodata,"a",@progbits
	.p2align	6, 0x0
	.amdhsa_kernel _ZN7rocprim17ROCPRIM_400000_NS6detail17trampoline_kernelINS0_14default_configENS1_38merge_sort_block_merge_config_selectorIiNS0_10empty_typeEEEZZNS1_27merge_sort_block_merge_implIS3_N6thrust23THRUST_200600_302600_NS6detail15normal_iteratorINS9_10device_ptrIiEEEEPS5_m17evens_before_oddsEE10hipError_tT0_T1_T2_jT3_P12ihipStream_tbPNSt15iterator_traitsISI_E10value_typeEPNSO_ISJ_E10value_typeEPSK_NS1_7vsmem_tEENKUlT_SI_SJ_SK_E_clIPiSE_SF_SF_EESH_SX_SI_SJ_SK_EUlSX_E1_NS1_11comp_targetILNS1_3genE3ELNS1_11target_archE908ELNS1_3gpuE7ELNS1_3repE0EEENS1_36merge_oddeven_config_static_selectorELNS0_4arch9wavefront6targetE1EEEvSJ_
		.amdhsa_group_segment_fixed_size 0
		.amdhsa_private_segment_fixed_size 0
		.amdhsa_kernarg_size 56
		.amdhsa_user_sgpr_count 2
		.amdhsa_user_sgpr_dispatch_ptr 0
		.amdhsa_user_sgpr_queue_ptr 0
		.amdhsa_user_sgpr_kernarg_segment_ptr 1
		.amdhsa_user_sgpr_dispatch_id 0
		.amdhsa_user_sgpr_kernarg_preload_length 0
		.amdhsa_user_sgpr_kernarg_preload_offset 0
		.amdhsa_user_sgpr_private_segment_size 0
		.amdhsa_uses_dynamic_stack 0
		.amdhsa_enable_private_segment 0
		.amdhsa_system_sgpr_workgroup_id_x 1
		.amdhsa_system_sgpr_workgroup_id_y 0
		.amdhsa_system_sgpr_workgroup_id_z 0
		.amdhsa_system_sgpr_workgroup_info 0
		.amdhsa_system_vgpr_workitem_id 0
		.amdhsa_next_free_vgpr 1
		.amdhsa_next_free_sgpr 0
		.amdhsa_accum_offset 4
		.amdhsa_reserve_vcc 0
		.amdhsa_float_round_mode_32 0
		.amdhsa_float_round_mode_16_64 0
		.amdhsa_float_denorm_mode_32 3
		.amdhsa_float_denorm_mode_16_64 3
		.amdhsa_dx10_clamp 1
		.amdhsa_ieee_mode 1
		.amdhsa_fp16_overflow 0
		.amdhsa_tg_split 0
		.amdhsa_exception_fp_ieee_invalid_op 0
		.amdhsa_exception_fp_denorm_src 0
		.amdhsa_exception_fp_ieee_div_zero 0
		.amdhsa_exception_fp_ieee_overflow 0
		.amdhsa_exception_fp_ieee_underflow 0
		.amdhsa_exception_fp_ieee_inexact 0
		.amdhsa_exception_int_div_zero 0
	.end_amdhsa_kernel
	.section	.text._ZN7rocprim17ROCPRIM_400000_NS6detail17trampoline_kernelINS0_14default_configENS1_38merge_sort_block_merge_config_selectorIiNS0_10empty_typeEEEZZNS1_27merge_sort_block_merge_implIS3_N6thrust23THRUST_200600_302600_NS6detail15normal_iteratorINS9_10device_ptrIiEEEEPS5_m17evens_before_oddsEE10hipError_tT0_T1_T2_jT3_P12ihipStream_tbPNSt15iterator_traitsISI_E10value_typeEPNSO_ISJ_E10value_typeEPSK_NS1_7vsmem_tEENKUlT_SI_SJ_SK_E_clIPiSE_SF_SF_EESH_SX_SI_SJ_SK_EUlSX_E1_NS1_11comp_targetILNS1_3genE3ELNS1_11target_archE908ELNS1_3gpuE7ELNS1_3repE0EEENS1_36merge_oddeven_config_static_selectorELNS0_4arch9wavefront6targetE1EEEvSJ_,"axG",@progbits,_ZN7rocprim17ROCPRIM_400000_NS6detail17trampoline_kernelINS0_14default_configENS1_38merge_sort_block_merge_config_selectorIiNS0_10empty_typeEEEZZNS1_27merge_sort_block_merge_implIS3_N6thrust23THRUST_200600_302600_NS6detail15normal_iteratorINS9_10device_ptrIiEEEEPS5_m17evens_before_oddsEE10hipError_tT0_T1_T2_jT3_P12ihipStream_tbPNSt15iterator_traitsISI_E10value_typeEPNSO_ISJ_E10value_typeEPSK_NS1_7vsmem_tEENKUlT_SI_SJ_SK_E_clIPiSE_SF_SF_EESH_SX_SI_SJ_SK_EUlSX_E1_NS1_11comp_targetILNS1_3genE3ELNS1_11target_archE908ELNS1_3gpuE7ELNS1_3repE0EEENS1_36merge_oddeven_config_static_selectorELNS0_4arch9wavefront6targetE1EEEvSJ_,comdat
.Lfunc_end428:
	.size	_ZN7rocprim17ROCPRIM_400000_NS6detail17trampoline_kernelINS0_14default_configENS1_38merge_sort_block_merge_config_selectorIiNS0_10empty_typeEEEZZNS1_27merge_sort_block_merge_implIS3_N6thrust23THRUST_200600_302600_NS6detail15normal_iteratorINS9_10device_ptrIiEEEEPS5_m17evens_before_oddsEE10hipError_tT0_T1_T2_jT3_P12ihipStream_tbPNSt15iterator_traitsISI_E10value_typeEPNSO_ISJ_E10value_typeEPSK_NS1_7vsmem_tEENKUlT_SI_SJ_SK_E_clIPiSE_SF_SF_EESH_SX_SI_SJ_SK_EUlSX_E1_NS1_11comp_targetILNS1_3genE3ELNS1_11target_archE908ELNS1_3gpuE7ELNS1_3repE0EEENS1_36merge_oddeven_config_static_selectorELNS0_4arch9wavefront6targetE1EEEvSJ_, .Lfunc_end428-_ZN7rocprim17ROCPRIM_400000_NS6detail17trampoline_kernelINS0_14default_configENS1_38merge_sort_block_merge_config_selectorIiNS0_10empty_typeEEEZZNS1_27merge_sort_block_merge_implIS3_N6thrust23THRUST_200600_302600_NS6detail15normal_iteratorINS9_10device_ptrIiEEEEPS5_m17evens_before_oddsEE10hipError_tT0_T1_T2_jT3_P12ihipStream_tbPNSt15iterator_traitsISI_E10value_typeEPNSO_ISJ_E10value_typeEPSK_NS1_7vsmem_tEENKUlT_SI_SJ_SK_E_clIPiSE_SF_SF_EESH_SX_SI_SJ_SK_EUlSX_E1_NS1_11comp_targetILNS1_3genE3ELNS1_11target_archE908ELNS1_3gpuE7ELNS1_3repE0EEENS1_36merge_oddeven_config_static_selectorELNS0_4arch9wavefront6targetE1EEEvSJ_
                                        ; -- End function
	.set _ZN7rocprim17ROCPRIM_400000_NS6detail17trampoline_kernelINS0_14default_configENS1_38merge_sort_block_merge_config_selectorIiNS0_10empty_typeEEEZZNS1_27merge_sort_block_merge_implIS3_N6thrust23THRUST_200600_302600_NS6detail15normal_iteratorINS9_10device_ptrIiEEEEPS5_m17evens_before_oddsEE10hipError_tT0_T1_T2_jT3_P12ihipStream_tbPNSt15iterator_traitsISI_E10value_typeEPNSO_ISJ_E10value_typeEPSK_NS1_7vsmem_tEENKUlT_SI_SJ_SK_E_clIPiSE_SF_SF_EESH_SX_SI_SJ_SK_EUlSX_E1_NS1_11comp_targetILNS1_3genE3ELNS1_11target_archE908ELNS1_3gpuE7ELNS1_3repE0EEENS1_36merge_oddeven_config_static_selectorELNS0_4arch9wavefront6targetE1EEEvSJ_.num_vgpr, 0
	.set _ZN7rocprim17ROCPRIM_400000_NS6detail17trampoline_kernelINS0_14default_configENS1_38merge_sort_block_merge_config_selectorIiNS0_10empty_typeEEEZZNS1_27merge_sort_block_merge_implIS3_N6thrust23THRUST_200600_302600_NS6detail15normal_iteratorINS9_10device_ptrIiEEEEPS5_m17evens_before_oddsEE10hipError_tT0_T1_T2_jT3_P12ihipStream_tbPNSt15iterator_traitsISI_E10value_typeEPNSO_ISJ_E10value_typeEPSK_NS1_7vsmem_tEENKUlT_SI_SJ_SK_E_clIPiSE_SF_SF_EESH_SX_SI_SJ_SK_EUlSX_E1_NS1_11comp_targetILNS1_3genE3ELNS1_11target_archE908ELNS1_3gpuE7ELNS1_3repE0EEENS1_36merge_oddeven_config_static_selectorELNS0_4arch9wavefront6targetE1EEEvSJ_.num_agpr, 0
	.set _ZN7rocprim17ROCPRIM_400000_NS6detail17trampoline_kernelINS0_14default_configENS1_38merge_sort_block_merge_config_selectorIiNS0_10empty_typeEEEZZNS1_27merge_sort_block_merge_implIS3_N6thrust23THRUST_200600_302600_NS6detail15normal_iteratorINS9_10device_ptrIiEEEEPS5_m17evens_before_oddsEE10hipError_tT0_T1_T2_jT3_P12ihipStream_tbPNSt15iterator_traitsISI_E10value_typeEPNSO_ISJ_E10value_typeEPSK_NS1_7vsmem_tEENKUlT_SI_SJ_SK_E_clIPiSE_SF_SF_EESH_SX_SI_SJ_SK_EUlSX_E1_NS1_11comp_targetILNS1_3genE3ELNS1_11target_archE908ELNS1_3gpuE7ELNS1_3repE0EEENS1_36merge_oddeven_config_static_selectorELNS0_4arch9wavefront6targetE1EEEvSJ_.numbered_sgpr, 0
	.set _ZN7rocprim17ROCPRIM_400000_NS6detail17trampoline_kernelINS0_14default_configENS1_38merge_sort_block_merge_config_selectorIiNS0_10empty_typeEEEZZNS1_27merge_sort_block_merge_implIS3_N6thrust23THRUST_200600_302600_NS6detail15normal_iteratorINS9_10device_ptrIiEEEEPS5_m17evens_before_oddsEE10hipError_tT0_T1_T2_jT3_P12ihipStream_tbPNSt15iterator_traitsISI_E10value_typeEPNSO_ISJ_E10value_typeEPSK_NS1_7vsmem_tEENKUlT_SI_SJ_SK_E_clIPiSE_SF_SF_EESH_SX_SI_SJ_SK_EUlSX_E1_NS1_11comp_targetILNS1_3genE3ELNS1_11target_archE908ELNS1_3gpuE7ELNS1_3repE0EEENS1_36merge_oddeven_config_static_selectorELNS0_4arch9wavefront6targetE1EEEvSJ_.num_named_barrier, 0
	.set _ZN7rocprim17ROCPRIM_400000_NS6detail17trampoline_kernelINS0_14default_configENS1_38merge_sort_block_merge_config_selectorIiNS0_10empty_typeEEEZZNS1_27merge_sort_block_merge_implIS3_N6thrust23THRUST_200600_302600_NS6detail15normal_iteratorINS9_10device_ptrIiEEEEPS5_m17evens_before_oddsEE10hipError_tT0_T1_T2_jT3_P12ihipStream_tbPNSt15iterator_traitsISI_E10value_typeEPNSO_ISJ_E10value_typeEPSK_NS1_7vsmem_tEENKUlT_SI_SJ_SK_E_clIPiSE_SF_SF_EESH_SX_SI_SJ_SK_EUlSX_E1_NS1_11comp_targetILNS1_3genE3ELNS1_11target_archE908ELNS1_3gpuE7ELNS1_3repE0EEENS1_36merge_oddeven_config_static_selectorELNS0_4arch9wavefront6targetE1EEEvSJ_.private_seg_size, 0
	.set _ZN7rocprim17ROCPRIM_400000_NS6detail17trampoline_kernelINS0_14default_configENS1_38merge_sort_block_merge_config_selectorIiNS0_10empty_typeEEEZZNS1_27merge_sort_block_merge_implIS3_N6thrust23THRUST_200600_302600_NS6detail15normal_iteratorINS9_10device_ptrIiEEEEPS5_m17evens_before_oddsEE10hipError_tT0_T1_T2_jT3_P12ihipStream_tbPNSt15iterator_traitsISI_E10value_typeEPNSO_ISJ_E10value_typeEPSK_NS1_7vsmem_tEENKUlT_SI_SJ_SK_E_clIPiSE_SF_SF_EESH_SX_SI_SJ_SK_EUlSX_E1_NS1_11comp_targetILNS1_3genE3ELNS1_11target_archE908ELNS1_3gpuE7ELNS1_3repE0EEENS1_36merge_oddeven_config_static_selectorELNS0_4arch9wavefront6targetE1EEEvSJ_.uses_vcc, 0
	.set _ZN7rocprim17ROCPRIM_400000_NS6detail17trampoline_kernelINS0_14default_configENS1_38merge_sort_block_merge_config_selectorIiNS0_10empty_typeEEEZZNS1_27merge_sort_block_merge_implIS3_N6thrust23THRUST_200600_302600_NS6detail15normal_iteratorINS9_10device_ptrIiEEEEPS5_m17evens_before_oddsEE10hipError_tT0_T1_T2_jT3_P12ihipStream_tbPNSt15iterator_traitsISI_E10value_typeEPNSO_ISJ_E10value_typeEPSK_NS1_7vsmem_tEENKUlT_SI_SJ_SK_E_clIPiSE_SF_SF_EESH_SX_SI_SJ_SK_EUlSX_E1_NS1_11comp_targetILNS1_3genE3ELNS1_11target_archE908ELNS1_3gpuE7ELNS1_3repE0EEENS1_36merge_oddeven_config_static_selectorELNS0_4arch9wavefront6targetE1EEEvSJ_.uses_flat_scratch, 0
	.set _ZN7rocprim17ROCPRIM_400000_NS6detail17trampoline_kernelINS0_14default_configENS1_38merge_sort_block_merge_config_selectorIiNS0_10empty_typeEEEZZNS1_27merge_sort_block_merge_implIS3_N6thrust23THRUST_200600_302600_NS6detail15normal_iteratorINS9_10device_ptrIiEEEEPS5_m17evens_before_oddsEE10hipError_tT0_T1_T2_jT3_P12ihipStream_tbPNSt15iterator_traitsISI_E10value_typeEPNSO_ISJ_E10value_typeEPSK_NS1_7vsmem_tEENKUlT_SI_SJ_SK_E_clIPiSE_SF_SF_EESH_SX_SI_SJ_SK_EUlSX_E1_NS1_11comp_targetILNS1_3genE3ELNS1_11target_archE908ELNS1_3gpuE7ELNS1_3repE0EEENS1_36merge_oddeven_config_static_selectorELNS0_4arch9wavefront6targetE1EEEvSJ_.has_dyn_sized_stack, 0
	.set _ZN7rocprim17ROCPRIM_400000_NS6detail17trampoline_kernelINS0_14default_configENS1_38merge_sort_block_merge_config_selectorIiNS0_10empty_typeEEEZZNS1_27merge_sort_block_merge_implIS3_N6thrust23THRUST_200600_302600_NS6detail15normal_iteratorINS9_10device_ptrIiEEEEPS5_m17evens_before_oddsEE10hipError_tT0_T1_T2_jT3_P12ihipStream_tbPNSt15iterator_traitsISI_E10value_typeEPNSO_ISJ_E10value_typeEPSK_NS1_7vsmem_tEENKUlT_SI_SJ_SK_E_clIPiSE_SF_SF_EESH_SX_SI_SJ_SK_EUlSX_E1_NS1_11comp_targetILNS1_3genE3ELNS1_11target_archE908ELNS1_3gpuE7ELNS1_3repE0EEENS1_36merge_oddeven_config_static_selectorELNS0_4arch9wavefront6targetE1EEEvSJ_.has_recursion, 0
	.set _ZN7rocprim17ROCPRIM_400000_NS6detail17trampoline_kernelINS0_14default_configENS1_38merge_sort_block_merge_config_selectorIiNS0_10empty_typeEEEZZNS1_27merge_sort_block_merge_implIS3_N6thrust23THRUST_200600_302600_NS6detail15normal_iteratorINS9_10device_ptrIiEEEEPS5_m17evens_before_oddsEE10hipError_tT0_T1_T2_jT3_P12ihipStream_tbPNSt15iterator_traitsISI_E10value_typeEPNSO_ISJ_E10value_typeEPSK_NS1_7vsmem_tEENKUlT_SI_SJ_SK_E_clIPiSE_SF_SF_EESH_SX_SI_SJ_SK_EUlSX_E1_NS1_11comp_targetILNS1_3genE3ELNS1_11target_archE908ELNS1_3gpuE7ELNS1_3repE0EEENS1_36merge_oddeven_config_static_selectorELNS0_4arch9wavefront6targetE1EEEvSJ_.has_indirect_call, 0
	.section	.AMDGPU.csdata,"",@progbits
; Kernel info:
; codeLenInByte = 0
; TotalNumSgprs: 6
; NumVgprs: 0
; NumAgprs: 0
; TotalNumVgprs: 0
; ScratchSize: 0
; MemoryBound: 0
; FloatMode: 240
; IeeeMode: 1
; LDSByteSize: 0 bytes/workgroup (compile time only)
; SGPRBlocks: 0
; VGPRBlocks: 0
; NumSGPRsForWavesPerEU: 6
; NumVGPRsForWavesPerEU: 1
; AccumOffset: 4
; Occupancy: 8
; WaveLimiterHint : 0
; COMPUTE_PGM_RSRC2:SCRATCH_EN: 0
; COMPUTE_PGM_RSRC2:USER_SGPR: 2
; COMPUTE_PGM_RSRC2:TRAP_HANDLER: 0
; COMPUTE_PGM_RSRC2:TGID_X_EN: 1
; COMPUTE_PGM_RSRC2:TGID_Y_EN: 0
; COMPUTE_PGM_RSRC2:TGID_Z_EN: 0
; COMPUTE_PGM_RSRC2:TIDIG_COMP_CNT: 0
; COMPUTE_PGM_RSRC3_GFX90A:ACCUM_OFFSET: 0
; COMPUTE_PGM_RSRC3_GFX90A:TG_SPLIT: 0
	.section	.text._ZN7rocprim17ROCPRIM_400000_NS6detail17trampoline_kernelINS0_14default_configENS1_38merge_sort_block_merge_config_selectorIiNS0_10empty_typeEEEZZNS1_27merge_sort_block_merge_implIS3_N6thrust23THRUST_200600_302600_NS6detail15normal_iteratorINS9_10device_ptrIiEEEEPS5_m17evens_before_oddsEE10hipError_tT0_T1_T2_jT3_P12ihipStream_tbPNSt15iterator_traitsISI_E10value_typeEPNSO_ISJ_E10value_typeEPSK_NS1_7vsmem_tEENKUlT_SI_SJ_SK_E_clIPiSE_SF_SF_EESH_SX_SI_SJ_SK_EUlSX_E1_NS1_11comp_targetILNS1_3genE2ELNS1_11target_archE906ELNS1_3gpuE6ELNS1_3repE0EEENS1_36merge_oddeven_config_static_selectorELNS0_4arch9wavefront6targetE1EEEvSJ_,"axG",@progbits,_ZN7rocprim17ROCPRIM_400000_NS6detail17trampoline_kernelINS0_14default_configENS1_38merge_sort_block_merge_config_selectorIiNS0_10empty_typeEEEZZNS1_27merge_sort_block_merge_implIS3_N6thrust23THRUST_200600_302600_NS6detail15normal_iteratorINS9_10device_ptrIiEEEEPS5_m17evens_before_oddsEE10hipError_tT0_T1_T2_jT3_P12ihipStream_tbPNSt15iterator_traitsISI_E10value_typeEPNSO_ISJ_E10value_typeEPSK_NS1_7vsmem_tEENKUlT_SI_SJ_SK_E_clIPiSE_SF_SF_EESH_SX_SI_SJ_SK_EUlSX_E1_NS1_11comp_targetILNS1_3genE2ELNS1_11target_archE906ELNS1_3gpuE6ELNS1_3repE0EEENS1_36merge_oddeven_config_static_selectorELNS0_4arch9wavefront6targetE1EEEvSJ_,comdat
	.protected	_ZN7rocprim17ROCPRIM_400000_NS6detail17trampoline_kernelINS0_14default_configENS1_38merge_sort_block_merge_config_selectorIiNS0_10empty_typeEEEZZNS1_27merge_sort_block_merge_implIS3_N6thrust23THRUST_200600_302600_NS6detail15normal_iteratorINS9_10device_ptrIiEEEEPS5_m17evens_before_oddsEE10hipError_tT0_T1_T2_jT3_P12ihipStream_tbPNSt15iterator_traitsISI_E10value_typeEPNSO_ISJ_E10value_typeEPSK_NS1_7vsmem_tEENKUlT_SI_SJ_SK_E_clIPiSE_SF_SF_EESH_SX_SI_SJ_SK_EUlSX_E1_NS1_11comp_targetILNS1_3genE2ELNS1_11target_archE906ELNS1_3gpuE6ELNS1_3repE0EEENS1_36merge_oddeven_config_static_selectorELNS0_4arch9wavefront6targetE1EEEvSJ_ ; -- Begin function _ZN7rocprim17ROCPRIM_400000_NS6detail17trampoline_kernelINS0_14default_configENS1_38merge_sort_block_merge_config_selectorIiNS0_10empty_typeEEEZZNS1_27merge_sort_block_merge_implIS3_N6thrust23THRUST_200600_302600_NS6detail15normal_iteratorINS9_10device_ptrIiEEEEPS5_m17evens_before_oddsEE10hipError_tT0_T1_T2_jT3_P12ihipStream_tbPNSt15iterator_traitsISI_E10value_typeEPNSO_ISJ_E10value_typeEPSK_NS1_7vsmem_tEENKUlT_SI_SJ_SK_E_clIPiSE_SF_SF_EESH_SX_SI_SJ_SK_EUlSX_E1_NS1_11comp_targetILNS1_3genE2ELNS1_11target_archE906ELNS1_3gpuE6ELNS1_3repE0EEENS1_36merge_oddeven_config_static_selectorELNS0_4arch9wavefront6targetE1EEEvSJ_
	.globl	_ZN7rocprim17ROCPRIM_400000_NS6detail17trampoline_kernelINS0_14default_configENS1_38merge_sort_block_merge_config_selectorIiNS0_10empty_typeEEEZZNS1_27merge_sort_block_merge_implIS3_N6thrust23THRUST_200600_302600_NS6detail15normal_iteratorINS9_10device_ptrIiEEEEPS5_m17evens_before_oddsEE10hipError_tT0_T1_T2_jT3_P12ihipStream_tbPNSt15iterator_traitsISI_E10value_typeEPNSO_ISJ_E10value_typeEPSK_NS1_7vsmem_tEENKUlT_SI_SJ_SK_E_clIPiSE_SF_SF_EESH_SX_SI_SJ_SK_EUlSX_E1_NS1_11comp_targetILNS1_3genE2ELNS1_11target_archE906ELNS1_3gpuE6ELNS1_3repE0EEENS1_36merge_oddeven_config_static_selectorELNS0_4arch9wavefront6targetE1EEEvSJ_
	.p2align	8
	.type	_ZN7rocprim17ROCPRIM_400000_NS6detail17trampoline_kernelINS0_14default_configENS1_38merge_sort_block_merge_config_selectorIiNS0_10empty_typeEEEZZNS1_27merge_sort_block_merge_implIS3_N6thrust23THRUST_200600_302600_NS6detail15normal_iteratorINS9_10device_ptrIiEEEEPS5_m17evens_before_oddsEE10hipError_tT0_T1_T2_jT3_P12ihipStream_tbPNSt15iterator_traitsISI_E10value_typeEPNSO_ISJ_E10value_typeEPSK_NS1_7vsmem_tEENKUlT_SI_SJ_SK_E_clIPiSE_SF_SF_EESH_SX_SI_SJ_SK_EUlSX_E1_NS1_11comp_targetILNS1_3genE2ELNS1_11target_archE906ELNS1_3gpuE6ELNS1_3repE0EEENS1_36merge_oddeven_config_static_selectorELNS0_4arch9wavefront6targetE1EEEvSJ_,@function
_ZN7rocprim17ROCPRIM_400000_NS6detail17trampoline_kernelINS0_14default_configENS1_38merge_sort_block_merge_config_selectorIiNS0_10empty_typeEEEZZNS1_27merge_sort_block_merge_implIS3_N6thrust23THRUST_200600_302600_NS6detail15normal_iteratorINS9_10device_ptrIiEEEEPS5_m17evens_before_oddsEE10hipError_tT0_T1_T2_jT3_P12ihipStream_tbPNSt15iterator_traitsISI_E10value_typeEPNSO_ISJ_E10value_typeEPSK_NS1_7vsmem_tEENKUlT_SI_SJ_SK_E_clIPiSE_SF_SF_EESH_SX_SI_SJ_SK_EUlSX_E1_NS1_11comp_targetILNS1_3genE2ELNS1_11target_archE906ELNS1_3gpuE6ELNS1_3repE0EEENS1_36merge_oddeven_config_static_selectorELNS0_4arch9wavefront6targetE1EEEvSJ_: ; @_ZN7rocprim17ROCPRIM_400000_NS6detail17trampoline_kernelINS0_14default_configENS1_38merge_sort_block_merge_config_selectorIiNS0_10empty_typeEEEZZNS1_27merge_sort_block_merge_implIS3_N6thrust23THRUST_200600_302600_NS6detail15normal_iteratorINS9_10device_ptrIiEEEEPS5_m17evens_before_oddsEE10hipError_tT0_T1_T2_jT3_P12ihipStream_tbPNSt15iterator_traitsISI_E10value_typeEPNSO_ISJ_E10value_typeEPSK_NS1_7vsmem_tEENKUlT_SI_SJ_SK_E_clIPiSE_SF_SF_EESH_SX_SI_SJ_SK_EUlSX_E1_NS1_11comp_targetILNS1_3genE2ELNS1_11target_archE906ELNS1_3gpuE6ELNS1_3repE0EEENS1_36merge_oddeven_config_static_selectorELNS0_4arch9wavefront6targetE1EEEvSJ_
; %bb.0:
	.section	.rodata,"a",@progbits
	.p2align	6, 0x0
	.amdhsa_kernel _ZN7rocprim17ROCPRIM_400000_NS6detail17trampoline_kernelINS0_14default_configENS1_38merge_sort_block_merge_config_selectorIiNS0_10empty_typeEEEZZNS1_27merge_sort_block_merge_implIS3_N6thrust23THRUST_200600_302600_NS6detail15normal_iteratorINS9_10device_ptrIiEEEEPS5_m17evens_before_oddsEE10hipError_tT0_T1_T2_jT3_P12ihipStream_tbPNSt15iterator_traitsISI_E10value_typeEPNSO_ISJ_E10value_typeEPSK_NS1_7vsmem_tEENKUlT_SI_SJ_SK_E_clIPiSE_SF_SF_EESH_SX_SI_SJ_SK_EUlSX_E1_NS1_11comp_targetILNS1_3genE2ELNS1_11target_archE906ELNS1_3gpuE6ELNS1_3repE0EEENS1_36merge_oddeven_config_static_selectorELNS0_4arch9wavefront6targetE1EEEvSJ_
		.amdhsa_group_segment_fixed_size 0
		.amdhsa_private_segment_fixed_size 0
		.amdhsa_kernarg_size 56
		.amdhsa_user_sgpr_count 2
		.amdhsa_user_sgpr_dispatch_ptr 0
		.amdhsa_user_sgpr_queue_ptr 0
		.amdhsa_user_sgpr_kernarg_segment_ptr 1
		.amdhsa_user_sgpr_dispatch_id 0
		.amdhsa_user_sgpr_kernarg_preload_length 0
		.amdhsa_user_sgpr_kernarg_preload_offset 0
		.amdhsa_user_sgpr_private_segment_size 0
		.amdhsa_uses_dynamic_stack 0
		.amdhsa_enable_private_segment 0
		.amdhsa_system_sgpr_workgroup_id_x 1
		.amdhsa_system_sgpr_workgroup_id_y 0
		.amdhsa_system_sgpr_workgroup_id_z 0
		.amdhsa_system_sgpr_workgroup_info 0
		.amdhsa_system_vgpr_workitem_id 0
		.amdhsa_next_free_vgpr 1
		.amdhsa_next_free_sgpr 0
		.amdhsa_accum_offset 4
		.amdhsa_reserve_vcc 0
		.amdhsa_float_round_mode_32 0
		.amdhsa_float_round_mode_16_64 0
		.amdhsa_float_denorm_mode_32 3
		.amdhsa_float_denorm_mode_16_64 3
		.amdhsa_dx10_clamp 1
		.amdhsa_ieee_mode 1
		.amdhsa_fp16_overflow 0
		.amdhsa_tg_split 0
		.amdhsa_exception_fp_ieee_invalid_op 0
		.amdhsa_exception_fp_denorm_src 0
		.amdhsa_exception_fp_ieee_div_zero 0
		.amdhsa_exception_fp_ieee_overflow 0
		.amdhsa_exception_fp_ieee_underflow 0
		.amdhsa_exception_fp_ieee_inexact 0
		.amdhsa_exception_int_div_zero 0
	.end_amdhsa_kernel
	.section	.text._ZN7rocprim17ROCPRIM_400000_NS6detail17trampoline_kernelINS0_14default_configENS1_38merge_sort_block_merge_config_selectorIiNS0_10empty_typeEEEZZNS1_27merge_sort_block_merge_implIS3_N6thrust23THRUST_200600_302600_NS6detail15normal_iteratorINS9_10device_ptrIiEEEEPS5_m17evens_before_oddsEE10hipError_tT0_T1_T2_jT3_P12ihipStream_tbPNSt15iterator_traitsISI_E10value_typeEPNSO_ISJ_E10value_typeEPSK_NS1_7vsmem_tEENKUlT_SI_SJ_SK_E_clIPiSE_SF_SF_EESH_SX_SI_SJ_SK_EUlSX_E1_NS1_11comp_targetILNS1_3genE2ELNS1_11target_archE906ELNS1_3gpuE6ELNS1_3repE0EEENS1_36merge_oddeven_config_static_selectorELNS0_4arch9wavefront6targetE1EEEvSJ_,"axG",@progbits,_ZN7rocprim17ROCPRIM_400000_NS6detail17trampoline_kernelINS0_14default_configENS1_38merge_sort_block_merge_config_selectorIiNS0_10empty_typeEEEZZNS1_27merge_sort_block_merge_implIS3_N6thrust23THRUST_200600_302600_NS6detail15normal_iteratorINS9_10device_ptrIiEEEEPS5_m17evens_before_oddsEE10hipError_tT0_T1_T2_jT3_P12ihipStream_tbPNSt15iterator_traitsISI_E10value_typeEPNSO_ISJ_E10value_typeEPSK_NS1_7vsmem_tEENKUlT_SI_SJ_SK_E_clIPiSE_SF_SF_EESH_SX_SI_SJ_SK_EUlSX_E1_NS1_11comp_targetILNS1_3genE2ELNS1_11target_archE906ELNS1_3gpuE6ELNS1_3repE0EEENS1_36merge_oddeven_config_static_selectorELNS0_4arch9wavefront6targetE1EEEvSJ_,comdat
.Lfunc_end429:
	.size	_ZN7rocprim17ROCPRIM_400000_NS6detail17trampoline_kernelINS0_14default_configENS1_38merge_sort_block_merge_config_selectorIiNS0_10empty_typeEEEZZNS1_27merge_sort_block_merge_implIS3_N6thrust23THRUST_200600_302600_NS6detail15normal_iteratorINS9_10device_ptrIiEEEEPS5_m17evens_before_oddsEE10hipError_tT0_T1_T2_jT3_P12ihipStream_tbPNSt15iterator_traitsISI_E10value_typeEPNSO_ISJ_E10value_typeEPSK_NS1_7vsmem_tEENKUlT_SI_SJ_SK_E_clIPiSE_SF_SF_EESH_SX_SI_SJ_SK_EUlSX_E1_NS1_11comp_targetILNS1_3genE2ELNS1_11target_archE906ELNS1_3gpuE6ELNS1_3repE0EEENS1_36merge_oddeven_config_static_selectorELNS0_4arch9wavefront6targetE1EEEvSJ_, .Lfunc_end429-_ZN7rocprim17ROCPRIM_400000_NS6detail17trampoline_kernelINS0_14default_configENS1_38merge_sort_block_merge_config_selectorIiNS0_10empty_typeEEEZZNS1_27merge_sort_block_merge_implIS3_N6thrust23THRUST_200600_302600_NS6detail15normal_iteratorINS9_10device_ptrIiEEEEPS5_m17evens_before_oddsEE10hipError_tT0_T1_T2_jT3_P12ihipStream_tbPNSt15iterator_traitsISI_E10value_typeEPNSO_ISJ_E10value_typeEPSK_NS1_7vsmem_tEENKUlT_SI_SJ_SK_E_clIPiSE_SF_SF_EESH_SX_SI_SJ_SK_EUlSX_E1_NS1_11comp_targetILNS1_3genE2ELNS1_11target_archE906ELNS1_3gpuE6ELNS1_3repE0EEENS1_36merge_oddeven_config_static_selectorELNS0_4arch9wavefront6targetE1EEEvSJ_
                                        ; -- End function
	.set _ZN7rocprim17ROCPRIM_400000_NS6detail17trampoline_kernelINS0_14default_configENS1_38merge_sort_block_merge_config_selectorIiNS0_10empty_typeEEEZZNS1_27merge_sort_block_merge_implIS3_N6thrust23THRUST_200600_302600_NS6detail15normal_iteratorINS9_10device_ptrIiEEEEPS5_m17evens_before_oddsEE10hipError_tT0_T1_T2_jT3_P12ihipStream_tbPNSt15iterator_traitsISI_E10value_typeEPNSO_ISJ_E10value_typeEPSK_NS1_7vsmem_tEENKUlT_SI_SJ_SK_E_clIPiSE_SF_SF_EESH_SX_SI_SJ_SK_EUlSX_E1_NS1_11comp_targetILNS1_3genE2ELNS1_11target_archE906ELNS1_3gpuE6ELNS1_3repE0EEENS1_36merge_oddeven_config_static_selectorELNS0_4arch9wavefront6targetE1EEEvSJ_.num_vgpr, 0
	.set _ZN7rocprim17ROCPRIM_400000_NS6detail17trampoline_kernelINS0_14default_configENS1_38merge_sort_block_merge_config_selectorIiNS0_10empty_typeEEEZZNS1_27merge_sort_block_merge_implIS3_N6thrust23THRUST_200600_302600_NS6detail15normal_iteratorINS9_10device_ptrIiEEEEPS5_m17evens_before_oddsEE10hipError_tT0_T1_T2_jT3_P12ihipStream_tbPNSt15iterator_traitsISI_E10value_typeEPNSO_ISJ_E10value_typeEPSK_NS1_7vsmem_tEENKUlT_SI_SJ_SK_E_clIPiSE_SF_SF_EESH_SX_SI_SJ_SK_EUlSX_E1_NS1_11comp_targetILNS1_3genE2ELNS1_11target_archE906ELNS1_3gpuE6ELNS1_3repE0EEENS1_36merge_oddeven_config_static_selectorELNS0_4arch9wavefront6targetE1EEEvSJ_.num_agpr, 0
	.set _ZN7rocprim17ROCPRIM_400000_NS6detail17trampoline_kernelINS0_14default_configENS1_38merge_sort_block_merge_config_selectorIiNS0_10empty_typeEEEZZNS1_27merge_sort_block_merge_implIS3_N6thrust23THRUST_200600_302600_NS6detail15normal_iteratorINS9_10device_ptrIiEEEEPS5_m17evens_before_oddsEE10hipError_tT0_T1_T2_jT3_P12ihipStream_tbPNSt15iterator_traitsISI_E10value_typeEPNSO_ISJ_E10value_typeEPSK_NS1_7vsmem_tEENKUlT_SI_SJ_SK_E_clIPiSE_SF_SF_EESH_SX_SI_SJ_SK_EUlSX_E1_NS1_11comp_targetILNS1_3genE2ELNS1_11target_archE906ELNS1_3gpuE6ELNS1_3repE0EEENS1_36merge_oddeven_config_static_selectorELNS0_4arch9wavefront6targetE1EEEvSJ_.numbered_sgpr, 0
	.set _ZN7rocprim17ROCPRIM_400000_NS6detail17trampoline_kernelINS0_14default_configENS1_38merge_sort_block_merge_config_selectorIiNS0_10empty_typeEEEZZNS1_27merge_sort_block_merge_implIS3_N6thrust23THRUST_200600_302600_NS6detail15normal_iteratorINS9_10device_ptrIiEEEEPS5_m17evens_before_oddsEE10hipError_tT0_T1_T2_jT3_P12ihipStream_tbPNSt15iterator_traitsISI_E10value_typeEPNSO_ISJ_E10value_typeEPSK_NS1_7vsmem_tEENKUlT_SI_SJ_SK_E_clIPiSE_SF_SF_EESH_SX_SI_SJ_SK_EUlSX_E1_NS1_11comp_targetILNS1_3genE2ELNS1_11target_archE906ELNS1_3gpuE6ELNS1_3repE0EEENS1_36merge_oddeven_config_static_selectorELNS0_4arch9wavefront6targetE1EEEvSJ_.num_named_barrier, 0
	.set _ZN7rocprim17ROCPRIM_400000_NS6detail17trampoline_kernelINS0_14default_configENS1_38merge_sort_block_merge_config_selectorIiNS0_10empty_typeEEEZZNS1_27merge_sort_block_merge_implIS3_N6thrust23THRUST_200600_302600_NS6detail15normal_iteratorINS9_10device_ptrIiEEEEPS5_m17evens_before_oddsEE10hipError_tT0_T1_T2_jT3_P12ihipStream_tbPNSt15iterator_traitsISI_E10value_typeEPNSO_ISJ_E10value_typeEPSK_NS1_7vsmem_tEENKUlT_SI_SJ_SK_E_clIPiSE_SF_SF_EESH_SX_SI_SJ_SK_EUlSX_E1_NS1_11comp_targetILNS1_3genE2ELNS1_11target_archE906ELNS1_3gpuE6ELNS1_3repE0EEENS1_36merge_oddeven_config_static_selectorELNS0_4arch9wavefront6targetE1EEEvSJ_.private_seg_size, 0
	.set _ZN7rocprim17ROCPRIM_400000_NS6detail17trampoline_kernelINS0_14default_configENS1_38merge_sort_block_merge_config_selectorIiNS0_10empty_typeEEEZZNS1_27merge_sort_block_merge_implIS3_N6thrust23THRUST_200600_302600_NS6detail15normal_iteratorINS9_10device_ptrIiEEEEPS5_m17evens_before_oddsEE10hipError_tT0_T1_T2_jT3_P12ihipStream_tbPNSt15iterator_traitsISI_E10value_typeEPNSO_ISJ_E10value_typeEPSK_NS1_7vsmem_tEENKUlT_SI_SJ_SK_E_clIPiSE_SF_SF_EESH_SX_SI_SJ_SK_EUlSX_E1_NS1_11comp_targetILNS1_3genE2ELNS1_11target_archE906ELNS1_3gpuE6ELNS1_3repE0EEENS1_36merge_oddeven_config_static_selectorELNS0_4arch9wavefront6targetE1EEEvSJ_.uses_vcc, 0
	.set _ZN7rocprim17ROCPRIM_400000_NS6detail17trampoline_kernelINS0_14default_configENS1_38merge_sort_block_merge_config_selectorIiNS0_10empty_typeEEEZZNS1_27merge_sort_block_merge_implIS3_N6thrust23THRUST_200600_302600_NS6detail15normal_iteratorINS9_10device_ptrIiEEEEPS5_m17evens_before_oddsEE10hipError_tT0_T1_T2_jT3_P12ihipStream_tbPNSt15iterator_traitsISI_E10value_typeEPNSO_ISJ_E10value_typeEPSK_NS1_7vsmem_tEENKUlT_SI_SJ_SK_E_clIPiSE_SF_SF_EESH_SX_SI_SJ_SK_EUlSX_E1_NS1_11comp_targetILNS1_3genE2ELNS1_11target_archE906ELNS1_3gpuE6ELNS1_3repE0EEENS1_36merge_oddeven_config_static_selectorELNS0_4arch9wavefront6targetE1EEEvSJ_.uses_flat_scratch, 0
	.set _ZN7rocprim17ROCPRIM_400000_NS6detail17trampoline_kernelINS0_14default_configENS1_38merge_sort_block_merge_config_selectorIiNS0_10empty_typeEEEZZNS1_27merge_sort_block_merge_implIS3_N6thrust23THRUST_200600_302600_NS6detail15normal_iteratorINS9_10device_ptrIiEEEEPS5_m17evens_before_oddsEE10hipError_tT0_T1_T2_jT3_P12ihipStream_tbPNSt15iterator_traitsISI_E10value_typeEPNSO_ISJ_E10value_typeEPSK_NS1_7vsmem_tEENKUlT_SI_SJ_SK_E_clIPiSE_SF_SF_EESH_SX_SI_SJ_SK_EUlSX_E1_NS1_11comp_targetILNS1_3genE2ELNS1_11target_archE906ELNS1_3gpuE6ELNS1_3repE0EEENS1_36merge_oddeven_config_static_selectorELNS0_4arch9wavefront6targetE1EEEvSJ_.has_dyn_sized_stack, 0
	.set _ZN7rocprim17ROCPRIM_400000_NS6detail17trampoline_kernelINS0_14default_configENS1_38merge_sort_block_merge_config_selectorIiNS0_10empty_typeEEEZZNS1_27merge_sort_block_merge_implIS3_N6thrust23THRUST_200600_302600_NS6detail15normal_iteratorINS9_10device_ptrIiEEEEPS5_m17evens_before_oddsEE10hipError_tT0_T1_T2_jT3_P12ihipStream_tbPNSt15iterator_traitsISI_E10value_typeEPNSO_ISJ_E10value_typeEPSK_NS1_7vsmem_tEENKUlT_SI_SJ_SK_E_clIPiSE_SF_SF_EESH_SX_SI_SJ_SK_EUlSX_E1_NS1_11comp_targetILNS1_3genE2ELNS1_11target_archE906ELNS1_3gpuE6ELNS1_3repE0EEENS1_36merge_oddeven_config_static_selectorELNS0_4arch9wavefront6targetE1EEEvSJ_.has_recursion, 0
	.set _ZN7rocprim17ROCPRIM_400000_NS6detail17trampoline_kernelINS0_14default_configENS1_38merge_sort_block_merge_config_selectorIiNS0_10empty_typeEEEZZNS1_27merge_sort_block_merge_implIS3_N6thrust23THRUST_200600_302600_NS6detail15normal_iteratorINS9_10device_ptrIiEEEEPS5_m17evens_before_oddsEE10hipError_tT0_T1_T2_jT3_P12ihipStream_tbPNSt15iterator_traitsISI_E10value_typeEPNSO_ISJ_E10value_typeEPSK_NS1_7vsmem_tEENKUlT_SI_SJ_SK_E_clIPiSE_SF_SF_EESH_SX_SI_SJ_SK_EUlSX_E1_NS1_11comp_targetILNS1_3genE2ELNS1_11target_archE906ELNS1_3gpuE6ELNS1_3repE0EEENS1_36merge_oddeven_config_static_selectorELNS0_4arch9wavefront6targetE1EEEvSJ_.has_indirect_call, 0
	.section	.AMDGPU.csdata,"",@progbits
; Kernel info:
; codeLenInByte = 0
; TotalNumSgprs: 6
; NumVgprs: 0
; NumAgprs: 0
; TotalNumVgprs: 0
; ScratchSize: 0
; MemoryBound: 0
; FloatMode: 240
; IeeeMode: 1
; LDSByteSize: 0 bytes/workgroup (compile time only)
; SGPRBlocks: 0
; VGPRBlocks: 0
; NumSGPRsForWavesPerEU: 6
; NumVGPRsForWavesPerEU: 1
; AccumOffset: 4
; Occupancy: 8
; WaveLimiterHint : 0
; COMPUTE_PGM_RSRC2:SCRATCH_EN: 0
; COMPUTE_PGM_RSRC2:USER_SGPR: 2
; COMPUTE_PGM_RSRC2:TRAP_HANDLER: 0
; COMPUTE_PGM_RSRC2:TGID_X_EN: 1
; COMPUTE_PGM_RSRC2:TGID_Y_EN: 0
; COMPUTE_PGM_RSRC2:TGID_Z_EN: 0
; COMPUTE_PGM_RSRC2:TIDIG_COMP_CNT: 0
; COMPUTE_PGM_RSRC3_GFX90A:ACCUM_OFFSET: 0
; COMPUTE_PGM_RSRC3_GFX90A:TG_SPLIT: 0
	.section	.text._ZN7rocprim17ROCPRIM_400000_NS6detail17trampoline_kernelINS0_14default_configENS1_38merge_sort_block_merge_config_selectorIiNS0_10empty_typeEEEZZNS1_27merge_sort_block_merge_implIS3_N6thrust23THRUST_200600_302600_NS6detail15normal_iteratorINS9_10device_ptrIiEEEEPS5_m17evens_before_oddsEE10hipError_tT0_T1_T2_jT3_P12ihipStream_tbPNSt15iterator_traitsISI_E10value_typeEPNSO_ISJ_E10value_typeEPSK_NS1_7vsmem_tEENKUlT_SI_SJ_SK_E_clIPiSE_SF_SF_EESH_SX_SI_SJ_SK_EUlSX_E1_NS1_11comp_targetILNS1_3genE9ELNS1_11target_archE1100ELNS1_3gpuE3ELNS1_3repE0EEENS1_36merge_oddeven_config_static_selectorELNS0_4arch9wavefront6targetE1EEEvSJ_,"axG",@progbits,_ZN7rocprim17ROCPRIM_400000_NS6detail17trampoline_kernelINS0_14default_configENS1_38merge_sort_block_merge_config_selectorIiNS0_10empty_typeEEEZZNS1_27merge_sort_block_merge_implIS3_N6thrust23THRUST_200600_302600_NS6detail15normal_iteratorINS9_10device_ptrIiEEEEPS5_m17evens_before_oddsEE10hipError_tT0_T1_T2_jT3_P12ihipStream_tbPNSt15iterator_traitsISI_E10value_typeEPNSO_ISJ_E10value_typeEPSK_NS1_7vsmem_tEENKUlT_SI_SJ_SK_E_clIPiSE_SF_SF_EESH_SX_SI_SJ_SK_EUlSX_E1_NS1_11comp_targetILNS1_3genE9ELNS1_11target_archE1100ELNS1_3gpuE3ELNS1_3repE0EEENS1_36merge_oddeven_config_static_selectorELNS0_4arch9wavefront6targetE1EEEvSJ_,comdat
	.protected	_ZN7rocprim17ROCPRIM_400000_NS6detail17trampoline_kernelINS0_14default_configENS1_38merge_sort_block_merge_config_selectorIiNS0_10empty_typeEEEZZNS1_27merge_sort_block_merge_implIS3_N6thrust23THRUST_200600_302600_NS6detail15normal_iteratorINS9_10device_ptrIiEEEEPS5_m17evens_before_oddsEE10hipError_tT0_T1_T2_jT3_P12ihipStream_tbPNSt15iterator_traitsISI_E10value_typeEPNSO_ISJ_E10value_typeEPSK_NS1_7vsmem_tEENKUlT_SI_SJ_SK_E_clIPiSE_SF_SF_EESH_SX_SI_SJ_SK_EUlSX_E1_NS1_11comp_targetILNS1_3genE9ELNS1_11target_archE1100ELNS1_3gpuE3ELNS1_3repE0EEENS1_36merge_oddeven_config_static_selectorELNS0_4arch9wavefront6targetE1EEEvSJ_ ; -- Begin function _ZN7rocprim17ROCPRIM_400000_NS6detail17trampoline_kernelINS0_14default_configENS1_38merge_sort_block_merge_config_selectorIiNS0_10empty_typeEEEZZNS1_27merge_sort_block_merge_implIS3_N6thrust23THRUST_200600_302600_NS6detail15normal_iteratorINS9_10device_ptrIiEEEEPS5_m17evens_before_oddsEE10hipError_tT0_T1_T2_jT3_P12ihipStream_tbPNSt15iterator_traitsISI_E10value_typeEPNSO_ISJ_E10value_typeEPSK_NS1_7vsmem_tEENKUlT_SI_SJ_SK_E_clIPiSE_SF_SF_EESH_SX_SI_SJ_SK_EUlSX_E1_NS1_11comp_targetILNS1_3genE9ELNS1_11target_archE1100ELNS1_3gpuE3ELNS1_3repE0EEENS1_36merge_oddeven_config_static_selectorELNS0_4arch9wavefront6targetE1EEEvSJ_
	.globl	_ZN7rocprim17ROCPRIM_400000_NS6detail17trampoline_kernelINS0_14default_configENS1_38merge_sort_block_merge_config_selectorIiNS0_10empty_typeEEEZZNS1_27merge_sort_block_merge_implIS3_N6thrust23THRUST_200600_302600_NS6detail15normal_iteratorINS9_10device_ptrIiEEEEPS5_m17evens_before_oddsEE10hipError_tT0_T1_T2_jT3_P12ihipStream_tbPNSt15iterator_traitsISI_E10value_typeEPNSO_ISJ_E10value_typeEPSK_NS1_7vsmem_tEENKUlT_SI_SJ_SK_E_clIPiSE_SF_SF_EESH_SX_SI_SJ_SK_EUlSX_E1_NS1_11comp_targetILNS1_3genE9ELNS1_11target_archE1100ELNS1_3gpuE3ELNS1_3repE0EEENS1_36merge_oddeven_config_static_selectorELNS0_4arch9wavefront6targetE1EEEvSJ_
	.p2align	8
	.type	_ZN7rocprim17ROCPRIM_400000_NS6detail17trampoline_kernelINS0_14default_configENS1_38merge_sort_block_merge_config_selectorIiNS0_10empty_typeEEEZZNS1_27merge_sort_block_merge_implIS3_N6thrust23THRUST_200600_302600_NS6detail15normal_iteratorINS9_10device_ptrIiEEEEPS5_m17evens_before_oddsEE10hipError_tT0_T1_T2_jT3_P12ihipStream_tbPNSt15iterator_traitsISI_E10value_typeEPNSO_ISJ_E10value_typeEPSK_NS1_7vsmem_tEENKUlT_SI_SJ_SK_E_clIPiSE_SF_SF_EESH_SX_SI_SJ_SK_EUlSX_E1_NS1_11comp_targetILNS1_3genE9ELNS1_11target_archE1100ELNS1_3gpuE3ELNS1_3repE0EEENS1_36merge_oddeven_config_static_selectorELNS0_4arch9wavefront6targetE1EEEvSJ_,@function
_ZN7rocprim17ROCPRIM_400000_NS6detail17trampoline_kernelINS0_14default_configENS1_38merge_sort_block_merge_config_selectorIiNS0_10empty_typeEEEZZNS1_27merge_sort_block_merge_implIS3_N6thrust23THRUST_200600_302600_NS6detail15normal_iteratorINS9_10device_ptrIiEEEEPS5_m17evens_before_oddsEE10hipError_tT0_T1_T2_jT3_P12ihipStream_tbPNSt15iterator_traitsISI_E10value_typeEPNSO_ISJ_E10value_typeEPSK_NS1_7vsmem_tEENKUlT_SI_SJ_SK_E_clIPiSE_SF_SF_EESH_SX_SI_SJ_SK_EUlSX_E1_NS1_11comp_targetILNS1_3genE9ELNS1_11target_archE1100ELNS1_3gpuE3ELNS1_3repE0EEENS1_36merge_oddeven_config_static_selectorELNS0_4arch9wavefront6targetE1EEEvSJ_: ; @_ZN7rocprim17ROCPRIM_400000_NS6detail17trampoline_kernelINS0_14default_configENS1_38merge_sort_block_merge_config_selectorIiNS0_10empty_typeEEEZZNS1_27merge_sort_block_merge_implIS3_N6thrust23THRUST_200600_302600_NS6detail15normal_iteratorINS9_10device_ptrIiEEEEPS5_m17evens_before_oddsEE10hipError_tT0_T1_T2_jT3_P12ihipStream_tbPNSt15iterator_traitsISI_E10value_typeEPNSO_ISJ_E10value_typeEPSK_NS1_7vsmem_tEENKUlT_SI_SJ_SK_E_clIPiSE_SF_SF_EESH_SX_SI_SJ_SK_EUlSX_E1_NS1_11comp_targetILNS1_3genE9ELNS1_11target_archE1100ELNS1_3gpuE3ELNS1_3repE0EEENS1_36merge_oddeven_config_static_selectorELNS0_4arch9wavefront6targetE1EEEvSJ_
; %bb.0:
	.section	.rodata,"a",@progbits
	.p2align	6, 0x0
	.amdhsa_kernel _ZN7rocprim17ROCPRIM_400000_NS6detail17trampoline_kernelINS0_14default_configENS1_38merge_sort_block_merge_config_selectorIiNS0_10empty_typeEEEZZNS1_27merge_sort_block_merge_implIS3_N6thrust23THRUST_200600_302600_NS6detail15normal_iteratorINS9_10device_ptrIiEEEEPS5_m17evens_before_oddsEE10hipError_tT0_T1_T2_jT3_P12ihipStream_tbPNSt15iterator_traitsISI_E10value_typeEPNSO_ISJ_E10value_typeEPSK_NS1_7vsmem_tEENKUlT_SI_SJ_SK_E_clIPiSE_SF_SF_EESH_SX_SI_SJ_SK_EUlSX_E1_NS1_11comp_targetILNS1_3genE9ELNS1_11target_archE1100ELNS1_3gpuE3ELNS1_3repE0EEENS1_36merge_oddeven_config_static_selectorELNS0_4arch9wavefront6targetE1EEEvSJ_
		.amdhsa_group_segment_fixed_size 0
		.amdhsa_private_segment_fixed_size 0
		.amdhsa_kernarg_size 56
		.amdhsa_user_sgpr_count 2
		.amdhsa_user_sgpr_dispatch_ptr 0
		.amdhsa_user_sgpr_queue_ptr 0
		.amdhsa_user_sgpr_kernarg_segment_ptr 1
		.amdhsa_user_sgpr_dispatch_id 0
		.amdhsa_user_sgpr_kernarg_preload_length 0
		.amdhsa_user_sgpr_kernarg_preload_offset 0
		.amdhsa_user_sgpr_private_segment_size 0
		.amdhsa_uses_dynamic_stack 0
		.amdhsa_enable_private_segment 0
		.amdhsa_system_sgpr_workgroup_id_x 1
		.amdhsa_system_sgpr_workgroup_id_y 0
		.amdhsa_system_sgpr_workgroup_id_z 0
		.amdhsa_system_sgpr_workgroup_info 0
		.amdhsa_system_vgpr_workitem_id 0
		.amdhsa_next_free_vgpr 1
		.amdhsa_next_free_sgpr 0
		.amdhsa_accum_offset 4
		.amdhsa_reserve_vcc 0
		.amdhsa_float_round_mode_32 0
		.amdhsa_float_round_mode_16_64 0
		.amdhsa_float_denorm_mode_32 3
		.amdhsa_float_denorm_mode_16_64 3
		.amdhsa_dx10_clamp 1
		.amdhsa_ieee_mode 1
		.amdhsa_fp16_overflow 0
		.amdhsa_tg_split 0
		.amdhsa_exception_fp_ieee_invalid_op 0
		.amdhsa_exception_fp_denorm_src 0
		.amdhsa_exception_fp_ieee_div_zero 0
		.amdhsa_exception_fp_ieee_overflow 0
		.amdhsa_exception_fp_ieee_underflow 0
		.amdhsa_exception_fp_ieee_inexact 0
		.amdhsa_exception_int_div_zero 0
	.end_amdhsa_kernel
	.section	.text._ZN7rocprim17ROCPRIM_400000_NS6detail17trampoline_kernelINS0_14default_configENS1_38merge_sort_block_merge_config_selectorIiNS0_10empty_typeEEEZZNS1_27merge_sort_block_merge_implIS3_N6thrust23THRUST_200600_302600_NS6detail15normal_iteratorINS9_10device_ptrIiEEEEPS5_m17evens_before_oddsEE10hipError_tT0_T1_T2_jT3_P12ihipStream_tbPNSt15iterator_traitsISI_E10value_typeEPNSO_ISJ_E10value_typeEPSK_NS1_7vsmem_tEENKUlT_SI_SJ_SK_E_clIPiSE_SF_SF_EESH_SX_SI_SJ_SK_EUlSX_E1_NS1_11comp_targetILNS1_3genE9ELNS1_11target_archE1100ELNS1_3gpuE3ELNS1_3repE0EEENS1_36merge_oddeven_config_static_selectorELNS0_4arch9wavefront6targetE1EEEvSJ_,"axG",@progbits,_ZN7rocprim17ROCPRIM_400000_NS6detail17trampoline_kernelINS0_14default_configENS1_38merge_sort_block_merge_config_selectorIiNS0_10empty_typeEEEZZNS1_27merge_sort_block_merge_implIS3_N6thrust23THRUST_200600_302600_NS6detail15normal_iteratorINS9_10device_ptrIiEEEEPS5_m17evens_before_oddsEE10hipError_tT0_T1_T2_jT3_P12ihipStream_tbPNSt15iterator_traitsISI_E10value_typeEPNSO_ISJ_E10value_typeEPSK_NS1_7vsmem_tEENKUlT_SI_SJ_SK_E_clIPiSE_SF_SF_EESH_SX_SI_SJ_SK_EUlSX_E1_NS1_11comp_targetILNS1_3genE9ELNS1_11target_archE1100ELNS1_3gpuE3ELNS1_3repE0EEENS1_36merge_oddeven_config_static_selectorELNS0_4arch9wavefront6targetE1EEEvSJ_,comdat
.Lfunc_end430:
	.size	_ZN7rocprim17ROCPRIM_400000_NS6detail17trampoline_kernelINS0_14default_configENS1_38merge_sort_block_merge_config_selectorIiNS0_10empty_typeEEEZZNS1_27merge_sort_block_merge_implIS3_N6thrust23THRUST_200600_302600_NS6detail15normal_iteratorINS9_10device_ptrIiEEEEPS5_m17evens_before_oddsEE10hipError_tT0_T1_T2_jT3_P12ihipStream_tbPNSt15iterator_traitsISI_E10value_typeEPNSO_ISJ_E10value_typeEPSK_NS1_7vsmem_tEENKUlT_SI_SJ_SK_E_clIPiSE_SF_SF_EESH_SX_SI_SJ_SK_EUlSX_E1_NS1_11comp_targetILNS1_3genE9ELNS1_11target_archE1100ELNS1_3gpuE3ELNS1_3repE0EEENS1_36merge_oddeven_config_static_selectorELNS0_4arch9wavefront6targetE1EEEvSJ_, .Lfunc_end430-_ZN7rocprim17ROCPRIM_400000_NS6detail17trampoline_kernelINS0_14default_configENS1_38merge_sort_block_merge_config_selectorIiNS0_10empty_typeEEEZZNS1_27merge_sort_block_merge_implIS3_N6thrust23THRUST_200600_302600_NS6detail15normal_iteratorINS9_10device_ptrIiEEEEPS5_m17evens_before_oddsEE10hipError_tT0_T1_T2_jT3_P12ihipStream_tbPNSt15iterator_traitsISI_E10value_typeEPNSO_ISJ_E10value_typeEPSK_NS1_7vsmem_tEENKUlT_SI_SJ_SK_E_clIPiSE_SF_SF_EESH_SX_SI_SJ_SK_EUlSX_E1_NS1_11comp_targetILNS1_3genE9ELNS1_11target_archE1100ELNS1_3gpuE3ELNS1_3repE0EEENS1_36merge_oddeven_config_static_selectorELNS0_4arch9wavefront6targetE1EEEvSJ_
                                        ; -- End function
	.set _ZN7rocprim17ROCPRIM_400000_NS6detail17trampoline_kernelINS0_14default_configENS1_38merge_sort_block_merge_config_selectorIiNS0_10empty_typeEEEZZNS1_27merge_sort_block_merge_implIS3_N6thrust23THRUST_200600_302600_NS6detail15normal_iteratorINS9_10device_ptrIiEEEEPS5_m17evens_before_oddsEE10hipError_tT0_T1_T2_jT3_P12ihipStream_tbPNSt15iterator_traitsISI_E10value_typeEPNSO_ISJ_E10value_typeEPSK_NS1_7vsmem_tEENKUlT_SI_SJ_SK_E_clIPiSE_SF_SF_EESH_SX_SI_SJ_SK_EUlSX_E1_NS1_11comp_targetILNS1_3genE9ELNS1_11target_archE1100ELNS1_3gpuE3ELNS1_3repE0EEENS1_36merge_oddeven_config_static_selectorELNS0_4arch9wavefront6targetE1EEEvSJ_.num_vgpr, 0
	.set _ZN7rocprim17ROCPRIM_400000_NS6detail17trampoline_kernelINS0_14default_configENS1_38merge_sort_block_merge_config_selectorIiNS0_10empty_typeEEEZZNS1_27merge_sort_block_merge_implIS3_N6thrust23THRUST_200600_302600_NS6detail15normal_iteratorINS9_10device_ptrIiEEEEPS5_m17evens_before_oddsEE10hipError_tT0_T1_T2_jT3_P12ihipStream_tbPNSt15iterator_traitsISI_E10value_typeEPNSO_ISJ_E10value_typeEPSK_NS1_7vsmem_tEENKUlT_SI_SJ_SK_E_clIPiSE_SF_SF_EESH_SX_SI_SJ_SK_EUlSX_E1_NS1_11comp_targetILNS1_3genE9ELNS1_11target_archE1100ELNS1_3gpuE3ELNS1_3repE0EEENS1_36merge_oddeven_config_static_selectorELNS0_4arch9wavefront6targetE1EEEvSJ_.num_agpr, 0
	.set _ZN7rocprim17ROCPRIM_400000_NS6detail17trampoline_kernelINS0_14default_configENS1_38merge_sort_block_merge_config_selectorIiNS0_10empty_typeEEEZZNS1_27merge_sort_block_merge_implIS3_N6thrust23THRUST_200600_302600_NS6detail15normal_iteratorINS9_10device_ptrIiEEEEPS5_m17evens_before_oddsEE10hipError_tT0_T1_T2_jT3_P12ihipStream_tbPNSt15iterator_traitsISI_E10value_typeEPNSO_ISJ_E10value_typeEPSK_NS1_7vsmem_tEENKUlT_SI_SJ_SK_E_clIPiSE_SF_SF_EESH_SX_SI_SJ_SK_EUlSX_E1_NS1_11comp_targetILNS1_3genE9ELNS1_11target_archE1100ELNS1_3gpuE3ELNS1_3repE0EEENS1_36merge_oddeven_config_static_selectorELNS0_4arch9wavefront6targetE1EEEvSJ_.numbered_sgpr, 0
	.set _ZN7rocprim17ROCPRIM_400000_NS6detail17trampoline_kernelINS0_14default_configENS1_38merge_sort_block_merge_config_selectorIiNS0_10empty_typeEEEZZNS1_27merge_sort_block_merge_implIS3_N6thrust23THRUST_200600_302600_NS6detail15normal_iteratorINS9_10device_ptrIiEEEEPS5_m17evens_before_oddsEE10hipError_tT0_T1_T2_jT3_P12ihipStream_tbPNSt15iterator_traitsISI_E10value_typeEPNSO_ISJ_E10value_typeEPSK_NS1_7vsmem_tEENKUlT_SI_SJ_SK_E_clIPiSE_SF_SF_EESH_SX_SI_SJ_SK_EUlSX_E1_NS1_11comp_targetILNS1_3genE9ELNS1_11target_archE1100ELNS1_3gpuE3ELNS1_3repE0EEENS1_36merge_oddeven_config_static_selectorELNS0_4arch9wavefront6targetE1EEEvSJ_.num_named_barrier, 0
	.set _ZN7rocprim17ROCPRIM_400000_NS6detail17trampoline_kernelINS0_14default_configENS1_38merge_sort_block_merge_config_selectorIiNS0_10empty_typeEEEZZNS1_27merge_sort_block_merge_implIS3_N6thrust23THRUST_200600_302600_NS6detail15normal_iteratorINS9_10device_ptrIiEEEEPS5_m17evens_before_oddsEE10hipError_tT0_T1_T2_jT3_P12ihipStream_tbPNSt15iterator_traitsISI_E10value_typeEPNSO_ISJ_E10value_typeEPSK_NS1_7vsmem_tEENKUlT_SI_SJ_SK_E_clIPiSE_SF_SF_EESH_SX_SI_SJ_SK_EUlSX_E1_NS1_11comp_targetILNS1_3genE9ELNS1_11target_archE1100ELNS1_3gpuE3ELNS1_3repE0EEENS1_36merge_oddeven_config_static_selectorELNS0_4arch9wavefront6targetE1EEEvSJ_.private_seg_size, 0
	.set _ZN7rocprim17ROCPRIM_400000_NS6detail17trampoline_kernelINS0_14default_configENS1_38merge_sort_block_merge_config_selectorIiNS0_10empty_typeEEEZZNS1_27merge_sort_block_merge_implIS3_N6thrust23THRUST_200600_302600_NS6detail15normal_iteratorINS9_10device_ptrIiEEEEPS5_m17evens_before_oddsEE10hipError_tT0_T1_T2_jT3_P12ihipStream_tbPNSt15iterator_traitsISI_E10value_typeEPNSO_ISJ_E10value_typeEPSK_NS1_7vsmem_tEENKUlT_SI_SJ_SK_E_clIPiSE_SF_SF_EESH_SX_SI_SJ_SK_EUlSX_E1_NS1_11comp_targetILNS1_3genE9ELNS1_11target_archE1100ELNS1_3gpuE3ELNS1_3repE0EEENS1_36merge_oddeven_config_static_selectorELNS0_4arch9wavefront6targetE1EEEvSJ_.uses_vcc, 0
	.set _ZN7rocprim17ROCPRIM_400000_NS6detail17trampoline_kernelINS0_14default_configENS1_38merge_sort_block_merge_config_selectorIiNS0_10empty_typeEEEZZNS1_27merge_sort_block_merge_implIS3_N6thrust23THRUST_200600_302600_NS6detail15normal_iteratorINS9_10device_ptrIiEEEEPS5_m17evens_before_oddsEE10hipError_tT0_T1_T2_jT3_P12ihipStream_tbPNSt15iterator_traitsISI_E10value_typeEPNSO_ISJ_E10value_typeEPSK_NS1_7vsmem_tEENKUlT_SI_SJ_SK_E_clIPiSE_SF_SF_EESH_SX_SI_SJ_SK_EUlSX_E1_NS1_11comp_targetILNS1_3genE9ELNS1_11target_archE1100ELNS1_3gpuE3ELNS1_3repE0EEENS1_36merge_oddeven_config_static_selectorELNS0_4arch9wavefront6targetE1EEEvSJ_.uses_flat_scratch, 0
	.set _ZN7rocprim17ROCPRIM_400000_NS6detail17trampoline_kernelINS0_14default_configENS1_38merge_sort_block_merge_config_selectorIiNS0_10empty_typeEEEZZNS1_27merge_sort_block_merge_implIS3_N6thrust23THRUST_200600_302600_NS6detail15normal_iteratorINS9_10device_ptrIiEEEEPS5_m17evens_before_oddsEE10hipError_tT0_T1_T2_jT3_P12ihipStream_tbPNSt15iterator_traitsISI_E10value_typeEPNSO_ISJ_E10value_typeEPSK_NS1_7vsmem_tEENKUlT_SI_SJ_SK_E_clIPiSE_SF_SF_EESH_SX_SI_SJ_SK_EUlSX_E1_NS1_11comp_targetILNS1_3genE9ELNS1_11target_archE1100ELNS1_3gpuE3ELNS1_3repE0EEENS1_36merge_oddeven_config_static_selectorELNS0_4arch9wavefront6targetE1EEEvSJ_.has_dyn_sized_stack, 0
	.set _ZN7rocprim17ROCPRIM_400000_NS6detail17trampoline_kernelINS0_14default_configENS1_38merge_sort_block_merge_config_selectorIiNS0_10empty_typeEEEZZNS1_27merge_sort_block_merge_implIS3_N6thrust23THRUST_200600_302600_NS6detail15normal_iteratorINS9_10device_ptrIiEEEEPS5_m17evens_before_oddsEE10hipError_tT0_T1_T2_jT3_P12ihipStream_tbPNSt15iterator_traitsISI_E10value_typeEPNSO_ISJ_E10value_typeEPSK_NS1_7vsmem_tEENKUlT_SI_SJ_SK_E_clIPiSE_SF_SF_EESH_SX_SI_SJ_SK_EUlSX_E1_NS1_11comp_targetILNS1_3genE9ELNS1_11target_archE1100ELNS1_3gpuE3ELNS1_3repE0EEENS1_36merge_oddeven_config_static_selectorELNS0_4arch9wavefront6targetE1EEEvSJ_.has_recursion, 0
	.set _ZN7rocprim17ROCPRIM_400000_NS6detail17trampoline_kernelINS0_14default_configENS1_38merge_sort_block_merge_config_selectorIiNS0_10empty_typeEEEZZNS1_27merge_sort_block_merge_implIS3_N6thrust23THRUST_200600_302600_NS6detail15normal_iteratorINS9_10device_ptrIiEEEEPS5_m17evens_before_oddsEE10hipError_tT0_T1_T2_jT3_P12ihipStream_tbPNSt15iterator_traitsISI_E10value_typeEPNSO_ISJ_E10value_typeEPSK_NS1_7vsmem_tEENKUlT_SI_SJ_SK_E_clIPiSE_SF_SF_EESH_SX_SI_SJ_SK_EUlSX_E1_NS1_11comp_targetILNS1_3genE9ELNS1_11target_archE1100ELNS1_3gpuE3ELNS1_3repE0EEENS1_36merge_oddeven_config_static_selectorELNS0_4arch9wavefront6targetE1EEEvSJ_.has_indirect_call, 0
	.section	.AMDGPU.csdata,"",@progbits
; Kernel info:
; codeLenInByte = 0
; TotalNumSgprs: 6
; NumVgprs: 0
; NumAgprs: 0
; TotalNumVgprs: 0
; ScratchSize: 0
; MemoryBound: 0
; FloatMode: 240
; IeeeMode: 1
; LDSByteSize: 0 bytes/workgroup (compile time only)
; SGPRBlocks: 0
; VGPRBlocks: 0
; NumSGPRsForWavesPerEU: 6
; NumVGPRsForWavesPerEU: 1
; AccumOffset: 4
; Occupancy: 8
; WaveLimiterHint : 0
; COMPUTE_PGM_RSRC2:SCRATCH_EN: 0
; COMPUTE_PGM_RSRC2:USER_SGPR: 2
; COMPUTE_PGM_RSRC2:TRAP_HANDLER: 0
; COMPUTE_PGM_RSRC2:TGID_X_EN: 1
; COMPUTE_PGM_RSRC2:TGID_Y_EN: 0
; COMPUTE_PGM_RSRC2:TGID_Z_EN: 0
; COMPUTE_PGM_RSRC2:TIDIG_COMP_CNT: 0
; COMPUTE_PGM_RSRC3_GFX90A:ACCUM_OFFSET: 0
; COMPUTE_PGM_RSRC3_GFX90A:TG_SPLIT: 0
	.section	.text._ZN7rocprim17ROCPRIM_400000_NS6detail17trampoline_kernelINS0_14default_configENS1_38merge_sort_block_merge_config_selectorIiNS0_10empty_typeEEEZZNS1_27merge_sort_block_merge_implIS3_N6thrust23THRUST_200600_302600_NS6detail15normal_iteratorINS9_10device_ptrIiEEEEPS5_m17evens_before_oddsEE10hipError_tT0_T1_T2_jT3_P12ihipStream_tbPNSt15iterator_traitsISI_E10value_typeEPNSO_ISJ_E10value_typeEPSK_NS1_7vsmem_tEENKUlT_SI_SJ_SK_E_clIPiSE_SF_SF_EESH_SX_SI_SJ_SK_EUlSX_E1_NS1_11comp_targetILNS1_3genE8ELNS1_11target_archE1030ELNS1_3gpuE2ELNS1_3repE0EEENS1_36merge_oddeven_config_static_selectorELNS0_4arch9wavefront6targetE1EEEvSJ_,"axG",@progbits,_ZN7rocprim17ROCPRIM_400000_NS6detail17trampoline_kernelINS0_14default_configENS1_38merge_sort_block_merge_config_selectorIiNS0_10empty_typeEEEZZNS1_27merge_sort_block_merge_implIS3_N6thrust23THRUST_200600_302600_NS6detail15normal_iteratorINS9_10device_ptrIiEEEEPS5_m17evens_before_oddsEE10hipError_tT0_T1_T2_jT3_P12ihipStream_tbPNSt15iterator_traitsISI_E10value_typeEPNSO_ISJ_E10value_typeEPSK_NS1_7vsmem_tEENKUlT_SI_SJ_SK_E_clIPiSE_SF_SF_EESH_SX_SI_SJ_SK_EUlSX_E1_NS1_11comp_targetILNS1_3genE8ELNS1_11target_archE1030ELNS1_3gpuE2ELNS1_3repE0EEENS1_36merge_oddeven_config_static_selectorELNS0_4arch9wavefront6targetE1EEEvSJ_,comdat
	.protected	_ZN7rocprim17ROCPRIM_400000_NS6detail17trampoline_kernelINS0_14default_configENS1_38merge_sort_block_merge_config_selectorIiNS0_10empty_typeEEEZZNS1_27merge_sort_block_merge_implIS3_N6thrust23THRUST_200600_302600_NS6detail15normal_iteratorINS9_10device_ptrIiEEEEPS5_m17evens_before_oddsEE10hipError_tT0_T1_T2_jT3_P12ihipStream_tbPNSt15iterator_traitsISI_E10value_typeEPNSO_ISJ_E10value_typeEPSK_NS1_7vsmem_tEENKUlT_SI_SJ_SK_E_clIPiSE_SF_SF_EESH_SX_SI_SJ_SK_EUlSX_E1_NS1_11comp_targetILNS1_3genE8ELNS1_11target_archE1030ELNS1_3gpuE2ELNS1_3repE0EEENS1_36merge_oddeven_config_static_selectorELNS0_4arch9wavefront6targetE1EEEvSJ_ ; -- Begin function _ZN7rocprim17ROCPRIM_400000_NS6detail17trampoline_kernelINS0_14default_configENS1_38merge_sort_block_merge_config_selectorIiNS0_10empty_typeEEEZZNS1_27merge_sort_block_merge_implIS3_N6thrust23THRUST_200600_302600_NS6detail15normal_iteratorINS9_10device_ptrIiEEEEPS5_m17evens_before_oddsEE10hipError_tT0_T1_T2_jT3_P12ihipStream_tbPNSt15iterator_traitsISI_E10value_typeEPNSO_ISJ_E10value_typeEPSK_NS1_7vsmem_tEENKUlT_SI_SJ_SK_E_clIPiSE_SF_SF_EESH_SX_SI_SJ_SK_EUlSX_E1_NS1_11comp_targetILNS1_3genE8ELNS1_11target_archE1030ELNS1_3gpuE2ELNS1_3repE0EEENS1_36merge_oddeven_config_static_selectorELNS0_4arch9wavefront6targetE1EEEvSJ_
	.globl	_ZN7rocprim17ROCPRIM_400000_NS6detail17trampoline_kernelINS0_14default_configENS1_38merge_sort_block_merge_config_selectorIiNS0_10empty_typeEEEZZNS1_27merge_sort_block_merge_implIS3_N6thrust23THRUST_200600_302600_NS6detail15normal_iteratorINS9_10device_ptrIiEEEEPS5_m17evens_before_oddsEE10hipError_tT0_T1_T2_jT3_P12ihipStream_tbPNSt15iterator_traitsISI_E10value_typeEPNSO_ISJ_E10value_typeEPSK_NS1_7vsmem_tEENKUlT_SI_SJ_SK_E_clIPiSE_SF_SF_EESH_SX_SI_SJ_SK_EUlSX_E1_NS1_11comp_targetILNS1_3genE8ELNS1_11target_archE1030ELNS1_3gpuE2ELNS1_3repE0EEENS1_36merge_oddeven_config_static_selectorELNS0_4arch9wavefront6targetE1EEEvSJ_
	.p2align	8
	.type	_ZN7rocprim17ROCPRIM_400000_NS6detail17trampoline_kernelINS0_14default_configENS1_38merge_sort_block_merge_config_selectorIiNS0_10empty_typeEEEZZNS1_27merge_sort_block_merge_implIS3_N6thrust23THRUST_200600_302600_NS6detail15normal_iteratorINS9_10device_ptrIiEEEEPS5_m17evens_before_oddsEE10hipError_tT0_T1_T2_jT3_P12ihipStream_tbPNSt15iterator_traitsISI_E10value_typeEPNSO_ISJ_E10value_typeEPSK_NS1_7vsmem_tEENKUlT_SI_SJ_SK_E_clIPiSE_SF_SF_EESH_SX_SI_SJ_SK_EUlSX_E1_NS1_11comp_targetILNS1_3genE8ELNS1_11target_archE1030ELNS1_3gpuE2ELNS1_3repE0EEENS1_36merge_oddeven_config_static_selectorELNS0_4arch9wavefront6targetE1EEEvSJ_,@function
_ZN7rocprim17ROCPRIM_400000_NS6detail17trampoline_kernelINS0_14default_configENS1_38merge_sort_block_merge_config_selectorIiNS0_10empty_typeEEEZZNS1_27merge_sort_block_merge_implIS3_N6thrust23THRUST_200600_302600_NS6detail15normal_iteratorINS9_10device_ptrIiEEEEPS5_m17evens_before_oddsEE10hipError_tT0_T1_T2_jT3_P12ihipStream_tbPNSt15iterator_traitsISI_E10value_typeEPNSO_ISJ_E10value_typeEPSK_NS1_7vsmem_tEENKUlT_SI_SJ_SK_E_clIPiSE_SF_SF_EESH_SX_SI_SJ_SK_EUlSX_E1_NS1_11comp_targetILNS1_3genE8ELNS1_11target_archE1030ELNS1_3gpuE2ELNS1_3repE0EEENS1_36merge_oddeven_config_static_selectorELNS0_4arch9wavefront6targetE1EEEvSJ_: ; @_ZN7rocprim17ROCPRIM_400000_NS6detail17trampoline_kernelINS0_14default_configENS1_38merge_sort_block_merge_config_selectorIiNS0_10empty_typeEEEZZNS1_27merge_sort_block_merge_implIS3_N6thrust23THRUST_200600_302600_NS6detail15normal_iteratorINS9_10device_ptrIiEEEEPS5_m17evens_before_oddsEE10hipError_tT0_T1_T2_jT3_P12ihipStream_tbPNSt15iterator_traitsISI_E10value_typeEPNSO_ISJ_E10value_typeEPSK_NS1_7vsmem_tEENKUlT_SI_SJ_SK_E_clIPiSE_SF_SF_EESH_SX_SI_SJ_SK_EUlSX_E1_NS1_11comp_targetILNS1_3genE8ELNS1_11target_archE1030ELNS1_3gpuE2ELNS1_3repE0EEENS1_36merge_oddeven_config_static_selectorELNS0_4arch9wavefront6targetE1EEEvSJ_
; %bb.0:
	.section	.rodata,"a",@progbits
	.p2align	6, 0x0
	.amdhsa_kernel _ZN7rocprim17ROCPRIM_400000_NS6detail17trampoline_kernelINS0_14default_configENS1_38merge_sort_block_merge_config_selectorIiNS0_10empty_typeEEEZZNS1_27merge_sort_block_merge_implIS3_N6thrust23THRUST_200600_302600_NS6detail15normal_iteratorINS9_10device_ptrIiEEEEPS5_m17evens_before_oddsEE10hipError_tT0_T1_T2_jT3_P12ihipStream_tbPNSt15iterator_traitsISI_E10value_typeEPNSO_ISJ_E10value_typeEPSK_NS1_7vsmem_tEENKUlT_SI_SJ_SK_E_clIPiSE_SF_SF_EESH_SX_SI_SJ_SK_EUlSX_E1_NS1_11comp_targetILNS1_3genE8ELNS1_11target_archE1030ELNS1_3gpuE2ELNS1_3repE0EEENS1_36merge_oddeven_config_static_selectorELNS0_4arch9wavefront6targetE1EEEvSJ_
		.amdhsa_group_segment_fixed_size 0
		.amdhsa_private_segment_fixed_size 0
		.amdhsa_kernarg_size 56
		.amdhsa_user_sgpr_count 2
		.amdhsa_user_sgpr_dispatch_ptr 0
		.amdhsa_user_sgpr_queue_ptr 0
		.amdhsa_user_sgpr_kernarg_segment_ptr 1
		.amdhsa_user_sgpr_dispatch_id 0
		.amdhsa_user_sgpr_kernarg_preload_length 0
		.amdhsa_user_sgpr_kernarg_preload_offset 0
		.amdhsa_user_sgpr_private_segment_size 0
		.amdhsa_uses_dynamic_stack 0
		.amdhsa_enable_private_segment 0
		.amdhsa_system_sgpr_workgroup_id_x 1
		.amdhsa_system_sgpr_workgroup_id_y 0
		.amdhsa_system_sgpr_workgroup_id_z 0
		.amdhsa_system_sgpr_workgroup_info 0
		.amdhsa_system_vgpr_workitem_id 0
		.amdhsa_next_free_vgpr 1
		.amdhsa_next_free_sgpr 0
		.amdhsa_accum_offset 4
		.amdhsa_reserve_vcc 0
		.amdhsa_float_round_mode_32 0
		.amdhsa_float_round_mode_16_64 0
		.amdhsa_float_denorm_mode_32 3
		.amdhsa_float_denorm_mode_16_64 3
		.amdhsa_dx10_clamp 1
		.amdhsa_ieee_mode 1
		.amdhsa_fp16_overflow 0
		.amdhsa_tg_split 0
		.amdhsa_exception_fp_ieee_invalid_op 0
		.amdhsa_exception_fp_denorm_src 0
		.amdhsa_exception_fp_ieee_div_zero 0
		.amdhsa_exception_fp_ieee_overflow 0
		.amdhsa_exception_fp_ieee_underflow 0
		.amdhsa_exception_fp_ieee_inexact 0
		.amdhsa_exception_int_div_zero 0
	.end_amdhsa_kernel
	.section	.text._ZN7rocprim17ROCPRIM_400000_NS6detail17trampoline_kernelINS0_14default_configENS1_38merge_sort_block_merge_config_selectorIiNS0_10empty_typeEEEZZNS1_27merge_sort_block_merge_implIS3_N6thrust23THRUST_200600_302600_NS6detail15normal_iteratorINS9_10device_ptrIiEEEEPS5_m17evens_before_oddsEE10hipError_tT0_T1_T2_jT3_P12ihipStream_tbPNSt15iterator_traitsISI_E10value_typeEPNSO_ISJ_E10value_typeEPSK_NS1_7vsmem_tEENKUlT_SI_SJ_SK_E_clIPiSE_SF_SF_EESH_SX_SI_SJ_SK_EUlSX_E1_NS1_11comp_targetILNS1_3genE8ELNS1_11target_archE1030ELNS1_3gpuE2ELNS1_3repE0EEENS1_36merge_oddeven_config_static_selectorELNS0_4arch9wavefront6targetE1EEEvSJ_,"axG",@progbits,_ZN7rocprim17ROCPRIM_400000_NS6detail17trampoline_kernelINS0_14default_configENS1_38merge_sort_block_merge_config_selectorIiNS0_10empty_typeEEEZZNS1_27merge_sort_block_merge_implIS3_N6thrust23THRUST_200600_302600_NS6detail15normal_iteratorINS9_10device_ptrIiEEEEPS5_m17evens_before_oddsEE10hipError_tT0_T1_T2_jT3_P12ihipStream_tbPNSt15iterator_traitsISI_E10value_typeEPNSO_ISJ_E10value_typeEPSK_NS1_7vsmem_tEENKUlT_SI_SJ_SK_E_clIPiSE_SF_SF_EESH_SX_SI_SJ_SK_EUlSX_E1_NS1_11comp_targetILNS1_3genE8ELNS1_11target_archE1030ELNS1_3gpuE2ELNS1_3repE0EEENS1_36merge_oddeven_config_static_selectorELNS0_4arch9wavefront6targetE1EEEvSJ_,comdat
.Lfunc_end431:
	.size	_ZN7rocprim17ROCPRIM_400000_NS6detail17trampoline_kernelINS0_14default_configENS1_38merge_sort_block_merge_config_selectorIiNS0_10empty_typeEEEZZNS1_27merge_sort_block_merge_implIS3_N6thrust23THRUST_200600_302600_NS6detail15normal_iteratorINS9_10device_ptrIiEEEEPS5_m17evens_before_oddsEE10hipError_tT0_T1_T2_jT3_P12ihipStream_tbPNSt15iterator_traitsISI_E10value_typeEPNSO_ISJ_E10value_typeEPSK_NS1_7vsmem_tEENKUlT_SI_SJ_SK_E_clIPiSE_SF_SF_EESH_SX_SI_SJ_SK_EUlSX_E1_NS1_11comp_targetILNS1_3genE8ELNS1_11target_archE1030ELNS1_3gpuE2ELNS1_3repE0EEENS1_36merge_oddeven_config_static_selectorELNS0_4arch9wavefront6targetE1EEEvSJ_, .Lfunc_end431-_ZN7rocprim17ROCPRIM_400000_NS6detail17trampoline_kernelINS0_14default_configENS1_38merge_sort_block_merge_config_selectorIiNS0_10empty_typeEEEZZNS1_27merge_sort_block_merge_implIS3_N6thrust23THRUST_200600_302600_NS6detail15normal_iteratorINS9_10device_ptrIiEEEEPS5_m17evens_before_oddsEE10hipError_tT0_T1_T2_jT3_P12ihipStream_tbPNSt15iterator_traitsISI_E10value_typeEPNSO_ISJ_E10value_typeEPSK_NS1_7vsmem_tEENKUlT_SI_SJ_SK_E_clIPiSE_SF_SF_EESH_SX_SI_SJ_SK_EUlSX_E1_NS1_11comp_targetILNS1_3genE8ELNS1_11target_archE1030ELNS1_3gpuE2ELNS1_3repE0EEENS1_36merge_oddeven_config_static_selectorELNS0_4arch9wavefront6targetE1EEEvSJ_
                                        ; -- End function
	.set _ZN7rocprim17ROCPRIM_400000_NS6detail17trampoline_kernelINS0_14default_configENS1_38merge_sort_block_merge_config_selectorIiNS0_10empty_typeEEEZZNS1_27merge_sort_block_merge_implIS3_N6thrust23THRUST_200600_302600_NS6detail15normal_iteratorINS9_10device_ptrIiEEEEPS5_m17evens_before_oddsEE10hipError_tT0_T1_T2_jT3_P12ihipStream_tbPNSt15iterator_traitsISI_E10value_typeEPNSO_ISJ_E10value_typeEPSK_NS1_7vsmem_tEENKUlT_SI_SJ_SK_E_clIPiSE_SF_SF_EESH_SX_SI_SJ_SK_EUlSX_E1_NS1_11comp_targetILNS1_3genE8ELNS1_11target_archE1030ELNS1_3gpuE2ELNS1_3repE0EEENS1_36merge_oddeven_config_static_selectorELNS0_4arch9wavefront6targetE1EEEvSJ_.num_vgpr, 0
	.set _ZN7rocprim17ROCPRIM_400000_NS6detail17trampoline_kernelINS0_14default_configENS1_38merge_sort_block_merge_config_selectorIiNS0_10empty_typeEEEZZNS1_27merge_sort_block_merge_implIS3_N6thrust23THRUST_200600_302600_NS6detail15normal_iteratorINS9_10device_ptrIiEEEEPS5_m17evens_before_oddsEE10hipError_tT0_T1_T2_jT3_P12ihipStream_tbPNSt15iterator_traitsISI_E10value_typeEPNSO_ISJ_E10value_typeEPSK_NS1_7vsmem_tEENKUlT_SI_SJ_SK_E_clIPiSE_SF_SF_EESH_SX_SI_SJ_SK_EUlSX_E1_NS1_11comp_targetILNS1_3genE8ELNS1_11target_archE1030ELNS1_3gpuE2ELNS1_3repE0EEENS1_36merge_oddeven_config_static_selectorELNS0_4arch9wavefront6targetE1EEEvSJ_.num_agpr, 0
	.set _ZN7rocprim17ROCPRIM_400000_NS6detail17trampoline_kernelINS0_14default_configENS1_38merge_sort_block_merge_config_selectorIiNS0_10empty_typeEEEZZNS1_27merge_sort_block_merge_implIS3_N6thrust23THRUST_200600_302600_NS6detail15normal_iteratorINS9_10device_ptrIiEEEEPS5_m17evens_before_oddsEE10hipError_tT0_T1_T2_jT3_P12ihipStream_tbPNSt15iterator_traitsISI_E10value_typeEPNSO_ISJ_E10value_typeEPSK_NS1_7vsmem_tEENKUlT_SI_SJ_SK_E_clIPiSE_SF_SF_EESH_SX_SI_SJ_SK_EUlSX_E1_NS1_11comp_targetILNS1_3genE8ELNS1_11target_archE1030ELNS1_3gpuE2ELNS1_3repE0EEENS1_36merge_oddeven_config_static_selectorELNS0_4arch9wavefront6targetE1EEEvSJ_.numbered_sgpr, 0
	.set _ZN7rocprim17ROCPRIM_400000_NS6detail17trampoline_kernelINS0_14default_configENS1_38merge_sort_block_merge_config_selectorIiNS0_10empty_typeEEEZZNS1_27merge_sort_block_merge_implIS3_N6thrust23THRUST_200600_302600_NS6detail15normal_iteratorINS9_10device_ptrIiEEEEPS5_m17evens_before_oddsEE10hipError_tT0_T1_T2_jT3_P12ihipStream_tbPNSt15iterator_traitsISI_E10value_typeEPNSO_ISJ_E10value_typeEPSK_NS1_7vsmem_tEENKUlT_SI_SJ_SK_E_clIPiSE_SF_SF_EESH_SX_SI_SJ_SK_EUlSX_E1_NS1_11comp_targetILNS1_3genE8ELNS1_11target_archE1030ELNS1_3gpuE2ELNS1_3repE0EEENS1_36merge_oddeven_config_static_selectorELNS0_4arch9wavefront6targetE1EEEvSJ_.num_named_barrier, 0
	.set _ZN7rocprim17ROCPRIM_400000_NS6detail17trampoline_kernelINS0_14default_configENS1_38merge_sort_block_merge_config_selectorIiNS0_10empty_typeEEEZZNS1_27merge_sort_block_merge_implIS3_N6thrust23THRUST_200600_302600_NS6detail15normal_iteratorINS9_10device_ptrIiEEEEPS5_m17evens_before_oddsEE10hipError_tT0_T1_T2_jT3_P12ihipStream_tbPNSt15iterator_traitsISI_E10value_typeEPNSO_ISJ_E10value_typeEPSK_NS1_7vsmem_tEENKUlT_SI_SJ_SK_E_clIPiSE_SF_SF_EESH_SX_SI_SJ_SK_EUlSX_E1_NS1_11comp_targetILNS1_3genE8ELNS1_11target_archE1030ELNS1_3gpuE2ELNS1_3repE0EEENS1_36merge_oddeven_config_static_selectorELNS0_4arch9wavefront6targetE1EEEvSJ_.private_seg_size, 0
	.set _ZN7rocprim17ROCPRIM_400000_NS6detail17trampoline_kernelINS0_14default_configENS1_38merge_sort_block_merge_config_selectorIiNS0_10empty_typeEEEZZNS1_27merge_sort_block_merge_implIS3_N6thrust23THRUST_200600_302600_NS6detail15normal_iteratorINS9_10device_ptrIiEEEEPS5_m17evens_before_oddsEE10hipError_tT0_T1_T2_jT3_P12ihipStream_tbPNSt15iterator_traitsISI_E10value_typeEPNSO_ISJ_E10value_typeEPSK_NS1_7vsmem_tEENKUlT_SI_SJ_SK_E_clIPiSE_SF_SF_EESH_SX_SI_SJ_SK_EUlSX_E1_NS1_11comp_targetILNS1_3genE8ELNS1_11target_archE1030ELNS1_3gpuE2ELNS1_3repE0EEENS1_36merge_oddeven_config_static_selectorELNS0_4arch9wavefront6targetE1EEEvSJ_.uses_vcc, 0
	.set _ZN7rocprim17ROCPRIM_400000_NS6detail17trampoline_kernelINS0_14default_configENS1_38merge_sort_block_merge_config_selectorIiNS0_10empty_typeEEEZZNS1_27merge_sort_block_merge_implIS3_N6thrust23THRUST_200600_302600_NS6detail15normal_iteratorINS9_10device_ptrIiEEEEPS5_m17evens_before_oddsEE10hipError_tT0_T1_T2_jT3_P12ihipStream_tbPNSt15iterator_traitsISI_E10value_typeEPNSO_ISJ_E10value_typeEPSK_NS1_7vsmem_tEENKUlT_SI_SJ_SK_E_clIPiSE_SF_SF_EESH_SX_SI_SJ_SK_EUlSX_E1_NS1_11comp_targetILNS1_3genE8ELNS1_11target_archE1030ELNS1_3gpuE2ELNS1_3repE0EEENS1_36merge_oddeven_config_static_selectorELNS0_4arch9wavefront6targetE1EEEvSJ_.uses_flat_scratch, 0
	.set _ZN7rocprim17ROCPRIM_400000_NS6detail17trampoline_kernelINS0_14default_configENS1_38merge_sort_block_merge_config_selectorIiNS0_10empty_typeEEEZZNS1_27merge_sort_block_merge_implIS3_N6thrust23THRUST_200600_302600_NS6detail15normal_iteratorINS9_10device_ptrIiEEEEPS5_m17evens_before_oddsEE10hipError_tT0_T1_T2_jT3_P12ihipStream_tbPNSt15iterator_traitsISI_E10value_typeEPNSO_ISJ_E10value_typeEPSK_NS1_7vsmem_tEENKUlT_SI_SJ_SK_E_clIPiSE_SF_SF_EESH_SX_SI_SJ_SK_EUlSX_E1_NS1_11comp_targetILNS1_3genE8ELNS1_11target_archE1030ELNS1_3gpuE2ELNS1_3repE0EEENS1_36merge_oddeven_config_static_selectorELNS0_4arch9wavefront6targetE1EEEvSJ_.has_dyn_sized_stack, 0
	.set _ZN7rocprim17ROCPRIM_400000_NS6detail17trampoline_kernelINS0_14default_configENS1_38merge_sort_block_merge_config_selectorIiNS0_10empty_typeEEEZZNS1_27merge_sort_block_merge_implIS3_N6thrust23THRUST_200600_302600_NS6detail15normal_iteratorINS9_10device_ptrIiEEEEPS5_m17evens_before_oddsEE10hipError_tT0_T1_T2_jT3_P12ihipStream_tbPNSt15iterator_traitsISI_E10value_typeEPNSO_ISJ_E10value_typeEPSK_NS1_7vsmem_tEENKUlT_SI_SJ_SK_E_clIPiSE_SF_SF_EESH_SX_SI_SJ_SK_EUlSX_E1_NS1_11comp_targetILNS1_3genE8ELNS1_11target_archE1030ELNS1_3gpuE2ELNS1_3repE0EEENS1_36merge_oddeven_config_static_selectorELNS0_4arch9wavefront6targetE1EEEvSJ_.has_recursion, 0
	.set _ZN7rocprim17ROCPRIM_400000_NS6detail17trampoline_kernelINS0_14default_configENS1_38merge_sort_block_merge_config_selectorIiNS0_10empty_typeEEEZZNS1_27merge_sort_block_merge_implIS3_N6thrust23THRUST_200600_302600_NS6detail15normal_iteratorINS9_10device_ptrIiEEEEPS5_m17evens_before_oddsEE10hipError_tT0_T1_T2_jT3_P12ihipStream_tbPNSt15iterator_traitsISI_E10value_typeEPNSO_ISJ_E10value_typeEPSK_NS1_7vsmem_tEENKUlT_SI_SJ_SK_E_clIPiSE_SF_SF_EESH_SX_SI_SJ_SK_EUlSX_E1_NS1_11comp_targetILNS1_3genE8ELNS1_11target_archE1030ELNS1_3gpuE2ELNS1_3repE0EEENS1_36merge_oddeven_config_static_selectorELNS0_4arch9wavefront6targetE1EEEvSJ_.has_indirect_call, 0
	.section	.AMDGPU.csdata,"",@progbits
; Kernel info:
; codeLenInByte = 0
; TotalNumSgprs: 6
; NumVgprs: 0
; NumAgprs: 0
; TotalNumVgprs: 0
; ScratchSize: 0
; MemoryBound: 0
; FloatMode: 240
; IeeeMode: 1
; LDSByteSize: 0 bytes/workgroup (compile time only)
; SGPRBlocks: 0
; VGPRBlocks: 0
; NumSGPRsForWavesPerEU: 6
; NumVGPRsForWavesPerEU: 1
; AccumOffset: 4
; Occupancy: 8
; WaveLimiterHint : 0
; COMPUTE_PGM_RSRC2:SCRATCH_EN: 0
; COMPUTE_PGM_RSRC2:USER_SGPR: 2
; COMPUTE_PGM_RSRC2:TRAP_HANDLER: 0
; COMPUTE_PGM_RSRC2:TGID_X_EN: 1
; COMPUTE_PGM_RSRC2:TGID_Y_EN: 0
; COMPUTE_PGM_RSRC2:TGID_Z_EN: 0
; COMPUTE_PGM_RSRC2:TIDIG_COMP_CNT: 0
; COMPUTE_PGM_RSRC3_GFX90A:ACCUM_OFFSET: 0
; COMPUTE_PGM_RSRC3_GFX90A:TG_SPLIT: 0
	.section	.text._ZN7rocprim17ROCPRIM_400000_NS6detail17trampoline_kernelINS0_14default_configENS1_38merge_sort_block_merge_config_selectorIiNS0_10empty_typeEEEZZNS1_27merge_sort_block_merge_implIS3_N6thrust23THRUST_200600_302600_NS6detail15normal_iteratorINS9_10device_ptrIiEEEEPS5_m17evens_before_oddsEE10hipError_tT0_T1_T2_jT3_P12ihipStream_tbPNSt15iterator_traitsISI_E10value_typeEPNSO_ISJ_E10value_typeEPSK_NS1_7vsmem_tEENKUlT_SI_SJ_SK_E_clISE_PiSF_SF_EESH_SX_SI_SJ_SK_EUlSX_E_NS1_11comp_targetILNS1_3genE0ELNS1_11target_archE4294967295ELNS1_3gpuE0ELNS1_3repE0EEENS1_48merge_mergepath_partition_config_static_selectorELNS0_4arch9wavefront6targetE1EEEvSJ_,"axG",@progbits,_ZN7rocprim17ROCPRIM_400000_NS6detail17trampoline_kernelINS0_14default_configENS1_38merge_sort_block_merge_config_selectorIiNS0_10empty_typeEEEZZNS1_27merge_sort_block_merge_implIS3_N6thrust23THRUST_200600_302600_NS6detail15normal_iteratorINS9_10device_ptrIiEEEEPS5_m17evens_before_oddsEE10hipError_tT0_T1_T2_jT3_P12ihipStream_tbPNSt15iterator_traitsISI_E10value_typeEPNSO_ISJ_E10value_typeEPSK_NS1_7vsmem_tEENKUlT_SI_SJ_SK_E_clISE_PiSF_SF_EESH_SX_SI_SJ_SK_EUlSX_E_NS1_11comp_targetILNS1_3genE0ELNS1_11target_archE4294967295ELNS1_3gpuE0ELNS1_3repE0EEENS1_48merge_mergepath_partition_config_static_selectorELNS0_4arch9wavefront6targetE1EEEvSJ_,comdat
	.protected	_ZN7rocprim17ROCPRIM_400000_NS6detail17trampoline_kernelINS0_14default_configENS1_38merge_sort_block_merge_config_selectorIiNS0_10empty_typeEEEZZNS1_27merge_sort_block_merge_implIS3_N6thrust23THRUST_200600_302600_NS6detail15normal_iteratorINS9_10device_ptrIiEEEEPS5_m17evens_before_oddsEE10hipError_tT0_T1_T2_jT3_P12ihipStream_tbPNSt15iterator_traitsISI_E10value_typeEPNSO_ISJ_E10value_typeEPSK_NS1_7vsmem_tEENKUlT_SI_SJ_SK_E_clISE_PiSF_SF_EESH_SX_SI_SJ_SK_EUlSX_E_NS1_11comp_targetILNS1_3genE0ELNS1_11target_archE4294967295ELNS1_3gpuE0ELNS1_3repE0EEENS1_48merge_mergepath_partition_config_static_selectorELNS0_4arch9wavefront6targetE1EEEvSJ_ ; -- Begin function _ZN7rocprim17ROCPRIM_400000_NS6detail17trampoline_kernelINS0_14default_configENS1_38merge_sort_block_merge_config_selectorIiNS0_10empty_typeEEEZZNS1_27merge_sort_block_merge_implIS3_N6thrust23THRUST_200600_302600_NS6detail15normal_iteratorINS9_10device_ptrIiEEEEPS5_m17evens_before_oddsEE10hipError_tT0_T1_T2_jT3_P12ihipStream_tbPNSt15iterator_traitsISI_E10value_typeEPNSO_ISJ_E10value_typeEPSK_NS1_7vsmem_tEENKUlT_SI_SJ_SK_E_clISE_PiSF_SF_EESH_SX_SI_SJ_SK_EUlSX_E_NS1_11comp_targetILNS1_3genE0ELNS1_11target_archE4294967295ELNS1_3gpuE0ELNS1_3repE0EEENS1_48merge_mergepath_partition_config_static_selectorELNS0_4arch9wavefront6targetE1EEEvSJ_
	.globl	_ZN7rocprim17ROCPRIM_400000_NS6detail17trampoline_kernelINS0_14default_configENS1_38merge_sort_block_merge_config_selectorIiNS0_10empty_typeEEEZZNS1_27merge_sort_block_merge_implIS3_N6thrust23THRUST_200600_302600_NS6detail15normal_iteratorINS9_10device_ptrIiEEEEPS5_m17evens_before_oddsEE10hipError_tT0_T1_T2_jT3_P12ihipStream_tbPNSt15iterator_traitsISI_E10value_typeEPNSO_ISJ_E10value_typeEPSK_NS1_7vsmem_tEENKUlT_SI_SJ_SK_E_clISE_PiSF_SF_EESH_SX_SI_SJ_SK_EUlSX_E_NS1_11comp_targetILNS1_3genE0ELNS1_11target_archE4294967295ELNS1_3gpuE0ELNS1_3repE0EEENS1_48merge_mergepath_partition_config_static_selectorELNS0_4arch9wavefront6targetE1EEEvSJ_
	.p2align	8
	.type	_ZN7rocprim17ROCPRIM_400000_NS6detail17trampoline_kernelINS0_14default_configENS1_38merge_sort_block_merge_config_selectorIiNS0_10empty_typeEEEZZNS1_27merge_sort_block_merge_implIS3_N6thrust23THRUST_200600_302600_NS6detail15normal_iteratorINS9_10device_ptrIiEEEEPS5_m17evens_before_oddsEE10hipError_tT0_T1_T2_jT3_P12ihipStream_tbPNSt15iterator_traitsISI_E10value_typeEPNSO_ISJ_E10value_typeEPSK_NS1_7vsmem_tEENKUlT_SI_SJ_SK_E_clISE_PiSF_SF_EESH_SX_SI_SJ_SK_EUlSX_E_NS1_11comp_targetILNS1_3genE0ELNS1_11target_archE4294967295ELNS1_3gpuE0ELNS1_3repE0EEENS1_48merge_mergepath_partition_config_static_selectorELNS0_4arch9wavefront6targetE1EEEvSJ_,@function
_ZN7rocprim17ROCPRIM_400000_NS6detail17trampoline_kernelINS0_14default_configENS1_38merge_sort_block_merge_config_selectorIiNS0_10empty_typeEEEZZNS1_27merge_sort_block_merge_implIS3_N6thrust23THRUST_200600_302600_NS6detail15normal_iteratorINS9_10device_ptrIiEEEEPS5_m17evens_before_oddsEE10hipError_tT0_T1_T2_jT3_P12ihipStream_tbPNSt15iterator_traitsISI_E10value_typeEPNSO_ISJ_E10value_typeEPSK_NS1_7vsmem_tEENKUlT_SI_SJ_SK_E_clISE_PiSF_SF_EESH_SX_SI_SJ_SK_EUlSX_E_NS1_11comp_targetILNS1_3genE0ELNS1_11target_archE4294967295ELNS1_3gpuE0ELNS1_3repE0EEENS1_48merge_mergepath_partition_config_static_selectorELNS0_4arch9wavefront6targetE1EEEvSJ_: ; @_ZN7rocprim17ROCPRIM_400000_NS6detail17trampoline_kernelINS0_14default_configENS1_38merge_sort_block_merge_config_selectorIiNS0_10empty_typeEEEZZNS1_27merge_sort_block_merge_implIS3_N6thrust23THRUST_200600_302600_NS6detail15normal_iteratorINS9_10device_ptrIiEEEEPS5_m17evens_before_oddsEE10hipError_tT0_T1_T2_jT3_P12ihipStream_tbPNSt15iterator_traitsISI_E10value_typeEPNSO_ISJ_E10value_typeEPSK_NS1_7vsmem_tEENKUlT_SI_SJ_SK_E_clISE_PiSF_SF_EESH_SX_SI_SJ_SK_EUlSX_E_NS1_11comp_targetILNS1_3genE0ELNS1_11target_archE4294967295ELNS1_3gpuE0ELNS1_3repE0EEENS1_48merge_mergepath_partition_config_static_selectorELNS0_4arch9wavefront6targetE1EEEvSJ_
; %bb.0:
	s_load_dword s3, s[0:1], 0x0
	v_lshl_or_b32 v0, s2, 7, v0
	s_waitcnt lgkmcnt(0)
	v_cmp_gt_u32_e32 vcc, s3, v0
	s_and_saveexec_b64 s[2:3], vcc
	s_cbranch_execz .LBB432_6
; %bb.1:
	s_load_dwordx4 s[4:7], s[0:1], 0x8
	s_load_dwordx2 s[2:3], s[0:1], 0x28
	v_mov_b32_e32 v5, 0
	v_mov_b32_e32 v7, v5
	s_waitcnt lgkmcnt(0)
	s_lshr_b64 s[8:9], s[4:5], 9
	s_and_b32 s8, s8, -2
	s_add_i32 s9, s8, -1
	s_sub_i32 s8, 0, s8
	v_and_b32_e32 v4, s8, v0
	v_lshlrev_b64 v[8:9], 10, v[4:5]
	v_mov_b32_e32 v1, s7
	v_cmp_lt_u64_e32 vcc, s[6:7], v[8:9]
	v_mov_b32_e32 v4, s6
	v_and_b32_e32 v6, s9, v0
	v_cndmask_b32_e32 v3, v9, v1, vcc
	v_cndmask_b32_e32 v2, v8, v4, vcc
	v_lshl_add_u64 v[8:9], v[8:9], 0, s[4:5]
	v_cmp_lt_u64_e32 vcc, s[6:7], v[8:9]
	s_nop 1
	v_cndmask_b32_e32 v11, v9, v1, vcc
	v_cndmask_b32_e32 v10, v8, v4, vcc
	v_lshl_add_u64 v[8:9], v[10:11], 0, s[4:5]
	v_cmp_lt_u64_e32 vcc, s[6:7], v[8:9]
	s_nop 1
	v_cndmask_b32_e32 v14, v8, v4, vcc
	v_cndmask_b32_e32 v1, v9, v1, vcc
	v_sub_co_u32_e32 v8, vcc, v14, v2
	v_lshlrev_b64 v[4:5], 10, v[6:7]
	s_nop 0
	v_subb_co_u32_e32 v9, vcc, v1, v3, vcc
	v_cmp_lt_u64_e32 vcc, v[8:9], v[4:5]
	s_nop 1
	v_cndmask_b32_e32 v13, v5, v9, vcc
	v_cndmask_b32_e32 v12, v4, v8, vcc
	v_sub_co_u32_e32 v6, vcc, v10, v2
	s_nop 1
	v_subb_co_u32_e32 v7, vcc, v11, v3, vcc
	v_sub_co_u32_e32 v4, vcc, v10, v14
	s_nop 1
	v_subb_co_u32_e32 v5, vcc, v11, v1, vcc
	v_lshl_add_u64 v[4:5], v[12:13], 0, v[4:5]
	v_cmp_gt_u64_e32 vcc, v[4:5], v[12:13]
	s_nop 1
	v_cndmask_b32_e64 v5, v5, 0, vcc
	v_cndmask_b32_e64 v4, v4, 0, vcc
	v_cmp_lt_u64_e32 vcc, v[12:13], v[6:7]
	s_nop 1
	v_cndmask_b32_e32 v7, v7, v13, vcc
	v_cndmask_b32_e32 v6, v6, v12, vcc
	v_cmp_lt_u64_e32 vcc, v[4:5], v[6:7]
	s_and_saveexec_b64 s[4:5], vcc
	s_cbranch_execz .LBB432_5
; %bb.2:
	s_load_dwordx2 s[0:1], s[0:1], 0x18
	s_waitcnt lgkmcnt(0)
	v_lshl_add_u64 v[10:11], v[10:11], 2, s[0:1]
	v_lshl_add_u64 v[8:9], v[2:3], 2, s[0:1]
	;; [unrolled: 1-line block ×3, first 2 shown]
	s_mov_b64 s[0:1], 0
.LBB432_3:                              ; =>This Inner Loop Header: Depth=1
	v_lshl_add_u64 v[12:13], v[6:7], 0, v[4:5]
	v_lshrrev_b64 v[12:13], 1, v[12:13]
	v_lshlrev_b64 v[14:15], 2, v[12:13]
	v_lshl_add_u64 v[16:17], v[8:9], 0, v[14:15]
	v_xor_b32_e32 v15, -1, v15
	v_xor_b32_e32 v14, -4, v14
	v_lshl_add_u64 v[14:15], v[10:11], 0, v[14:15]
	flat_load_dword v1, v[14:15]
	flat_load_dword v18, v[16:17]
	v_lshl_add_u64 v[14:15], v[12:13], 0, 1
	s_waitcnt vmcnt(0) lgkmcnt(0)
	v_lshrrev_b32_e32 v17, 31, v1
	v_lshrrev_b32_e32 v16, 31, v18
	v_add_u32_e32 v17, v1, v17
	v_add_u32_e32 v16, v18, v16
	v_and_b32_e32 v17, -2, v17
	v_cmp_lt_i32_e32 vcc, v1, v18
	v_and_b32_e32 v16, -2, v16
	v_sub_u32_e32 v1, v1, v17
	v_cndmask_b32_e64 v19, 0, 1, vcc
	v_sub_u32_e32 v16, v18, v16
	v_cmp_eq_u32_e32 vcc, 0, v1
	s_nop 1
	v_cndmask_b32_e64 v17, 0, 1, vcc
	v_cmp_eq_u32_e32 vcc, v1, v16
	s_nop 1
	v_cndmask_b32_e32 v1, v17, v19, vcc
	v_and_b32_e32 v1, 1, v1
	v_cmp_eq_u32_e32 vcc, 1, v1
	s_nop 1
	v_cndmask_b32_e32 v7, v7, v13, vcc
	v_cndmask_b32_e32 v6, v6, v12, vcc
	v_cndmask_b32_e32 v5, v15, v5, vcc
	v_cndmask_b32_e32 v4, v14, v4, vcc
	v_cmp_ge_u64_e32 vcc, v[4:5], v[6:7]
	s_or_b64 s[0:1], vcc, s[0:1]
	s_andn2_b64 exec, exec, s[0:1]
	s_cbranch_execnz .LBB432_3
; %bb.4:
	s_or_b64 exec, exec, s[0:1]
.LBB432_5:
	s_or_b64 exec, exec, s[4:5]
	v_mov_b32_e32 v1, 0
	v_lshl_add_u64 v[2:3], v[4:5], 0, v[2:3]
	v_lshl_add_u64 v[0:1], v[0:1], 3, s[2:3]
	global_store_dwordx2 v[0:1], v[2:3], off
.LBB432_6:
	s_endpgm
	.section	.rodata,"a",@progbits
	.p2align	6, 0x0
	.amdhsa_kernel _ZN7rocprim17ROCPRIM_400000_NS6detail17trampoline_kernelINS0_14default_configENS1_38merge_sort_block_merge_config_selectorIiNS0_10empty_typeEEEZZNS1_27merge_sort_block_merge_implIS3_N6thrust23THRUST_200600_302600_NS6detail15normal_iteratorINS9_10device_ptrIiEEEEPS5_m17evens_before_oddsEE10hipError_tT0_T1_T2_jT3_P12ihipStream_tbPNSt15iterator_traitsISI_E10value_typeEPNSO_ISJ_E10value_typeEPSK_NS1_7vsmem_tEENKUlT_SI_SJ_SK_E_clISE_PiSF_SF_EESH_SX_SI_SJ_SK_EUlSX_E_NS1_11comp_targetILNS1_3genE0ELNS1_11target_archE4294967295ELNS1_3gpuE0ELNS1_3repE0EEENS1_48merge_mergepath_partition_config_static_selectorELNS0_4arch9wavefront6targetE1EEEvSJ_
		.amdhsa_group_segment_fixed_size 0
		.amdhsa_private_segment_fixed_size 0
		.amdhsa_kernarg_size 48
		.amdhsa_user_sgpr_count 2
		.amdhsa_user_sgpr_dispatch_ptr 0
		.amdhsa_user_sgpr_queue_ptr 0
		.amdhsa_user_sgpr_kernarg_segment_ptr 1
		.amdhsa_user_sgpr_dispatch_id 0
		.amdhsa_user_sgpr_kernarg_preload_length 0
		.amdhsa_user_sgpr_kernarg_preload_offset 0
		.amdhsa_user_sgpr_private_segment_size 0
		.amdhsa_uses_dynamic_stack 0
		.amdhsa_enable_private_segment 0
		.amdhsa_system_sgpr_workgroup_id_x 1
		.amdhsa_system_sgpr_workgroup_id_y 0
		.amdhsa_system_sgpr_workgroup_id_z 0
		.amdhsa_system_sgpr_workgroup_info 0
		.amdhsa_system_vgpr_workitem_id 0
		.amdhsa_next_free_vgpr 20
		.amdhsa_next_free_sgpr 10
		.amdhsa_accum_offset 20
		.amdhsa_reserve_vcc 1
		.amdhsa_float_round_mode_32 0
		.amdhsa_float_round_mode_16_64 0
		.amdhsa_float_denorm_mode_32 3
		.amdhsa_float_denorm_mode_16_64 3
		.amdhsa_dx10_clamp 1
		.amdhsa_ieee_mode 1
		.amdhsa_fp16_overflow 0
		.amdhsa_tg_split 0
		.amdhsa_exception_fp_ieee_invalid_op 0
		.amdhsa_exception_fp_denorm_src 0
		.amdhsa_exception_fp_ieee_div_zero 0
		.amdhsa_exception_fp_ieee_overflow 0
		.amdhsa_exception_fp_ieee_underflow 0
		.amdhsa_exception_fp_ieee_inexact 0
		.amdhsa_exception_int_div_zero 0
	.end_amdhsa_kernel
	.section	.text._ZN7rocprim17ROCPRIM_400000_NS6detail17trampoline_kernelINS0_14default_configENS1_38merge_sort_block_merge_config_selectorIiNS0_10empty_typeEEEZZNS1_27merge_sort_block_merge_implIS3_N6thrust23THRUST_200600_302600_NS6detail15normal_iteratorINS9_10device_ptrIiEEEEPS5_m17evens_before_oddsEE10hipError_tT0_T1_T2_jT3_P12ihipStream_tbPNSt15iterator_traitsISI_E10value_typeEPNSO_ISJ_E10value_typeEPSK_NS1_7vsmem_tEENKUlT_SI_SJ_SK_E_clISE_PiSF_SF_EESH_SX_SI_SJ_SK_EUlSX_E_NS1_11comp_targetILNS1_3genE0ELNS1_11target_archE4294967295ELNS1_3gpuE0ELNS1_3repE0EEENS1_48merge_mergepath_partition_config_static_selectorELNS0_4arch9wavefront6targetE1EEEvSJ_,"axG",@progbits,_ZN7rocprim17ROCPRIM_400000_NS6detail17trampoline_kernelINS0_14default_configENS1_38merge_sort_block_merge_config_selectorIiNS0_10empty_typeEEEZZNS1_27merge_sort_block_merge_implIS3_N6thrust23THRUST_200600_302600_NS6detail15normal_iteratorINS9_10device_ptrIiEEEEPS5_m17evens_before_oddsEE10hipError_tT0_T1_T2_jT3_P12ihipStream_tbPNSt15iterator_traitsISI_E10value_typeEPNSO_ISJ_E10value_typeEPSK_NS1_7vsmem_tEENKUlT_SI_SJ_SK_E_clISE_PiSF_SF_EESH_SX_SI_SJ_SK_EUlSX_E_NS1_11comp_targetILNS1_3genE0ELNS1_11target_archE4294967295ELNS1_3gpuE0ELNS1_3repE0EEENS1_48merge_mergepath_partition_config_static_selectorELNS0_4arch9wavefront6targetE1EEEvSJ_,comdat
.Lfunc_end432:
	.size	_ZN7rocprim17ROCPRIM_400000_NS6detail17trampoline_kernelINS0_14default_configENS1_38merge_sort_block_merge_config_selectorIiNS0_10empty_typeEEEZZNS1_27merge_sort_block_merge_implIS3_N6thrust23THRUST_200600_302600_NS6detail15normal_iteratorINS9_10device_ptrIiEEEEPS5_m17evens_before_oddsEE10hipError_tT0_T1_T2_jT3_P12ihipStream_tbPNSt15iterator_traitsISI_E10value_typeEPNSO_ISJ_E10value_typeEPSK_NS1_7vsmem_tEENKUlT_SI_SJ_SK_E_clISE_PiSF_SF_EESH_SX_SI_SJ_SK_EUlSX_E_NS1_11comp_targetILNS1_3genE0ELNS1_11target_archE4294967295ELNS1_3gpuE0ELNS1_3repE0EEENS1_48merge_mergepath_partition_config_static_selectorELNS0_4arch9wavefront6targetE1EEEvSJ_, .Lfunc_end432-_ZN7rocprim17ROCPRIM_400000_NS6detail17trampoline_kernelINS0_14default_configENS1_38merge_sort_block_merge_config_selectorIiNS0_10empty_typeEEEZZNS1_27merge_sort_block_merge_implIS3_N6thrust23THRUST_200600_302600_NS6detail15normal_iteratorINS9_10device_ptrIiEEEEPS5_m17evens_before_oddsEE10hipError_tT0_T1_T2_jT3_P12ihipStream_tbPNSt15iterator_traitsISI_E10value_typeEPNSO_ISJ_E10value_typeEPSK_NS1_7vsmem_tEENKUlT_SI_SJ_SK_E_clISE_PiSF_SF_EESH_SX_SI_SJ_SK_EUlSX_E_NS1_11comp_targetILNS1_3genE0ELNS1_11target_archE4294967295ELNS1_3gpuE0ELNS1_3repE0EEENS1_48merge_mergepath_partition_config_static_selectorELNS0_4arch9wavefront6targetE1EEEvSJ_
                                        ; -- End function
	.set _ZN7rocprim17ROCPRIM_400000_NS6detail17trampoline_kernelINS0_14default_configENS1_38merge_sort_block_merge_config_selectorIiNS0_10empty_typeEEEZZNS1_27merge_sort_block_merge_implIS3_N6thrust23THRUST_200600_302600_NS6detail15normal_iteratorINS9_10device_ptrIiEEEEPS5_m17evens_before_oddsEE10hipError_tT0_T1_T2_jT3_P12ihipStream_tbPNSt15iterator_traitsISI_E10value_typeEPNSO_ISJ_E10value_typeEPSK_NS1_7vsmem_tEENKUlT_SI_SJ_SK_E_clISE_PiSF_SF_EESH_SX_SI_SJ_SK_EUlSX_E_NS1_11comp_targetILNS1_3genE0ELNS1_11target_archE4294967295ELNS1_3gpuE0ELNS1_3repE0EEENS1_48merge_mergepath_partition_config_static_selectorELNS0_4arch9wavefront6targetE1EEEvSJ_.num_vgpr, 20
	.set _ZN7rocprim17ROCPRIM_400000_NS6detail17trampoline_kernelINS0_14default_configENS1_38merge_sort_block_merge_config_selectorIiNS0_10empty_typeEEEZZNS1_27merge_sort_block_merge_implIS3_N6thrust23THRUST_200600_302600_NS6detail15normal_iteratorINS9_10device_ptrIiEEEEPS5_m17evens_before_oddsEE10hipError_tT0_T1_T2_jT3_P12ihipStream_tbPNSt15iterator_traitsISI_E10value_typeEPNSO_ISJ_E10value_typeEPSK_NS1_7vsmem_tEENKUlT_SI_SJ_SK_E_clISE_PiSF_SF_EESH_SX_SI_SJ_SK_EUlSX_E_NS1_11comp_targetILNS1_3genE0ELNS1_11target_archE4294967295ELNS1_3gpuE0ELNS1_3repE0EEENS1_48merge_mergepath_partition_config_static_selectorELNS0_4arch9wavefront6targetE1EEEvSJ_.num_agpr, 0
	.set _ZN7rocprim17ROCPRIM_400000_NS6detail17trampoline_kernelINS0_14default_configENS1_38merge_sort_block_merge_config_selectorIiNS0_10empty_typeEEEZZNS1_27merge_sort_block_merge_implIS3_N6thrust23THRUST_200600_302600_NS6detail15normal_iteratorINS9_10device_ptrIiEEEEPS5_m17evens_before_oddsEE10hipError_tT0_T1_T2_jT3_P12ihipStream_tbPNSt15iterator_traitsISI_E10value_typeEPNSO_ISJ_E10value_typeEPSK_NS1_7vsmem_tEENKUlT_SI_SJ_SK_E_clISE_PiSF_SF_EESH_SX_SI_SJ_SK_EUlSX_E_NS1_11comp_targetILNS1_3genE0ELNS1_11target_archE4294967295ELNS1_3gpuE0ELNS1_3repE0EEENS1_48merge_mergepath_partition_config_static_selectorELNS0_4arch9wavefront6targetE1EEEvSJ_.numbered_sgpr, 10
	.set _ZN7rocprim17ROCPRIM_400000_NS6detail17trampoline_kernelINS0_14default_configENS1_38merge_sort_block_merge_config_selectorIiNS0_10empty_typeEEEZZNS1_27merge_sort_block_merge_implIS3_N6thrust23THRUST_200600_302600_NS6detail15normal_iteratorINS9_10device_ptrIiEEEEPS5_m17evens_before_oddsEE10hipError_tT0_T1_T2_jT3_P12ihipStream_tbPNSt15iterator_traitsISI_E10value_typeEPNSO_ISJ_E10value_typeEPSK_NS1_7vsmem_tEENKUlT_SI_SJ_SK_E_clISE_PiSF_SF_EESH_SX_SI_SJ_SK_EUlSX_E_NS1_11comp_targetILNS1_3genE0ELNS1_11target_archE4294967295ELNS1_3gpuE0ELNS1_3repE0EEENS1_48merge_mergepath_partition_config_static_selectorELNS0_4arch9wavefront6targetE1EEEvSJ_.num_named_barrier, 0
	.set _ZN7rocprim17ROCPRIM_400000_NS6detail17trampoline_kernelINS0_14default_configENS1_38merge_sort_block_merge_config_selectorIiNS0_10empty_typeEEEZZNS1_27merge_sort_block_merge_implIS3_N6thrust23THRUST_200600_302600_NS6detail15normal_iteratorINS9_10device_ptrIiEEEEPS5_m17evens_before_oddsEE10hipError_tT0_T1_T2_jT3_P12ihipStream_tbPNSt15iterator_traitsISI_E10value_typeEPNSO_ISJ_E10value_typeEPSK_NS1_7vsmem_tEENKUlT_SI_SJ_SK_E_clISE_PiSF_SF_EESH_SX_SI_SJ_SK_EUlSX_E_NS1_11comp_targetILNS1_3genE0ELNS1_11target_archE4294967295ELNS1_3gpuE0ELNS1_3repE0EEENS1_48merge_mergepath_partition_config_static_selectorELNS0_4arch9wavefront6targetE1EEEvSJ_.private_seg_size, 0
	.set _ZN7rocprim17ROCPRIM_400000_NS6detail17trampoline_kernelINS0_14default_configENS1_38merge_sort_block_merge_config_selectorIiNS0_10empty_typeEEEZZNS1_27merge_sort_block_merge_implIS3_N6thrust23THRUST_200600_302600_NS6detail15normal_iteratorINS9_10device_ptrIiEEEEPS5_m17evens_before_oddsEE10hipError_tT0_T1_T2_jT3_P12ihipStream_tbPNSt15iterator_traitsISI_E10value_typeEPNSO_ISJ_E10value_typeEPSK_NS1_7vsmem_tEENKUlT_SI_SJ_SK_E_clISE_PiSF_SF_EESH_SX_SI_SJ_SK_EUlSX_E_NS1_11comp_targetILNS1_3genE0ELNS1_11target_archE4294967295ELNS1_3gpuE0ELNS1_3repE0EEENS1_48merge_mergepath_partition_config_static_selectorELNS0_4arch9wavefront6targetE1EEEvSJ_.uses_vcc, 1
	.set _ZN7rocprim17ROCPRIM_400000_NS6detail17trampoline_kernelINS0_14default_configENS1_38merge_sort_block_merge_config_selectorIiNS0_10empty_typeEEEZZNS1_27merge_sort_block_merge_implIS3_N6thrust23THRUST_200600_302600_NS6detail15normal_iteratorINS9_10device_ptrIiEEEEPS5_m17evens_before_oddsEE10hipError_tT0_T1_T2_jT3_P12ihipStream_tbPNSt15iterator_traitsISI_E10value_typeEPNSO_ISJ_E10value_typeEPSK_NS1_7vsmem_tEENKUlT_SI_SJ_SK_E_clISE_PiSF_SF_EESH_SX_SI_SJ_SK_EUlSX_E_NS1_11comp_targetILNS1_3genE0ELNS1_11target_archE4294967295ELNS1_3gpuE0ELNS1_3repE0EEENS1_48merge_mergepath_partition_config_static_selectorELNS0_4arch9wavefront6targetE1EEEvSJ_.uses_flat_scratch, 0
	.set _ZN7rocprim17ROCPRIM_400000_NS6detail17trampoline_kernelINS0_14default_configENS1_38merge_sort_block_merge_config_selectorIiNS0_10empty_typeEEEZZNS1_27merge_sort_block_merge_implIS3_N6thrust23THRUST_200600_302600_NS6detail15normal_iteratorINS9_10device_ptrIiEEEEPS5_m17evens_before_oddsEE10hipError_tT0_T1_T2_jT3_P12ihipStream_tbPNSt15iterator_traitsISI_E10value_typeEPNSO_ISJ_E10value_typeEPSK_NS1_7vsmem_tEENKUlT_SI_SJ_SK_E_clISE_PiSF_SF_EESH_SX_SI_SJ_SK_EUlSX_E_NS1_11comp_targetILNS1_3genE0ELNS1_11target_archE4294967295ELNS1_3gpuE0ELNS1_3repE0EEENS1_48merge_mergepath_partition_config_static_selectorELNS0_4arch9wavefront6targetE1EEEvSJ_.has_dyn_sized_stack, 0
	.set _ZN7rocprim17ROCPRIM_400000_NS6detail17trampoline_kernelINS0_14default_configENS1_38merge_sort_block_merge_config_selectorIiNS0_10empty_typeEEEZZNS1_27merge_sort_block_merge_implIS3_N6thrust23THRUST_200600_302600_NS6detail15normal_iteratorINS9_10device_ptrIiEEEEPS5_m17evens_before_oddsEE10hipError_tT0_T1_T2_jT3_P12ihipStream_tbPNSt15iterator_traitsISI_E10value_typeEPNSO_ISJ_E10value_typeEPSK_NS1_7vsmem_tEENKUlT_SI_SJ_SK_E_clISE_PiSF_SF_EESH_SX_SI_SJ_SK_EUlSX_E_NS1_11comp_targetILNS1_3genE0ELNS1_11target_archE4294967295ELNS1_3gpuE0ELNS1_3repE0EEENS1_48merge_mergepath_partition_config_static_selectorELNS0_4arch9wavefront6targetE1EEEvSJ_.has_recursion, 0
	.set _ZN7rocprim17ROCPRIM_400000_NS6detail17trampoline_kernelINS0_14default_configENS1_38merge_sort_block_merge_config_selectorIiNS0_10empty_typeEEEZZNS1_27merge_sort_block_merge_implIS3_N6thrust23THRUST_200600_302600_NS6detail15normal_iteratorINS9_10device_ptrIiEEEEPS5_m17evens_before_oddsEE10hipError_tT0_T1_T2_jT3_P12ihipStream_tbPNSt15iterator_traitsISI_E10value_typeEPNSO_ISJ_E10value_typeEPSK_NS1_7vsmem_tEENKUlT_SI_SJ_SK_E_clISE_PiSF_SF_EESH_SX_SI_SJ_SK_EUlSX_E_NS1_11comp_targetILNS1_3genE0ELNS1_11target_archE4294967295ELNS1_3gpuE0ELNS1_3repE0EEENS1_48merge_mergepath_partition_config_static_selectorELNS0_4arch9wavefront6targetE1EEEvSJ_.has_indirect_call, 0
	.section	.AMDGPU.csdata,"",@progbits
; Kernel info:
; codeLenInByte = 552
; TotalNumSgprs: 16
; NumVgprs: 20
; NumAgprs: 0
; TotalNumVgprs: 20
; ScratchSize: 0
; MemoryBound: 0
; FloatMode: 240
; IeeeMode: 1
; LDSByteSize: 0 bytes/workgroup (compile time only)
; SGPRBlocks: 1
; VGPRBlocks: 2
; NumSGPRsForWavesPerEU: 16
; NumVGPRsForWavesPerEU: 20
; AccumOffset: 20
; Occupancy: 8
; WaveLimiterHint : 0
; COMPUTE_PGM_RSRC2:SCRATCH_EN: 0
; COMPUTE_PGM_RSRC2:USER_SGPR: 2
; COMPUTE_PGM_RSRC2:TRAP_HANDLER: 0
; COMPUTE_PGM_RSRC2:TGID_X_EN: 1
; COMPUTE_PGM_RSRC2:TGID_Y_EN: 0
; COMPUTE_PGM_RSRC2:TGID_Z_EN: 0
; COMPUTE_PGM_RSRC2:TIDIG_COMP_CNT: 0
; COMPUTE_PGM_RSRC3_GFX90A:ACCUM_OFFSET: 4
; COMPUTE_PGM_RSRC3_GFX90A:TG_SPLIT: 0
	.section	.text._ZN7rocprim17ROCPRIM_400000_NS6detail17trampoline_kernelINS0_14default_configENS1_38merge_sort_block_merge_config_selectorIiNS0_10empty_typeEEEZZNS1_27merge_sort_block_merge_implIS3_N6thrust23THRUST_200600_302600_NS6detail15normal_iteratorINS9_10device_ptrIiEEEEPS5_m17evens_before_oddsEE10hipError_tT0_T1_T2_jT3_P12ihipStream_tbPNSt15iterator_traitsISI_E10value_typeEPNSO_ISJ_E10value_typeEPSK_NS1_7vsmem_tEENKUlT_SI_SJ_SK_E_clISE_PiSF_SF_EESH_SX_SI_SJ_SK_EUlSX_E_NS1_11comp_targetILNS1_3genE10ELNS1_11target_archE1201ELNS1_3gpuE5ELNS1_3repE0EEENS1_48merge_mergepath_partition_config_static_selectorELNS0_4arch9wavefront6targetE1EEEvSJ_,"axG",@progbits,_ZN7rocprim17ROCPRIM_400000_NS6detail17trampoline_kernelINS0_14default_configENS1_38merge_sort_block_merge_config_selectorIiNS0_10empty_typeEEEZZNS1_27merge_sort_block_merge_implIS3_N6thrust23THRUST_200600_302600_NS6detail15normal_iteratorINS9_10device_ptrIiEEEEPS5_m17evens_before_oddsEE10hipError_tT0_T1_T2_jT3_P12ihipStream_tbPNSt15iterator_traitsISI_E10value_typeEPNSO_ISJ_E10value_typeEPSK_NS1_7vsmem_tEENKUlT_SI_SJ_SK_E_clISE_PiSF_SF_EESH_SX_SI_SJ_SK_EUlSX_E_NS1_11comp_targetILNS1_3genE10ELNS1_11target_archE1201ELNS1_3gpuE5ELNS1_3repE0EEENS1_48merge_mergepath_partition_config_static_selectorELNS0_4arch9wavefront6targetE1EEEvSJ_,comdat
	.protected	_ZN7rocprim17ROCPRIM_400000_NS6detail17trampoline_kernelINS0_14default_configENS1_38merge_sort_block_merge_config_selectorIiNS0_10empty_typeEEEZZNS1_27merge_sort_block_merge_implIS3_N6thrust23THRUST_200600_302600_NS6detail15normal_iteratorINS9_10device_ptrIiEEEEPS5_m17evens_before_oddsEE10hipError_tT0_T1_T2_jT3_P12ihipStream_tbPNSt15iterator_traitsISI_E10value_typeEPNSO_ISJ_E10value_typeEPSK_NS1_7vsmem_tEENKUlT_SI_SJ_SK_E_clISE_PiSF_SF_EESH_SX_SI_SJ_SK_EUlSX_E_NS1_11comp_targetILNS1_3genE10ELNS1_11target_archE1201ELNS1_3gpuE5ELNS1_3repE0EEENS1_48merge_mergepath_partition_config_static_selectorELNS0_4arch9wavefront6targetE1EEEvSJ_ ; -- Begin function _ZN7rocprim17ROCPRIM_400000_NS6detail17trampoline_kernelINS0_14default_configENS1_38merge_sort_block_merge_config_selectorIiNS0_10empty_typeEEEZZNS1_27merge_sort_block_merge_implIS3_N6thrust23THRUST_200600_302600_NS6detail15normal_iteratorINS9_10device_ptrIiEEEEPS5_m17evens_before_oddsEE10hipError_tT0_T1_T2_jT3_P12ihipStream_tbPNSt15iterator_traitsISI_E10value_typeEPNSO_ISJ_E10value_typeEPSK_NS1_7vsmem_tEENKUlT_SI_SJ_SK_E_clISE_PiSF_SF_EESH_SX_SI_SJ_SK_EUlSX_E_NS1_11comp_targetILNS1_3genE10ELNS1_11target_archE1201ELNS1_3gpuE5ELNS1_3repE0EEENS1_48merge_mergepath_partition_config_static_selectorELNS0_4arch9wavefront6targetE1EEEvSJ_
	.globl	_ZN7rocprim17ROCPRIM_400000_NS6detail17trampoline_kernelINS0_14default_configENS1_38merge_sort_block_merge_config_selectorIiNS0_10empty_typeEEEZZNS1_27merge_sort_block_merge_implIS3_N6thrust23THRUST_200600_302600_NS6detail15normal_iteratorINS9_10device_ptrIiEEEEPS5_m17evens_before_oddsEE10hipError_tT0_T1_T2_jT3_P12ihipStream_tbPNSt15iterator_traitsISI_E10value_typeEPNSO_ISJ_E10value_typeEPSK_NS1_7vsmem_tEENKUlT_SI_SJ_SK_E_clISE_PiSF_SF_EESH_SX_SI_SJ_SK_EUlSX_E_NS1_11comp_targetILNS1_3genE10ELNS1_11target_archE1201ELNS1_3gpuE5ELNS1_3repE0EEENS1_48merge_mergepath_partition_config_static_selectorELNS0_4arch9wavefront6targetE1EEEvSJ_
	.p2align	8
	.type	_ZN7rocprim17ROCPRIM_400000_NS6detail17trampoline_kernelINS0_14default_configENS1_38merge_sort_block_merge_config_selectorIiNS0_10empty_typeEEEZZNS1_27merge_sort_block_merge_implIS3_N6thrust23THRUST_200600_302600_NS6detail15normal_iteratorINS9_10device_ptrIiEEEEPS5_m17evens_before_oddsEE10hipError_tT0_T1_T2_jT3_P12ihipStream_tbPNSt15iterator_traitsISI_E10value_typeEPNSO_ISJ_E10value_typeEPSK_NS1_7vsmem_tEENKUlT_SI_SJ_SK_E_clISE_PiSF_SF_EESH_SX_SI_SJ_SK_EUlSX_E_NS1_11comp_targetILNS1_3genE10ELNS1_11target_archE1201ELNS1_3gpuE5ELNS1_3repE0EEENS1_48merge_mergepath_partition_config_static_selectorELNS0_4arch9wavefront6targetE1EEEvSJ_,@function
_ZN7rocprim17ROCPRIM_400000_NS6detail17trampoline_kernelINS0_14default_configENS1_38merge_sort_block_merge_config_selectorIiNS0_10empty_typeEEEZZNS1_27merge_sort_block_merge_implIS3_N6thrust23THRUST_200600_302600_NS6detail15normal_iteratorINS9_10device_ptrIiEEEEPS5_m17evens_before_oddsEE10hipError_tT0_T1_T2_jT3_P12ihipStream_tbPNSt15iterator_traitsISI_E10value_typeEPNSO_ISJ_E10value_typeEPSK_NS1_7vsmem_tEENKUlT_SI_SJ_SK_E_clISE_PiSF_SF_EESH_SX_SI_SJ_SK_EUlSX_E_NS1_11comp_targetILNS1_3genE10ELNS1_11target_archE1201ELNS1_3gpuE5ELNS1_3repE0EEENS1_48merge_mergepath_partition_config_static_selectorELNS0_4arch9wavefront6targetE1EEEvSJ_: ; @_ZN7rocprim17ROCPRIM_400000_NS6detail17trampoline_kernelINS0_14default_configENS1_38merge_sort_block_merge_config_selectorIiNS0_10empty_typeEEEZZNS1_27merge_sort_block_merge_implIS3_N6thrust23THRUST_200600_302600_NS6detail15normal_iteratorINS9_10device_ptrIiEEEEPS5_m17evens_before_oddsEE10hipError_tT0_T1_T2_jT3_P12ihipStream_tbPNSt15iterator_traitsISI_E10value_typeEPNSO_ISJ_E10value_typeEPSK_NS1_7vsmem_tEENKUlT_SI_SJ_SK_E_clISE_PiSF_SF_EESH_SX_SI_SJ_SK_EUlSX_E_NS1_11comp_targetILNS1_3genE10ELNS1_11target_archE1201ELNS1_3gpuE5ELNS1_3repE0EEENS1_48merge_mergepath_partition_config_static_selectorELNS0_4arch9wavefront6targetE1EEEvSJ_
; %bb.0:
	.section	.rodata,"a",@progbits
	.p2align	6, 0x0
	.amdhsa_kernel _ZN7rocprim17ROCPRIM_400000_NS6detail17trampoline_kernelINS0_14default_configENS1_38merge_sort_block_merge_config_selectorIiNS0_10empty_typeEEEZZNS1_27merge_sort_block_merge_implIS3_N6thrust23THRUST_200600_302600_NS6detail15normal_iteratorINS9_10device_ptrIiEEEEPS5_m17evens_before_oddsEE10hipError_tT0_T1_T2_jT3_P12ihipStream_tbPNSt15iterator_traitsISI_E10value_typeEPNSO_ISJ_E10value_typeEPSK_NS1_7vsmem_tEENKUlT_SI_SJ_SK_E_clISE_PiSF_SF_EESH_SX_SI_SJ_SK_EUlSX_E_NS1_11comp_targetILNS1_3genE10ELNS1_11target_archE1201ELNS1_3gpuE5ELNS1_3repE0EEENS1_48merge_mergepath_partition_config_static_selectorELNS0_4arch9wavefront6targetE1EEEvSJ_
		.amdhsa_group_segment_fixed_size 0
		.amdhsa_private_segment_fixed_size 0
		.amdhsa_kernarg_size 48
		.amdhsa_user_sgpr_count 2
		.amdhsa_user_sgpr_dispatch_ptr 0
		.amdhsa_user_sgpr_queue_ptr 0
		.amdhsa_user_sgpr_kernarg_segment_ptr 1
		.amdhsa_user_sgpr_dispatch_id 0
		.amdhsa_user_sgpr_kernarg_preload_length 0
		.amdhsa_user_sgpr_kernarg_preload_offset 0
		.amdhsa_user_sgpr_private_segment_size 0
		.amdhsa_uses_dynamic_stack 0
		.amdhsa_enable_private_segment 0
		.amdhsa_system_sgpr_workgroup_id_x 1
		.amdhsa_system_sgpr_workgroup_id_y 0
		.amdhsa_system_sgpr_workgroup_id_z 0
		.amdhsa_system_sgpr_workgroup_info 0
		.amdhsa_system_vgpr_workitem_id 0
		.amdhsa_next_free_vgpr 1
		.amdhsa_next_free_sgpr 0
		.amdhsa_accum_offset 4
		.amdhsa_reserve_vcc 0
		.amdhsa_float_round_mode_32 0
		.amdhsa_float_round_mode_16_64 0
		.amdhsa_float_denorm_mode_32 3
		.amdhsa_float_denorm_mode_16_64 3
		.amdhsa_dx10_clamp 1
		.amdhsa_ieee_mode 1
		.amdhsa_fp16_overflow 0
		.amdhsa_tg_split 0
		.amdhsa_exception_fp_ieee_invalid_op 0
		.amdhsa_exception_fp_denorm_src 0
		.amdhsa_exception_fp_ieee_div_zero 0
		.amdhsa_exception_fp_ieee_overflow 0
		.amdhsa_exception_fp_ieee_underflow 0
		.amdhsa_exception_fp_ieee_inexact 0
		.amdhsa_exception_int_div_zero 0
	.end_amdhsa_kernel
	.section	.text._ZN7rocprim17ROCPRIM_400000_NS6detail17trampoline_kernelINS0_14default_configENS1_38merge_sort_block_merge_config_selectorIiNS0_10empty_typeEEEZZNS1_27merge_sort_block_merge_implIS3_N6thrust23THRUST_200600_302600_NS6detail15normal_iteratorINS9_10device_ptrIiEEEEPS5_m17evens_before_oddsEE10hipError_tT0_T1_T2_jT3_P12ihipStream_tbPNSt15iterator_traitsISI_E10value_typeEPNSO_ISJ_E10value_typeEPSK_NS1_7vsmem_tEENKUlT_SI_SJ_SK_E_clISE_PiSF_SF_EESH_SX_SI_SJ_SK_EUlSX_E_NS1_11comp_targetILNS1_3genE10ELNS1_11target_archE1201ELNS1_3gpuE5ELNS1_3repE0EEENS1_48merge_mergepath_partition_config_static_selectorELNS0_4arch9wavefront6targetE1EEEvSJ_,"axG",@progbits,_ZN7rocprim17ROCPRIM_400000_NS6detail17trampoline_kernelINS0_14default_configENS1_38merge_sort_block_merge_config_selectorIiNS0_10empty_typeEEEZZNS1_27merge_sort_block_merge_implIS3_N6thrust23THRUST_200600_302600_NS6detail15normal_iteratorINS9_10device_ptrIiEEEEPS5_m17evens_before_oddsEE10hipError_tT0_T1_T2_jT3_P12ihipStream_tbPNSt15iterator_traitsISI_E10value_typeEPNSO_ISJ_E10value_typeEPSK_NS1_7vsmem_tEENKUlT_SI_SJ_SK_E_clISE_PiSF_SF_EESH_SX_SI_SJ_SK_EUlSX_E_NS1_11comp_targetILNS1_3genE10ELNS1_11target_archE1201ELNS1_3gpuE5ELNS1_3repE0EEENS1_48merge_mergepath_partition_config_static_selectorELNS0_4arch9wavefront6targetE1EEEvSJ_,comdat
.Lfunc_end433:
	.size	_ZN7rocprim17ROCPRIM_400000_NS6detail17trampoline_kernelINS0_14default_configENS1_38merge_sort_block_merge_config_selectorIiNS0_10empty_typeEEEZZNS1_27merge_sort_block_merge_implIS3_N6thrust23THRUST_200600_302600_NS6detail15normal_iteratorINS9_10device_ptrIiEEEEPS5_m17evens_before_oddsEE10hipError_tT0_T1_T2_jT3_P12ihipStream_tbPNSt15iterator_traitsISI_E10value_typeEPNSO_ISJ_E10value_typeEPSK_NS1_7vsmem_tEENKUlT_SI_SJ_SK_E_clISE_PiSF_SF_EESH_SX_SI_SJ_SK_EUlSX_E_NS1_11comp_targetILNS1_3genE10ELNS1_11target_archE1201ELNS1_3gpuE5ELNS1_3repE0EEENS1_48merge_mergepath_partition_config_static_selectorELNS0_4arch9wavefront6targetE1EEEvSJ_, .Lfunc_end433-_ZN7rocprim17ROCPRIM_400000_NS6detail17trampoline_kernelINS0_14default_configENS1_38merge_sort_block_merge_config_selectorIiNS0_10empty_typeEEEZZNS1_27merge_sort_block_merge_implIS3_N6thrust23THRUST_200600_302600_NS6detail15normal_iteratorINS9_10device_ptrIiEEEEPS5_m17evens_before_oddsEE10hipError_tT0_T1_T2_jT3_P12ihipStream_tbPNSt15iterator_traitsISI_E10value_typeEPNSO_ISJ_E10value_typeEPSK_NS1_7vsmem_tEENKUlT_SI_SJ_SK_E_clISE_PiSF_SF_EESH_SX_SI_SJ_SK_EUlSX_E_NS1_11comp_targetILNS1_3genE10ELNS1_11target_archE1201ELNS1_3gpuE5ELNS1_3repE0EEENS1_48merge_mergepath_partition_config_static_selectorELNS0_4arch9wavefront6targetE1EEEvSJ_
                                        ; -- End function
	.set _ZN7rocprim17ROCPRIM_400000_NS6detail17trampoline_kernelINS0_14default_configENS1_38merge_sort_block_merge_config_selectorIiNS0_10empty_typeEEEZZNS1_27merge_sort_block_merge_implIS3_N6thrust23THRUST_200600_302600_NS6detail15normal_iteratorINS9_10device_ptrIiEEEEPS5_m17evens_before_oddsEE10hipError_tT0_T1_T2_jT3_P12ihipStream_tbPNSt15iterator_traitsISI_E10value_typeEPNSO_ISJ_E10value_typeEPSK_NS1_7vsmem_tEENKUlT_SI_SJ_SK_E_clISE_PiSF_SF_EESH_SX_SI_SJ_SK_EUlSX_E_NS1_11comp_targetILNS1_3genE10ELNS1_11target_archE1201ELNS1_3gpuE5ELNS1_3repE0EEENS1_48merge_mergepath_partition_config_static_selectorELNS0_4arch9wavefront6targetE1EEEvSJ_.num_vgpr, 0
	.set _ZN7rocprim17ROCPRIM_400000_NS6detail17trampoline_kernelINS0_14default_configENS1_38merge_sort_block_merge_config_selectorIiNS0_10empty_typeEEEZZNS1_27merge_sort_block_merge_implIS3_N6thrust23THRUST_200600_302600_NS6detail15normal_iteratorINS9_10device_ptrIiEEEEPS5_m17evens_before_oddsEE10hipError_tT0_T1_T2_jT3_P12ihipStream_tbPNSt15iterator_traitsISI_E10value_typeEPNSO_ISJ_E10value_typeEPSK_NS1_7vsmem_tEENKUlT_SI_SJ_SK_E_clISE_PiSF_SF_EESH_SX_SI_SJ_SK_EUlSX_E_NS1_11comp_targetILNS1_3genE10ELNS1_11target_archE1201ELNS1_3gpuE5ELNS1_3repE0EEENS1_48merge_mergepath_partition_config_static_selectorELNS0_4arch9wavefront6targetE1EEEvSJ_.num_agpr, 0
	.set _ZN7rocprim17ROCPRIM_400000_NS6detail17trampoline_kernelINS0_14default_configENS1_38merge_sort_block_merge_config_selectorIiNS0_10empty_typeEEEZZNS1_27merge_sort_block_merge_implIS3_N6thrust23THRUST_200600_302600_NS6detail15normal_iteratorINS9_10device_ptrIiEEEEPS5_m17evens_before_oddsEE10hipError_tT0_T1_T2_jT3_P12ihipStream_tbPNSt15iterator_traitsISI_E10value_typeEPNSO_ISJ_E10value_typeEPSK_NS1_7vsmem_tEENKUlT_SI_SJ_SK_E_clISE_PiSF_SF_EESH_SX_SI_SJ_SK_EUlSX_E_NS1_11comp_targetILNS1_3genE10ELNS1_11target_archE1201ELNS1_3gpuE5ELNS1_3repE0EEENS1_48merge_mergepath_partition_config_static_selectorELNS0_4arch9wavefront6targetE1EEEvSJ_.numbered_sgpr, 0
	.set _ZN7rocprim17ROCPRIM_400000_NS6detail17trampoline_kernelINS0_14default_configENS1_38merge_sort_block_merge_config_selectorIiNS0_10empty_typeEEEZZNS1_27merge_sort_block_merge_implIS3_N6thrust23THRUST_200600_302600_NS6detail15normal_iteratorINS9_10device_ptrIiEEEEPS5_m17evens_before_oddsEE10hipError_tT0_T1_T2_jT3_P12ihipStream_tbPNSt15iterator_traitsISI_E10value_typeEPNSO_ISJ_E10value_typeEPSK_NS1_7vsmem_tEENKUlT_SI_SJ_SK_E_clISE_PiSF_SF_EESH_SX_SI_SJ_SK_EUlSX_E_NS1_11comp_targetILNS1_3genE10ELNS1_11target_archE1201ELNS1_3gpuE5ELNS1_3repE0EEENS1_48merge_mergepath_partition_config_static_selectorELNS0_4arch9wavefront6targetE1EEEvSJ_.num_named_barrier, 0
	.set _ZN7rocprim17ROCPRIM_400000_NS6detail17trampoline_kernelINS0_14default_configENS1_38merge_sort_block_merge_config_selectorIiNS0_10empty_typeEEEZZNS1_27merge_sort_block_merge_implIS3_N6thrust23THRUST_200600_302600_NS6detail15normal_iteratorINS9_10device_ptrIiEEEEPS5_m17evens_before_oddsEE10hipError_tT0_T1_T2_jT3_P12ihipStream_tbPNSt15iterator_traitsISI_E10value_typeEPNSO_ISJ_E10value_typeEPSK_NS1_7vsmem_tEENKUlT_SI_SJ_SK_E_clISE_PiSF_SF_EESH_SX_SI_SJ_SK_EUlSX_E_NS1_11comp_targetILNS1_3genE10ELNS1_11target_archE1201ELNS1_3gpuE5ELNS1_3repE0EEENS1_48merge_mergepath_partition_config_static_selectorELNS0_4arch9wavefront6targetE1EEEvSJ_.private_seg_size, 0
	.set _ZN7rocprim17ROCPRIM_400000_NS6detail17trampoline_kernelINS0_14default_configENS1_38merge_sort_block_merge_config_selectorIiNS0_10empty_typeEEEZZNS1_27merge_sort_block_merge_implIS3_N6thrust23THRUST_200600_302600_NS6detail15normal_iteratorINS9_10device_ptrIiEEEEPS5_m17evens_before_oddsEE10hipError_tT0_T1_T2_jT3_P12ihipStream_tbPNSt15iterator_traitsISI_E10value_typeEPNSO_ISJ_E10value_typeEPSK_NS1_7vsmem_tEENKUlT_SI_SJ_SK_E_clISE_PiSF_SF_EESH_SX_SI_SJ_SK_EUlSX_E_NS1_11comp_targetILNS1_3genE10ELNS1_11target_archE1201ELNS1_3gpuE5ELNS1_3repE0EEENS1_48merge_mergepath_partition_config_static_selectorELNS0_4arch9wavefront6targetE1EEEvSJ_.uses_vcc, 0
	.set _ZN7rocprim17ROCPRIM_400000_NS6detail17trampoline_kernelINS0_14default_configENS1_38merge_sort_block_merge_config_selectorIiNS0_10empty_typeEEEZZNS1_27merge_sort_block_merge_implIS3_N6thrust23THRUST_200600_302600_NS6detail15normal_iteratorINS9_10device_ptrIiEEEEPS5_m17evens_before_oddsEE10hipError_tT0_T1_T2_jT3_P12ihipStream_tbPNSt15iterator_traitsISI_E10value_typeEPNSO_ISJ_E10value_typeEPSK_NS1_7vsmem_tEENKUlT_SI_SJ_SK_E_clISE_PiSF_SF_EESH_SX_SI_SJ_SK_EUlSX_E_NS1_11comp_targetILNS1_3genE10ELNS1_11target_archE1201ELNS1_3gpuE5ELNS1_3repE0EEENS1_48merge_mergepath_partition_config_static_selectorELNS0_4arch9wavefront6targetE1EEEvSJ_.uses_flat_scratch, 0
	.set _ZN7rocprim17ROCPRIM_400000_NS6detail17trampoline_kernelINS0_14default_configENS1_38merge_sort_block_merge_config_selectorIiNS0_10empty_typeEEEZZNS1_27merge_sort_block_merge_implIS3_N6thrust23THRUST_200600_302600_NS6detail15normal_iteratorINS9_10device_ptrIiEEEEPS5_m17evens_before_oddsEE10hipError_tT0_T1_T2_jT3_P12ihipStream_tbPNSt15iterator_traitsISI_E10value_typeEPNSO_ISJ_E10value_typeEPSK_NS1_7vsmem_tEENKUlT_SI_SJ_SK_E_clISE_PiSF_SF_EESH_SX_SI_SJ_SK_EUlSX_E_NS1_11comp_targetILNS1_3genE10ELNS1_11target_archE1201ELNS1_3gpuE5ELNS1_3repE0EEENS1_48merge_mergepath_partition_config_static_selectorELNS0_4arch9wavefront6targetE1EEEvSJ_.has_dyn_sized_stack, 0
	.set _ZN7rocprim17ROCPRIM_400000_NS6detail17trampoline_kernelINS0_14default_configENS1_38merge_sort_block_merge_config_selectorIiNS0_10empty_typeEEEZZNS1_27merge_sort_block_merge_implIS3_N6thrust23THRUST_200600_302600_NS6detail15normal_iteratorINS9_10device_ptrIiEEEEPS5_m17evens_before_oddsEE10hipError_tT0_T1_T2_jT3_P12ihipStream_tbPNSt15iterator_traitsISI_E10value_typeEPNSO_ISJ_E10value_typeEPSK_NS1_7vsmem_tEENKUlT_SI_SJ_SK_E_clISE_PiSF_SF_EESH_SX_SI_SJ_SK_EUlSX_E_NS1_11comp_targetILNS1_3genE10ELNS1_11target_archE1201ELNS1_3gpuE5ELNS1_3repE0EEENS1_48merge_mergepath_partition_config_static_selectorELNS0_4arch9wavefront6targetE1EEEvSJ_.has_recursion, 0
	.set _ZN7rocprim17ROCPRIM_400000_NS6detail17trampoline_kernelINS0_14default_configENS1_38merge_sort_block_merge_config_selectorIiNS0_10empty_typeEEEZZNS1_27merge_sort_block_merge_implIS3_N6thrust23THRUST_200600_302600_NS6detail15normal_iteratorINS9_10device_ptrIiEEEEPS5_m17evens_before_oddsEE10hipError_tT0_T1_T2_jT3_P12ihipStream_tbPNSt15iterator_traitsISI_E10value_typeEPNSO_ISJ_E10value_typeEPSK_NS1_7vsmem_tEENKUlT_SI_SJ_SK_E_clISE_PiSF_SF_EESH_SX_SI_SJ_SK_EUlSX_E_NS1_11comp_targetILNS1_3genE10ELNS1_11target_archE1201ELNS1_3gpuE5ELNS1_3repE0EEENS1_48merge_mergepath_partition_config_static_selectorELNS0_4arch9wavefront6targetE1EEEvSJ_.has_indirect_call, 0
	.section	.AMDGPU.csdata,"",@progbits
; Kernel info:
; codeLenInByte = 0
; TotalNumSgprs: 6
; NumVgprs: 0
; NumAgprs: 0
; TotalNumVgprs: 0
; ScratchSize: 0
; MemoryBound: 0
; FloatMode: 240
; IeeeMode: 1
; LDSByteSize: 0 bytes/workgroup (compile time only)
; SGPRBlocks: 0
; VGPRBlocks: 0
; NumSGPRsForWavesPerEU: 6
; NumVGPRsForWavesPerEU: 1
; AccumOffset: 4
; Occupancy: 8
; WaveLimiterHint : 0
; COMPUTE_PGM_RSRC2:SCRATCH_EN: 0
; COMPUTE_PGM_RSRC2:USER_SGPR: 2
; COMPUTE_PGM_RSRC2:TRAP_HANDLER: 0
; COMPUTE_PGM_RSRC2:TGID_X_EN: 1
; COMPUTE_PGM_RSRC2:TGID_Y_EN: 0
; COMPUTE_PGM_RSRC2:TGID_Z_EN: 0
; COMPUTE_PGM_RSRC2:TIDIG_COMP_CNT: 0
; COMPUTE_PGM_RSRC3_GFX90A:ACCUM_OFFSET: 0
; COMPUTE_PGM_RSRC3_GFX90A:TG_SPLIT: 0
	.section	.text._ZN7rocprim17ROCPRIM_400000_NS6detail17trampoline_kernelINS0_14default_configENS1_38merge_sort_block_merge_config_selectorIiNS0_10empty_typeEEEZZNS1_27merge_sort_block_merge_implIS3_N6thrust23THRUST_200600_302600_NS6detail15normal_iteratorINS9_10device_ptrIiEEEEPS5_m17evens_before_oddsEE10hipError_tT0_T1_T2_jT3_P12ihipStream_tbPNSt15iterator_traitsISI_E10value_typeEPNSO_ISJ_E10value_typeEPSK_NS1_7vsmem_tEENKUlT_SI_SJ_SK_E_clISE_PiSF_SF_EESH_SX_SI_SJ_SK_EUlSX_E_NS1_11comp_targetILNS1_3genE5ELNS1_11target_archE942ELNS1_3gpuE9ELNS1_3repE0EEENS1_48merge_mergepath_partition_config_static_selectorELNS0_4arch9wavefront6targetE1EEEvSJ_,"axG",@progbits,_ZN7rocprim17ROCPRIM_400000_NS6detail17trampoline_kernelINS0_14default_configENS1_38merge_sort_block_merge_config_selectorIiNS0_10empty_typeEEEZZNS1_27merge_sort_block_merge_implIS3_N6thrust23THRUST_200600_302600_NS6detail15normal_iteratorINS9_10device_ptrIiEEEEPS5_m17evens_before_oddsEE10hipError_tT0_T1_T2_jT3_P12ihipStream_tbPNSt15iterator_traitsISI_E10value_typeEPNSO_ISJ_E10value_typeEPSK_NS1_7vsmem_tEENKUlT_SI_SJ_SK_E_clISE_PiSF_SF_EESH_SX_SI_SJ_SK_EUlSX_E_NS1_11comp_targetILNS1_3genE5ELNS1_11target_archE942ELNS1_3gpuE9ELNS1_3repE0EEENS1_48merge_mergepath_partition_config_static_selectorELNS0_4arch9wavefront6targetE1EEEvSJ_,comdat
	.protected	_ZN7rocprim17ROCPRIM_400000_NS6detail17trampoline_kernelINS0_14default_configENS1_38merge_sort_block_merge_config_selectorIiNS0_10empty_typeEEEZZNS1_27merge_sort_block_merge_implIS3_N6thrust23THRUST_200600_302600_NS6detail15normal_iteratorINS9_10device_ptrIiEEEEPS5_m17evens_before_oddsEE10hipError_tT0_T1_T2_jT3_P12ihipStream_tbPNSt15iterator_traitsISI_E10value_typeEPNSO_ISJ_E10value_typeEPSK_NS1_7vsmem_tEENKUlT_SI_SJ_SK_E_clISE_PiSF_SF_EESH_SX_SI_SJ_SK_EUlSX_E_NS1_11comp_targetILNS1_3genE5ELNS1_11target_archE942ELNS1_3gpuE9ELNS1_3repE0EEENS1_48merge_mergepath_partition_config_static_selectorELNS0_4arch9wavefront6targetE1EEEvSJ_ ; -- Begin function _ZN7rocprim17ROCPRIM_400000_NS6detail17trampoline_kernelINS0_14default_configENS1_38merge_sort_block_merge_config_selectorIiNS0_10empty_typeEEEZZNS1_27merge_sort_block_merge_implIS3_N6thrust23THRUST_200600_302600_NS6detail15normal_iteratorINS9_10device_ptrIiEEEEPS5_m17evens_before_oddsEE10hipError_tT0_T1_T2_jT3_P12ihipStream_tbPNSt15iterator_traitsISI_E10value_typeEPNSO_ISJ_E10value_typeEPSK_NS1_7vsmem_tEENKUlT_SI_SJ_SK_E_clISE_PiSF_SF_EESH_SX_SI_SJ_SK_EUlSX_E_NS1_11comp_targetILNS1_3genE5ELNS1_11target_archE942ELNS1_3gpuE9ELNS1_3repE0EEENS1_48merge_mergepath_partition_config_static_selectorELNS0_4arch9wavefront6targetE1EEEvSJ_
	.globl	_ZN7rocprim17ROCPRIM_400000_NS6detail17trampoline_kernelINS0_14default_configENS1_38merge_sort_block_merge_config_selectorIiNS0_10empty_typeEEEZZNS1_27merge_sort_block_merge_implIS3_N6thrust23THRUST_200600_302600_NS6detail15normal_iteratorINS9_10device_ptrIiEEEEPS5_m17evens_before_oddsEE10hipError_tT0_T1_T2_jT3_P12ihipStream_tbPNSt15iterator_traitsISI_E10value_typeEPNSO_ISJ_E10value_typeEPSK_NS1_7vsmem_tEENKUlT_SI_SJ_SK_E_clISE_PiSF_SF_EESH_SX_SI_SJ_SK_EUlSX_E_NS1_11comp_targetILNS1_3genE5ELNS1_11target_archE942ELNS1_3gpuE9ELNS1_3repE0EEENS1_48merge_mergepath_partition_config_static_selectorELNS0_4arch9wavefront6targetE1EEEvSJ_
	.p2align	8
	.type	_ZN7rocprim17ROCPRIM_400000_NS6detail17trampoline_kernelINS0_14default_configENS1_38merge_sort_block_merge_config_selectorIiNS0_10empty_typeEEEZZNS1_27merge_sort_block_merge_implIS3_N6thrust23THRUST_200600_302600_NS6detail15normal_iteratorINS9_10device_ptrIiEEEEPS5_m17evens_before_oddsEE10hipError_tT0_T1_T2_jT3_P12ihipStream_tbPNSt15iterator_traitsISI_E10value_typeEPNSO_ISJ_E10value_typeEPSK_NS1_7vsmem_tEENKUlT_SI_SJ_SK_E_clISE_PiSF_SF_EESH_SX_SI_SJ_SK_EUlSX_E_NS1_11comp_targetILNS1_3genE5ELNS1_11target_archE942ELNS1_3gpuE9ELNS1_3repE0EEENS1_48merge_mergepath_partition_config_static_selectorELNS0_4arch9wavefront6targetE1EEEvSJ_,@function
_ZN7rocprim17ROCPRIM_400000_NS6detail17trampoline_kernelINS0_14default_configENS1_38merge_sort_block_merge_config_selectorIiNS0_10empty_typeEEEZZNS1_27merge_sort_block_merge_implIS3_N6thrust23THRUST_200600_302600_NS6detail15normal_iteratorINS9_10device_ptrIiEEEEPS5_m17evens_before_oddsEE10hipError_tT0_T1_T2_jT3_P12ihipStream_tbPNSt15iterator_traitsISI_E10value_typeEPNSO_ISJ_E10value_typeEPSK_NS1_7vsmem_tEENKUlT_SI_SJ_SK_E_clISE_PiSF_SF_EESH_SX_SI_SJ_SK_EUlSX_E_NS1_11comp_targetILNS1_3genE5ELNS1_11target_archE942ELNS1_3gpuE9ELNS1_3repE0EEENS1_48merge_mergepath_partition_config_static_selectorELNS0_4arch9wavefront6targetE1EEEvSJ_: ; @_ZN7rocprim17ROCPRIM_400000_NS6detail17trampoline_kernelINS0_14default_configENS1_38merge_sort_block_merge_config_selectorIiNS0_10empty_typeEEEZZNS1_27merge_sort_block_merge_implIS3_N6thrust23THRUST_200600_302600_NS6detail15normal_iteratorINS9_10device_ptrIiEEEEPS5_m17evens_before_oddsEE10hipError_tT0_T1_T2_jT3_P12ihipStream_tbPNSt15iterator_traitsISI_E10value_typeEPNSO_ISJ_E10value_typeEPSK_NS1_7vsmem_tEENKUlT_SI_SJ_SK_E_clISE_PiSF_SF_EESH_SX_SI_SJ_SK_EUlSX_E_NS1_11comp_targetILNS1_3genE5ELNS1_11target_archE942ELNS1_3gpuE9ELNS1_3repE0EEENS1_48merge_mergepath_partition_config_static_selectorELNS0_4arch9wavefront6targetE1EEEvSJ_
; %bb.0:
	.section	.rodata,"a",@progbits
	.p2align	6, 0x0
	.amdhsa_kernel _ZN7rocprim17ROCPRIM_400000_NS6detail17trampoline_kernelINS0_14default_configENS1_38merge_sort_block_merge_config_selectorIiNS0_10empty_typeEEEZZNS1_27merge_sort_block_merge_implIS3_N6thrust23THRUST_200600_302600_NS6detail15normal_iteratorINS9_10device_ptrIiEEEEPS5_m17evens_before_oddsEE10hipError_tT0_T1_T2_jT3_P12ihipStream_tbPNSt15iterator_traitsISI_E10value_typeEPNSO_ISJ_E10value_typeEPSK_NS1_7vsmem_tEENKUlT_SI_SJ_SK_E_clISE_PiSF_SF_EESH_SX_SI_SJ_SK_EUlSX_E_NS1_11comp_targetILNS1_3genE5ELNS1_11target_archE942ELNS1_3gpuE9ELNS1_3repE0EEENS1_48merge_mergepath_partition_config_static_selectorELNS0_4arch9wavefront6targetE1EEEvSJ_
		.amdhsa_group_segment_fixed_size 0
		.amdhsa_private_segment_fixed_size 0
		.amdhsa_kernarg_size 48
		.amdhsa_user_sgpr_count 2
		.amdhsa_user_sgpr_dispatch_ptr 0
		.amdhsa_user_sgpr_queue_ptr 0
		.amdhsa_user_sgpr_kernarg_segment_ptr 1
		.amdhsa_user_sgpr_dispatch_id 0
		.amdhsa_user_sgpr_kernarg_preload_length 0
		.amdhsa_user_sgpr_kernarg_preload_offset 0
		.amdhsa_user_sgpr_private_segment_size 0
		.amdhsa_uses_dynamic_stack 0
		.amdhsa_enable_private_segment 0
		.amdhsa_system_sgpr_workgroup_id_x 1
		.amdhsa_system_sgpr_workgroup_id_y 0
		.amdhsa_system_sgpr_workgroup_id_z 0
		.amdhsa_system_sgpr_workgroup_info 0
		.amdhsa_system_vgpr_workitem_id 0
		.amdhsa_next_free_vgpr 1
		.amdhsa_next_free_sgpr 0
		.amdhsa_accum_offset 4
		.amdhsa_reserve_vcc 0
		.amdhsa_float_round_mode_32 0
		.amdhsa_float_round_mode_16_64 0
		.amdhsa_float_denorm_mode_32 3
		.amdhsa_float_denorm_mode_16_64 3
		.amdhsa_dx10_clamp 1
		.amdhsa_ieee_mode 1
		.amdhsa_fp16_overflow 0
		.amdhsa_tg_split 0
		.amdhsa_exception_fp_ieee_invalid_op 0
		.amdhsa_exception_fp_denorm_src 0
		.amdhsa_exception_fp_ieee_div_zero 0
		.amdhsa_exception_fp_ieee_overflow 0
		.amdhsa_exception_fp_ieee_underflow 0
		.amdhsa_exception_fp_ieee_inexact 0
		.amdhsa_exception_int_div_zero 0
	.end_amdhsa_kernel
	.section	.text._ZN7rocprim17ROCPRIM_400000_NS6detail17trampoline_kernelINS0_14default_configENS1_38merge_sort_block_merge_config_selectorIiNS0_10empty_typeEEEZZNS1_27merge_sort_block_merge_implIS3_N6thrust23THRUST_200600_302600_NS6detail15normal_iteratorINS9_10device_ptrIiEEEEPS5_m17evens_before_oddsEE10hipError_tT0_T1_T2_jT3_P12ihipStream_tbPNSt15iterator_traitsISI_E10value_typeEPNSO_ISJ_E10value_typeEPSK_NS1_7vsmem_tEENKUlT_SI_SJ_SK_E_clISE_PiSF_SF_EESH_SX_SI_SJ_SK_EUlSX_E_NS1_11comp_targetILNS1_3genE5ELNS1_11target_archE942ELNS1_3gpuE9ELNS1_3repE0EEENS1_48merge_mergepath_partition_config_static_selectorELNS0_4arch9wavefront6targetE1EEEvSJ_,"axG",@progbits,_ZN7rocprim17ROCPRIM_400000_NS6detail17trampoline_kernelINS0_14default_configENS1_38merge_sort_block_merge_config_selectorIiNS0_10empty_typeEEEZZNS1_27merge_sort_block_merge_implIS3_N6thrust23THRUST_200600_302600_NS6detail15normal_iteratorINS9_10device_ptrIiEEEEPS5_m17evens_before_oddsEE10hipError_tT0_T1_T2_jT3_P12ihipStream_tbPNSt15iterator_traitsISI_E10value_typeEPNSO_ISJ_E10value_typeEPSK_NS1_7vsmem_tEENKUlT_SI_SJ_SK_E_clISE_PiSF_SF_EESH_SX_SI_SJ_SK_EUlSX_E_NS1_11comp_targetILNS1_3genE5ELNS1_11target_archE942ELNS1_3gpuE9ELNS1_3repE0EEENS1_48merge_mergepath_partition_config_static_selectorELNS0_4arch9wavefront6targetE1EEEvSJ_,comdat
.Lfunc_end434:
	.size	_ZN7rocprim17ROCPRIM_400000_NS6detail17trampoline_kernelINS0_14default_configENS1_38merge_sort_block_merge_config_selectorIiNS0_10empty_typeEEEZZNS1_27merge_sort_block_merge_implIS3_N6thrust23THRUST_200600_302600_NS6detail15normal_iteratorINS9_10device_ptrIiEEEEPS5_m17evens_before_oddsEE10hipError_tT0_T1_T2_jT3_P12ihipStream_tbPNSt15iterator_traitsISI_E10value_typeEPNSO_ISJ_E10value_typeEPSK_NS1_7vsmem_tEENKUlT_SI_SJ_SK_E_clISE_PiSF_SF_EESH_SX_SI_SJ_SK_EUlSX_E_NS1_11comp_targetILNS1_3genE5ELNS1_11target_archE942ELNS1_3gpuE9ELNS1_3repE0EEENS1_48merge_mergepath_partition_config_static_selectorELNS0_4arch9wavefront6targetE1EEEvSJ_, .Lfunc_end434-_ZN7rocprim17ROCPRIM_400000_NS6detail17trampoline_kernelINS0_14default_configENS1_38merge_sort_block_merge_config_selectorIiNS0_10empty_typeEEEZZNS1_27merge_sort_block_merge_implIS3_N6thrust23THRUST_200600_302600_NS6detail15normal_iteratorINS9_10device_ptrIiEEEEPS5_m17evens_before_oddsEE10hipError_tT0_T1_T2_jT3_P12ihipStream_tbPNSt15iterator_traitsISI_E10value_typeEPNSO_ISJ_E10value_typeEPSK_NS1_7vsmem_tEENKUlT_SI_SJ_SK_E_clISE_PiSF_SF_EESH_SX_SI_SJ_SK_EUlSX_E_NS1_11comp_targetILNS1_3genE5ELNS1_11target_archE942ELNS1_3gpuE9ELNS1_3repE0EEENS1_48merge_mergepath_partition_config_static_selectorELNS0_4arch9wavefront6targetE1EEEvSJ_
                                        ; -- End function
	.set _ZN7rocprim17ROCPRIM_400000_NS6detail17trampoline_kernelINS0_14default_configENS1_38merge_sort_block_merge_config_selectorIiNS0_10empty_typeEEEZZNS1_27merge_sort_block_merge_implIS3_N6thrust23THRUST_200600_302600_NS6detail15normal_iteratorINS9_10device_ptrIiEEEEPS5_m17evens_before_oddsEE10hipError_tT0_T1_T2_jT3_P12ihipStream_tbPNSt15iterator_traitsISI_E10value_typeEPNSO_ISJ_E10value_typeEPSK_NS1_7vsmem_tEENKUlT_SI_SJ_SK_E_clISE_PiSF_SF_EESH_SX_SI_SJ_SK_EUlSX_E_NS1_11comp_targetILNS1_3genE5ELNS1_11target_archE942ELNS1_3gpuE9ELNS1_3repE0EEENS1_48merge_mergepath_partition_config_static_selectorELNS0_4arch9wavefront6targetE1EEEvSJ_.num_vgpr, 0
	.set _ZN7rocprim17ROCPRIM_400000_NS6detail17trampoline_kernelINS0_14default_configENS1_38merge_sort_block_merge_config_selectorIiNS0_10empty_typeEEEZZNS1_27merge_sort_block_merge_implIS3_N6thrust23THRUST_200600_302600_NS6detail15normal_iteratorINS9_10device_ptrIiEEEEPS5_m17evens_before_oddsEE10hipError_tT0_T1_T2_jT3_P12ihipStream_tbPNSt15iterator_traitsISI_E10value_typeEPNSO_ISJ_E10value_typeEPSK_NS1_7vsmem_tEENKUlT_SI_SJ_SK_E_clISE_PiSF_SF_EESH_SX_SI_SJ_SK_EUlSX_E_NS1_11comp_targetILNS1_3genE5ELNS1_11target_archE942ELNS1_3gpuE9ELNS1_3repE0EEENS1_48merge_mergepath_partition_config_static_selectorELNS0_4arch9wavefront6targetE1EEEvSJ_.num_agpr, 0
	.set _ZN7rocprim17ROCPRIM_400000_NS6detail17trampoline_kernelINS0_14default_configENS1_38merge_sort_block_merge_config_selectorIiNS0_10empty_typeEEEZZNS1_27merge_sort_block_merge_implIS3_N6thrust23THRUST_200600_302600_NS6detail15normal_iteratorINS9_10device_ptrIiEEEEPS5_m17evens_before_oddsEE10hipError_tT0_T1_T2_jT3_P12ihipStream_tbPNSt15iterator_traitsISI_E10value_typeEPNSO_ISJ_E10value_typeEPSK_NS1_7vsmem_tEENKUlT_SI_SJ_SK_E_clISE_PiSF_SF_EESH_SX_SI_SJ_SK_EUlSX_E_NS1_11comp_targetILNS1_3genE5ELNS1_11target_archE942ELNS1_3gpuE9ELNS1_3repE0EEENS1_48merge_mergepath_partition_config_static_selectorELNS0_4arch9wavefront6targetE1EEEvSJ_.numbered_sgpr, 0
	.set _ZN7rocprim17ROCPRIM_400000_NS6detail17trampoline_kernelINS0_14default_configENS1_38merge_sort_block_merge_config_selectorIiNS0_10empty_typeEEEZZNS1_27merge_sort_block_merge_implIS3_N6thrust23THRUST_200600_302600_NS6detail15normal_iteratorINS9_10device_ptrIiEEEEPS5_m17evens_before_oddsEE10hipError_tT0_T1_T2_jT3_P12ihipStream_tbPNSt15iterator_traitsISI_E10value_typeEPNSO_ISJ_E10value_typeEPSK_NS1_7vsmem_tEENKUlT_SI_SJ_SK_E_clISE_PiSF_SF_EESH_SX_SI_SJ_SK_EUlSX_E_NS1_11comp_targetILNS1_3genE5ELNS1_11target_archE942ELNS1_3gpuE9ELNS1_3repE0EEENS1_48merge_mergepath_partition_config_static_selectorELNS0_4arch9wavefront6targetE1EEEvSJ_.num_named_barrier, 0
	.set _ZN7rocprim17ROCPRIM_400000_NS6detail17trampoline_kernelINS0_14default_configENS1_38merge_sort_block_merge_config_selectorIiNS0_10empty_typeEEEZZNS1_27merge_sort_block_merge_implIS3_N6thrust23THRUST_200600_302600_NS6detail15normal_iteratorINS9_10device_ptrIiEEEEPS5_m17evens_before_oddsEE10hipError_tT0_T1_T2_jT3_P12ihipStream_tbPNSt15iterator_traitsISI_E10value_typeEPNSO_ISJ_E10value_typeEPSK_NS1_7vsmem_tEENKUlT_SI_SJ_SK_E_clISE_PiSF_SF_EESH_SX_SI_SJ_SK_EUlSX_E_NS1_11comp_targetILNS1_3genE5ELNS1_11target_archE942ELNS1_3gpuE9ELNS1_3repE0EEENS1_48merge_mergepath_partition_config_static_selectorELNS0_4arch9wavefront6targetE1EEEvSJ_.private_seg_size, 0
	.set _ZN7rocprim17ROCPRIM_400000_NS6detail17trampoline_kernelINS0_14default_configENS1_38merge_sort_block_merge_config_selectorIiNS0_10empty_typeEEEZZNS1_27merge_sort_block_merge_implIS3_N6thrust23THRUST_200600_302600_NS6detail15normal_iteratorINS9_10device_ptrIiEEEEPS5_m17evens_before_oddsEE10hipError_tT0_T1_T2_jT3_P12ihipStream_tbPNSt15iterator_traitsISI_E10value_typeEPNSO_ISJ_E10value_typeEPSK_NS1_7vsmem_tEENKUlT_SI_SJ_SK_E_clISE_PiSF_SF_EESH_SX_SI_SJ_SK_EUlSX_E_NS1_11comp_targetILNS1_3genE5ELNS1_11target_archE942ELNS1_3gpuE9ELNS1_3repE0EEENS1_48merge_mergepath_partition_config_static_selectorELNS0_4arch9wavefront6targetE1EEEvSJ_.uses_vcc, 0
	.set _ZN7rocprim17ROCPRIM_400000_NS6detail17trampoline_kernelINS0_14default_configENS1_38merge_sort_block_merge_config_selectorIiNS0_10empty_typeEEEZZNS1_27merge_sort_block_merge_implIS3_N6thrust23THRUST_200600_302600_NS6detail15normal_iteratorINS9_10device_ptrIiEEEEPS5_m17evens_before_oddsEE10hipError_tT0_T1_T2_jT3_P12ihipStream_tbPNSt15iterator_traitsISI_E10value_typeEPNSO_ISJ_E10value_typeEPSK_NS1_7vsmem_tEENKUlT_SI_SJ_SK_E_clISE_PiSF_SF_EESH_SX_SI_SJ_SK_EUlSX_E_NS1_11comp_targetILNS1_3genE5ELNS1_11target_archE942ELNS1_3gpuE9ELNS1_3repE0EEENS1_48merge_mergepath_partition_config_static_selectorELNS0_4arch9wavefront6targetE1EEEvSJ_.uses_flat_scratch, 0
	.set _ZN7rocprim17ROCPRIM_400000_NS6detail17trampoline_kernelINS0_14default_configENS1_38merge_sort_block_merge_config_selectorIiNS0_10empty_typeEEEZZNS1_27merge_sort_block_merge_implIS3_N6thrust23THRUST_200600_302600_NS6detail15normal_iteratorINS9_10device_ptrIiEEEEPS5_m17evens_before_oddsEE10hipError_tT0_T1_T2_jT3_P12ihipStream_tbPNSt15iterator_traitsISI_E10value_typeEPNSO_ISJ_E10value_typeEPSK_NS1_7vsmem_tEENKUlT_SI_SJ_SK_E_clISE_PiSF_SF_EESH_SX_SI_SJ_SK_EUlSX_E_NS1_11comp_targetILNS1_3genE5ELNS1_11target_archE942ELNS1_3gpuE9ELNS1_3repE0EEENS1_48merge_mergepath_partition_config_static_selectorELNS0_4arch9wavefront6targetE1EEEvSJ_.has_dyn_sized_stack, 0
	.set _ZN7rocprim17ROCPRIM_400000_NS6detail17trampoline_kernelINS0_14default_configENS1_38merge_sort_block_merge_config_selectorIiNS0_10empty_typeEEEZZNS1_27merge_sort_block_merge_implIS3_N6thrust23THRUST_200600_302600_NS6detail15normal_iteratorINS9_10device_ptrIiEEEEPS5_m17evens_before_oddsEE10hipError_tT0_T1_T2_jT3_P12ihipStream_tbPNSt15iterator_traitsISI_E10value_typeEPNSO_ISJ_E10value_typeEPSK_NS1_7vsmem_tEENKUlT_SI_SJ_SK_E_clISE_PiSF_SF_EESH_SX_SI_SJ_SK_EUlSX_E_NS1_11comp_targetILNS1_3genE5ELNS1_11target_archE942ELNS1_3gpuE9ELNS1_3repE0EEENS1_48merge_mergepath_partition_config_static_selectorELNS0_4arch9wavefront6targetE1EEEvSJ_.has_recursion, 0
	.set _ZN7rocprim17ROCPRIM_400000_NS6detail17trampoline_kernelINS0_14default_configENS1_38merge_sort_block_merge_config_selectorIiNS0_10empty_typeEEEZZNS1_27merge_sort_block_merge_implIS3_N6thrust23THRUST_200600_302600_NS6detail15normal_iteratorINS9_10device_ptrIiEEEEPS5_m17evens_before_oddsEE10hipError_tT0_T1_T2_jT3_P12ihipStream_tbPNSt15iterator_traitsISI_E10value_typeEPNSO_ISJ_E10value_typeEPSK_NS1_7vsmem_tEENKUlT_SI_SJ_SK_E_clISE_PiSF_SF_EESH_SX_SI_SJ_SK_EUlSX_E_NS1_11comp_targetILNS1_3genE5ELNS1_11target_archE942ELNS1_3gpuE9ELNS1_3repE0EEENS1_48merge_mergepath_partition_config_static_selectorELNS0_4arch9wavefront6targetE1EEEvSJ_.has_indirect_call, 0
	.section	.AMDGPU.csdata,"",@progbits
; Kernel info:
; codeLenInByte = 0
; TotalNumSgprs: 6
; NumVgprs: 0
; NumAgprs: 0
; TotalNumVgprs: 0
; ScratchSize: 0
; MemoryBound: 0
; FloatMode: 240
; IeeeMode: 1
; LDSByteSize: 0 bytes/workgroup (compile time only)
; SGPRBlocks: 0
; VGPRBlocks: 0
; NumSGPRsForWavesPerEU: 6
; NumVGPRsForWavesPerEU: 1
; AccumOffset: 4
; Occupancy: 8
; WaveLimiterHint : 0
; COMPUTE_PGM_RSRC2:SCRATCH_EN: 0
; COMPUTE_PGM_RSRC2:USER_SGPR: 2
; COMPUTE_PGM_RSRC2:TRAP_HANDLER: 0
; COMPUTE_PGM_RSRC2:TGID_X_EN: 1
; COMPUTE_PGM_RSRC2:TGID_Y_EN: 0
; COMPUTE_PGM_RSRC2:TGID_Z_EN: 0
; COMPUTE_PGM_RSRC2:TIDIG_COMP_CNT: 0
; COMPUTE_PGM_RSRC3_GFX90A:ACCUM_OFFSET: 0
; COMPUTE_PGM_RSRC3_GFX90A:TG_SPLIT: 0
	.section	.text._ZN7rocprim17ROCPRIM_400000_NS6detail17trampoline_kernelINS0_14default_configENS1_38merge_sort_block_merge_config_selectorIiNS0_10empty_typeEEEZZNS1_27merge_sort_block_merge_implIS3_N6thrust23THRUST_200600_302600_NS6detail15normal_iteratorINS9_10device_ptrIiEEEEPS5_m17evens_before_oddsEE10hipError_tT0_T1_T2_jT3_P12ihipStream_tbPNSt15iterator_traitsISI_E10value_typeEPNSO_ISJ_E10value_typeEPSK_NS1_7vsmem_tEENKUlT_SI_SJ_SK_E_clISE_PiSF_SF_EESH_SX_SI_SJ_SK_EUlSX_E_NS1_11comp_targetILNS1_3genE4ELNS1_11target_archE910ELNS1_3gpuE8ELNS1_3repE0EEENS1_48merge_mergepath_partition_config_static_selectorELNS0_4arch9wavefront6targetE1EEEvSJ_,"axG",@progbits,_ZN7rocprim17ROCPRIM_400000_NS6detail17trampoline_kernelINS0_14default_configENS1_38merge_sort_block_merge_config_selectorIiNS0_10empty_typeEEEZZNS1_27merge_sort_block_merge_implIS3_N6thrust23THRUST_200600_302600_NS6detail15normal_iteratorINS9_10device_ptrIiEEEEPS5_m17evens_before_oddsEE10hipError_tT0_T1_T2_jT3_P12ihipStream_tbPNSt15iterator_traitsISI_E10value_typeEPNSO_ISJ_E10value_typeEPSK_NS1_7vsmem_tEENKUlT_SI_SJ_SK_E_clISE_PiSF_SF_EESH_SX_SI_SJ_SK_EUlSX_E_NS1_11comp_targetILNS1_3genE4ELNS1_11target_archE910ELNS1_3gpuE8ELNS1_3repE0EEENS1_48merge_mergepath_partition_config_static_selectorELNS0_4arch9wavefront6targetE1EEEvSJ_,comdat
	.protected	_ZN7rocprim17ROCPRIM_400000_NS6detail17trampoline_kernelINS0_14default_configENS1_38merge_sort_block_merge_config_selectorIiNS0_10empty_typeEEEZZNS1_27merge_sort_block_merge_implIS3_N6thrust23THRUST_200600_302600_NS6detail15normal_iteratorINS9_10device_ptrIiEEEEPS5_m17evens_before_oddsEE10hipError_tT0_T1_T2_jT3_P12ihipStream_tbPNSt15iterator_traitsISI_E10value_typeEPNSO_ISJ_E10value_typeEPSK_NS1_7vsmem_tEENKUlT_SI_SJ_SK_E_clISE_PiSF_SF_EESH_SX_SI_SJ_SK_EUlSX_E_NS1_11comp_targetILNS1_3genE4ELNS1_11target_archE910ELNS1_3gpuE8ELNS1_3repE0EEENS1_48merge_mergepath_partition_config_static_selectorELNS0_4arch9wavefront6targetE1EEEvSJ_ ; -- Begin function _ZN7rocprim17ROCPRIM_400000_NS6detail17trampoline_kernelINS0_14default_configENS1_38merge_sort_block_merge_config_selectorIiNS0_10empty_typeEEEZZNS1_27merge_sort_block_merge_implIS3_N6thrust23THRUST_200600_302600_NS6detail15normal_iteratorINS9_10device_ptrIiEEEEPS5_m17evens_before_oddsEE10hipError_tT0_T1_T2_jT3_P12ihipStream_tbPNSt15iterator_traitsISI_E10value_typeEPNSO_ISJ_E10value_typeEPSK_NS1_7vsmem_tEENKUlT_SI_SJ_SK_E_clISE_PiSF_SF_EESH_SX_SI_SJ_SK_EUlSX_E_NS1_11comp_targetILNS1_3genE4ELNS1_11target_archE910ELNS1_3gpuE8ELNS1_3repE0EEENS1_48merge_mergepath_partition_config_static_selectorELNS0_4arch9wavefront6targetE1EEEvSJ_
	.globl	_ZN7rocprim17ROCPRIM_400000_NS6detail17trampoline_kernelINS0_14default_configENS1_38merge_sort_block_merge_config_selectorIiNS0_10empty_typeEEEZZNS1_27merge_sort_block_merge_implIS3_N6thrust23THRUST_200600_302600_NS6detail15normal_iteratorINS9_10device_ptrIiEEEEPS5_m17evens_before_oddsEE10hipError_tT0_T1_T2_jT3_P12ihipStream_tbPNSt15iterator_traitsISI_E10value_typeEPNSO_ISJ_E10value_typeEPSK_NS1_7vsmem_tEENKUlT_SI_SJ_SK_E_clISE_PiSF_SF_EESH_SX_SI_SJ_SK_EUlSX_E_NS1_11comp_targetILNS1_3genE4ELNS1_11target_archE910ELNS1_3gpuE8ELNS1_3repE0EEENS1_48merge_mergepath_partition_config_static_selectorELNS0_4arch9wavefront6targetE1EEEvSJ_
	.p2align	8
	.type	_ZN7rocprim17ROCPRIM_400000_NS6detail17trampoline_kernelINS0_14default_configENS1_38merge_sort_block_merge_config_selectorIiNS0_10empty_typeEEEZZNS1_27merge_sort_block_merge_implIS3_N6thrust23THRUST_200600_302600_NS6detail15normal_iteratorINS9_10device_ptrIiEEEEPS5_m17evens_before_oddsEE10hipError_tT0_T1_T2_jT3_P12ihipStream_tbPNSt15iterator_traitsISI_E10value_typeEPNSO_ISJ_E10value_typeEPSK_NS1_7vsmem_tEENKUlT_SI_SJ_SK_E_clISE_PiSF_SF_EESH_SX_SI_SJ_SK_EUlSX_E_NS1_11comp_targetILNS1_3genE4ELNS1_11target_archE910ELNS1_3gpuE8ELNS1_3repE0EEENS1_48merge_mergepath_partition_config_static_selectorELNS0_4arch9wavefront6targetE1EEEvSJ_,@function
_ZN7rocprim17ROCPRIM_400000_NS6detail17trampoline_kernelINS0_14default_configENS1_38merge_sort_block_merge_config_selectorIiNS0_10empty_typeEEEZZNS1_27merge_sort_block_merge_implIS3_N6thrust23THRUST_200600_302600_NS6detail15normal_iteratorINS9_10device_ptrIiEEEEPS5_m17evens_before_oddsEE10hipError_tT0_T1_T2_jT3_P12ihipStream_tbPNSt15iterator_traitsISI_E10value_typeEPNSO_ISJ_E10value_typeEPSK_NS1_7vsmem_tEENKUlT_SI_SJ_SK_E_clISE_PiSF_SF_EESH_SX_SI_SJ_SK_EUlSX_E_NS1_11comp_targetILNS1_3genE4ELNS1_11target_archE910ELNS1_3gpuE8ELNS1_3repE0EEENS1_48merge_mergepath_partition_config_static_selectorELNS0_4arch9wavefront6targetE1EEEvSJ_: ; @_ZN7rocprim17ROCPRIM_400000_NS6detail17trampoline_kernelINS0_14default_configENS1_38merge_sort_block_merge_config_selectorIiNS0_10empty_typeEEEZZNS1_27merge_sort_block_merge_implIS3_N6thrust23THRUST_200600_302600_NS6detail15normal_iteratorINS9_10device_ptrIiEEEEPS5_m17evens_before_oddsEE10hipError_tT0_T1_T2_jT3_P12ihipStream_tbPNSt15iterator_traitsISI_E10value_typeEPNSO_ISJ_E10value_typeEPSK_NS1_7vsmem_tEENKUlT_SI_SJ_SK_E_clISE_PiSF_SF_EESH_SX_SI_SJ_SK_EUlSX_E_NS1_11comp_targetILNS1_3genE4ELNS1_11target_archE910ELNS1_3gpuE8ELNS1_3repE0EEENS1_48merge_mergepath_partition_config_static_selectorELNS0_4arch9wavefront6targetE1EEEvSJ_
; %bb.0:
	.section	.rodata,"a",@progbits
	.p2align	6, 0x0
	.amdhsa_kernel _ZN7rocprim17ROCPRIM_400000_NS6detail17trampoline_kernelINS0_14default_configENS1_38merge_sort_block_merge_config_selectorIiNS0_10empty_typeEEEZZNS1_27merge_sort_block_merge_implIS3_N6thrust23THRUST_200600_302600_NS6detail15normal_iteratorINS9_10device_ptrIiEEEEPS5_m17evens_before_oddsEE10hipError_tT0_T1_T2_jT3_P12ihipStream_tbPNSt15iterator_traitsISI_E10value_typeEPNSO_ISJ_E10value_typeEPSK_NS1_7vsmem_tEENKUlT_SI_SJ_SK_E_clISE_PiSF_SF_EESH_SX_SI_SJ_SK_EUlSX_E_NS1_11comp_targetILNS1_3genE4ELNS1_11target_archE910ELNS1_3gpuE8ELNS1_3repE0EEENS1_48merge_mergepath_partition_config_static_selectorELNS0_4arch9wavefront6targetE1EEEvSJ_
		.amdhsa_group_segment_fixed_size 0
		.amdhsa_private_segment_fixed_size 0
		.amdhsa_kernarg_size 48
		.amdhsa_user_sgpr_count 2
		.amdhsa_user_sgpr_dispatch_ptr 0
		.amdhsa_user_sgpr_queue_ptr 0
		.amdhsa_user_sgpr_kernarg_segment_ptr 1
		.amdhsa_user_sgpr_dispatch_id 0
		.amdhsa_user_sgpr_kernarg_preload_length 0
		.amdhsa_user_sgpr_kernarg_preload_offset 0
		.amdhsa_user_sgpr_private_segment_size 0
		.amdhsa_uses_dynamic_stack 0
		.amdhsa_enable_private_segment 0
		.amdhsa_system_sgpr_workgroup_id_x 1
		.amdhsa_system_sgpr_workgroup_id_y 0
		.amdhsa_system_sgpr_workgroup_id_z 0
		.amdhsa_system_sgpr_workgroup_info 0
		.amdhsa_system_vgpr_workitem_id 0
		.amdhsa_next_free_vgpr 1
		.amdhsa_next_free_sgpr 0
		.amdhsa_accum_offset 4
		.amdhsa_reserve_vcc 0
		.amdhsa_float_round_mode_32 0
		.amdhsa_float_round_mode_16_64 0
		.amdhsa_float_denorm_mode_32 3
		.amdhsa_float_denorm_mode_16_64 3
		.amdhsa_dx10_clamp 1
		.amdhsa_ieee_mode 1
		.amdhsa_fp16_overflow 0
		.amdhsa_tg_split 0
		.amdhsa_exception_fp_ieee_invalid_op 0
		.amdhsa_exception_fp_denorm_src 0
		.amdhsa_exception_fp_ieee_div_zero 0
		.amdhsa_exception_fp_ieee_overflow 0
		.amdhsa_exception_fp_ieee_underflow 0
		.amdhsa_exception_fp_ieee_inexact 0
		.amdhsa_exception_int_div_zero 0
	.end_amdhsa_kernel
	.section	.text._ZN7rocprim17ROCPRIM_400000_NS6detail17trampoline_kernelINS0_14default_configENS1_38merge_sort_block_merge_config_selectorIiNS0_10empty_typeEEEZZNS1_27merge_sort_block_merge_implIS3_N6thrust23THRUST_200600_302600_NS6detail15normal_iteratorINS9_10device_ptrIiEEEEPS5_m17evens_before_oddsEE10hipError_tT0_T1_T2_jT3_P12ihipStream_tbPNSt15iterator_traitsISI_E10value_typeEPNSO_ISJ_E10value_typeEPSK_NS1_7vsmem_tEENKUlT_SI_SJ_SK_E_clISE_PiSF_SF_EESH_SX_SI_SJ_SK_EUlSX_E_NS1_11comp_targetILNS1_3genE4ELNS1_11target_archE910ELNS1_3gpuE8ELNS1_3repE0EEENS1_48merge_mergepath_partition_config_static_selectorELNS0_4arch9wavefront6targetE1EEEvSJ_,"axG",@progbits,_ZN7rocprim17ROCPRIM_400000_NS6detail17trampoline_kernelINS0_14default_configENS1_38merge_sort_block_merge_config_selectorIiNS0_10empty_typeEEEZZNS1_27merge_sort_block_merge_implIS3_N6thrust23THRUST_200600_302600_NS6detail15normal_iteratorINS9_10device_ptrIiEEEEPS5_m17evens_before_oddsEE10hipError_tT0_T1_T2_jT3_P12ihipStream_tbPNSt15iterator_traitsISI_E10value_typeEPNSO_ISJ_E10value_typeEPSK_NS1_7vsmem_tEENKUlT_SI_SJ_SK_E_clISE_PiSF_SF_EESH_SX_SI_SJ_SK_EUlSX_E_NS1_11comp_targetILNS1_3genE4ELNS1_11target_archE910ELNS1_3gpuE8ELNS1_3repE0EEENS1_48merge_mergepath_partition_config_static_selectorELNS0_4arch9wavefront6targetE1EEEvSJ_,comdat
.Lfunc_end435:
	.size	_ZN7rocprim17ROCPRIM_400000_NS6detail17trampoline_kernelINS0_14default_configENS1_38merge_sort_block_merge_config_selectorIiNS0_10empty_typeEEEZZNS1_27merge_sort_block_merge_implIS3_N6thrust23THRUST_200600_302600_NS6detail15normal_iteratorINS9_10device_ptrIiEEEEPS5_m17evens_before_oddsEE10hipError_tT0_T1_T2_jT3_P12ihipStream_tbPNSt15iterator_traitsISI_E10value_typeEPNSO_ISJ_E10value_typeEPSK_NS1_7vsmem_tEENKUlT_SI_SJ_SK_E_clISE_PiSF_SF_EESH_SX_SI_SJ_SK_EUlSX_E_NS1_11comp_targetILNS1_3genE4ELNS1_11target_archE910ELNS1_3gpuE8ELNS1_3repE0EEENS1_48merge_mergepath_partition_config_static_selectorELNS0_4arch9wavefront6targetE1EEEvSJ_, .Lfunc_end435-_ZN7rocprim17ROCPRIM_400000_NS6detail17trampoline_kernelINS0_14default_configENS1_38merge_sort_block_merge_config_selectorIiNS0_10empty_typeEEEZZNS1_27merge_sort_block_merge_implIS3_N6thrust23THRUST_200600_302600_NS6detail15normal_iteratorINS9_10device_ptrIiEEEEPS5_m17evens_before_oddsEE10hipError_tT0_T1_T2_jT3_P12ihipStream_tbPNSt15iterator_traitsISI_E10value_typeEPNSO_ISJ_E10value_typeEPSK_NS1_7vsmem_tEENKUlT_SI_SJ_SK_E_clISE_PiSF_SF_EESH_SX_SI_SJ_SK_EUlSX_E_NS1_11comp_targetILNS1_3genE4ELNS1_11target_archE910ELNS1_3gpuE8ELNS1_3repE0EEENS1_48merge_mergepath_partition_config_static_selectorELNS0_4arch9wavefront6targetE1EEEvSJ_
                                        ; -- End function
	.set _ZN7rocprim17ROCPRIM_400000_NS6detail17trampoline_kernelINS0_14default_configENS1_38merge_sort_block_merge_config_selectorIiNS0_10empty_typeEEEZZNS1_27merge_sort_block_merge_implIS3_N6thrust23THRUST_200600_302600_NS6detail15normal_iteratorINS9_10device_ptrIiEEEEPS5_m17evens_before_oddsEE10hipError_tT0_T1_T2_jT3_P12ihipStream_tbPNSt15iterator_traitsISI_E10value_typeEPNSO_ISJ_E10value_typeEPSK_NS1_7vsmem_tEENKUlT_SI_SJ_SK_E_clISE_PiSF_SF_EESH_SX_SI_SJ_SK_EUlSX_E_NS1_11comp_targetILNS1_3genE4ELNS1_11target_archE910ELNS1_3gpuE8ELNS1_3repE0EEENS1_48merge_mergepath_partition_config_static_selectorELNS0_4arch9wavefront6targetE1EEEvSJ_.num_vgpr, 0
	.set _ZN7rocprim17ROCPRIM_400000_NS6detail17trampoline_kernelINS0_14default_configENS1_38merge_sort_block_merge_config_selectorIiNS0_10empty_typeEEEZZNS1_27merge_sort_block_merge_implIS3_N6thrust23THRUST_200600_302600_NS6detail15normal_iteratorINS9_10device_ptrIiEEEEPS5_m17evens_before_oddsEE10hipError_tT0_T1_T2_jT3_P12ihipStream_tbPNSt15iterator_traitsISI_E10value_typeEPNSO_ISJ_E10value_typeEPSK_NS1_7vsmem_tEENKUlT_SI_SJ_SK_E_clISE_PiSF_SF_EESH_SX_SI_SJ_SK_EUlSX_E_NS1_11comp_targetILNS1_3genE4ELNS1_11target_archE910ELNS1_3gpuE8ELNS1_3repE0EEENS1_48merge_mergepath_partition_config_static_selectorELNS0_4arch9wavefront6targetE1EEEvSJ_.num_agpr, 0
	.set _ZN7rocprim17ROCPRIM_400000_NS6detail17trampoline_kernelINS0_14default_configENS1_38merge_sort_block_merge_config_selectorIiNS0_10empty_typeEEEZZNS1_27merge_sort_block_merge_implIS3_N6thrust23THRUST_200600_302600_NS6detail15normal_iteratorINS9_10device_ptrIiEEEEPS5_m17evens_before_oddsEE10hipError_tT0_T1_T2_jT3_P12ihipStream_tbPNSt15iterator_traitsISI_E10value_typeEPNSO_ISJ_E10value_typeEPSK_NS1_7vsmem_tEENKUlT_SI_SJ_SK_E_clISE_PiSF_SF_EESH_SX_SI_SJ_SK_EUlSX_E_NS1_11comp_targetILNS1_3genE4ELNS1_11target_archE910ELNS1_3gpuE8ELNS1_3repE0EEENS1_48merge_mergepath_partition_config_static_selectorELNS0_4arch9wavefront6targetE1EEEvSJ_.numbered_sgpr, 0
	.set _ZN7rocprim17ROCPRIM_400000_NS6detail17trampoline_kernelINS0_14default_configENS1_38merge_sort_block_merge_config_selectorIiNS0_10empty_typeEEEZZNS1_27merge_sort_block_merge_implIS3_N6thrust23THRUST_200600_302600_NS6detail15normal_iteratorINS9_10device_ptrIiEEEEPS5_m17evens_before_oddsEE10hipError_tT0_T1_T2_jT3_P12ihipStream_tbPNSt15iterator_traitsISI_E10value_typeEPNSO_ISJ_E10value_typeEPSK_NS1_7vsmem_tEENKUlT_SI_SJ_SK_E_clISE_PiSF_SF_EESH_SX_SI_SJ_SK_EUlSX_E_NS1_11comp_targetILNS1_3genE4ELNS1_11target_archE910ELNS1_3gpuE8ELNS1_3repE0EEENS1_48merge_mergepath_partition_config_static_selectorELNS0_4arch9wavefront6targetE1EEEvSJ_.num_named_barrier, 0
	.set _ZN7rocprim17ROCPRIM_400000_NS6detail17trampoline_kernelINS0_14default_configENS1_38merge_sort_block_merge_config_selectorIiNS0_10empty_typeEEEZZNS1_27merge_sort_block_merge_implIS3_N6thrust23THRUST_200600_302600_NS6detail15normal_iteratorINS9_10device_ptrIiEEEEPS5_m17evens_before_oddsEE10hipError_tT0_T1_T2_jT3_P12ihipStream_tbPNSt15iterator_traitsISI_E10value_typeEPNSO_ISJ_E10value_typeEPSK_NS1_7vsmem_tEENKUlT_SI_SJ_SK_E_clISE_PiSF_SF_EESH_SX_SI_SJ_SK_EUlSX_E_NS1_11comp_targetILNS1_3genE4ELNS1_11target_archE910ELNS1_3gpuE8ELNS1_3repE0EEENS1_48merge_mergepath_partition_config_static_selectorELNS0_4arch9wavefront6targetE1EEEvSJ_.private_seg_size, 0
	.set _ZN7rocprim17ROCPRIM_400000_NS6detail17trampoline_kernelINS0_14default_configENS1_38merge_sort_block_merge_config_selectorIiNS0_10empty_typeEEEZZNS1_27merge_sort_block_merge_implIS3_N6thrust23THRUST_200600_302600_NS6detail15normal_iteratorINS9_10device_ptrIiEEEEPS5_m17evens_before_oddsEE10hipError_tT0_T1_T2_jT3_P12ihipStream_tbPNSt15iterator_traitsISI_E10value_typeEPNSO_ISJ_E10value_typeEPSK_NS1_7vsmem_tEENKUlT_SI_SJ_SK_E_clISE_PiSF_SF_EESH_SX_SI_SJ_SK_EUlSX_E_NS1_11comp_targetILNS1_3genE4ELNS1_11target_archE910ELNS1_3gpuE8ELNS1_3repE0EEENS1_48merge_mergepath_partition_config_static_selectorELNS0_4arch9wavefront6targetE1EEEvSJ_.uses_vcc, 0
	.set _ZN7rocprim17ROCPRIM_400000_NS6detail17trampoline_kernelINS0_14default_configENS1_38merge_sort_block_merge_config_selectorIiNS0_10empty_typeEEEZZNS1_27merge_sort_block_merge_implIS3_N6thrust23THRUST_200600_302600_NS6detail15normal_iteratorINS9_10device_ptrIiEEEEPS5_m17evens_before_oddsEE10hipError_tT0_T1_T2_jT3_P12ihipStream_tbPNSt15iterator_traitsISI_E10value_typeEPNSO_ISJ_E10value_typeEPSK_NS1_7vsmem_tEENKUlT_SI_SJ_SK_E_clISE_PiSF_SF_EESH_SX_SI_SJ_SK_EUlSX_E_NS1_11comp_targetILNS1_3genE4ELNS1_11target_archE910ELNS1_3gpuE8ELNS1_3repE0EEENS1_48merge_mergepath_partition_config_static_selectorELNS0_4arch9wavefront6targetE1EEEvSJ_.uses_flat_scratch, 0
	.set _ZN7rocprim17ROCPRIM_400000_NS6detail17trampoline_kernelINS0_14default_configENS1_38merge_sort_block_merge_config_selectorIiNS0_10empty_typeEEEZZNS1_27merge_sort_block_merge_implIS3_N6thrust23THRUST_200600_302600_NS6detail15normal_iteratorINS9_10device_ptrIiEEEEPS5_m17evens_before_oddsEE10hipError_tT0_T1_T2_jT3_P12ihipStream_tbPNSt15iterator_traitsISI_E10value_typeEPNSO_ISJ_E10value_typeEPSK_NS1_7vsmem_tEENKUlT_SI_SJ_SK_E_clISE_PiSF_SF_EESH_SX_SI_SJ_SK_EUlSX_E_NS1_11comp_targetILNS1_3genE4ELNS1_11target_archE910ELNS1_3gpuE8ELNS1_3repE0EEENS1_48merge_mergepath_partition_config_static_selectorELNS0_4arch9wavefront6targetE1EEEvSJ_.has_dyn_sized_stack, 0
	.set _ZN7rocprim17ROCPRIM_400000_NS6detail17trampoline_kernelINS0_14default_configENS1_38merge_sort_block_merge_config_selectorIiNS0_10empty_typeEEEZZNS1_27merge_sort_block_merge_implIS3_N6thrust23THRUST_200600_302600_NS6detail15normal_iteratorINS9_10device_ptrIiEEEEPS5_m17evens_before_oddsEE10hipError_tT0_T1_T2_jT3_P12ihipStream_tbPNSt15iterator_traitsISI_E10value_typeEPNSO_ISJ_E10value_typeEPSK_NS1_7vsmem_tEENKUlT_SI_SJ_SK_E_clISE_PiSF_SF_EESH_SX_SI_SJ_SK_EUlSX_E_NS1_11comp_targetILNS1_3genE4ELNS1_11target_archE910ELNS1_3gpuE8ELNS1_3repE0EEENS1_48merge_mergepath_partition_config_static_selectorELNS0_4arch9wavefront6targetE1EEEvSJ_.has_recursion, 0
	.set _ZN7rocprim17ROCPRIM_400000_NS6detail17trampoline_kernelINS0_14default_configENS1_38merge_sort_block_merge_config_selectorIiNS0_10empty_typeEEEZZNS1_27merge_sort_block_merge_implIS3_N6thrust23THRUST_200600_302600_NS6detail15normal_iteratorINS9_10device_ptrIiEEEEPS5_m17evens_before_oddsEE10hipError_tT0_T1_T2_jT3_P12ihipStream_tbPNSt15iterator_traitsISI_E10value_typeEPNSO_ISJ_E10value_typeEPSK_NS1_7vsmem_tEENKUlT_SI_SJ_SK_E_clISE_PiSF_SF_EESH_SX_SI_SJ_SK_EUlSX_E_NS1_11comp_targetILNS1_3genE4ELNS1_11target_archE910ELNS1_3gpuE8ELNS1_3repE0EEENS1_48merge_mergepath_partition_config_static_selectorELNS0_4arch9wavefront6targetE1EEEvSJ_.has_indirect_call, 0
	.section	.AMDGPU.csdata,"",@progbits
; Kernel info:
; codeLenInByte = 0
; TotalNumSgprs: 6
; NumVgprs: 0
; NumAgprs: 0
; TotalNumVgprs: 0
; ScratchSize: 0
; MemoryBound: 0
; FloatMode: 240
; IeeeMode: 1
; LDSByteSize: 0 bytes/workgroup (compile time only)
; SGPRBlocks: 0
; VGPRBlocks: 0
; NumSGPRsForWavesPerEU: 6
; NumVGPRsForWavesPerEU: 1
; AccumOffset: 4
; Occupancy: 8
; WaveLimiterHint : 0
; COMPUTE_PGM_RSRC2:SCRATCH_EN: 0
; COMPUTE_PGM_RSRC2:USER_SGPR: 2
; COMPUTE_PGM_RSRC2:TRAP_HANDLER: 0
; COMPUTE_PGM_RSRC2:TGID_X_EN: 1
; COMPUTE_PGM_RSRC2:TGID_Y_EN: 0
; COMPUTE_PGM_RSRC2:TGID_Z_EN: 0
; COMPUTE_PGM_RSRC2:TIDIG_COMP_CNT: 0
; COMPUTE_PGM_RSRC3_GFX90A:ACCUM_OFFSET: 0
; COMPUTE_PGM_RSRC3_GFX90A:TG_SPLIT: 0
	.section	.text._ZN7rocprim17ROCPRIM_400000_NS6detail17trampoline_kernelINS0_14default_configENS1_38merge_sort_block_merge_config_selectorIiNS0_10empty_typeEEEZZNS1_27merge_sort_block_merge_implIS3_N6thrust23THRUST_200600_302600_NS6detail15normal_iteratorINS9_10device_ptrIiEEEEPS5_m17evens_before_oddsEE10hipError_tT0_T1_T2_jT3_P12ihipStream_tbPNSt15iterator_traitsISI_E10value_typeEPNSO_ISJ_E10value_typeEPSK_NS1_7vsmem_tEENKUlT_SI_SJ_SK_E_clISE_PiSF_SF_EESH_SX_SI_SJ_SK_EUlSX_E_NS1_11comp_targetILNS1_3genE3ELNS1_11target_archE908ELNS1_3gpuE7ELNS1_3repE0EEENS1_48merge_mergepath_partition_config_static_selectorELNS0_4arch9wavefront6targetE1EEEvSJ_,"axG",@progbits,_ZN7rocprim17ROCPRIM_400000_NS6detail17trampoline_kernelINS0_14default_configENS1_38merge_sort_block_merge_config_selectorIiNS0_10empty_typeEEEZZNS1_27merge_sort_block_merge_implIS3_N6thrust23THRUST_200600_302600_NS6detail15normal_iteratorINS9_10device_ptrIiEEEEPS5_m17evens_before_oddsEE10hipError_tT0_T1_T2_jT3_P12ihipStream_tbPNSt15iterator_traitsISI_E10value_typeEPNSO_ISJ_E10value_typeEPSK_NS1_7vsmem_tEENKUlT_SI_SJ_SK_E_clISE_PiSF_SF_EESH_SX_SI_SJ_SK_EUlSX_E_NS1_11comp_targetILNS1_3genE3ELNS1_11target_archE908ELNS1_3gpuE7ELNS1_3repE0EEENS1_48merge_mergepath_partition_config_static_selectorELNS0_4arch9wavefront6targetE1EEEvSJ_,comdat
	.protected	_ZN7rocprim17ROCPRIM_400000_NS6detail17trampoline_kernelINS0_14default_configENS1_38merge_sort_block_merge_config_selectorIiNS0_10empty_typeEEEZZNS1_27merge_sort_block_merge_implIS3_N6thrust23THRUST_200600_302600_NS6detail15normal_iteratorINS9_10device_ptrIiEEEEPS5_m17evens_before_oddsEE10hipError_tT0_T1_T2_jT3_P12ihipStream_tbPNSt15iterator_traitsISI_E10value_typeEPNSO_ISJ_E10value_typeEPSK_NS1_7vsmem_tEENKUlT_SI_SJ_SK_E_clISE_PiSF_SF_EESH_SX_SI_SJ_SK_EUlSX_E_NS1_11comp_targetILNS1_3genE3ELNS1_11target_archE908ELNS1_3gpuE7ELNS1_3repE0EEENS1_48merge_mergepath_partition_config_static_selectorELNS0_4arch9wavefront6targetE1EEEvSJ_ ; -- Begin function _ZN7rocprim17ROCPRIM_400000_NS6detail17trampoline_kernelINS0_14default_configENS1_38merge_sort_block_merge_config_selectorIiNS0_10empty_typeEEEZZNS1_27merge_sort_block_merge_implIS3_N6thrust23THRUST_200600_302600_NS6detail15normal_iteratorINS9_10device_ptrIiEEEEPS5_m17evens_before_oddsEE10hipError_tT0_T1_T2_jT3_P12ihipStream_tbPNSt15iterator_traitsISI_E10value_typeEPNSO_ISJ_E10value_typeEPSK_NS1_7vsmem_tEENKUlT_SI_SJ_SK_E_clISE_PiSF_SF_EESH_SX_SI_SJ_SK_EUlSX_E_NS1_11comp_targetILNS1_3genE3ELNS1_11target_archE908ELNS1_3gpuE7ELNS1_3repE0EEENS1_48merge_mergepath_partition_config_static_selectorELNS0_4arch9wavefront6targetE1EEEvSJ_
	.globl	_ZN7rocprim17ROCPRIM_400000_NS6detail17trampoline_kernelINS0_14default_configENS1_38merge_sort_block_merge_config_selectorIiNS0_10empty_typeEEEZZNS1_27merge_sort_block_merge_implIS3_N6thrust23THRUST_200600_302600_NS6detail15normal_iteratorINS9_10device_ptrIiEEEEPS5_m17evens_before_oddsEE10hipError_tT0_T1_T2_jT3_P12ihipStream_tbPNSt15iterator_traitsISI_E10value_typeEPNSO_ISJ_E10value_typeEPSK_NS1_7vsmem_tEENKUlT_SI_SJ_SK_E_clISE_PiSF_SF_EESH_SX_SI_SJ_SK_EUlSX_E_NS1_11comp_targetILNS1_3genE3ELNS1_11target_archE908ELNS1_3gpuE7ELNS1_3repE0EEENS1_48merge_mergepath_partition_config_static_selectorELNS0_4arch9wavefront6targetE1EEEvSJ_
	.p2align	8
	.type	_ZN7rocprim17ROCPRIM_400000_NS6detail17trampoline_kernelINS0_14default_configENS1_38merge_sort_block_merge_config_selectorIiNS0_10empty_typeEEEZZNS1_27merge_sort_block_merge_implIS3_N6thrust23THRUST_200600_302600_NS6detail15normal_iteratorINS9_10device_ptrIiEEEEPS5_m17evens_before_oddsEE10hipError_tT0_T1_T2_jT3_P12ihipStream_tbPNSt15iterator_traitsISI_E10value_typeEPNSO_ISJ_E10value_typeEPSK_NS1_7vsmem_tEENKUlT_SI_SJ_SK_E_clISE_PiSF_SF_EESH_SX_SI_SJ_SK_EUlSX_E_NS1_11comp_targetILNS1_3genE3ELNS1_11target_archE908ELNS1_3gpuE7ELNS1_3repE0EEENS1_48merge_mergepath_partition_config_static_selectorELNS0_4arch9wavefront6targetE1EEEvSJ_,@function
_ZN7rocprim17ROCPRIM_400000_NS6detail17trampoline_kernelINS0_14default_configENS1_38merge_sort_block_merge_config_selectorIiNS0_10empty_typeEEEZZNS1_27merge_sort_block_merge_implIS3_N6thrust23THRUST_200600_302600_NS6detail15normal_iteratorINS9_10device_ptrIiEEEEPS5_m17evens_before_oddsEE10hipError_tT0_T1_T2_jT3_P12ihipStream_tbPNSt15iterator_traitsISI_E10value_typeEPNSO_ISJ_E10value_typeEPSK_NS1_7vsmem_tEENKUlT_SI_SJ_SK_E_clISE_PiSF_SF_EESH_SX_SI_SJ_SK_EUlSX_E_NS1_11comp_targetILNS1_3genE3ELNS1_11target_archE908ELNS1_3gpuE7ELNS1_3repE0EEENS1_48merge_mergepath_partition_config_static_selectorELNS0_4arch9wavefront6targetE1EEEvSJ_: ; @_ZN7rocprim17ROCPRIM_400000_NS6detail17trampoline_kernelINS0_14default_configENS1_38merge_sort_block_merge_config_selectorIiNS0_10empty_typeEEEZZNS1_27merge_sort_block_merge_implIS3_N6thrust23THRUST_200600_302600_NS6detail15normal_iteratorINS9_10device_ptrIiEEEEPS5_m17evens_before_oddsEE10hipError_tT0_T1_T2_jT3_P12ihipStream_tbPNSt15iterator_traitsISI_E10value_typeEPNSO_ISJ_E10value_typeEPSK_NS1_7vsmem_tEENKUlT_SI_SJ_SK_E_clISE_PiSF_SF_EESH_SX_SI_SJ_SK_EUlSX_E_NS1_11comp_targetILNS1_3genE3ELNS1_11target_archE908ELNS1_3gpuE7ELNS1_3repE0EEENS1_48merge_mergepath_partition_config_static_selectorELNS0_4arch9wavefront6targetE1EEEvSJ_
; %bb.0:
	.section	.rodata,"a",@progbits
	.p2align	6, 0x0
	.amdhsa_kernel _ZN7rocprim17ROCPRIM_400000_NS6detail17trampoline_kernelINS0_14default_configENS1_38merge_sort_block_merge_config_selectorIiNS0_10empty_typeEEEZZNS1_27merge_sort_block_merge_implIS3_N6thrust23THRUST_200600_302600_NS6detail15normal_iteratorINS9_10device_ptrIiEEEEPS5_m17evens_before_oddsEE10hipError_tT0_T1_T2_jT3_P12ihipStream_tbPNSt15iterator_traitsISI_E10value_typeEPNSO_ISJ_E10value_typeEPSK_NS1_7vsmem_tEENKUlT_SI_SJ_SK_E_clISE_PiSF_SF_EESH_SX_SI_SJ_SK_EUlSX_E_NS1_11comp_targetILNS1_3genE3ELNS1_11target_archE908ELNS1_3gpuE7ELNS1_3repE0EEENS1_48merge_mergepath_partition_config_static_selectorELNS0_4arch9wavefront6targetE1EEEvSJ_
		.amdhsa_group_segment_fixed_size 0
		.amdhsa_private_segment_fixed_size 0
		.amdhsa_kernarg_size 48
		.amdhsa_user_sgpr_count 2
		.amdhsa_user_sgpr_dispatch_ptr 0
		.amdhsa_user_sgpr_queue_ptr 0
		.amdhsa_user_sgpr_kernarg_segment_ptr 1
		.amdhsa_user_sgpr_dispatch_id 0
		.amdhsa_user_sgpr_kernarg_preload_length 0
		.amdhsa_user_sgpr_kernarg_preload_offset 0
		.amdhsa_user_sgpr_private_segment_size 0
		.amdhsa_uses_dynamic_stack 0
		.amdhsa_enable_private_segment 0
		.amdhsa_system_sgpr_workgroup_id_x 1
		.amdhsa_system_sgpr_workgroup_id_y 0
		.amdhsa_system_sgpr_workgroup_id_z 0
		.amdhsa_system_sgpr_workgroup_info 0
		.amdhsa_system_vgpr_workitem_id 0
		.amdhsa_next_free_vgpr 1
		.amdhsa_next_free_sgpr 0
		.amdhsa_accum_offset 4
		.amdhsa_reserve_vcc 0
		.amdhsa_float_round_mode_32 0
		.amdhsa_float_round_mode_16_64 0
		.amdhsa_float_denorm_mode_32 3
		.amdhsa_float_denorm_mode_16_64 3
		.amdhsa_dx10_clamp 1
		.amdhsa_ieee_mode 1
		.amdhsa_fp16_overflow 0
		.amdhsa_tg_split 0
		.amdhsa_exception_fp_ieee_invalid_op 0
		.amdhsa_exception_fp_denorm_src 0
		.amdhsa_exception_fp_ieee_div_zero 0
		.amdhsa_exception_fp_ieee_overflow 0
		.amdhsa_exception_fp_ieee_underflow 0
		.amdhsa_exception_fp_ieee_inexact 0
		.amdhsa_exception_int_div_zero 0
	.end_amdhsa_kernel
	.section	.text._ZN7rocprim17ROCPRIM_400000_NS6detail17trampoline_kernelINS0_14default_configENS1_38merge_sort_block_merge_config_selectorIiNS0_10empty_typeEEEZZNS1_27merge_sort_block_merge_implIS3_N6thrust23THRUST_200600_302600_NS6detail15normal_iteratorINS9_10device_ptrIiEEEEPS5_m17evens_before_oddsEE10hipError_tT0_T1_T2_jT3_P12ihipStream_tbPNSt15iterator_traitsISI_E10value_typeEPNSO_ISJ_E10value_typeEPSK_NS1_7vsmem_tEENKUlT_SI_SJ_SK_E_clISE_PiSF_SF_EESH_SX_SI_SJ_SK_EUlSX_E_NS1_11comp_targetILNS1_3genE3ELNS1_11target_archE908ELNS1_3gpuE7ELNS1_3repE0EEENS1_48merge_mergepath_partition_config_static_selectorELNS0_4arch9wavefront6targetE1EEEvSJ_,"axG",@progbits,_ZN7rocprim17ROCPRIM_400000_NS6detail17trampoline_kernelINS0_14default_configENS1_38merge_sort_block_merge_config_selectorIiNS0_10empty_typeEEEZZNS1_27merge_sort_block_merge_implIS3_N6thrust23THRUST_200600_302600_NS6detail15normal_iteratorINS9_10device_ptrIiEEEEPS5_m17evens_before_oddsEE10hipError_tT0_T1_T2_jT3_P12ihipStream_tbPNSt15iterator_traitsISI_E10value_typeEPNSO_ISJ_E10value_typeEPSK_NS1_7vsmem_tEENKUlT_SI_SJ_SK_E_clISE_PiSF_SF_EESH_SX_SI_SJ_SK_EUlSX_E_NS1_11comp_targetILNS1_3genE3ELNS1_11target_archE908ELNS1_3gpuE7ELNS1_3repE0EEENS1_48merge_mergepath_partition_config_static_selectorELNS0_4arch9wavefront6targetE1EEEvSJ_,comdat
.Lfunc_end436:
	.size	_ZN7rocprim17ROCPRIM_400000_NS6detail17trampoline_kernelINS0_14default_configENS1_38merge_sort_block_merge_config_selectorIiNS0_10empty_typeEEEZZNS1_27merge_sort_block_merge_implIS3_N6thrust23THRUST_200600_302600_NS6detail15normal_iteratorINS9_10device_ptrIiEEEEPS5_m17evens_before_oddsEE10hipError_tT0_T1_T2_jT3_P12ihipStream_tbPNSt15iterator_traitsISI_E10value_typeEPNSO_ISJ_E10value_typeEPSK_NS1_7vsmem_tEENKUlT_SI_SJ_SK_E_clISE_PiSF_SF_EESH_SX_SI_SJ_SK_EUlSX_E_NS1_11comp_targetILNS1_3genE3ELNS1_11target_archE908ELNS1_3gpuE7ELNS1_3repE0EEENS1_48merge_mergepath_partition_config_static_selectorELNS0_4arch9wavefront6targetE1EEEvSJ_, .Lfunc_end436-_ZN7rocprim17ROCPRIM_400000_NS6detail17trampoline_kernelINS0_14default_configENS1_38merge_sort_block_merge_config_selectorIiNS0_10empty_typeEEEZZNS1_27merge_sort_block_merge_implIS3_N6thrust23THRUST_200600_302600_NS6detail15normal_iteratorINS9_10device_ptrIiEEEEPS5_m17evens_before_oddsEE10hipError_tT0_T1_T2_jT3_P12ihipStream_tbPNSt15iterator_traitsISI_E10value_typeEPNSO_ISJ_E10value_typeEPSK_NS1_7vsmem_tEENKUlT_SI_SJ_SK_E_clISE_PiSF_SF_EESH_SX_SI_SJ_SK_EUlSX_E_NS1_11comp_targetILNS1_3genE3ELNS1_11target_archE908ELNS1_3gpuE7ELNS1_3repE0EEENS1_48merge_mergepath_partition_config_static_selectorELNS0_4arch9wavefront6targetE1EEEvSJ_
                                        ; -- End function
	.set _ZN7rocprim17ROCPRIM_400000_NS6detail17trampoline_kernelINS0_14default_configENS1_38merge_sort_block_merge_config_selectorIiNS0_10empty_typeEEEZZNS1_27merge_sort_block_merge_implIS3_N6thrust23THRUST_200600_302600_NS6detail15normal_iteratorINS9_10device_ptrIiEEEEPS5_m17evens_before_oddsEE10hipError_tT0_T1_T2_jT3_P12ihipStream_tbPNSt15iterator_traitsISI_E10value_typeEPNSO_ISJ_E10value_typeEPSK_NS1_7vsmem_tEENKUlT_SI_SJ_SK_E_clISE_PiSF_SF_EESH_SX_SI_SJ_SK_EUlSX_E_NS1_11comp_targetILNS1_3genE3ELNS1_11target_archE908ELNS1_3gpuE7ELNS1_3repE0EEENS1_48merge_mergepath_partition_config_static_selectorELNS0_4arch9wavefront6targetE1EEEvSJ_.num_vgpr, 0
	.set _ZN7rocprim17ROCPRIM_400000_NS6detail17trampoline_kernelINS0_14default_configENS1_38merge_sort_block_merge_config_selectorIiNS0_10empty_typeEEEZZNS1_27merge_sort_block_merge_implIS3_N6thrust23THRUST_200600_302600_NS6detail15normal_iteratorINS9_10device_ptrIiEEEEPS5_m17evens_before_oddsEE10hipError_tT0_T1_T2_jT3_P12ihipStream_tbPNSt15iterator_traitsISI_E10value_typeEPNSO_ISJ_E10value_typeEPSK_NS1_7vsmem_tEENKUlT_SI_SJ_SK_E_clISE_PiSF_SF_EESH_SX_SI_SJ_SK_EUlSX_E_NS1_11comp_targetILNS1_3genE3ELNS1_11target_archE908ELNS1_3gpuE7ELNS1_3repE0EEENS1_48merge_mergepath_partition_config_static_selectorELNS0_4arch9wavefront6targetE1EEEvSJ_.num_agpr, 0
	.set _ZN7rocprim17ROCPRIM_400000_NS6detail17trampoline_kernelINS0_14default_configENS1_38merge_sort_block_merge_config_selectorIiNS0_10empty_typeEEEZZNS1_27merge_sort_block_merge_implIS3_N6thrust23THRUST_200600_302600_NS6detail15normal_iteratorINS9_10device_ptrIiEEEEPS5_m17evens_before_oddsEE10hipError_tT0_T1_T2_jT3_P12ihipStream_tbPNSt15iterator_traitsISI_E10value_typeEPNSO_ISJ_E10value_typeEPSK_NS1_7vsmem_tEENKUlT_SI_SJ_SK_E_clISE_PiSF_SF_EESH_SX_SI_SJ_SK_EUlSX_E_NS1_11comp_targetILNS1_3genE3ELNS1_11target_archE908ELNS1_3gpuE7ELNS1_3repE0EEENS1_48merge_mergepath_partition_config_static_selectorELNS0_4arch9wavefront6targetE1EEEvSJ_.numbered_sgpr, 0
	.set _ZN7rocprim17ROCPRIM_400000_NS6detail17trampoline_kernelINS0_14default_configENS1_38merge_sort_block_merge_config_selectorIiNS0_10empty_typeEEEZZNS1_27merge_sort_block_merge_implIS3_N6thrust23THRUST_200600_302600_NS6detail15normal_iteratorINS9_10device_ptrIiEEEEPS5_m17evens_before_oddsEE10hipError_tT0_T1_T2_jT3_P12ihipStream_tbPNSt15iterator_traitsISI_E10value_typeEPNSO_ISJ_E10value_typeEPSK_NS1_7vsmem_tEENKUlT_SI_SJ_SK_E_clISE_PiSF_SF_EESH_SX_SI_SJ_SK_EUlSX_E_NS1_11comp_targetILNS1_3genE3ELNS1_11target_archE908ELNS1_3gpuE7ELNS1_3repE0EEENS1_48merge_mergepath_partition_config_static_selectorELNS0_4arch9wavefront6targetE1EEEvSJ_.num_named_barrier, 0
	.set _ZN7rocprim17ROCPRIM_400000_NS6detail17trampoline_kernelINS0_14default_configENS1_38merge_sort_block_merge_config_selectorIiNS0_10empty_typeEEEZZNS1_27merge_sort_block_merge_implIS3_N6thrust23THRUST_200600_302600_NS6detail15normal_iteratorINS9_10device_ptrIiEEEEPS5_m17evens_before_oddsEE10hipError_tT0_T1_T2_jT3_P12ihipStream_tbPNSt15iterator_traitsISI_E10value_typeEPNSO_ISJ_E10value_typeEPSK_NS1_7vsmem_tEENKUlT_SI_SJ_SK_E_clISE_PiSF_SF_EESH_SX_SI_SJ_SK_EUlSX_E_NS1_11comp_targetILNS1_3genE3ELNS1_11target_archE908ELNS1_3gpuE7ELNS1_3repE0EEENS1_48merge_mergepath_partition_config_static_selectorELNS0_4arch9wavefront6targetE1EEEvSJ_.private_seg_size, 0
	.set _ZN7rocprim17ROCPRIM_400000_NS6detail17trampoline_kernelINS0_14default_configENS1_38merge_sort_block_merge_config_selectorIiNS0_10empty_typeEEEZZNS1_27merge_sort_block_merge_implIS3_N6thrust23THRUST_200600_302600_NS6detail15normal_iteratorINS9_10device_ptrIiEEEEPS5_m17evens_before_oddsEE10hipError_tT0_T1_T2_jT3_P12ihipStream_tbPNSt15iterator_traitsISI_E10value_typeEPNSO_ISJ_E10value_typeEPSK_NS1_7vsmem_tEENKUlT_SI_SJ_SK_E_clISE_PiSF_SF_EESH_SX_SI_SJ_SK_EUlSX_E_NS1_11comp_targetILNS1_3genE3ELNS1_11target_archE908ELNS1_3gpuE7ELNS1_3repE0EEENS1_48merge_mergepath_partition_config_static_selectorELNS0_4arch9wavefront6targetE1EEEvSJ_.uses_vcc, 0
	.set _ZN7rocprim17ROCPRIM_400000_NS6detail17trampoline_kernelINS0_14default_configENS1_38merge_sort_block_merge_config_selectorIiNS0_10empty_typeEEEZZNS1_27merge_sort_block_merge_implIS3_N6thrust23THRUST_200600_302600_NS6detail15normal_iteratorINS9_10device_ptrIiEEEEPS5_m17evens_before_oddsEE10hipError_tT0_T1_T2_jT3_P12ihipStream_tbPNSt15iterator_traitsISI_E10value_typeEPNSO_ISJ_E10value_typeEPSK_NS1_7vsmem_tEENKUlT_SI_SJ_SK_E_clISE_PiSF_SF_EESH_SX_SI_SJ_SK_EUlSX_E_NS1_11comp_targetILNS1_3genE3ELNS1_11target_archE908ELNS1_3gpuE7ELNS1_3repE0EEENS1_48merge_mergepath_partition_config_static_selectorELNS0_4arch9wavefront6targetE1EEEvSJ_.uses_flat_scratch, 0
	.set _ZN7rocprim17ROCPRIM_400000_NS6detail17trampoline_kernelINS0_14default_configENS1_38merge_sort_block_merge_config_selectorIiNS0_10empty_typeEEEZZNS1_27merge_sort_block_merge_implIS3_N6thrust23THRUST_200600_302600_NS6detail15normal_iteratorINS9_10device_ptrIiEEEEPS5_m17evens_before_oddsEE10hipError_tT0_T1_T2_jT3_P12ihipStream_tbPNSt15iterator_traitsISI_E10value_typeEPNSO_ISJ_E10value_typeEPSK_NS1_7vsmem_tEENKUlT_SI_SJ_SK_E_clISE_PiSF_SF_EESH_SX_SI_SJ_SK_EUlSX_E_NS1_11comp_targetILNS1_3genE3ELNS1_11target_archE908ELNS1_3gpuE7ELNS1_3repE0EEENS1_48merge_mergepath_partition_config_static_selectorELNS0_4arch9wavefront6targetE1EEEvSJ_.has_dyn_sized_stack, 0
	.set _ZN7rocprim17ROCPRIM_400000_NS6detail17trampoline_kernelINS0_14default_configENS1_38merge_sort_block_merge_config_selectorIiNS0_10empty_typeEEEZZNS1_27merge_sort_block_merge_implIS3_N6thrust23THRUST_200600_302600_NS6detail15normal_iteratorINS9_10device_ptrIiEEEEPS5_m17evens_before_oddsEE10hipError_tT0_T1_T2_jT3_P12ihipStream_tbPNSt15iterator_traitsISI_E10value_typeEPNSO_ISJ_E10value_typeEPSK_NS1_7vsmem_tEENKUlT_SI_SJ_SK_E_clISE_PiSF_SF_EESH_SX_SI_SJ_SK_EUlSX_E_NS1_11comp_targetILNS1_3genE3ELNS1_11target_archE908ELNS1_3gpuE7ELNS1_3repE0EEENS1_48merge_mergepath_partition_config_static_selectorELNS0_4arch9wavefront6targetE1EEEvSJ_.has_recursion, 0
	.set _ZN7rocprim17ROCPRIM_400000_NS6detail17trampoline_kernelINS0_14default_configENS1_38merge_sort_block_merge_config_selectorIiNS0_10empty_typeEEEZZNS1_27merge_sort_block_merge_implIS3_N6thrust23THRUST_200600_302600_NS6detail15normal_iteratorINS9_10device_ptrIiEEEEPS5_m17evens_before_oddsEE10hipError_tT0_T1_T2_jT3_P12ihipStream_tbPNSt15iterator_traitsISI_E10value_typeEPNSO_ISJ_E10value_typeEPSK_NS1_7vsmem_tEENKUlT_SI_SJ_SK_E_clISE_PiSF_SF_EESH_SX_SI_SJ_SK_EUlSX_E_NS1_11comp_targetILNS1_3genE3ELNS1_11target_archE908ELNS1_3gpuE7ELNS1_3repE0EEENS1_48merge_mergepath_partition_config_static_selectorELNS0_4arch9wavefront6targetE1EEEvSJ_.has_indirect_call, 0
	.section	.AMDGPU.csdata,"",@progbits
; Kernel info:
; codeLenInByte = 0
; TotalNumSgprs: 6
; NumVgprs: 0
; NumAgprs: 0
; TotalNumVgprs: 0
; ScratchSize: 0
; MemoryBound: 0
; FloatMode: 240
; IeeeMode: 1
; LDSByteSize: 0 bytes/workgroup (compile time only)
; SGPRBlocks: 0
; VGPRBlocks: 0
; NumSGPRsForWavesPerEU: 6
; NumVGPRsForWavesPerEU: 1
; AccumOffset: 4
; Occupancy: 8
; WaveLimiterHint : 0
; COMPUTE_PGM_RSRC2:SCRATCH_EN: 0
; COMPUTE_PGM_RSRC2:USER_SGPR: 2
; COMPUTE_PGM_RSRC2:TRAP_HANDLER: 0
; COMPUTE_PGM_RSRC2:TGID_X_EN: 1
; COMPUTE_PGM_RSRC2:TGID_Y_EN: 0
; COMPUTE_PGM_RSRC2:TGID_Z_EN: 0
; COMPUTE_PGM_RSRC2:TIDIG_COMP_CNT: 0
; COMPUTE_PGM_RSRC3_GFX90A:ACCUM_OFFSET: 0
; COMPUTE_PGM_RSRC3_GFX90A:TG_SPLIT: 0
	.section	.text._ZN7rocprim17ROCPRIM_400000_NS6detail17trampoline_kernelINS0_14default_configENS1_38merge_sort_block_merge_config_selectorIiNS0_10empty_typeEEEZZNS1_27merge_sort_block_merge_implIS3_N6thrust23THRUST_200600_302600_NS6detail15normal_iteratorINS9_10device_ptrIiEEEEPS5_m17evens_before_oddsEE10hipError_tT0_T1_T2_jT3_P12ihipStream_tbPNSt15iterator_traitsISI_E10value_typeEPNSO_ISJ_E10value_typeEPSK_NS1_7vsmem_tEENKUlT_SI_SJ_SK_E_clISE_PiSF_SF_EESH_SX_SI_SJ_SK_EUlSX_E_NS1_11comp_targetILNS1_3genE2ELNS1_11target_archE906ELNS1_3gpuE6ELNS1_3repE0EEENS1_48merge_mergepath_partition_config_static_selectorELNS0_4arch9wavefront6targetE1EEEvSJ_,"axG",@progbits,_ZN7rocprim17ROCPRIM_400000_NS6detail17trampoline_kernelINS0_14default_configENS1_38merge_sort_block_merge_config_selectorIiNS0_10empty_typeEEEZZNS1_27merge_sort_block_merge_implIS3_N6thrust23THRUST_200600_302600_NS6detail15normal_iteratorINS9_10device_ptrIiEEEEPS5_m17evens_before_oddsEE10hipError_tT0_T1_T2_jT3_P12ihipStream_tbPNSt15iterator_traitsISI_E10value_typeEPNSO_ISJ_E10value_typeEPSK_NS1_7vsmem_tEENKUlT_SI_SJ_SK_E_clISE_PiSF_SF_EESH_SX_SI_SJ_SK_EUlSX_E_NS1_11comp_targetILNS1_3genE2ELNS1_11target_archE906ELNS1_3gpuE6ELNS1_3repE0EEENS1_48merge_mergepath_partition_config_static_selectorELNS0_4arch9wavefront6targetE1EEEvSJ_,comdat
	.protected	_ZN7rocprim17ROCPRIM_400000_NS6detail17trampoline_kernelINS0_14default_configENS1_38merge_sort_block_merge_config_selectorIiNS0_10empty_typeEEEZZNS1_27merge_sort_block_merge_implIS3_N6thrust23THRUST_200600_302600_NS6detail15normal_iteratorINS9_10device_ptrIiEEEEPS5_m17evens_before_oddsEE10hipError_tT0_T1_T2_jT3_P12ihipStream_tbPNSt15iterator_traitsISI_E10value_typeEPNSO_ISJ_E10value_typeEPSK_NS1_7vsmem_tEENKUlT_SI_SJ_SK_E_clISE_PiSF_SF_EESH_SX_SI_SJ_SK_EUlSX_E_NS1_11comp_targetILNS1_3genE2ELNS1_11target_archE906ELNS1_3gpuE6ELNS1_3repE0EEENS1_48merge_mergepath_partition_config_static_selectorELNS0_4arch9wavefront6targetE1EEEvSJ_ ; -- Begin function _ZN7rocprim17ROCPRIM_400000_NS6detail17trampoline_kernelINS0_14default_configENS1_38merge_sort_block_merge_config_selectorIiNS0_10empty_typeEEEZZNS1_27merge_sort_block_merge_implIS3_N6thrust23THRUST_200600_302600_NS6detail15normal_iteratorINS9_10device_ptrIiEEEEPS5_m17evens_before_oddsEE10hipError_tT0_T1_T2_jT3_P12ihipStream_tbPNSt15iterator_traitsISI_E10value_typeEPNSO_ISJ_E10value_typeEPSK_NS1_7vsmem_tEENKUlT_SI_SJ_SK_E_clISE_PiSF_SF_EESH_SX_SI_SJ_SK_EUlSX_E_NS1_11comp_targetILNS1_3genE2ELNS1_11target_archE906ELNS1_3gpuE6ELNS1_3repE0EEENS1_48merge_mergepath_partition_config_static_selectorELNS0_4arch9wavefront6targetE1EEEvSJ_
	.globl	_ZN7rocprim17ROCPRIM_400000_NS6detail17trampoline_kernelINS0_14default_configENS1_38merge_sort_block_merge_config_selectorIiNS0_10empty_typeEEEZZNS1_27merge_sort_block_merge_implIS3_N6thrust23THRUST_200600_302600_NS6detail15normal_iteratorINS9_10device_ptrIiEEEEPS5_m17evens_before_oddsEE10hipError_tT0_T1_T2_jT3_P12ihipStream_tbPNSt15iterator_traitsISI_E10value_typeEPNSO_ISJ_E10value_typeEPSK_NS1_7vsmem_tEENKUlT_SI_SJ_SK_E_clISE_PiSF_SF_EESH_SX_SI_SJ_SK_EUlSX_E_NS1_11comp_targetILNS1_3genE2ELNS1_11target_archE906ELNS1_3gpuE6ELNS1_3repE0EEENS1_48merge_mergepath_partition_config_static_selectorELNS0_4arch9wavefront6targetE1EEEvSJ_
	.p2align	8
	.type	_ZN7rocprim17ROCPRIM_400000_NS6detail17trampoline_kernelINS0_14default_configENS1_38merge_sort_block_merge_config_selectorIiNS0_10empty_typeEEEZZNS1_27merge_sort_block_merge_implIS3_N6thrust23THRUST_200600_302600_NS6detail15normal_iteratorINS9_10device_ptrIiEEEEPS5_m17evens_before_oddsEE10hipError_tT0_T1_T2_jT3_P12ihipStream_tbPNSt15iterator_traitsISI_E10value_typeEPNSO_ISJ_E10value_typeEPSK_NS1_7vsmem_tEENKUlT_SI_SJ_SK_E_clISE_PiSF_SF_EESH_SX_SI_SJ_SK_EUlSX_E_NS1_11comp_targetILNS1_3genE2ELNS1_11target_archE906ELNS1_3gpuE6ELNS1_3repE0EEENS1_48merge_mergepath_partition_config_static_selectorELNS0_4arch9wavefront6targetE1EEEvSJ_,@function
_ZN7rocprim17ROCPRIM_400000_NS6detail17trampoline_kernelINS0_14default_configENS1_38merge_sort_block_merge_config_selectorIiNS0_10empty_typeEEEZZNS1_27merge_sort_block_merge_implIS3_N6thrust23THRUST_200600_302600_NS6detail15normal_iteratorINS9_10device_ptrIiEEEEPS5_m17evens_before_oddsEE10hipError_tT0_T1_T2_jT3_P12ihipStream_tbPNSt15iterator_traitsISI_E10value_typeEPNSO_ISJ_E10value_typeEPSK_NS1_7vsmem_tEENKUlT_SI_SJ_SK_E_clISE_PiSF_SF_EESH_SX_SI_SJ_SK_EUlSX_E_NS1_11comp_targetILNS1_3genE2ELNS1_11target_archE906ELNS1_3gpuE6ELNS1_3repE0EEENS1_48merge_mergepath_partition_config_static_selectorELNS0_4arch9wavefront6targetE1EEEvSJ_: ; @_ZN7rocprim17ROCPRIM_400000_NS6detail17trampoline_kernelINS0_14default_configENS1_38merge_sort_block_merge_config_selectorIiNS0_10empty_typeEEEZZNS1_27merge_sort_block_merge_implIS3_N6thrust23THRUST_200600_302600_NS6detail15normal_iteratorINS9_10device_ptrIiEEEEPS5_m17evens_before_oddsEE10hipError_tT0_T1_T2_jT3_P12ihipStream_tbPNSt15iterator_traitsISI_E10value_typeEPNSO_ISJ_E10value_typeEPSK_NS1_7vsmem_tEENKUlT_SI_SJ_SK_E_clISE_PiSF_SF_EESH_SX_SI_SJ_SK_EUlSX_E_NS1_11comp_targetILNS1_3genE2ELNS1_11target_archE906ELNS1_3gpuE6ELNS1_3repE0EEENS1_48merge_mergepath_partition_config_static_selectorELNS0_4arch9wavefront6targetE1EEEvSJ_
; %bb.0:
	.section	.rodata,"a",@progbits
	.p2align	6, 0x0
	.amdhsa_kernel _ZN7rocprim17ROCPRIM_400000_NS6detail17trampoline_kernelINS0_14default_configENS1_38merge_sort_block_merge_config_selectorIiNS0_10empty_typeEEEZZNS1_27merge_sort_block_merge_implIS3_N6thrust23THRUST_200600_302600_NS6detail15normal_iteratorINS9_10device_ptrIiEEEEPS5_m17evens_before_oddsEE10hipError_tT0_T1_T2_jT3_P12ihipStream_tbPNSt15iterator_traitsISI_E10value_typeEPNSO_ISJ_E10value_typeEPSK_NS1_7vsmem_tEENKUlT_SI_SJ_SK_E_clISE_PiSF_SF_EESH_SX_SI_SJ_SK_EUlSX_E_NS1_11comp_targetILNS1_3genE2ELNS1_11target_archE906ELNS1_3gpuE6ELNS1_3repE0EEENS1_48merge_mergepath_partition_config_static_selectorELNS0_4arch9wavefront6targetE1EEEvSJ_
		.amdhsa_group_segment_fixed_size 0
		.amdhsa_private_segment_fixed_size 0
		.amdhsa_kernarg_size 48
		.amdhsa_user_sgpr_count 2
		.amdhsa_user_sgpr_dispatch_ptr 0
		.amdhsa_user_sgpr_queue_ptr 0
		.amdhsa_user_sgpr_kernarg_segment_ptr 1
		.amdhsa_user_sgpr_dispatch_id 0
		.amdhsa_user_sgpr_kernarg_preload_length 0
		.amdhsa_user_sgpr_kernarg_preload_offset 0
		.amdhsa_user_sgpr_private_segment_size 0
		.amdhsa_uses_dynamic_stack 0
		.amdhsa_enable_private_segment 0
		.amdhsa_system_sgpr_workgroup_id_x 1
		.amdhsa_system_sgpr_workgroup_id_y 0
		.amdhsa_system_sgpr_workgroup_id_z 0
		.amdhsa_system_sgpr_workgroup_info 0
		.amdhsa_system_vgpr_workitem_id 0
		.amdhsa_next_free_vgpr 1
		.amdhsa_next_free_sgpr 0
		.amdhsa_accum_offset 4
		.amdhsa_reserve_vcc 0
		.amdhsa_float_round_mode_32 0
		.amdhsa_float_round_mode_16_64 0
		.amdhsa_float_denorm_mode_32 3
		.amdhsa_float_denorm_mode_16_64 3
		.amdhsa_dx10_clamp 1
		.amdhsa_ieee_mode 1
		.amdhsa_fp16_overflow 0
		.amdhsa_tg_split 0
		.amdhsa_exception_fp_ieee_invalid_op 0
		.amdhsa_exception_fp_denorm_src 0
		.amdhsa_exception_fp_ieee_div_zero 0
		.amdhsa_exception_fp_ieee_overflow 0
		.amdhsa_exception_fp_ieee_underflow 0
		.amdhsa_exception_fp_ieee_inexact 0
		.amdhsa_exception_int_div_zero 0
	.end_amdhsa_kernel
	.section	.text._ZN7rocprim17ROCPRIM_400000_NS6detail17trampoline_kernelINS0_14default_configENS1_38merge_sort_block_merge_config_selectorIiNS0_10empty_typeEEEZZNS1_27merge_sort_block_merge_implIS3_N6thrust23THRUST_200600_302600_NS6detail15normal_iteratorINS9_10device_ptrIiEEEEPS5_m17evens_before_oddsEE10hipError_tT0_T1_T2_jT3_P12ihipStream_tbPNSt15iterator_traitsISI_E10value_typeEPNSO_ISJ_E10value_typeEPSK_NS1_7vsmem_tEENKUlT_SI_SJ_SK_E_clISE_PiSF_SF_EESH_SX_SI_SJ_SK_EUlSX_E_NS1_11comp_targetILNS1_3genE2ELNS1_11target_archE906ELNS1_3gpuE6ELNS1_3repE0EEENS1_48merge_mergepath_partition_config_static_selectorELNS0_4arch9wavefront6targetE1EEEvSJ_,"axG",@progbits,_ZN7rocprim17ROCPRIM_400000_NS6detail17trampoline_kernelINS0_14default_configENS1_38merge_sort_block_merge_config_selectorIiNS0_10empty_typeEEEZZNS1_27merge_sort_block_merge_implIS3_N6thrust23THRUST_200600_302600_NS6detail15normal_iteratorINS9_10device_ptrIiEEEEPS5_m17evens_before_oddsEE10hipError_tT0_T1_T2_jT3_P12ihipStream_tbPNSt15iterator_traitsISI_E10value_typeEPNSO_ISJ_E10value_typeEPSK_NS1_7vsmem_tEENKUlT_SI_SJ_SK_E_clISE_PiSF_SF_EESH_SX_SI_SJ_SK_EUlSX_E_NS1_11comp_targetILNS1_3genE2ELNS1_11target_archE906ELNS1_3gpuE6ELNS1_3repE0EEENS1_48merge_mergepath_partition_config_static_selectorELNS0_4arch9wavefront6targetE1EEEvSJ_,comdat
.Lfunc_end437:
	.size	_ZN7rocprim17ROCPRIM_400000_NS6detail17trampoline_kernelINS0_14default_configENS1_38merge_sort_block_merge_config_selectorIiNS0_10empty_typeEEEZZNS1_27merge_sort_block_merge_implIS3_N6thrust23THRUST_200600_302600_NS6detail15normal_iteratorINS9_10device_ptrIiEEEEPS5_m17evens_before_oddsEE10hipError_tT0_T1_T2_jT3_P12ihipStream_tbPNSt15iterator_traitsISI_E10value_typeEPNSO_ISJ_E10value_typeEPSK_NS1_7vsmem_tEENKUlT_SI_SJ_SK_E_clISE_PiSF_SF_EESH_SX_SI_SJ_SK_EUlSX_E_NS1_11comp_targetILNS1_3genE2ELNS1_11target_archE906ELNS1_3gpuE6ELNS1_3repE0EEENS1_48merge_mergepath_partition_config_static_selectorELNS0_4arch9wavefront6targetE1EEEvSJ_, .Lfunc_end437-_ZN7rocprim17ROCPRIM_400000_NS6detail17trampoline_kernelINS0_14default_configENS1_38merge_sort_block_merge_config_selectorIiNS0_10empty_typeEEEZZNS1_27merge_sort_block_merge_implIS3_N6thrust23THRUST_200600_302600_NS6detail15normal_iteratorINS9_10device_ptrIiEEEEPS5_m17evens_before_oddsEE10hipError_tT0_T1_T2_jT3_P12ihipStream_tbPNSt15iterator_traitsISI_E10value_typeEPNSO_ISJ_E10value_typeEPSK_NS1_7vsmem_tEENKUlT_SI_SJ_SK_E_clISE_PiSF_SF_EESH_SX_SI_SJ_SK_EUlSX_E_NS1_11comp_targetILNS1_3genE2ELNS1_11target_archE906ELNS1_3gpuE6ELNS1_3repE0EEENS1_48merge_mergepath_partition_config_static_selectorELNS0_4arch9wavefront6targetE1EEEvSJ_
                                        ; -- End function
	.set _ZN7rocprim17ROCPRIM_400000_NS6detail17trampoline_kernelINS0_14default_configENS1_38merge_sort_block_merge_config_selectorIiNS0_10empty_typeEEEZZNS1_27merge_sort_block_merge_implIS3_N6thrust23THRUST_200600_302600_NS6detail15normal_iteratorINS9_10device_ptrIiEEEEPS5_m17evens_before_oddsEE10hipError_tT0_T1_T2_jT3_P12ihipStream_tbPNSt15iterator_traitsISI_E10value_typeEPNSO_ISJ_E10value_typeEPSK_NS1_7vsmem_tEENKUlT_SI_SJ_SK_E_clISE_PiSF_SF_EESH_SX_SI_SJ_SK_EUlSX_E_NS1_11comp_targetILNS1_3genE2ELNS1_11target_archE906ELNS1_3gpuE6ELNS1_3repE0EEENS1_48merge_mergepath_partition_config_static_selectorELNS0_4arch9wavefront6targetE1EEEvSJ_.num_vgpr, 0
	.set _ZN7rocprim17ROCPRIM_400000_NS6detail17trampoline_kernelINS0_14default_configENS1_38merge_sort_block_merge_config_selectorIiNS0_10empty_typeEEEZZNS1_27merge_sort_block_merge_implIS3_N6thrust23THRUST_200600_302600_NS6detail15normal_iteratorINS9_10device_ptrIiEEEEPS5_m17evens_before_oddsEE10hipError_tT0_T1_T2_jT3_P12ihipStream_tbPNSt15iterator_traitsISI_E10value_typeEPNSO_ISJ_E10value_typeEPSK_NS1_7vsmem_tEENKUlT_SI_SJ_SK_E_clISE_PiSF_SF_EESH_SX_SI_SJ_SK_EUlSX_E_NS1_11comp_targetILNS1_3genE2ELNS1_11target_archE906ELNS1_3gpuE6ELNS1_3repE0EEENS1_48merge_mergepath_partition_config_static_selectorELNS0_4arch9wavefront6targetE1EEEvSJ_.num_agpr, 0
	.set _ZN7rocprim17ROCPRIM_400000_NS6detail17trampoline_kernelINS0_14default_configENS1_38merge_sort_block_merge_config_selectorIiNS0_10empty_typeEEEZZNS1_27merge_sort_block_merge_implIS3_N6thrust23THRUST_200600_302600_NS6detail15normal_iteratorINS9_10device_ptrIiEEEEPS5_m17evens_before_oddsEE10hipError_tT0_T1_T2_jT3_P12ihipStream_tbPNSt15iterator_traitsISI_E10value_typeEPNSO_ISJ_E10value_typeEPSK_NS1_7vsmem_tEENKUlT_SI_SJ_SK_E_clISE_PiSF_SF_EESH_SX_SI_SJ_SK_EUlSX_E_NS1_11comp_targetILNS1_3genE2ELNS1_11target_archE906ELNS1_3gpuE6ELNS1_3repE0EEENS1_48merge_mergepath_partition_config_static_selectorELNS0_4arch9wavefront6targetE1EEEvSJ_.numbered_sgpr, 0
	.set _ZN7rocprim17ROCPRIM_400000_NS6detail17trampoline_kernelINS0_14default_configENS1_38merge_sort_block_merge_config_selectorIiNS0_10empty_typeEEEZZNS1_27merge_sort_block_merge_implIS3_N6thrust23THRUST_200600_302600_NS6detail15normal_iteratorINS9_10device_ptrIiEEEEPS5_m17evens_before_oddsEE10hipError_tT0_T1_T2_jT3_P12ihipStream_tbPNSt15iterator_traitsISI_E10value_typeEPNSO_ISJ_E10value_typeEPSK_NS1_7vsmem_tEENKUlT_SI_SJ_SK_E_clISE_PiSF_SF_EESH_SX_SI_SJ_SK_EUlSX_E_NS1_11comp_targetILNS1_3genE2ELNS1_11target_archE906ELNS1_3gpuE6ELNS1_3repE0EEENS1_48merge_mergepath_partition_config_static_selectorELNS0_4arch9wavefront6targetE1EEEvSJ_.num_named_barrier, 0
	.set _ZN7rocprim17ROCPRIM_400000_NS6detail17trampoline_kernelINS0_14default_configENS1_38merge_sort_block_merge_config_selectorIiNS0_10empty_typeEEEZZNS1_27merge_sort_block_merge_implIS3_N6thrust23THRUST_200600_302600_NS6detail15normal_iteratorINS9_10device_ptrIiEEEEPS5_m17evens_before_oddsEE10hipError_tT0_T1_T2_jT3_P12ihipStream_tbPNSt15iterator_traitsISI_E10value_typeEPNSO_ISJ_E10value_typeEPSK_NS1_7vsmem_tEENKUlT_SI_SJ_SK_E_clISE_PiSF_SF_EESH_SX_SI_SJ_SK_EUlSX_E_NS1_11comp_targetILNS1_3genE2ELNS1_11target_archE906ELNS1_3gpuE6ELNS1_3repE0EEENS1_48merge_mergepath_partition_config_static_selectorELNS0_4arch9wavefront6targetE1EEEvSJ_.private_seg_size, 0
	.set _ZN7rocprim17ROCPRIM_400000_NS6detail17trampoline_kernelINS0_14default_configENS1_38merge_sort_block_merge_config_selectorIiNS0_10empty_typeEEEZZNS1_27merge_sort_block_merge_implIS3_N6thrust23THRUST_200600_302600_NS6detail15normal_iteratorINS9_10device_ptrIiEEEEPS5_m17evens_before_oddsEE10hipError_tT0_T1_T2_jT3_P12ihipStream_tbPNSt15iterator_traitsISI_E10value_typeEPNSO_ISJ_E10value_typeEPSK_NS1_7vsmem_tEENKUlT_SI_SJ_SK_E_clISE_PiSF_SF_EESH_SX_SI_SJ_SK_EUlSX_E_NS1_11comp_targetILNS1_3genE2ELNS1_11target_archE906ELNS1_3gpuE6ELNS1_3repE0EEENS1_48merge_mergepath_partition_config_static_selectorELNS0_4arch9wavefront6targetE1EEEvSJ_.uses_vcc, 0
	.set _ZN7rocprim17ROCPRIM_400000_NS6detail17trampoline_kernelINS0_14default_configENS1_38merge_sort_block_merge_config_selectorIiNS0_10empty_typeEEEZZNS1_27merge_sort_block_merge_implIS3_N6thrust23THRUST_200600_302600_NS6detail15normal_iteratorINS9_10device_ptrIiEEEEPS5_m17evens_before_oddsEE10hipError_tT0_T1_T2_jT3_P12ihipStream_tbPNSt15iterator_traitsISI_E10value_typeEPNSO_ISJ_E10value_typeEPSK_NS1_7vsmem_tEENKUlT_SI_SJ_SK_E_clISE_PiSF_SF_EESH_SX_SI_SJ_SK_EUlSX_E_NS1_11comp_targetILNS1_3genE2ELNS1_11target_archE906ELNS1_3gpuE6ELNS1_3repE0EEENS1_48merge_mergepath_partition_config_static_selectorELNS0_4arch9wavefront6targetE1EEEvSJ_.uses_flat_scratch, 0
	.set _ZN7rocprim17ROCPRIM_400000_NS6detail17trampoline_kernelINS0_14default_configENS1_38merge_sort_block_merge_config_selectorIiNS0_10empty_typeEEEZZNS1_27merge_sort_block_merge_implIS3_N6thrust23THRUST_200600_302600_NS6detail15normal_iteratorINS9_10device_ptrIiEEEEPS5_m17evens_before_oddsEE10hipError_tT0_T1_T2_jT3_P12ihipStream_tbPNSt15iterator_traitsISI_E10value_typeEPNSO_ISJ_E10value_typeEPSK_NS1_7vsmem_tEENKUlT_SI_SJ_SK_E_clISE_PiSF_SF_EESH_SX_SI_SJ_SK_EUlSX_E_NS1_11comp_targetILNS1_3genE2ELNS1_11target_archE906ELNS1_3gpuE6ELNS1_3repE0EEENS1_48merge_mergepath_partition_config_static_selectorELNS0_4arch9wavefront6targetE1EEEvSJ_.has_dyn_sized_stack, 0
	.set _ZN7rocprim17ROCPRIM_400000_NS6detail17trampoline_kernelINS0_14default_configENS1_38merge_sort_block_merge_config_selectorIiNS0_10empty_typeEEEZZNS1_27merge_sort_block_merge_implIS3_N6thrust23THRUST_200600_302600_NS6detail15normal_iteratorINS9_10device_ptrIiEEEEPS5_m17evens_before_oddsEE10hipError_tT0_T1_T2_jT3_P12ihipStream_tbPNSt15iterator_traitsISI_E10value_typeEPNSO_ISJ_E10value_typeEPSK_NS1_7vsmem_tEENKUlT_SI_SJ_SK_E_clISE_PiSF_SF_EESH_SX_SI_SJ_SK_EUlSX_E_NS1_11comp_targetILNS1_3genE2ELNS1_11target_archE906ELNS1_3gpuE6ELNS1_3repE0EEENS1_48merge_mergepath_partition_config_static_selectorELNS0_4arch9wavefront6targetE1EEEvSJ_.has_recursion, 0
	.set _ZN7rocprim17ROCPRIM_400000_NS6detail17trampoline_kernelINS0_14default_configENS1_38merge_sort_block_merge_config_selectorIiNS0_10empty_typeEEEZZNS1_27merge_sort_block_merge_implIS3_N6thrust23THRUST_200600_302600_NS6detail15normal_iteratorINS9_10device_ptrIiEEEEPS5_m17evens_before_oddsEE10hipError_tT0_T1_T2_jT3_P12ihipStream_tbPNSt15iterator_traitsISI_E10value_typeEPNSO_ISJ_E10value_typeEPSK_NS1_7vsmem_tEENKUlT_SI_SJ_SK_E_clISE_PiSF_SF_EESH_SX_SI_SJ_SK_EUlSX_E_NS1_11comp_targetILNS1_3genE2ELNS1_11target_archE906ELNS1_3gpuE6ELNS1_3repE0EEENS1_48merge_mergepath_partition_config_static_selectorELNS0_4arch9wavefront6targetE1EEEvSJ_.has_indirect_call, 0
	.section	.AMDGPU.csdata,"",@progbits
; Kernel info:
; codeLenInByte = 0
; TotalNumSgprs: 6
; NumVgprs: 0
; NumAgprs: 0
; TotalNumVgprs: 0
; ScratchSize: 0
; MemoryBound: 0
; FloatMode: 240
; IeeeMode: 1
; LDSByteSize: 0 bytes/workgroup (compile time only)
; SGPRBlocks: 0
; VGPRBlocks: 0
; NumSGPRsForWavesPerEU: 6
; NumVGPRsForWavesPerEU: 1
; AccumOffset: 4
; Occupancy: 8
; WaveLimiterHint : 0
; COMPUTE_PGM_RSRC2:SCRATCH_EN: 0
; COMPUTE_PGM_RSRC2:USER_SGPR: 2
; COMPUTE_PGM_RSRC2:TRAP_HANDLER: 0
; COMPUTE_PGM_RSRC2:TGID_X_EN: 1
; COMPUTE_PGM_RSRC2:TGID_Y_EN: 0
; COMPUTE_PGM_RSRC2:TGID_Z_EN: 0
; COMPUTE_PGM_RSRC2:TIDIG_COMP_CNT: 0
; COMPUTE_PGM_RSRC3_GFX90A:ACCUM_OFFSET: 0
; COMPUTE_PGM_RSRC3_GFX90A:TG_SPLIT: 0
	.section	.text._ZN7rocprim17ROCPRIM_400000_NS6detail17trampoline_kernelINS0_14default_configENS1_38merge_sort_block_merge_config_selectorIiNS0_10empty_typeEEEZZNS1_27merge_sort_block_merge_implIS3_N6thrust23THRUST_200600_302600_NS6detail15normal_iteratorINS9_10device_ptrIiEEEEPS5_m17evens_before_oddsEE10hipError_tT0_T1_T2_jT3_P12ihipStream_tbPNSt15iterator_traitsISI_E10value_typeEPNSO_ISJ_E10value_typeEPSK_NS1_7vsmem_tEENKUlT_SI_SJ_SK_E_clISE_PiSF_SF_EESH_SX_SI_SJ_SK_EUlSX_E_NS1_11comp_targetILNS1_3genE9ELNS1_11target_archE1100ELNS1_3gpuE3ELNS1_3repE0EEENS1_48merge_mergepath_partition_config_static_selectorELNS0_4arch9wavefront6targetE1EEEvSJ_,"axG",@progbits,_ZN7rocprim17ROCPRIM_400000_NS6detail17trampoline_kernelINS0_14default_configENS1_38merge_sort_block_merge_config_selectorIiNS0_10empty_typeEEEZZNS1_27merge_sort_block_merge_implIS3_N6thrust23THRUST_200600_302600_NS6detail15normal_iteratorINS9_10device_ptrIiEEEEPS5_m17evens_before_oddsEE10hipError_tT0_T1_T2_jT3_P12ihipStream_tbPNSt15iterator_traitsISI_E10value_typeEPNSO_ISJ_E10value_typeEPSK_NS1_7vsmem_tEENKUlT_SI_SJ_SK_E_clISE_PiSF_SF_EESH_SX_SI_SJ_SK_EUlSX_E_NS1_11comp_targetILNS1_3genE9ELNS1_11target_archE1100ELNS1_3gpuE3ELNS1_3repE0EEENS1_48merge_mergepath_partition_config_static_selectorELNS0_4arch9wavefront6targetE1EEEvSJ_,comdat
	.protected	_ZN7rocprim17ROCPRIM_400000_NS6detail17trampoline_kernelINS0_14default_configENS1_38merge_sort_block_merge_config_selectorIiNS0_10empty_typeEEEZZNS1_27merge_sort_block_merge_implIS3_N6thrust23THRUST_200600_302600_NS6detail15normal_iteratorINS9_10device_ptrIiEEEEPS5_m17evens_before_oddsEE10hipError_tT0_T1_T2_jT3_P12ihipStream_tbPNSt15iterator_traitsISI_E10value_typeEPNSO_ISJ_E10value_typeEPSK_NS1_7vsmem_tEENKUlT_SI_SJ_SK_E_clISE_PiSF_SF_EESH_SX_SI_SJ_SK_EUlSX_E_NS1_11comp_targetILNS1_3genE9ELNS1_11target_archE1100ELNS1_3gpuE3ELNS1_3repE0EEENS1_48merge_mergepath_partition_config_static_selectorELNS0_4arch9wavefront6targetE1EEEvSJ_ ; -- Begin function _ZN7rocprim17ROCPRIM_400000_NS6detail17trampoline_kernelINS0_14default_configENS1_38merge_sort_block_merge_config_selectorIiNS0_10empty_typeEEEZZNS1_27merge_sort_block_merge_implIS3_N6thrust23THRUST_200600_302600_NS6detail15normal_iteratorINS9_10device_ptrIiEEEEPS5_m17evens_before_oddsEE10hipError_tT0_T1_T2_jT3_P12ihipStream_tbPNSt15iterator_traitsISI_E10value_typeEPNSO_ISJ_E10value_typeEPSK_NS1_7vsmem_tEENKUlT_SI_SJ_SK_E_clISE_PiSF_SF_EESH_SX_SI_SJ_SK_EUlSX_E_NS1_11comp_targetILNS1_3genE9ELNS1_11target_archE1100ELNS1_3gpuE3ELNS1_3repE0EEENS1_48merge_mergepath_partition_config_static_selectorELNS0_4arch9wavefront6targetE1EEEvSJ_
	.globl	_ZN7rocprim17ROCPRIM_400000_NS6detail17trampoline_kernelINS0_14default_configENS1_38merge_sort_block_merge_config_selectorIiNS0_10empty_typeEEEZZNS1_27merge_sort_block_merge_implIS3_N6thrust23THRUST_200600_302600_NS6detail15normal_iteratorINS9_10device_ptrIiEEEEPS5_m17evens_before_oddsEE10hipError_tT0_T1_T2_jT3_P12ihipStream_tbPNSt15iterator_traitsISI_E10value_typeEPNSO_ISJ_E10value_typeEPSK_NS1_7vsmem_tEENKUlT_SI_SJ_SK_E_clISE_PiSF_SF_EESH_SX_SI_SJ_SK_EUlSX_E_NS1_11comp_targetILNS1_3genE9ELNS1_11target_archE1100ELNS1_3gpuE3ELNS1_3repE0EEENS1_48merge_mergepath_partition_config_static_selectorELNS0_4arch9wavefront6targetE1EEEvSJ_
	.p2align	8
	.type	_ZN7rocprim17ROCPRIM_400000_NS6detail17trampoline_kernelINS0_14default_configENS1_38merge_sort_block_merge_config_selectorIiNS0_10empty_typeEEEZZNS1_27merge_sort_block_merge_implIS3_N6thrust23THRUST_200600_302600_NS6detail15normal_iteratorINS9_10device_ptrIiEEEEPS5_m17evens_before_oddsEE10hipError_tT0_T1_T2_jT3_P12ihipStream_tbPNSt15iterator_traitsISI_E10value_typeEPNSO_ISJ_E10value_typeEPSK_NS1_7vsmem_tEENKUlT_SI_SJ_SK_E_clISE_PiSF_SF_EESH_SX_SI_SJ_SK_EUlSX_E_NS1_11comp_targetILNS1_3genE9ELNS1_11target_archE1100ELNS1_3gpuE3ELNS1_3repE0EEENS1_48merge_mergepath_partition_config_static_selectorELNS0_4arch9wavefront6targetE1EEEvSJ_,@function
_ZN7rocprim17ROCPRIM_400000_NS6detail17trampoline_kernelINS0_14default_configENS1_38merge_sort_block_merge_config_selectorIiNS0_10empty_typeEEEZZNS1_27merge_sort_block_merge_implIS3_N6thrust23THRUST_200600_302600_NS6detail15normal_iteratorINS9_10device_ptrIiEEEEPS5_m17evens_before_oddsEE10hipError_tT0_T1_T2_jT3_P12ihipStream_tbPNSt15iterator_traitsISI_E10value_typeEPNSO_ISJ_E10value_typeEPSK_NS1_7vsmem_tEENKUlT_SI_SJ_SK_E_clISE_PiSF_SF_EESH_SX_SI_SJ_SK_EUlSX_E_NS1_11comp_targetILNS1_3genE9ELNS1_11target_archE1100ELNS1_3gpuE3ELNS1_3repE0EEENS1_48merge_mergepath_partition_config_static_selectorELNS0_4arch9wavefront6targetE1EEEvSJ_: ; @_ZN7rocprim17ROCPRIM_400000_NS6detail17trampoline_kernelINS0_14default_configENS1_38merge_sort_block_merge_config_selectorIiNS0_10empty_typeEEEZZNS1_27merge_sort_block_merge_implIS3_N6thrust23THRUST_200600_302600_NS6detail15normal_iteratorINS9_10device_ptrIiEEEEPS5_m17evens_before_oddsEE10hipError_tT0_T1_T2_jT3_P12ihipStream_tbPNSt15iterator_traitsISI_E10value_typeEPNSO_ISJ_E10value_typeEPSK_NS1_7vsmem_tEENKUlT_SI_SJ_SK_E_clISE_PiSF_SF_EESH_SX_SI_SJ_SK_EUlSX_E_NS1_11comp_targetILNS1_3genE9ELNS1_11target_archE1100ELNS1_3gpuE3ELNS1_3repE0EEENS1_48merge_mergepath_partition_config_static_selectorELNS0_4arch9wavefront6targetE1EEEvSJ_
; %bb.0:
	.section	.rodata,"a",@progbits
	.p2align	6, 0x0
	.amdhsa_kernel _ZN7rocprim17ROCPRIM_400000_NS6detail17trampoline_kernelINS0_14default_configENS1_38merge_sort_block_merge_config_selectorIiNS0_10empty_typeEEEZZNS1_27merge_sort_block_merge_implIS3_N6thrust23THRUST_200600_302600_NS6detail15normal_iteratorINS9_10device_ptrIiEEEEPS5_m17evens_before_oddsEE10hipError_tT0_T1_T2_jT3_P12ihipStream_tbPNSt15iterator_traitsISI_E10value_typeEPNSO_ISJ_E10value_typeEPSK_NS1_7vsmem_tEENKUlT_SI_SJ_SK_E_clISE_PiSF_SF_EESH_SX_SI_SJ_SK_EUlSX_E_NS1_11comp_targetILNS1_3genE9ELNS1_11target_archE1100ELNS1_3gpuE3ELNS1_3repE0EEENS1_48merge_mergepath_partition_config_static_selectorELNS0_4arch9wavefront6targetE1EEEvSJ_
		.amdhsa_group_segment_fixed_size 0
		.amdhsa_private_segment_fixed_size 0
		.amdhsa_kernarg_size 48
		.amdhsa_user_sgpr_count 2
		.amdhsa_user_sgpr_dispatch_ptr 0
		.amdhsa_user_sgpr_queue_ptr 0
		.amdhsa_user_sgpr_kernarg_segment_ptr 1
		.amdhsa_user_sgpr_dispatch_id 0
		.amdhsa_user_sgpr_kernarg_preload_length 0
		.amdhsa_user_sgpr_kernarg_preload_offset 0
		.amdhsa_user_sgpr_private_segment_size 0
		.amdhsa_uses_dynamic_stack 0
		.amdhsa_enable_private_segment 0
		.amdhsa_system_sgpr_workgroup_id_x 1
		.amdhsa_system_sgpr_workgroup_id_y 0
		.amdhsa_system_sgpr_workgroup_id_z 0
		.amdhsa_system_sgpr_workgroup_info 0
		.amdhsa_system_vgpr_workitem_id 0
		.amdhsa_next_free_vgpr 1
		.amdhsa_next_free_sgpr 0
		.amdhsa_accum_offset 4
		.amdhsa_reserve_vcc 0
		.amdhsa_float_round_mode_32 0
		.amdhsa_float_round_mode_16_64 0
		.amdhsa_float_denorm_mode_32 3
		.amdhsa_float_denorm_mode_16_64 3
		.amdhsa_dx10_clamp 1
		.amdhsa_ieee_mode 1
		.amdhsa_fp16_overflow 0
		.amdhsa_tg_split 0
		.amdhsa_exception_fp_ieee_invalid_op 0
		.amdhsa_exception_fp_denorm_src 0
		.amdhsa_exception_fp_ieee_div_zero 0
		.amdhsa_exception_fp_ieee_overflow 0
		.amdhsa_exception_fp_ieee_underflow 0
		.amdhsa_exception_fp_ieee_inexact 0
		.amdhsa_exception_int_div_zero 0
	.end_amdhsa_kernel
	.section	.text._ZN7rocprim17ROCPRIM_400000_NS6detail17trampoline_kernelINS0_14default_configENS1_38merge_sort_block_merge_config_selectorIiNS0_10empty_typeEEEZZNS1_27merge_sort_block_merge_implIS3_N6thrust23THRUST_200600_302600_NS6detail15normal_iteratorINS9_10device_ptrIiEEEEPS5_m17evens_before_oddsEE10hipError_tT0_T1_T2_jT3_P12ihipStream_tbPNSt15iterator_traitsISI_E10value_typeEPNSO_ISJ_E10value_typeEPSK_NS1_7vsmem_tEENKUlT_SI_SJ_SK_E_clISE_PiSF_SF_EESH_SX_SI_SJ_SK_EUlSX_E_NS1_11comp_targetILNS1_3genE9ELNS1_11target_archE1100ELNS1_3gpuE3ELNS1_3repE0EEENS1_48merge_mergepath_partition_config_static_selectorELNS0_4arch9wavefront6targetE1EEEvSJ_,"axG",@progbits,_ZN7rocprim17ROCPRIM_400000_NS6detail17trampoline_kernelINS0_14default_configENS1_38merge_sort_block_merge_config_selectorIiNS0_10empty_typeEEEZZNS1_27merge_sort_block_merge_implIS3_N6thrust23THRUST_200600_302600_NS6detail15normal_iteratorINS9_10device_ptrIiEEEEPS5_m17evens_before_oddsEE10hipError_tT0_T1_T2_jT3_P12ihipStream_tbPNSt15iterator_traitsISI_E10value_typeEPNSO_ISJ_E10value_typeEPSK_NS1_7vsmem_tEENKUlT_SI_SJ_SK_E_clISE_PiSF_SF_EESH_SX_SI_SJ_SK_EUlSX_E_NS1_11comp_targetILNS1_3genE9ELNS1_11target_archE1100ELNS1_3gpuE3ELNS1_3repE0EEENS1_48merge_mergepath_partition_config_static_selectorELNS0_4arch9wavefront6targetE1EEEvSJ_,comdat
.Lfunc_end438:
	.size	_ZN7rocprim17ROCPRIM_400000_NS6detail17trampoline_kernelINS0_14default_configENS1_38merge_sort_block_merge_config_selectorIiNS0_10empty_typeEEEZZNS1_27merge_sort_block_merge_implIS3_N6thrust23THRUST_200600_302600_NS6detail15normal_iteratorINS9_10device_ptrIiEEEEPS5_m17evens_before_oddsEE10hipError_tT0_T1_T2_jT3_P12ihipStream_tbPNSt15iterator_traitsISI_E10value_typeEPNSO_ISJ_E10value_typeEPSK_NS1_7vsmem_tEENKUlT_SI_SJ_SK_E_clISE_PiSF_SF_EESH_SX_SI_SJ_SK_EUlSX_E_NS1_11comp_targetILNS1_3genE9ELNS1_11target_archE1100ELNS1_3gpuE3ELNS1_3repE0EEENS1_48merge_mergepath_partition_config_static_selectorELNS0_4arch9wavefront6targetE1EEEvSJ_, .Lfunc_end438-_ZN7rocprim17ROCPRIM_400000_NS6detail17trampoline_kernelINS0_14default_configENS1_38merge_sort_block_merge_config_selectorIiNS0_10empty_typeEEEZZNS1_27merge_sort_block_merge_implIS3_N6thrust23THRUST_200600_302600_NS6detail15normal_iteratorINS9_10device_ptrIiEEEEPS5_m17evens_before_oddsEE10hipError_tT0_T1_T2_jT3_P12ihipStream_tbPNSt15iterator_traitsISI_E10value_typeEPNSO_ISJ_E10value_typeEPSK_NS1_7vsmem_tEENKUlT_SI_SJ_SK_E_clISE_PiSF_SF_EESH_SX_SI_SJ_SK_EUlSX_E_NS1_11comp_targetILNS1_3genE9ELNS1_11target_archE1100ELNS1_3gpuE3ELNS1_3repE0EEENS1_48merge_mergepath_partition_config_static_selectorELNS0_4arch9wavefront6targetE1EEEvSJ_
                                        ; -- End function
	.set _ZN7rocprim17ROCPRIM_400000_NS6detail17trampoline_kernelINS0_14default_configENS1_38merge_sort_block_merge_config_selectorIiNS0_10empty_typeEEEZZNS1_27merge_sort_block_merge_implIS3_N6thrust23THRUST_200600_302600_NS6detail15normal_iteratorINS9_10device_ptrIiEEEEPS5_m17evens_before_oddsEE10hipError_tT0_T1_T2_jT3_P12ihipStream_tbPNSt15iterator_traitsISI_E10value_typeEPNSO_ISJ_E10value_typeEPSK_NS1_7vsmem_tEENKUlT_SI_SJ_SK_E_clISE_PiSF_SF_EESH_SX_SI_SJ_SK_EUlSX_E_NS1_11comp_targetILNS1_3genE9ELNS1_11target_archE1100ELNS1_3gpuE3ELNS1_3repE0EEENS1_48merge_mergepath_partition_config_static_selectorELNS0_4arch9wavefront6targetE1EEEvSJ_.num_vgpr, 0
	.set _ZN7rocprim17ROCPRIM_400000_NS6detail17trampoline_kernelINS0_14default_configENS1_38merge_sort_block_merge_config_selectorIiNS0_10empty_typeEEEZZNS1_27merge_sort_block_merge_implIS3_N6thrust23THRUST_200600_302600_NS6detail15normal_iteratorINS9_10device_ptrIiEEEEPS5_m17evens_before_oddsEE10hipError_tT0_T1_T2_jT3_P12ihipStream_tbPNSt15iterator_traitsISI_E10value_typeEPNSO_ISJ_E10value_typeEPSK_NS1_7vsmem_tEENKUlT_SI_SJ_SK_E_clISE_PiSF_SF_EESH_SX_SI_SJ_SK_EUlSX_E_NS1_11comp_targetILNS1_3genE9ELNS1_11target_archE1100ELNS1_3gpuE3ELNS1_3repE0EEENS1_48merge_mergepath_partition_config_static_selectorELNS0_4arch9wavefront6targetE1EEEvSJ_.num_agpr, 0
	.set _ZN7rocprim17ROCPRIM_400000_NS6detail17trampoline_kernelINS0_14default_configENS1_38merge_sort_block_merge_config_selectorIiNS0_10empty_typeEEEZZNS1_27merge_sort_block_merge_implIS3_N6thrust23THRUST_200600_302600_NS6detail15normal_iteratorINS9_10device_ptrIiEEEEPS5_m17evens_before_oddsEE10hipError_tT0_T1_T2_jT3_P12ihipStream_tbPNSt15iterator_traitsISI_E10value_typeEPNSO_ISJ_E10value_typeEPSK_NS1_7vsmem_tEENKUlT_SI_SJ_SK_E_clISE_PiSF_SF_EESH_SX_SI_SJ_SK_EUlSX_E_NS1_11comp_targetILNS1_3genE9ELNS1_11target_archE1100ELNS1_3gpuE3ELNS1_3repE0EEENS1_48merge_mergepath_partition_config_static_selectorELNS0_4arch9wavefront6targetE1EEEvSJ_.numbered_sgpr, 0
	.set _ZN7rocprim17ROCPRIM_400000_NS6detail17trampoline_kernelINS0_14default_configENS1_38merge_sort_block_merge_config_selectorIiNS0_10empty_typeEEEZZNS1_27merge_sort_block_merge_implIS3_N6thrust23THRUST_200600_302600_NS6detail15normal_iteratorINS9_10device_ptrIiEEEEPS5_m17evens_before_oddsEE10hipError_tT0_T1_T2_jT3_P12ihipStream_tbPNSt15iterator_traitsISI_E10value_typeEPNSO_ISJ_E10value_typeEPSK_NS1_7vsmem_tEENKUlT_SI_SJ_SK_E_clISE_PiSF_SF_EESH_SX_SI_SJ_SK_EUlSX_E_NS1_11comp_targetILNS1_3genE9ELNS1_11target_archE1100ELNS1_3gpuE3ELNS1_3repE0EEENS1_48merge_mergepath_partition_config_static_selectorELNS0_4arch9wavefront6targetE1EEEvSJ_.num_named_barrier, 0
	.set _ZN7rocprim17ROCPRIM_400000_NS6detail17trampoline_kernelINS0_14default_configENS1_38merge_sort_block_merge_config_selectorIiNS0_10empty_typeEEEZZNS1_27merge_sort_block_merge_implIS3_N6thrust23THRUST_200600_302600_NS6detail15normal_iteratorINS9_10device_ptrIiEEEEPS5_m17evens_before_oddsEE10hipError_tT0_T1_T2_jT3_P12ihipStream_tbPNSt15iterator_traitsISI_E10value_typeEPNSO_ISJ_E10value_typeEPSK_NS1_7vsmem_tEENKUlT_SI_SJ_SK_E_clISE_PiSF_SF_EESH_SX_SI_SJ_SK_EUlSX_E_NS1_11comp_targetILNS1_3genE9ELNS1_11target_archE1100ELNS1_3gpuE3ELNS1_3repE0EEENS1_48merge_mergepath_partition_config_static_selectorELNS0_4arch9wavefront6targetE1EEEvSJ_.private_seg_size, 0
	.set _ZN7rocprim17ROCPRIM_400000_NS6detail17trampoline_kernelINS0_14default_configENS1_38merge_sort_block_merge_config_selectorIiNS0_10empty_typeEEEZZNS1_27merge_sort_block_merge_implIS3_N6thrust23THRUST_200600_302600_NS6detail15normal_iteratorINS9_10device_ptrIiEEEEPS5_m17evens_before_oddsEE10hipError_tT0_T1_T2_jT3_P12ihipStream_tbPNSt15iterator_traitsISI_E10value_typeEPNSO_ISJ_E10value_typeEPSK_NS1_7vsmem_tEENKUlT_SI_SJ_SK_E_clISE_PiSF_SF_EESH_SX_SI_SJ_SK_EUlSX_E_NS1_11comp_targetILNS1_3genE9ELNS1_11target_archE1100ELNS1_3gpuE3ELNS1_3repE0EEENS1_48merge_mergepath_partition_config_static_selectorELNS0_4arch9wavefront6targetE1EEEvSJ_.uses_vcc, 0
	.set _ZN7rocprim17ROCPRIM_400000_NS6detail17trampoline_kernelINS0_14default_configENS1_38merge_sort_block_merge_config_selectorIiNS0_10empty_typeEEEZZNS1_27merge_sort_block_merge_implIS3_N6thrust23THRUST_200600_302600_NS6detail15normal_iteratorINS9_10device_ptrIiEEEEPS5_m17evens_before_oddsEE10hipError_tT0_T1_T2_jT3_P12ihipStream_tbPNSt15iterator_traitsISI_E10value_typeEPNSO_ISJ_E10value_typeEPSK_NS1_7vsmem_tEENKUlT_SI_SJ_SK_E_clISE_PiSF_SF_EESH_SX_SI_SJ_SK_EUlSX_E_NS1_11comp_targetILNS1_3genE9ELNS1_11target_archE1100ELNS1_3gpuE3ELNS1_3repE0EEENS1_48merge_mergepath_partition_config_static_selectorELNS0_4arch9wavefront6targetE1EEEvSJ_.uses_flat_scratch, 0
	.set _ZN7rocprim17ROCPRIM_400000_NS6detail17trampoline_kernelINS0_14default_configENS1_38merge_sort_block_merge_config_selectorIiNS0_10empty_typeEEEZZNS1_27merge_sort_block_merge_implIS3_N6thrust23THRUST_200600_302600_NS6detail15normal_iteratorINS9_10device_ptrIiEEEEPS5_m17evens_before_oddsEE10hipError_tT0_T1_T2_jT3_P12ihipStream_tbPNSt15iterator_traitsISI_E10value_typeEPNSO_ISJ_E10value_typeEPSK_NS1_7vsmem_tEENKUlT_SI_SJ_SK_E_clISE_PiSF_SF_EESH_SX_SI_SJ_SK_EUlSX_E_NS1_11comp_targetILNS1_3genE9ELNS1_11target_archE1100ELNS1_3gpuE3ELNS1_3repE0EEENS1_48merge_mergepath_partition_config_static_selectorELNS0_4arch9wavefront6targetE1EEEvSJ_.has_dyn_sized_stack, 0
	.set _ZN7rocprim17ROCPRIM_400000_NS6detail17trampoline_kernelINS0_14default_configENS1_38merge_sort_block_merge_config_selectorIiNS0_10empty_typeEEEZZNS1_27merge_sort_block_merge_implIS3_N6thrust23THRUST_200600_302600_NS6detail15normal_iteratorINS9_10device_ptrIiEEEEPS5_m17evens_before_oddsEE10hipError_tT0_T1_T2_jT3_P12ihipStream_tbPNSt15iterator_traitsISI_E10value_typeEPNSO_ISJ_E10value_typeEPSK_NS1_7vsmem_tEENKUlT_SI_SJ_SK_E_clISE_PiSF_SF_EESH_SX_SI_SJ_SK_EUlSX_E_NS1_11comp_targetILNS1_3genE9ELNS1_11target_archE1100ELNS1_3gpuE3ELNS1_3repE0EEENS1_48merge_mergepath_partition_config_static_selectorELNS0_4arch9wavefront6targetE1EEEvSJ_.has_recursion, 0
	.set _ZN7rocprim17ROCPRIM_400000_NS6detail17trampoline_kernelINS0_14default_configENS1_38merge_sort_block_merge_config_selectorIiNS0_10empty_typeEEEZZNS1_27merge_sort_block_merge_implIS3_N6thrust23THRUST_200600_302600_NS6detail15normal_iteratorINS9_10device_ptrIiEEEEPS5_m17evens_before_oddsEE10hipError_tT0_T1_T2_jT3_P12ihipStream_tbPNSt15iterator_traitsISI_E10value_typeEPNSO_ISJ_E10value_typeEPSK_NS1_7vsmem_tEENKUlT_SI_SJ_SK_E_clISE_PiSF_SF_EESH_SX_SI_SJ_SK_EUlSX_E_NS1_11comp_targetILNS1_3genE9ELNS1_11target_archE1100ELNS1_3gpuE3ELNS1_3repE0EEENS1_48merge_mergepath_partition_config_static_selectorELNS0_4arch9wavefront6targetE1EEEvSJ_.has_indirect_call, 0
	.section	.AMDGPU.csdata,"",@progbits
; Kernel info:
; codeLenInByte = 0
; TotalNumSgprs: 6
; NumVgprs: 0
; NumAgprs: 0
; TotalNumVgprs: 0
; ScratchSize: 0
; MemoryBound: 0
; FloatMode: 240
; IeeeMode: 1
; LDSByteSize: 0 bytes/workgroup (compile time only)
; SGPRBlocks: 0
; VGPRBlocks: 0
; NumSGPRsForWavesPerEU: 6
; NumVGPRsForWavesPerEU: 1
; AccumOffset: 4
; Occupancy: 8
; WaveLimiterHint : 0
; COMPUTE_PGM_RSRC2:SCRATCH_EN: 0
; COMPUTE_PGM_RSRC2:USER_SGPR: 2
; COMPUTE_PGM_RSRC2:TRAP_HANDLER: 0
; COMPUTE_PGM_RSRC2:TGID_X_EN: 1
; COMPUTE_PGM_RSRC2:TGID_Y_EN: 0
; COMPUTE_PGM_RSRC2:TGID_Z_EN: 0
; COMPUTE_PGM_RSRC2:TIDIG_COMP_CNT: 0
; COMPUTE_PGM_RSRC3_GFX90A:ACCUM_OFFSET: 0
; COMPUTE_PGM_RSRC3_GFX90A:TG_SPLIT: 0
	.section	.text._ZN7rocprim17ROCPRIM_400000_NS6detail17trampoline_kernelINS0_14default_configENS1_38merge_sort_block_merge_config_selectorIiNS0_10empty_typeEEEZZNS1_27merge_sort_block_merge_implIS3_N6thrust23THRUST_200600_302600_NS6detail15normal_iteratorINS9_10device_ptrIiEEEEPS5_m17evens_before_oddsEE10hipError_tT0_T1_T2_jT3_P12ihipStream_tbPNSt15iterator_traitsISI_E10value_typeEPNSO_ISJ_E10value_typeEPSK_NS1_7vsmem_tEENKUlT_SI_SJ_SK_E_clISE_PiSF_SF_EESH_SX_SI_SJ_SK_EUlSX_E_NS1_11comp_targetILNS1_3genE8ELNS1_11target_archE1030ELNS1_3gpuE2ELNS1_3repE0EEENS1_48merge_mergepath_partition_config_static_selectorELNS0_4arch9wavefront6targetE1EEEvSJ_,"axG",@progbits,_ZN7rocprim17ROCPRIM_400000_NS6detail17trampoline_kernelINS0_14default_configENS1_38merge_sort_block_merge_config_selectorIiNS0_10empty_typeEEEZZNS1_27merge_sort_block_merge_implIS3_N6thrust23THRUST_200600_302600_NS6detail15normal_iteratorINS9_10device_ptrIiEEEEPS5_m17evens_before_oddsEE10hipError_tT0_T1_T2_jT3_P12ihipStream_tbPNSt15iterator_traitsISI_E10value_typeEPNSO_ISJ_E10value_typeEPSK_NS1_7vsmem_tEENKUlT_SI_SJ_SK_E_clISE_PiSF_SF_EESH_SX_SI_SJ_SK_EUlSX_E_NS1_11comp_targetILNS1_3genE8ELNS1_11target_archE1030ELNS1_3gpuE2ELNS1_3repE0EEENS1_48merge_mergepath_partition_config_static_selectorELNS0_4arch9wavefront6targetE1EEEvSJ_,comdat
	.protected	_ZN7rocprim17ROCPRIM_400000_NS6detail17trampoline_kernelINS0_14default_configENS1_38merge_sort_block_merge_config_selectorIiNS0_10empty_typeEEEZZNS1_27merge_sort_block_merge_implIS3_N6thrust23THRUST_200600_302600_NS6detail15normal_iteratorINS9_10device_ptrIiEEEEPS5_m17evens_before_oddsEE10hipError_tT0_T1_T2_jT3_P12ihipStream_tbPNSt15iterator_traitsISI_E10value_typeEPNSO_ISJ_E10value_typeEPSK_NS1_7vsmem_tEENKUlT_SI_SJ_SK_E_clISE_PiSF_SF_EESH_SX_SI_SJ_SK_EUlSX_E_NS1_11comp_targetILNS1_3genE8ELNS1_11target_archE1030ELNS1_3gpuE2ELNS1_3repE0EEENS1_48merge_mergepath_partition_config_static_selectorELNS0_4arch9wavefront6targetE1EEEvSJ_ ; -- Begin function _ZN7rocprim17ROCPRIM_400000_NS6detail17trampoline_kernelINS0_14default_configENS1_38merge_sort_block_merge_config_selectorIiNS0_10empty_typeEEEZZNS1_27merge_sort_block_merge_implIS3_N6thrust23THRUST_200600_302600_NS6detail15normal_iteratorINS9_10device_ptrIiEEEEPS5_m17evens_before_oddsEE10hipError_tT0_T1_T2_jT3_P12ihipStream_tbPNSt15iterator_traitsISI_E10value_typeEPNSO_ISJ_E10value_typeEPSK_NS1_7vsmem_tEENKUlT_SI_SJ_SK_E_clISE_PiSF_SF_EESH_SX_SI_SJ_SK_EUlSX_E_NS1_11comp_targetILNS1_3genE8ELNS1_11target_archE1030ELNS1_3gpuE2ELNS1_3repE0EEENS1_48merge_mergepath_partition_config_static_selectorELNS0_4arch9wavefront6targetE1EEEvSJ_
	.globl	_ZN7rocprim17ROCPRIM_400000_NS6detail17trampoline_kernelINS0_14default_configENS1_38merge_sort_block_merge_config_selectorIiNS0_10empty_typeEEEZZNS1_27merge_sort_block_merge_implIS3_N6thrust23THRUST_200600_302600_NS6detail15normal_iteratorINS9_10device_ptrIiEEEEPS5_m17evens_before_oddsEE10hipError_tT0_T1_T2_jT3_P12ihipStream_tbPNSt15iterator_traitsISI_E10value_typeEPNSO_ISJ_E10value_typeEPSK_NS1_7vsmem_tEENKUlT_SI_SJ_SK_E_clISE_PiSF_SF_EESH_SX_SI_SJ_SK_EUlSX_E_NS1_11comp_targetILNS1_3genE8ELNS1_11target_archE1030ELNS1_3gpuE2ELNS1_3repE0EEENS1_48merge_mergepath_partition_config_static_selectorELNS0_4arch9wavefront6targetE1EEEvSJ_
	.p2align	8
	.type	_ZN7rocprim17ROCPRIM_400000_NS6detail17trampoline_kernelINS0_14default_configENS1_38merge_sort_block_merge_config_selectorIiNS0_10empty_typeEEEZZNS1_27merge_sort_block_merge_implIS3_N6thrust23THRUST_200600_302600_NS6detail15normal_iteratorINS9_10device_ptrIiEEEEPS5_m17evens_before_oddsEE10hipError_tT0_T1_T2_jT3_P12ihipStream_tbPNSt15iterator_traitsISI_E10value_typeEPNSO_ISJ_E10value_typeEPSK_NS1_7vsmem_tEENKUlT_SI_SJ_SK_E_clISE_PiSF_SF_EESH_SX_SI_SJ_SK_EUlSX_E_NS1_11comp_targetILNS1_3genE8ELNS1_11target_archE1030ELNS1_3gpuE2ELNS1_3repE0EEENS1_48merge_mergepath_partition_config_static_selectorELNS0_4arch9wavefront6targetE1EEEvSJ_,@function
_ZN7rocprim17ROCPRIM_400000_NS6detail17trampoline_kernelINS0_14default_configENS1_38merge_sort_block_merge_config_selectorIiNS0_10empty_typeEEEZZNS1_27merge_sort_block_merge_implIS3_N6thrust23THRUST_200600_302600_NS6detail15normal_iteratorINS9_10device_ptrIiEEEEPS5_m17evens_before_oddsEE10hipError_tT0_T1_T2_jT3_P12ihipStream_tbPNSt15iterator_traitsISI_E10value_typeEPNSO_ISJ_E10value_typeEPSK_NS1_7vsmem_tEENKUlT_SI_SJ_SK_E_clISE_PiSF_SF_EESH_SX_SI_SJ_SK_EUlSX_E_NS1_11comp_targetILNS1_3genE8ELNS1_11target_archE1030ELNS1_3gpuE2ELNS1_3repE0EEENS1_48merge_mergepath_partition_config_static_selectorELNS0_4arch9wavefront6targetE1EEEvSJ_: ; @_ZN7rocprim17ROCPRIM_400000_NS6detail17trampoline_kernelINS0_14default_configENS1_38merge_sort_block_merge_config_selectorIiNS0_10empty_typeEEEZZNS1_27merge_sort_block_merge_implIS3_N6thrust23THRUST_200600_302600_NS6detail15normal_iteratorINS9_10device_ptrIiEEEEPS5_m17evens_before_oddsEE10hipError_tT0_T1_T2_jT3_P12ihipStream_tbPNSt15iterator_traitsISI_E10value_typeEPNSO_ISJ_E10value_typeEPSK_NS1_7vsmem_tEENKUlT_SI_SJ_SK_E_clISE_PiSF_SF_EESH_SX_SI_SJ_SK_EUlSX_E_NS1_11comp_targetILNS1_3genE8ELNS1_11target_archE1030ELNS1_3gpuE2ELNS1_3repE0EEENS1_48merge_mergepath_partition_config_static_selectorELNS0_4arch9wavefront6targetE1EEEvSJ_
; %bb.0:
	.section	.rodata,"a",@progbits
	.p2align	6, 0x0
	.amdhsa_kernel _ZN7rocprim17ROCPRIM_400000_NS6detail17trampoline_kernelINS0_14default_configENS1_38merge_sort_block_merge_config_selectorIiNS0_10empty_typeEEEZZNS1_27merge_sort_block_merge_implIS3_N6thrust23THRUST_200600_302600_NS6detail15normal_iteratorINS9_10device_ptrIiEEEEPS5_m17evens_before_oddsEE10hipError_tT0_T1_T2_jT3_P12ihipStream_tbPNSt15iterator_traitsISI_E10value_typeEPNSO_ISJ_E10value_typeEPSK_NS1_7vsmem_tEENKUlT_SI_SJ_SK_E_clISE_PiSF_SF_EESH_SX_SI_SJ_SK_EUlSX_E_NS1_11comp_targetILNS1_3genE8ELNS1_11target_archE1030ELNS1_3gpuE2ELNS1_3repE0EEENS1_48merge_mergepath_partition_config_static_selectorELNS0_4arch9wavefront6targetE1EEEvSJ_
		.amdhsa_group_segment_fixed_size 0
		.amdhsa_private_segment_fixed_size 0
		.amdhsa_kernarg_size 48
		.amdhsa_user_sgpr_count 2
		.amdhsa_user_sgpr_dispatch_ptr 0
		.amdhsa_user_sgpr_queue_ptr 0
		.amdhsa_user_sgpr_kernarg_segment_ptr 1
		.amdhsa_user_sgpr_dispatch_id 0
		.amdhsa_user_sgpr_kernarg_preload_length 0
		.amdhsa_user_sgpr_kernarg_preload_offset 0
		.amdhsa_user_sgpr_private_segment_size 0
		.amdhsa_uses_dynamic_stack 0
		.amdhsa_enable_private_segment 0
		.amdhsa_system_sgpr_workgroup_id_x 1
		.amdhsa_system_sgpr_workgroup_id_y 0
		.amdhsa_system_sgpr_workgroup_id_z 0
		.amdhsa_system_sgpr_workgroup_info 0
		.amdhsa_system_vgpr_workitem_id 0
		.amdhsa_next_free_vgpr 1
		.amdhsa_next_free_sgpr 0
		.amdhsa_accum_offset 4
		.amdhsa_reserve_vcc 0
		.amdhsa_float_round_mode_32 0
		.amdhsa_float_round_mode_16_64 0
		.amdhsa_float_denorm_mode_32 3
		.amdhsa_float_denorm_mode_16_64 3
		.amdhsa_dx10_clamp 1
		.amdhsa_ieee_mode 1
		.amdhsa_fp16_overflow 0
		.amdhsa_tg_split 0
		.amdhsa_exception_fp_ieee_invalid_op 0
		.amdhsa_exception_fp_denorm_src 0
		.amdhsa_exception_fp_ieee_div_zero 0
		.amdhsa_exception_fp_ieee_overflow 0
		.amdhsa_exception_fp_ieee_underflow 0
		.amdhsa_exception_fp_ieee_inexact 0
		.amdhsa_exception_int_div_zero 0
	.end_amdhsa_kernel
	.section	.text._ZN7rocprim17ROCPRIM_400000_NS6detail17trampoline_kernelINS0_14default_configENS1_38merge_sort_block_merge_config_selectorIiNS0_10empty_typeEEEZZNS1_27merge_sort_block_merge_implIS3_N6thrust23THRUST_200600_302600_NS6detail15normal_iteratorINS9_10device_ptrIiEEEEPS5_m17evens_before_oddsEE10hipError_tT0_T1_T2_jT3_P12ihipStream_tbPNSt15iterator_traitsISI_E10value_typeEPNSO_ISJ_E10value_typeEPSK_NS1_7vsmem_tEENKUlT_SI_SJ_SK_E_clISE_PiSF_SF_EESH_SX_SI_SJ_SK_EUlSX_E_NS1_11comp_targetILNS1_3genE8ELNS1_11target_archE1030ELNS1_3gpuE2ELNS1_3repE0EEENS1_48merge_mergepath_partition_config_static_selectorELNS0_4arch9wavefront6targetE1EEEvSJ_,"axG",@progbits,_ZN7rocprim17ROCPRIM_400000_NS6detail17trampoline_kernelINS0_14default_configENS1_38merge_sort_block_merge_config_selectorIiNS0_10empty_typeEEEZZNS1_27merge_sort_block_merge_implIS3_N6thrust23THRUST_200600_302600_NS6detail15normal_iteratorINS9_10device_ptrIiEEEEPS5_m17evens_before_oddsEE10hipError_tT0_T1_T2_jT3_P12ihipStream_tbPNSt15iterator_traitsISI_E10value_typeEPNSO_ISJ_E10value_typeEPSK_NS1_7vsmem_tEENKUlT_SI_SJ_SK_E_clISE_PiSF_SF_EESH_SX_SI_SJ_SK_EUlSX_E_NS1_11comp_targetILNS1_3genE8ELNS1_11target_archE1030ELNS1_3gpuE2ELNS1_3repE0EEENS1_48merge_mergepath_partition_config_static_selectorELNS0_4arch9wavefront6targetE1EEEvSJ_,comdat
.Lfunc_end439:
	.size	_ZN7rocprim17ROCPRIM_400000_NS6detail17trampoline_kernelINS0_14default_configENS1_38merge_sort_block_merge_config_selectorIiNS0_10empty_typeEEEZZNS1_27merge_sort_block_merge_implIS3_N6thrust23THRUST_200600_302600_NS6detail15normal_iteratorINS9_10device_ptrIiEEEEPS5_m17evens_before_oddsEE10hipError_tT0_T1_T2_jT3_P12ihipStream_tbPNSt15iterator_traitsISI_E10value_typeEPNSO_ISJ_E10value_typeEPSK_NS1_7vsmem_tEENKUlT_SI_SJ_SK_E_clISE_PiSF_SF_EESH_SX_SI_SJ_SK_EUlSX_E_NS1_11comp_targetILNS1_3genE8ELNS1_11target_archE1030ELNS1_3gpuE2ELNS1_3repE0EEENS1_48merge_mergepath_partition_config_static_selectorELNS0_4arch9wavefront6targetE1EEEvSJ_, .Lfunc_end439-_ZN7rocprim17ROCPRIM_400000_NS6detail17trampoline_kernelINS0_14default_configENS1_38merge_sort_block_merge_config_selectorIiNS0_10empty_typeEEEZZNS1_27merge_sort_block_merge_implIS3_N6thrust23THRUST_200600_302600_NS6detail15normal_iteratorINS9_10device_ptrIiEEEEPS5_m17evens_before_oddsEE10hipError_tT0_T1_T2_jT3_P12ihipStream_tbPNSt15iterator_traitsISI_E10value_typeEPNSO_ISJ_E10value_typeEPSK_NS1_7vsmem_tEENKUlT_SI_SJ_SK_E_clISE_PiSF_SF_EESH_SX_SI_SJ_SK_EUlSX_E_NS1_11comp_targetILNS1_3genE8ELNS1_11target_archE1030ELNS1_3gpuE2ELNS1_3repE0EEENS1_48merge_mergepath_partition_config_static_selectorELNS0_4arch9wavefront6targetE1EEEvSJ_
                                        ; -- End function
	.set _ZN7rocprim17ROCPRIM_400000_NS6detail17trampoline_kernelINS0_14default_configENS1_38merge_sort_block_merge_config_selectorIiNS0_10empty_typeEEEZZNS1_27merge_sort_block_merge_implIS3_N6thrust23THRUST_200600_302600_NS6detail15normal_iteratorINS9_10device_ptrIiEEEEPS5_m17evens_before_oddsEE10hipError_tT0_T1_T2_jT3_P12ihipStream_tbPNSt15iterator_traitsISI_E10value_typeEPNSO_ISJ_E10value_typeEPSK_NS1_7vsmem_tEENKUlT_SI_SJ_SK_E_clISE_PiSF_SF_EESH_SX_SI_SJ_SK_EUlSX_E_NS1_11comp_targetILNS1_3genE8ELNS1_11target_archE1030ELNS1_3gpuE2ELNS1_3repE0EEENS1_48merge_mergepath_partition_config_static_selectorELNS0_4arch9wavefront6targetE1EEEvSJ_.num_vgpr, 0
	.set _ZN7rocprim17ROCPRIM_400000_NS6detail17trampoline_kernelINS0_14default_configENS1_38merge_sort_block_merge_config_selectorIiNS0_10empty_typeEEEZZNS1_27merge_sort_block_merge_implIS3_N6thrust23THRUST_200600_302600_NS6detail15normal_iteratorINS9_10device_ptrIiEEEEPS5_m17evens_before_oddsEE10hipError_tT0_T1_T2_jT3_P12ihipStream_tbPNSt15iterator_traitsISI_E10value_typeEPNSO_ISJ_E10value_typeEPSK_NS1_7vsmem_tEENKUlT_SI_SJ_SK_E_clISE_PiSF_SF_EESH_SX_SI_SJ_SK_EUlSX_E_NS1_11comp_targetILNS1_3genE8ELNS1_11target_archE1030ELNS1_3gpuE2ELNS1_3repE0EEENS1_48merge_mergepath_partition_config_static_selectorELNS0_4arch9wavefront6targetE1EEEvSJ_.num_agpr, 0
	.set _ZN7rocprim17ROCPRIM_400000_NS6detail17trampoline_kernelINS0_14default_configENS1_38merge_sort_block_merge_config_selectorIiNS0_10empty_typeEEEZZNS1_27merge_sort_block_merge_implIS3_N6thrust23THRUST_200600_302600_NS6detail15normal_iteratorINS9_10device_ptrIiEEEEPS5_m17evens_before_oddsEE10hipError_tT0_T1_T2_jT3_P12ihipStream_tbPNSt15iterator_traitsISI_E10value_typeEPNSO_ISJ_E10value_typeEPSK_NS1_7vsmem_tEENKUlT_SI_SJ_SK_E_clISE_PiSF_SF_EESH_SX_SI_SJ_SK_EUlSX_E_NS1_11comp_targetILNS1_3genE8ELNS1_11target_archE1030ELNS1_3gpuE2ELNS1_3repE0EEENS1_48merge_mergepath_partition_config_static_selectorELNS0_4arch9wavefront6targetE1EEEvSJ_.numbered_sgpr, 0
	.set _ZN7rocprim17ROCPRIM_400000_NS6detail17trampoline_kernelINS0_14default_configENS1_38merge_sort_block_merge_config_selectorIiNS0_10empty_typeEEEZZNS1_27merge_sort_block_merge_implIS3_N6thrust23THRUST_200600_302600_NS6detail15normal_iteratorINS9_10device_ptrIiEEEEPS5_m17evens_before_oddsEE10hipError_tT0_T1_T2_jT3_P12ihipStream_tbPNSt15iterator_traitsISI_E10value_typeEPNSO_ISJ_E10value_typeEPSK_NS1_7vsmem_tEENKUlT_SI_SJ_SK_E_clISE_PiSF_SF_EESH_SX_SI_SJ_SK_EUlSX_E_NS1_11comp_targetILNS1_3genE8ELNS1_11target_archE1030ELNS1_3gpuE2ELNS1_3repE0EEENS1_48merge_mergepath_partition_config_static_selectorELNS0_4arch9wavefront6targetE1EEEvSJ_.num_named_barrier, 0
	.set _ZN7rocprim17ROCPRIM_400000_NS6detail17trampoline_kernelINS0_14default_configENS1_38merge_sort_block_merge_config_selectorIiNS0_10empty_typeEEEZZNS1_27merge_sort_block_merge_implIS3_N6thrust23THRUST_200600_302600_NS6detail15normal_iteratorINS9_10device_ptrIiEEEEPS5_m17evens_before_oddsEE10hipError_tT0_T1_T2_jT3_P12ihipStream_tbPNSt15iterator_traitsISI_E10value_typeEPNSO_ISJ_E10value_typeEPSK_NS1_7vsmem_tEENKUlT_SI_SJ_SK_E_clISE_PiSF_SF_EESH_SX_SI_SJ_SK_EUlSX_E_NS1_11comp_targetILNS1_3genE8ELNS1_11target_archE1030ELNS1_3gpuE2ELNS1_3repE0EEENS1_48merge_mergepath_partition_config_static_selectorELNS0_4arch9wavefront6targetE1EEEvSJ_.private_seg_size, 0
	.set _ZN7rocprim17ROCPRIM_400000_NS6detail17trampoline_kernelINS0_14default_configENS1_38merge_sort_block_merge_config_selectorIiNS0_10empty_typeEEEZZNS1_27merge_sort_block_merge_implIS3_N6thrust23THRUST_200600_302600_NS6detail15normal_iteratorINS9_10device_ptrIiEEEEPS5_m17evens_before_oddsEE10hipError_tT0_T1_T2_jT3_P12ihipStream_tbPNSt15iterator_traitsISI_E10value_typeEPNSO_ISJ_E10value_typeEPSK_NS1_7vsmem_tEENKUlT_SI_SJ_SK_E_clISE_PiSF_SF_EESH_SX_SI_SJ_SK_EUlSX_E_NS1_11comp_targetILNS1_3genE8ELNS1_11target_archE1030ELNS1_3gpuE2ELNS1_3repE0EEENS1_48merge_mergepath_partition_config_static_selectorELNS0_4arch9wavefront6targetE1EEEvSJ_.uses_vcc, 0
	.set _ZN7rocprim17ROCPRIM_400000_NS6detail17trampoline_kernelINS0_14default_configENS1_38merge_sort_block_merge_config_selectorIiNS0_10empty_typeEEEZZNS1_27merge_sort_block_merge_implIS3_N6thrust23THRUST_200600_302600_NS6detail15normal_iteratorINS9_10device_ptrIiEEEEPS5_m17evens_before_oddsEE10hipError_tT0_T1_T2_jT3_P12ihipStream_tbPNSt15iterator_traitsISI_E10value_typeEPNSO_ISJ_E10value_typeEPSK_NS1_7vsmem_tEENKUlT_SI_SJ_SK_E_clISE_PiSF_SF_EESH_SX_SI_SJ_SK_EUlSX_E_NS1_11comp_targetILNS1_3genE8ELNS1_11target_archE1030ELNS1_3gpuE2ELNS1_3repE0EEENS1_48merge_mergepath_partition_config_static_selectorELNS0_4arch9wavefront6targetE1EEEvSJ_.uses_flat_scratch, 0
	.set _ZN7rocprim17ROCPRIM_400000_NS6detail17trampoline_kernelINS0_14default_configENS1_38merge_sort_block_merge_config_selectorIiNS0_10empty_typeEEEZZNS1_27merge_sort_block_merge_implIS3_N6thrust23THRUST_200600_302600_NS6detail15normal_iteratorINS9_10device_ptrIiEEEEPS5_m17evens_before_oddsEE10hipError_tT0_T1_T2_jT3_P12ihipStream_tbPNSt15iterator_traitsISI_E10value_typeEPNSO_ISJ_E10value_typeEPSK_NS1_7vsmem_tEENKUlT_SI_SJ_SK_E_clISE_PiSF_SF_EESH_SX_SI_SJ_SK_EUlSX_E_NS1_11comp_targetILNS1_3genE8ELNS1_11target_archE1030ELNS1_3gpuE2ELNS1_3repE0EEENS1_48merge_mergepath_partition_config_static_selectorELNS0_4arch9wavefront6targetE1EEEvSJ_.has_dyn_sized_stack, 0
	.set _ZN7rocprim17ROCPRIM_400000_NS6detail17trampoline_kernelINS0_14default_configENS1_38merge_sort_block_merge_config_selectorIiNS0_10empty_typeEEEZZNS1_27merge_sort_block_merge_implIS3_N6thrust23THRUST_200600_302600_NS6detail15normal_iteratorINS9_10device_ptrIiEEEEPS5_m17evens_before_oddsEE10hipError_tT0_T1_T2_jT3_P12ihipStream_tbPNSt15iterator_traitsISI_E10value_typeEPNSO_ISJ_E10value_typeEPSK_NS1_7vsmem_tEENKUlT_SI_SJ_SK_E_clISE_PiSF_SF_EESH_SX_SI_SJ_SK_EUlSX_E_NS1_11comp_targetILNS1_3genE8ELNS1_11target_archE1030ELNS1_3gpuE2ELNS1_3repE0EEENS1_48merge_mergepath_partition_config_static_selectorELNS0_4arch9wavefront6targetE1EEEvSJ_.has_recursion, 0
	.set _ZN7rocprim17ROCPRIM_400000_NS6detail17trampoline_kernelINS0_14default_configENS1_38merge_sort_block_merge_config_selectorIiNS0_10empty_typeEEEZZNS1_27merge_sort_block_merge_implIS3_N6thrust23THRUST_200600_302600_NS6detail15normal_iteratorINS9_10device_ptrIiEEEEPS5_m17evens_before_oddsEE10hipError_tT0_T1_T2_jT3_P12ihipStream_tbPNSt15iterator_traitsISI_E10value_typeEPNSO_ISJ_E10value_typeEPSK_NS1_7vsmem_tEENKUlT_SI_SJ_SK_E_clISE_PiSF_SF_EESH_SX_SI_SJ_SK_EUlSX_E_NS1_11comp_targetILNS1_3genE8ELNS1_11target_archE1030ELNS1_3gpuE2ELNS1_3repE0EEENS1_48merge_mergepath_partition_config_static_selectorELNS0_4arch9wavefront6targetE1EEEvSJ_.has_indirect_call, 0
	.section	.AMDGPU.csdata,"",@progbits
; Kernel info:
; codeLenInByte = 0
; TotalNumSgprs: 6
; NumVgprs: 0
; NumAgprs: 0
; TotalNumVgprs: 0
; ScratchSize: 0
; MemoryBound: 0
; FloatMode: 240
; IeeeMode: 1
; LDSByteSize: 0 bytes/workgroup (compile time only)
; SGPRBlocks: 0
; VGPRBlocks: 0
; NumSGPRsForWavesPerEU: 6
; NumVGPRsForWavesPerEU: 1
; AccumOffset: 4
; Occupancy: 8
; WaveLimiterHint : 0
; COMPUTE_PGM_RSRC2:SCRATCH_EN: 0
; COMPUTE_PGM_RSRC2:USER_SGPR: 2
; COMPUTE_PGM_RSRC2:TRAP_HANDLER: 0
; COMPUTE_PGM_RSRC2:TGID_X_EN: 1
; COMPUTE_PGM_RSRC2:TGID_Y_EN: 0
; COMPUTE_PGM_RSRC2:TGID_Z_EN: 0
; COMPUTE_PGM_RSRC2:TIDIG_COMP_CNT: 0
; COMPUTE_PGM_RSRC3_GFX90A:ACCUM_OFFSET: 0
; COMPUTE_PGM_RSRC3_GFX90A:TG_SPLIT: 0
	.section	.text._ZN7rocprim17ROCPRIM_400000_NS6detail17trampoline_kernelINS0_14default_configENS1_38merge_sort_block_merge_config_selectorIiNS0_10empty_typeEEEZZNS1_27merge_sort_block_merge_implIS3_N6thrust23THRUST_200600_302600_NS6detail15normal_iteratorINS9_10device_ptrIiEEEEPS5_m17evens_before_oddsEE10hipError_tT0_T1_T2_jT3_P12ihipStream_tbPNSt15iterator_traitsISI_E10value_typeEPNSO_ISJ_E10value_typeEPSK_NS1_7vsmem_tEENKUlT_SI_SJ_SK_E_clISE_PiSF_SF_EESH_SX_SI_SJ_SK_EUlSX_E0_NS1_11comp_targetILNS1_3genE0ELNS1_11target_archE4294967295ELNS1_3gpuE0ELNS1_3repE0EEENS1_38merge_mergepath_config_static_selectorELNS0_4arch9wavefront6targetE1EEEvSJ_,"axG",@progbits,_ZN7rocprim17ROCPRIM_400000_NS6detail17trampoline_kernelINS0_14default_configENS1_38merge_sort_block_merge_config_selectorIiNS0_10empty_typeEEEZZNS1_27merge_sort_block_merge_implIS3_N6thrust23THRUST_200600_302600_NS6detail15normal_iteratorINS9_10device_ptrIiEEEEPS5_m17evens_before_oddsEE10hipError_tT0_T1_T2_jT3_P12ihipStream_tbPNSt15iterator_traitsISI_E10value_typeEPNSO_ISJ_E10value_typeEPSK_NS1_7vsmem_tEENKUlT_SI_SJ_SK_E_clISE_PiSF_SF_EESH_SX_SI_SJ_SK_EUlSX_E0_NS1_11comp_targetILNS1_3genE0ELNS1_11target_archE4294967295ELNS1_3gpuE0ELNS1_3repE0EEENS1_38merge_mergepath_config_static_selectorELNS0_4arch9wavefront6targetE1EEEvSJ_,comdat
	.protected	_ZN7rocprim17ROCPRIM_400000_NS6detail17trampoline_kernelINS0_14default_configENS1_38merge_sort_block_merge_config_selectorIiNS0_10empty_typeEEEZZNS1_27merge_sort_block_merge_implIS3_N6thrust23THRUST_200600_302600_NS6detail15normal_iteratorINS9_10device_ptrIiEEEEPS5_m17evens_before_oddsEE10hipError_tT0_T1_T2_jT3_P12ihipStream_tbPNSt15iterator_traitsISI_E10value_typeEPNSO_ISJ_E10value_typeEPSK_NS1_7vsmem_tEENKUlT_SI_SJ_SK_E_clISE_PiSF_SF_EESH_SX_SI_SJ_SK_EUlSX_E0_NS1_11comp_targetILNS1_3genE0ELNS1_11target_archE4294967295ELNS1_3gpuE0ELNS1_3repE0EEENS1_38merge_mergepath_config_static_selectorELNS0_4arch9wavefront6targetE1EEEvSJ_ ; -- Begin function _ZN7rocprim17ROCPRIM_400000_NS6detail17trampoline_kernelINS0_14default_configENS1_38merge_sort_block_merge_config_selectorIiNS0_10empty_typeEEEZZNS1_27merge_sort_block_merge_implIS3_N6thrust23THRUST_200600_302600_NS6detail15normal_iteratorINS9_10device_ptrIiEEEEPS5_m17evens_before_oddsEE10hipError_tT0_T1_T2_jT3_P12ihipStream_tbPNSt15iterator_traitsISI_E10value_typeEPNSO_ISJ_E10value_typeEPSK_NS1_7vsmem_tEENKUlT_SI_SJ_SK_E_clISE_PiSF_SF_EESH_SX_SI_SJ_SK_EUlSX_E0_NS1_11comp_targetILNS1_3genE0ELNS1_11target_archE4294967295ELNS1_3gpuE0ELNS1_3repE0EEENS1_38merge_mergepath_config_static_selectorELNS0_4arch9wavefront6targetE1EEEvSJ_
	.globl	_ZN7rocprim17ROCPRIM_400000_NS6detail17trampoline_kernelINS0_14default_configENS1_38merge_sort_block_merge_config_selectorIiNS0_10empty_typeEEEZZNS1_27merge_sort_block_merge_implIS3_N6thrust23THRUST_200600_302600_NS6detail15normal_iteratorINS9_10device_ptrIiEEEEPS5_m17evens_before_oddsEE10hipError_tT0_T1_T2_jT3_P12ihipStream_tbPNSt15iterator_traitsISI_E10value_typeEPNSO_ISJ_E10value_typeEPSK_NS1_7vsmem_tEENKUlT_SI_SJ_SK_E_clISE_PiSF_SF_EESH_SX_SI_SJ_SK_EUlSX_E0_NS1_11comp_targetILNS1_3genE0ELNS1_11target_archE4294967295ELNS1_3gpuE0ELNS1_3repE0EEENS1_38merge_mergepath_config_static_selectorELNS0_4arch9wavefront6targetE1EEEvSJ_
	.p2align	8
	.type	_ZN7rocprim17ROCPRIM_400000_NS6detail17trampoline_kernelINS0_14default_configENS1_38merge_sort_block_merge_config_selectorIiNS0_10empty_typeEEEZZNS1_27merge_sort_block_merge_implIS3_N6thrust23THRUST_200600_302600_NS6detail15normal_iteratorINS9_10device_ptrIiEEEEPS5_m17evens_before_oddsEE10hipError_tT0_T1_T2_jT3_P12ihipStream_tbPNSt15iterator_traitsISI_E10value_typeEPNSO_ISJ_E10value_typeEPSK_NS1_7vsmem_tEENKUlT_SI_SJ_SK_E_clISE_PiSF_SF_EESH_SX_SI_SJ_SK_EUlSX_E0_NS1_11comp_targetILNS1_3genE0ELNS1_11target_archE4294967295ELNS1_3gpuE0ELNS1_3repE0EEENS1_38merge_mergepath_config_static_selectorELNS0_4arch9wavefront6targetE1EEEvSJ_,@function
_ZN7rocprim17ROCPRIM_400000_NS6detail17trampoline_kernelINS0_14default_configENS1_38merge_sort_block_merge_config_selectorIiNS0_10empty_typeEEEZZNS1_27merge_sort_block_merge_implIS3_N6thrust23THRUST_200600_302600_NS6detail15normal_iteratorINS9_10device_ptrIiEEEEPS5_m17evens_before_oddsEE10hipError_tT0_T1_T2_jT3_P12ihipStream_tbPNSt15iterator_traitsISI_E10value_typeEPNSO_ISJ_E10value_typeEPSK_NS1_7vsmem_tEENKUlT_SI_SJ_SK_E_clISE_PiSF_SF_EESH_SX_SI_SJ_SK_EUlSX_E0_NS1_11comp_targetILNS1_3genE0ELNS1_11target_archE4294967295ELNS1_3gpuE0ELNS1_3repE0EEENS1_38merge_mergepath_config_static_selectorELNS0_4arch9wavefront6targetE1EEEvSJ_: ; @_ZN7rocprim17ROCPRIM_400000_NS6detail17trampoline_kernelINS0_14default_configENS1_38merge_sort_block_merge_config_selectorIiNS0_10empty_typeEEEZZNS1_27merge_sort_block_merge_implIS3_N6thrust23THRUST_200600_302600_NS6detail15normal_iteratorINS9_10device_ptrIiEEEEPS5_m17evens_before_oddsEE10hipError_tT0_T1_T2_jT3_P12ihipStream_tbPNSt15iterator_traitsISI_E10value_typeEPNSO_ISJ_E10value_typeEPSK_NS1_7vsmem_tEENKUlT_SI_SJ_SK_E_clISE_PiSF_SF_EESH_SX_SI_SJ_SK_EUlSX_E0_NS1_11comp_targetILNS1_3genE0ELNS1_11target_archE4294967295ELNS1_3gpuE0ELNS1_3repE0EEENS1_38merge_mergepath_config_static_selectorELNS0_4arch9wavefront6targetE1EEEvSJ_
; %bb.0:
	s_load_dwordx2 s[22:23], s[0:1], 0x48
	s_load_dword s5, s[0:1], 0x38
	s_add_u32 s18, s0, 0x48
	s_addc_u32 s19, s1, 0
	s_waitcnt lgkmcnt(0)
	s_mul_i32 s4, s23, s4
	s_add_i32 s3, s4, s3
	s_mul_i32 s3, s3, s22
	s_add_i32 s20, s3, s2
	s_cmp_ge_u32 s20, s5
	s_cbranch_scc1 .LBB440_75
; %bb.1:
	s_load_dwordx2 s[12:13], s[0:1], 0x40
	s_load_dwordx4 s[8:11], s[0:1], 0x8
	s_load_dwordx4 s[4:7], s[0:1], 0x28
	s_mov_b32 s21, 0
	s_lshl_b64 s[0:1], s[20:21], 3
	s_waitcnt lgkmcnt(0)
	s_add_u32 s0, s12, s0
	s_addc_u32 s1, s13, s1
	s_load_dwordx4 s[12:15], s[0:1], 0x0
	s_lshr_b64 s[0:1], s[6:7], 9
	s_and_b32 s0, s0, -2
	s_sub_i32 s30, 0, s0
	s_and_b32 s24, s20, s30
	s_mov_b32 s25, s21
	s_lshl_b64 s[0:1], s[24:25], 10
	s_lshl_b64 s[16:17], s[20:21], 10
	s_sub_u32 s3, s16, s0
	s_subb_u32 s23, s17, s1
	s_lshl_b64 s[24:25], s[24:25], 11
	s_add_u32 s24, s24, s6
	s_addc_u32 s25, s25, s7
	s_add_u32 s3, s24, s3
	s_addc_u32 s23, s25, s23
	s_waitcnt lgkmcnt(0)
	s_sub_u32 s26, s3, s14
	s_subb_u32 s15, s23, s15
	s_add_u32 s26, s26, 0x400
	s_addc_u32 s27, s15, 0
	v_mov_b64_e32 v[2:3], s[26:27]
	v_cmp_lt_u64_e32 vcc, s[4:5], v[2:3]
	s_and_b64 s[28:29], vcc, exec
	s_cselect_b32 s15, s4, s26
	s_or_b32 s26, s20, s30
	s_cmp_lg_u32 s26, -1
	s_cbranch_scc1 .LBB440_3
; %bb.2:
	s_sub_u32 s0, s24, s0
	s_subb_u32 s1, s25, s1
	v_mov_b64_e32 v[2:3], s[0:1]
	v_cmp_lt_u64_e32 vcc, s[4:5], v[2:3]
	s_and_b64 s[14:15], vcc, exec
	s_cselect_b32 s14, s4, s0
	s_add_u32 s0, s0, s6
	s_addc_u32 s1, s1, s7
	v_mov_b64_e32 v[2:3], s[0:1]
	v_cmp_lt_u64_e32 vcc, s[4:5], v[2:3]
	s_and_b64 s[6:7], vcc, exec
	s_cselect_b32 s15, s4, s0
.LBB440_3:
	s_lshr_b64 s[24:25], s[4:5], 10
	s_cmp_lg_u64 s[24:25], s[20:21]
	s_cselect_b64 s[6:7], -1, 0
	s_sub_u32 s0, s3, s12
	s_subb_u32 s1, s23, s13
	v_mov_b64_e32 v[2:3], s[0:1]
	v_cmp_lt_u64_e32 vcc, s[4:5], v[2:3]
	s_and_b64 s[26:27], vcc, exec
	s_cselect_b32 s26, s4, s0
	s_cselect_b32 s27, s5, s1
	s_sub_i32 s5, s14, s12
	s_sub_i32 s14, s15, s26
	s_lshl_b64 s[0:1], s[12:13], 2
	s_add_u32 s0, s8, s0
	s_addc_u32 s1, s9, s1
	s_lshl_b64 s[12:13], s[26:27], 2
	s_add_u32 s8, s8, s12
	s_addc_u32 s9, s9, s13
	s_cmp_lt_u32 s2, s22
	v_mov_b32_e32 v9, 0
	s_cselect_b32 s2, 12, 18
	global_load_dword v1, v9, s[18:19] offset:14
	s_add_u32 s2, s18, s2
	s_addc_u32 s3, s19, 0
	global_load_ushort v2, v9, s[2:3]
	s_cmp_eq_u64 s[24:25], s[20:21]
	v_lshlrev_b32_e32 v10, 2, v0
	s_waitcnt vmcnt(1)
	v_lshrrev_b32_e32 v3, 16, v1
	v_and_b32_e32 v1, 0xffff, v1
	v_mul_lo_u32 v1, v1, v3
	s_waitcnt vmcnt(0)
	v_mul_lo_u32 v1, v1, v2
	v_add_u32_e32 v14, v1, v0
	v_add_u32_e32 v12, v14, v1
	s_cbranch_scc1 .LBB440_5
; %bb.4:
	v_mov_b32_e32 v11, v9
	v_subrev_co_u32_e32 v8, vcc, s5, v0
	v_lshl_add_u64 v[2:3], s[0:1], 0, v[10:11]
	v_lshl_add_u64 v[4:5], v[8:9], 2, s[8:9]
	v_cndmask_b32_e32 v3, v5, v3, vcc
	v_cndmask_b32_e32 v2, v4, v2, vcc
	v_mov_b32_e32 v15, v9
	v_subrev_co_u32_e32 v8, vcc, s5, v14
	v_lshl_add_u64 v[4:5], v[14:15], 2, s[0:1]
	v_lshl_add_u64 v[6:7], v[8:9], 2, s[8:9]
	v_cndmask_b32_e32 v5, v7, v5, vcc
	v_cndmask_b32_e32 v4, v6, v4, vcc
	v_mov_b32_e32 v13, v9
	v_subrev_co_u32_e32 v8, vcc, s5, v12
	global_load_dword v2, v[2:3], off
	v_lshl_add_u64 v[6:7], v[8:9], 2, s[8:9]
	global_load_dword v3, v[4:5], off
	v_lshl_add_u64 v[4:5], v[12:13], 2, s[0:1]
	v_cndmask_b32_e32 v4, v6, v4, vcc
	v_add_u32_e32 v6, v12, v1
	v_cndmask_b32_e32 v5, v7, v5, vcc
	v_mov_b32_e32 v7, v9
	v_subrev_co_u32_e32 v8, vcc, s5, v6
	v_lshl_add_u64 v[16:17], v[6:7], 2, s[0:1]
	v_lshl_add_u64 v[18:19], v[8:9], 2, s[8:9]
	v_cndmask_b32_e32 v17, v19, v17, vcc
	v_cndmask_b32_e32 v16, v18, v16, vcc
	global_load_dword v4, v[4:5], off
	s_add_i32 s15, s5, s14
	global_load_dword v5, v[16:17], off
	v_add_u32_e32 v16, v6, v1
	v_mov_b32_e32 v17, v9
	v_subrev_co_u32_e32 v8, vcc, s5, v16
	v_lshl_add_u64 v[6:7], v[16:17], 2, s[0:1]
	v_lshl_add_u64 v[18:19], v[8:9], 2, s[8:9]
	v_add_u32_e32 v16, v16, v1
	v_cndmask_b32_e32 v7, v19, v7, vcc
	v_cndmask_b32_e32 v6, v18, v6, vcc
	v_subrev_co_u32_e32 v8, vcc, s5, v16
	v_lshl_add_u64 v[18:19], v[16:17], 2, s[0:1]
	v_lshl_add_u64 v[20:21], v[8:9], 2, s[8:9]
	v_add_u32_e32 v16, v16, v1
	v_cndmask_b32_e32 v19, v21, v19, vcc
	v_cndmask_b32_e32 v18, v20, v18, vcc
	v_subrev_co_u32_e32 v8, vcc, s5, v16
	global_load_dword v6, v[6:7], off
	v_lshl_add_u64 v[20:21], v[8:9], 2, s[8:9]
	global_load_dword v7, v[18:19], off
	v_lshl_add_u64 v[18:19], v[16:17], 2, s[0:1]
	v_cndmask_b32_e32 v19, v21, v19, vcc
	v_cndmask_b32_e32 v18, v20, v18, vcc
	global_load_dword v8, v[18:19], off
	v_add_u32_e32 v16, v16, v1
	s_mov_b64 s[2:3], -1
	v_mov_b32_e32 v11, s15
	s_cbranch_execz .LBB440_6
	s_branch .LBB440_19
.LBB440_5:
	s_mov_b64 s[2:3], 0
                                        ; implicit-def: $vgpr16
                                        ; implicit-def: $vgpr2_vgpr3_vgpr4_vgpr5_vgpr6_vgpr7_vgpr8_vgpr9
                                        ; implicit-def: $vgpr11
.LBB440_6:
	s_add_i32 s12, s5, s14
	s_waitcnt vmcnt(6)
	v_mov_b32_e32 v2, 0
	v_cmp_gt_u32_e32 vcc, s12, v0
	s_waitcnt vmcnt(5)
	v_mov_b32_e32 v3, v2
	s_waitcnt vmcnt(4)
	v_mov_b32_e32 v4, v2
	;; [unrolled: 2-line block ×6, first 2 shown]
	v_mov_b32_e32 v9, v2
	s_and_saveexec_b64 s[2:3], vcc
	s_cbranch_execnz .LBB440_76
; %bb.7:
	s_or_b64 exec, exec, s[2:3]
	v_cmp_gt_u32_e32 vcc, s12, v14
	s_and_saveexec_b64 s[2:3], vcc
	s_cbranch_execnz .LBB440_77
.LBB440_8:
	s_or_b64 exec, exec, s[2:3]
	v_cmp_gt_u32_e32 vcc, s12, v12
	s_and_saveexec_b64 s[2:3], vcc
	s_cbranch_execz .LBB440_10
.LBB440_9:
	v_mov_b32_e32 v13, 0
	v_subrev_co_u32_e32 v16, vcc, s5, v12
	v_mov_b32_e32 v17, v13
	v_lshl_add_u64 v[14:15], v[12:13], 2, s[0:1]
	v_lshl_add_u64 v[16:17], v[16:17], 2, s[8:9]
	v_cndmask_b32_e32 v15, v17, v15, vcc
	v_cndmask_b32_e32 v14, v16, v14, vcc
	global_load_dword v4, v[14:15], off
.LBB440_10:
	s_or_b64 exec, exec, s[2:3]
	v_add_u32_e32 v12, v12, v1
	v_cmp_gt_u32_e32 vcc, s12, v12
	s_and_saveexec_b64 s[2:3], vcc
	s_cbranch_execz .LBB440_12
; %bb.11:
	v_mov_b32_e32 v13, 0
	v_subrev_co_u32_e32 v16, vcc, s5, v12
	v_mov_b32_e32 v17, v13
	v_lshl_add_u64 v[14:15], v[12:13], 2, s[0:1]
	v_lshl_add_u64 v[16:17], v[16:17], 2, s[8:9]
	v_cndmask_b32_e32 v15, v17, v15, vcc
	v_cndmask_b32_e32 v14, v16, v14, vcc
	global_load_dword v5, v[14:15], off
.LBB440_12:
	s_or_b64 exec, exec, s[2:3]
	v_add_u32_e32 v12, v12, v1
	v_cmp_gt_u32_e32 vcc, s12, v12
	s_and_saveexec_b64 s[2:3], vcc
	s_cbranch_execz .LBB440_14
; %bb.13:
	v_mov_b32_e32 v13, 0
	v_subrev_co_u32_e32 v16, vcc, s5, v12
	v_mov_b32_e32 v17, v13
	v_lshl_add_u64 v[14:15], v[12:13], 2, s[0:1]
	v_lshl_add_u64 v[16:17], v[16:17], 2, s[8:9]
	v_cndmask_b32_e32 v15, v17, v15, vcc
	v_cndmask_b32_e32 v14, v16, v14, vcc
	global_load_dword v6, v[14:15], off
.LBB440_14:
	s_or_b64 exec, exec, s[2:3]
	v_add_u32_e32 v12, v12, v1
	v_cmp_gt_u32_e32 vcc, s12, v12
	s_and_saveexec_b64 s[2:3], vcc
	s_cbranch_execz .LBB440_16
; %bb.15:
	v_mov_b32_e32 v13, 0
	v_subrev_co_u32_e32 v16, vcc, s5, v12
	v_mov_b32_e32 v17, v13
	v_lshl_add_u64 v[14:15], v[12:13], 2, s[0:1]
	v_lshl_add_u64 v[16:17], v[16:17], 2, s[8:9]
	v_cndmask_b32_e32 v15, v17, v15, vcc
	v_cndmask_b32_e32 v14, v16, v14, vcc
	global_load_dword v7, v[14:15], off
.LBB440_16:
	s_or_b64 exec, exec, s[2:3]
	v_add_u32_e32 v12, v12, v1
	v_cmp_gt_u32_e32 vcc, s12, v12
	s_and_saveexec_b64 s[2:3], vcc
	s_cbranch_execz .LBB440_18
; %bb.17:
	v_mov_b32_e32 v13, 0
	v_subrev_co_u32_e32 v16, vcc, s5, v12
	v_mov_b32_e32 v17, v13
	v_lshl_add_u64 v[14:15], v[12:13], 2, s[0:1]
	v_lshl_add_u64 v[16:17], v[16:17], 2, s[8:9]
	v_cndmask_b32_e32 v15, v17, v15, vcc
	v_cndmask_b32_e32 v14, v16, v14, vcc
	global_load_dword v8, v[14:15], off
.LBB440_18:
	s_or_b64 exec, exec, s[2:3]
	v_add_u32_e32 v16, v12, v1
	v_cmp_gt_u32_e64 s[2:3], s12, v16
	v_mov_b32_e32 v11, s12
.LBB440_19:
	s_and_saveexec_b64 s[12:13], s[2:3]
	s_cbranch_execz .LBB440_21
; %bb.20:
	v_mov_b32_e32 v13, 0
	v_mov_b32_e32 v17, v13
	v_subrev_co_u32_e32 v12, vcc, s5, v16
	v_lshl_add_u64 v[14:15], v[16:17], 2, s[0:1]
	v_lshl_add_u64 v[12:13], v[12:13], 2, s[8:9]
	v_cndmask_b32_e32 v13, v13, v15, vcc
	v_cndmask_b32_e32 v12, v12, v14, vcc
	global_load_dword v9, v[12:13], off
.LBB440_21:
	s_or_b64 exec, exec, s[12:13]
	v_lshlrev_b32_e32 v1, 3, v0
	v_min_u32_e32 v13, v11, v1
	v_sub_u32_e64 v12, v13, s14 clamp
	v_min_u32_e32 v14, s5, v13
	v_cmp_lt_u32_e32 vcc, v12, v14
	s_waitcnt vmcnt(0)
	ds_write2st64_b32 v10, v2, v3 offset1:2
	ds_write2st64_b32 v10, v4, v5 offset0:4 offset1:6
	ds_write2st64_b32 v10, v6, v7 offset0:8 offset1:10
	;; [unrolled: 1-line block ×3, first 2 shown]
	s_waitcnt lgkmcnt(0)
	s_barrier
	s_and_saveexec_b64 s[0:1], vcc
	s_cbranch_execz .LBB440_25
; %bb.22:
	v_lshlrev_b32_e32 v15, 2, v13
	v_lshl_add_u32 v15, s5, 2, v15
	s_mov_b64 s[2:3], 0
.LBB440_23:                             ; =>This Inner Loop Header: Depth=1
	v_add_u32_e32 v16, v14, v12
	v_lshrrev_b32_e32 v16, 1, v16
	v_not_b32_e32 v17, v16
	v_lshlrev_b32_e32 v18, 2, v16
	v_lshl_add_u32 v17, v17, 2, v15
	ds_read_b32 v18, v18
	ds_read_b32 v17, v17
	v_add_u32_e32 v19, 1, v16
	s_waitcnt lgkmcnt(1)
	v_lshrrev_b32_e32 v20, 31, v18
	s_waitcnt lgkmcnt(0)
	v_lshrrev_b32_e32 v21, 31, v17
	v_add_u32_e32 v21, v17, v21
	v_add_u32_e32 v20, v18, v20
	v_and_b32_e32 v21, -2, v21
	v_cmp_lt_i32_e32 vcc, v17, v18
	v_and_b32_e32 v20, -2, v20
	v_sub_u32_e32 v17, v17, v21
	v_cndmask_b32_e64 v22, 0, 1, vcc
	v_sub_u32_e32 v18, v18, v20
	v_cmp_eq_u32_e32 vcc, 0, v17
	s_nop 1
	v_cndmask_b32_e64 v20, 0, 1, vcc
	v_cmp_eq_u32_e32 vcc, v17, v18
	s_nop 1
	v_cndmask_b32_e32 v17, v20, v22, vcc
	v_and_b32_e32 v17, 1, v17
	v_cmp_eq_u32_e32 vcc, 1, v17
	s_nop 1
	v_cndmask_b32_e32 v14, v14, v16, vcc
	v_cndmask_b32_e32 v12, v19, v12, vcc
	v_cmp_ge_u32_e32 vcc, v12, v14
	s_or_b64 s[2:3], vcc, s[2:3]
	s_andn2_b64 exec, exec, s[2:3]
	s_cbranch_execnz .LBB440_23
; %bb.24:
	s_or_b64 exec, exec, s[2:3]
.LBB440_25:
	s_or_b64 exec, exec, s[0:1]
	v_sub_u32_e32 v13, v13, v12
	v_add_u32_e32 v13, s5, v13
	v_cmp_ge_u32_e32 vcc, s5, v12
	v_cmp_le_u32_e64 s[0:1], v13, v11
	s_or_b64 s[0:1], vcc, s[0:1]
	s_and_saveexec_b64 s[2:3], s[0:1]
	s_xor_b64 s[2:3], exec, s[2:3]
	s_cbranch_execz .LBB440_61
; %bb.26:
	v_cmp_le_u32_e32 vcc, s5, v12
	v_cmp_gt_u32_e64 s[0:1], s5, v12
                                        ; implicit-def: $vgpr2
	s_and_saveexec_b64 s[8:9], s[0:1]
; %bb.27:
	v_lshlrev_b32_e32 v2, 2, v12
	ds_read_b32 v2, v2
; %bb.28:
	s_or_b64 exec, exec, s[8:9]
	v_cmp_ge_u32_e64 s[8:9], v13, v11
	v_cmp_lt_u32_e64 s[0:1], v13, v11
                                        ; implicit-def: $vgpr8
	s_and_saveexec_b64 s[12:13], s[0:1]
; %bb.29:
	v_lshlrev_b32_e32 v3, 2, v13
	ds_read_b32 v8, v3
; %bb.30:
	s_or_b64 exec, exec, s[12:13]
	s_nor_b64 s[12:13], vcc, s[8:9]
	s_and_saveexec_b64 s[0:1], s[12:13]
	s_cbranch_execz .LBB440_32
; %bb.31:
	s_waitcnt lgkmcnt(0)
	v_lshrrev_b32_e32 v3, 31, v8
	v_add_u32_e32 v3, v8, v3
	v_lshrrev_b32_e32 v4, 31, v2
	v_and_b32_e32 v3, -2, v3
	v_add_u32_e32 v4, v2, v4
	v_sub_u32_e32 v3, v8, v3
	v_and_b32_e32 v4, -2, v4
	v_cmp_ge_i32_e32 vcc, v8, v2
	v_sub_u32_e32 v4, v2, v4
	s_andn2_b64 s[8:9], s[8:9], exec
	v_cndmask_b32_e64 v5, 0, 1, vcc
	v_cmp_ne_u32_e32 vcc, 0, v3
	s_nop 1
	v_cndmask_b32_e64 v6, 0, 1, vcc
	v_cmp_eq_u32_e32 vcc, v3, v4
	s_nop 1
	v_cndmask_b32_e32 v3, v6, v5, vcc
	v_and_b32_e32 v3, 1, v3
	v_cmp_eq_u32_e32 vcc, 1, v3
	s_and_b64 s[12:13], vcc, exec
	s_or_b64 s[8:9], s[8:9], s[12:13]
.LBB440_32:
	s_or_b64 exec, exec, s[0:1]
	v_mov_b32_e32 v4, s5
	v_cndmask_b32_e64 v3, v13, v12, s[8:9]
	v_cndmask_b32_e64 v4, v11, v4, s[8:9]
	v_add_u32_e32 v5, 1, v3
	v_add_u32_e32 v3, -1, v4
	v_min_u32_e32 v3, v5, v3
	v_lshlrev_b32_e32 v3, 2, v3
	ds_read_b32 v6, v3
	v_cndmask_b32_e64 v4, v5, v13, s[8:9]
	v_cndmask_b32_e64 v5, v12, v5, s[8:9]
	v_cmp_lt_u32_e32 vcc, v4, v11
	s_mov_b64 s[12:13], -1
	s_waitcnt lgkmcnt(0)
	v_cndmask_b32_e64 v3, v6, v8, s[8:9]
	v_cndmask_b32_e64 v9, v2, v6, s[8:9]
	s_mov_b64 s[0:1], -1
	s_and_saveexec_b64 s[14:15], vcc
	s_cbranch_execz .LBB440_36
; %bb.33:
	v_cmp_gt_u32_e32 vcc, s5, v5
	s_mov_b64 s[18:19], 0
	s_and_saveexec_b64 s[0:1], vcc
	s_cbranch_execz .LBB440_35
; %bb.34:
	v_lshrrev_b32_e32 v6, 31, v3
	v_add_u32_e32 v6, v3, v6
	v_lshrrev_b32_e32 v7, 31, v9
	v_and_b32_e32 v6, -2, v6
	v_add_u32_e32 v7, v9, v7
	v_sub_u32_e32 v6, v3, v6
	v_and_b32_e32 v7, -2, v7
	v_cmp_ge_i32_e32 vcc, v3, v9
	v_sub_u32_e32 v7, v9, v7
	s_nop 0
	v_cndmask_b32_e64 v12, 0, 1, vcc
	v_cmp_ne_u32_e32 vcc, 0, v6
	s_nop 1
	v_cndmask_b32_e64 v13, 0, 1, vcc
	v_cmp_eq_u32_e32 vcc, v6, v7
	s_nop 1
	v_cndmask_b32_e32 v6, v13, v12, vcc
	v_and_b32_e32 v6, 1, v6
	v_cmp_eq_u32_e32 vcc, 1, v6
	s_and_b64 s[18:19], vcc, exec
.LBB440_35:
	s_or_b64 exec, exec, s[0:1]
	s_orn2_b64 s[0:1], s[18:19], exec
.LBB440_36:
	s_or_b64 exec, exec, s[14:15]
	v_mov_b32_e32 v7, s5
	v_cndmask_b32_e64 v6, v4, v5, s[0:1]
	v_cndmask_b32_e64 v7, v11, v7, s[0:1]
	v_add_u32_e32 v13, 1, v6
	v_add_u32_e32 v6, -1, v7
	v_min_u32_e32 v6, v13, v6
	v_lshlrev_b32_e32 v6, 2, v6
	ds_read_b32 v7, v6
	v_cndmask_b32_e64 v6, v13, v4, s[0:1]
	v_cmp_lt_u32_e32 vcc, v6, v11
	s_waitcnt lgkmcnt(0)
	v_cndmask_b32_e64 v4, v7, v3, s[0:1]
	v_cndmask_b32_e64 v12, v9, v7, s[0:1]
	;; [unrolled: 1-line block ×3, first 2 shown]
	s_and_saveexec_b64 s[14:15], vcc
	s_cbranch_execz .LBB440_40
; %bb.37:
	v_cmp_gt_u32_e32 vcc, s5, v7
	s_mov_b64 s[18:19], 0
	s_and_saveexec_b64 s[12:13], vcc
	s_cbranch_execz .LBB440_39
; %bb.38:
	v_lshrrev_b32_e32 v5, 31, v4
	v_add_u32_e32 v5, v4, v5
	v_lshrrev_b32_e32 v13, 31, v12
	v_and_b32_e32 v5, -2, v5
	v_add_u32_e32 v13, v12, v13
	v_sub_u32_e32 v5, v4, v5
	v_and_b32_e32 v13, -2, v13
	v_cmp_ge_i32_e32 vcc, v4, v12
	v_sub_u32_e32 v13, v12, v13
	s_nop 0
	v_cndmask_b32_e64 v14, 0, 1, vcc
	v_cmp_ne_u32_e32 vcc, 0, v5
	s_nop 1
	v_cndmask_b32_e64 v15, 0, 1, vcc
	v_cmp_eq_u32_e32 vcc, v5, v13
	s_nop 1
	v_cndmask_b32_e32 v5, v15, v14, vcc
	v_and_b32_e32 v5, 1, v5
	v_cmp_eq_u32_e32 vcc, 1, v5
	s_and_b64 s[18:19], vcc, exec
.LBB440_39:
	s_or_b64 exec, exec, s[12:13]
	s_orn2_b64 s[12:13], s[18:19], exec
.LBB440_40:
	s_or_b64 exec, exec, s[14:15]
	v_mov_b32_e32 v13, s5
	v_cndmask_b32_e64 v5, v6, v7, s[12:13]
	v_cndmask_b32_e64 v13, v11, v13, s[12:13]
	v_add_u32_e32 v14, 1, v5
	v_add_u32_e32 v5, -1, v13
	v_min_u32_e32 v5, v14, v5
	v_lshlrev_b32_e32 v5, 2, v5
	ds_read_b32 v13, v5
	v_cndmask_b32_e64 v6, v14, v6, s[12:13]
	v_cndmask_b32_e64 v7, v7, v14, s[12:13]
	v_cmp_lt_u32_e32 vcc, v6, v11
	s_mov_b64 s[18:19], -1
	s_waitcnt lgkmcnt(0)
	v_cndmask_b32_e64 v5, v13, v4, s[12:13]
	v_cndmask_b32_e64 v13, v12, v13, s[12:13]
	s_mov_b64 s[14:15], -1
	s_and_saveexec_b64 s[20:21], vcc
	s_cbranch_execz .LBB440_44
; %bb.41:
	v_cmp_gt_u32_e32 vcc, s5, v7
	s_mov_b64 s[22:23], 0
	s_and_saveexec_b64 s[14:15], vcc
	s_cbranch_execz .LBB440_43
; %bb.42:
	v_lshrrev_b32_e32 v14, 31, v5
	v_add_u32_e32 v14, v5, v14
	v_lshrrev_b32_e32 v15, 31, v13
	v_and_b32_e32 v14, -2, v14
	v_add_u32_e32 v15, v13, v15
	v_sub_u32_e32 v14, v5, v14
	v_and_b32_e32 v15, -2, v15
	v_cmp_ge_i32_e32 vcc, v5, v13
	v_sub_u32_e32 v15, v13, v15
	s_nop 0
	v_cndmask_b32_e64 v16, 0, 1, vcc
	v_cmp_ne_u32_e32 vcc, 0, v14
	s_nop 1
	v_cndmask_b32_e64 v17, 0, 1, vcc
	v_cmp_eq_u32_e32 vcc, v14, v15
	s_nop 1
	v_cndmask_b32_e32 v14, v17, v16, vcc
	v_and_b32_e32 v14, 1, v14
	v_cmp_eq_u32_e32 vcc, 1, v14
	s_and_b64 s[22:23], vcc, exec
.LBB440_43:
	s_or_b64 exec, exec, s[14:15]
	s_orn2_b64 s[14:15], s[22:23], exec
.LBB440_44:
	s_or_b64 exec, exec, s[20:21]
	v_mov_b32_e32 v15, s5
	v_cndmask_b32_e64 v14, v6, v7, s[14:15]
	v_cndmask_b32_e64 v15, v11, v15, s[14:15]
	v_add_u32_e32 v16, 1, v14
	v_add_u32_e32 v14, -1, v15
	v_min_u32_e32 v14, v16, v14
	v_lshlrev_b32_e32 v14, 2, v14
	ds_read_b32 v14, v14
	v_cndmask_b32_e64 v15, v16, v6, s[14:15]
	v_cndmask_b32_e64 v16, v7, v16, s[14:15]
	v_cmp_lt_u32_e32 vcc, v15, v11
	s_waitcnt lgkmcnt(0)
	v_cndmask_b32_e64 v6, v14, v5, s[14:15]
	v_cndmask_b32_e64 v14, v13, v14, s[14:15]
	s_and_saveexec_b64 s[20:21], vcc
	s_cbranch_execz .LBB440_48
; %bb.45:
	v_cmp_gt_u32_e32 vcc, s5, v16
	s_mov_b64 s[22:23], 0
	s_and_saveexec_b64 s[18:19], vcc
	s_cbranch_execz .LBB440_47
; %bb.46:
	v_lshrrev_b32_e32 v7, 31, v6
	v_add_u32_e32 v7, v6, v7
	v_lshrrev_b32_e32 v17, 31, v14
	v_and_b32_e32 v7, -2, v7
	v_add_u32_e32 v17, v14, v17
	v_sub_u32_e32 v7, v6, v7
	v_and_b32_e32 v17, -2, v17
	v_cmp_ge_i32_e32 vcc, v6, v14
	v_sub_u32_e32 v17, v14, v17
	s_nop 0
	v_cndmask_b32_e64 v18, 0, 1, vcc
	v_cmp_ne_u32_e32 vcc, 0, v7
	s_nop 1
	v_cndmask_b32_e64 v19, 0, 1, vcc
	v_cmp_eq_u32_e32 vcc, v7, v17
	s_nop 1
	v_cndmask_b32_e32 v7, v19, v18, vcc
	v_and_b32_e32 v7, 1, v7
	v_cmp_eq_u32_e32 vcc, 1, v7
	s_and_b64 s[22:23], vcc, exec
.LBB440_47:
	s_or_b64 exec, exec, s[18:19]
	s_orn2_b64 s[18:19], s[22:23], exec
.LBB440_48:
	s_or_b64 exec, exec, s[20:21]
	v_mov_b32_e32 v17, s5
	v_cndmask_b32_e64 v7, v15, v16, s[18:19]
	v_cndmask_b32_e64 v17, v11, v17, s[18:19]
	v_add_u32_e32 v18, 1, v7
	v_add_u32_e32 v7, -1, v17
	v_min_u32_e32 v7, v18, v7
	v_lshlrev_b32_e32 v7, 2, v7
	ds_read_b32 v17, v7
	v_cndmask_b32_e64 v15, v18, v15, s[18:19]
	v_cndmask_b32_e64 v18, v16, v18, s[18:19]
	v_cmp_lt_u32_e32 vcc, v15, v11
	s_mov_b64 s[20:21], -1
	s_waitcnt lgkmcnt(0)
	v_cndmask_b32_e64 v7, v17, v6, s[18:19]
	v_cndmask_b32_e64 v17, v14, v17, s[18:19]
	s_mov_b64 s[22:23], -1
	s_and_saveexec_b64 s[24:25], vcc
	s_cbranch_execz .LBB440_52
; %bb.49:
	v_cmp_gt_u32_e32 vcc, s5, v18
	s_mov_b64 s[26:27], 0
	s_and_saveexec_b64 s[22:23], vcc
	s_cbranch_execz .LBB440_51
; %bb.50:
	v_lshrrev_b32_e32 v16, 31, v7
	v_add_u32_e32 v16, v7, v16
	v_lshrrev_b32_e32 v19, 31, v17
	v_and_b32_e32 v16, -2, v16
	v_add_u32_e32 v19, v17, v19
	v_sub_u32_e32 v16, v7, v16
	v_and_b32_e32 v19, -2, v19
	v_cmp_ge_i32_e32 vcc, v7, v17
	v_sub_u32_e32 v19, v17, v19
	s_nop 0
	v_cndmask_b32_e64 v20, 0, 1, vcc
	v_cmp_ne_u32_e32 vcc, 0, v16
	s_nop 1
	v_cndmask_b32_e64 v21, 0, 1, vcc
	v_cmp_eq_u32_e32 vcc, v16, v19
	s_nop 1
	v_cndmask_b32_e32 v16, v21, v20, vcc
	v_and_b32_e32 v16, 1, v16
	v_cmp_eq_u32_e32 vcc, 1, v16
	s_and_b64 s[26:27], vcc, exec
.LBB440_51:
	s_or_b64 exec, exec, s[22:23]
	s_orn2_b64 s[22:23], s[26:27], exec
.LBB440_52:
	s_or_b64 exec, exec, s[24:25]
	v_mov_b32_e32 v19, s5
	v_cndmask_b32_e64 v16, v15, v18, s[22:23]
	v_cndmask_b32_e64 v19, v11, v19, s[22:23]
	v_add_u32_e32 v20, 1, v16
	v_add_u32_e32 v16, -1, v19
	v_min_u32_e32 v16, v20, v16
	v_lshlrev_b32_e32 v16, 2, v16
	ds_read_b32 v16, v16
	v_cndmask_b32_e64 v19, v20, v15, s[22:23]
	v_cndmask_b32_e64 v18, v18, v20, s[22:23]
	v_cmp_lt_u32_e32 vcc, v19, v11
	s_waitcnt lgkmcnt(0)
	v_cndmask_b32_e64 v15, v16, v7, s[22:23]
	v_cndmask_b32_e64 v16, v17, v16, s[22:23]
	s_and_saveexec_b64 s[24:25], vcc
	s_cbranch_execz .LBB440_56
; %bb.53:
	v_cmp_gt_u32_e32 vcc, s5, v18
	s_mov_b64 s[26:27], 0
	s_and_saveexec_b64 s[20:21], vcc
	s_cbranch_execz .LBB440_55
; %bb.54:
	v_lshrrev_b32_e32 v20, 31, v15
	v_add_u32_e32 v20, v15, v20
	v_lshrrev_b32_e32 v21, 31, v16
	v_and_b32_e32 v20, -2, v20
	v_add_u32_e32 v21, v16, v21
	v_sub_u32_e32 v20, v15, v20
	v_and_b32_e32 v21, -2, v21
	v_cmp_ge_i32_e32 vcc, v15, v16
	v_sub_u32_e32 v21, v16, v21
	s_nop 0
	v_cndmask_b32_e64 v22, 0, 1, vcc
	v_cmp_ne_u32_e32 vcc, 0, v20
	s_nop 1
	v_cndmask_b32_e64 v23, 0, 1, vcc
	v_cmp_eq_u32_e32 vcc, v20, v21
	s_nop 1
	v_cndmask_b32_e32 v20, v23, v22, vcc
	v_and_b32_e32 v20, 1, v20
	v_cmp_eq_u32_e32 vcc, 1, v20
	s_and_b64 s[26:27], vcc, exec
.LBB440_55:
	s_or_b64 exec, exec, s[20:21]
	s_orn2_b64 s[20:21], s[26:27], exec
.LBB440_56:
	s_or_b64 exec, exec, s[24:25]
	v_cndmask_b32_e64 v7, v7, v17, s[22:23]
	v_mov_b32_e32 v17, s5
	v_cndmask_b32_e64 v6, v6, v14, s[18:19]
	v_cndmask_b32_e64 v14, v19, v18, s[20:21]
	;; [unrolled: 1-line block ×3, first 2 shown]
	v_add_u32_e32 v14, 1, v14
	v_add_u32_e32 v17, -1, v17
	v_min_u32_e32 v17, v14, v17
	v_lshlrev_b32_e32 v17, 2, v17
	ds_read_b32 v17, v17
	v_cndmask_b32_e64 v2, v8, v2, s[8:9]
	v_cndmask_b32_e64 v8, v14, v19, s[20:21]
	;; [unrolled: 1-line block ×5, first 2 shown]
	s_waitcnt lgkmcnt(0)
	v_cndmask_b32_e64 v9, v16, v17, s[20:21]
	v_cmp_lt_u32_e32 vcc, v8, v11
	s_and_saveexec_b64 s[0:1], vcc
	s_cbranch_execz .LBB440_60
; %bb.57:
	v_cndmask_b32_e64 v11, v18, v14, s[20:21]
	v_cndmask_b32_e64 v8, v17, v15, s[20:21]
	v_cmp_gt_u32_e32 vcc, s5, v11
	s_and_saveexec_b64 s[8:9], vcc
	s_cbranch_execz .LBB440_59
; %bb.58:
	v_lshrrev_b32_e32 v11, 31, v8
	v_add_u32_e32 v11, v8, v11
	v_lshrrev_b32_e32 v12, 31, v9
	v_and_b32_e32 v11, -2, v11
	v_add_u32_e32 v12, v9, v12
	v_sub_u32_e32 v11, v8, v11
	v_and_b32_e32 v12, -2, v12
	v_cmp_ge_i32_e32 vcc, v8, v9
	v_sub_u32_e32 v12, v9, v12
	s_nop 0
	v_cndmask_b32_e64 v13, 0, 1, vcc
	v_cmp_ne_u32_e32 vcc, 0, v11
	s_nop 1
	v_cndmask_b32_e64 v14, 0, 1, vcc
	v_cmp_eq_u32_e32 vcc, v11, v12
	s_nop 1
	v_cndmask_b32_e32 v11, v14, v13, vcc
	v_and_b32_e32 v11, 1, v11
	v_cmp_eq_u32_e32 vcc, 1, v11
	s_nop 1
	v_cndmask_b32_e32 v8, v8, v9, vcc
.LBB440_59:
	s_or_b64 exec, exec, s[8:9]
	v_mov_b32_e32 v9, v8
.LBB440_60:
	s_or_b64 exec, exec, s[0:1]
	v_cndmask_b32_e64 v8, v15, v16, s[20:21]
.LBB440_61:
	s_andn2_saveexec_b64 s[0:1], s[2:3]
	s_or_b64 exec, exec, s[0:1]
	v_and_b32_e32 v11, 0x7c, v0
	v_lshl_add_u32 v1, v1, 2, v11
	s_barrier
	s_barrier
	ds_write2_b32 v1, v2, v3 offset1:1
	ds_write2_b32 v1, v4, v5 offset0:2 offset1:3
	ds_write2_b32 v1, v6, v7 offset0:4 offset1:5
	;; [unrolled: 1-line block ×3, first 2 shown]
	v_lshrrev_b32_e32 v1, 3, v0
	v_and_b32_e32 v1, 12, v1
	v_or_b32_e32 v9, 0x80, v0
	v_add_u32_e32 v12, v1, v10
	v_lshrrev_b32_e32 v1, 3, v9
	v_and_b32_e32 v1, 28, v1
	v_or_b32_e32 v8, 0x100, v0
	v_add_u32_e32 v13, v1, v10
	;; [unrolled: 4-line block ×6, first 2 shown]
	v_lshrrev_b32_e32 v1, 3, v4
	v_and_b32_e32 v1, 0x6c, v1
	s_lshl_b64 s[0:1], s[16:17], 2
	v_add_u32_e32 v18, v1, v10
	v_or_b32_e32 v1, 0x380, v0
	s_add_u32 s0, s10, s0
	v_lshrrev_b32_e32 v2, 3, v1
	s_addc_u32 s1, s11, s1
	v_and_b32_e32 v2, 0x7c, v2
	v_mov_b32_e32 v11, 0
	v_add_u32_e32 v19, v2, v10
	v_lshl_add_u64 v[2:3], s[0:1], 0, v[10:11]
	s_and_b64 vcc, exec, s[6:7]
	s_waitcnt lgkmcnt(0)
	s_cbranch_vccz .LBB440_63
; %bb.62:
	s_barrier
	ds_read_b32 v10, v12
	ds_read_b32 v11, v13 offset:512
	ds_read_b32 v20, v14 offset:1024
	ds_read_b32 v21, v15 offset:1536
	ds_read_b32 v23, v16 offset:2048
	ds_read_b32 v24, v17 offset:2560
	ds_read_b32 v25, v18 offset:3072
	ds_read_b32 v22, v19 offset:3584
	s_waitcnt lgkmcnt(7)
	global_store_dword v[2:3], v10, off
	s_waitcnt lgkmcnt(6)
	global_store_dword v[2:3], v11, off offset:512
	s_waitcnt lgkmcnt(5)
	global_store_dword v[2:3], v20, off offset:1024
	;; [unrolled: 2-line block ×6, first 2 shown]
	s_mov_b64 s[0:1], -1
	s_cbranch_execz .LBB440_64
	s_branch .LBB440_73
.LBB440_63:
	s_mov_b64 s[0:1], 0
                                        ; implicit-def: $vgpr22
.LBB440_64:
	s_barrier
	s_waitcnt lgkmcnt(0)
	ds_read_b32 v21, v13 offset:512
	ds_read_b32 v20, v14 offset:1024
	;; [unrolled: 1-line block ×7, first 2 shown]
	s_sub_i32 s2, s4, s16
	v_cmp_gt_u32_e32 vcc, s2, v0
	s_and_saveexec_b64 s[0:1], vcc
	s_cbranch_execnz .LBB440_78
; %bb.65:
	s_or_b64 exec, exec, s[0:1]
	v_cmp_gt_u32_e32 vcc, s2, v9
	s_and_saveexec_b64 s[0:1], vcc
	s_cbranch_execnz .LBB440_79
.LBB440_66:
	s_or_b64 exec, exec, s[0:1]
	v_cmp_gt_u32_e32 vcc, s2, v8
	s_and_saveexec_b64 s[0:1], vcc
	s_cbranch_execnz .LBB440_80
.LBB440_67:
	s_or_b64 exec, exec, s[0:1]
	v_cmp_gt_u32_e32 vcc, s2, v7
	s_and_saveexec_b64 s[0:1], vcc
	s_cbranch_execnz .LBB440_81
.LBB440_68:
	s_or_b64 exec, exec, s[0:1]
	v_cmp_gt_u32_e32 vcc, s2, v6
	s_and_saveexec_b64 s[0:1], vcc
	s_cbranch_execnz .LBB440_82
.LBB440_69:
	s_or_b64 exec, exec, s[0:1]
	v_cmp_gt_u32_e32 vcc, s2, v5
	s_and_saveexec_b64 s[0:1], vcc
	s_cbranch_execnz .LBB440_83
.LBB440_70:
	s_or_b64 exec, exec, s[0:1]
	v_cmp_gt_u32_e32 vcc, s2, v4
	s_and_saveexec_b64 s[0:1], vcc
	s_cbranch_execz .LBB440_72
.LBB440_71:
	s_waitcnt lgkmcnt(1)
	global_store_dword v[2:3], v10, off offset:3072
.LBB440_72:
	s_or_b64 exec, exec, s[0:1]
	v_cmp_gt_u32_e64 s[0:1], s2, v1
.LBB440_73:
	s_and_saveexec_b64 s[2:3], s[0:1]
	s_cbranch_execz .LBB440_75
; %bb.74:
	s_waitcnt lgkmcnt(0)
	global_store_dword v[2:3], v22, off offset:3584
.LBB440_75:
	s_endpgm
.LBB440_76:
	v_mov_b32_e32 v11, v2
	v_subrev_co_u32_e32 v6, vcc, s5, v0
	v_mov_b32_e32 v7, v2
	v_lshl_add_u64 v[4:5], s[0:1], 0, v[10:11]
	v_lshl_add_u64 v[6:7], v[6:7], 2, s[8:9]
	v_cndmask_b32_e32 v5, v7, v5, vcc
	v_cndmask_b32_e32 v4, v6, v4, vcc
	global_load_dword v16, v[4:5], off
	v_mov_b32_e32 v17, v2
	v_mov_b32_e32 v18, v2
	;; [unrolled: 1-line block ×7, first 2 shown]
	s_waitcnt vmcnt(0)
	v_mov_b64_e32 v[2:3], v[16:17]
	v_mov_b64_e32 v[4:5], v[18:19]
	;; [unrolled: 1-line block ×4, first 2 shown]
	s_or_b64 exec, exec, s[2:3]
	v_cmp_gt_u32_e32 vcc, s12, v14
	s_and_saveexec_b64 s[2:3], vcc
	s_cbranch_execz .LBB440_8
.LBB440_77:
	v_mov_b32_e32 v15, 0
	v_lshl_add_u64 v[16:17], v[14:15], 2, s[0:1]
	v_subrev_co_u32_e32 v14, vcc, s5, v14
	v_lshl_add_u64 v[14:15], v[14:15], 2, s[8:9]
	s_nop 0
	v_cndmask_b32_e32 v15, v15, v17, vcc
	v_cndmask_b32_e32 v14, v14, v16, vcc
	global_load_dword v3, v[14:15], off
	s_or_b64 exec, exec, s[2:3]
	v_cmp_gt_u32_e32 vcc, s12, v12
	s_and_saveexec_b64 s[2:3], vcc
	s_cbranch_execnz .LBB440_9
	s_branch .LBB440_10
.LBB440_78:
	ds_read_b32 v0, v12
	s_waitcnt lgkmcnt(0)
	global_store_dword v[2:3], v0, off
	s_or_b64 exec, exec, s[0:1]
	v_cmp_gt_u32_e32 vcc, s2, v9
	s_and_saveexec_b64 s[0:1], vcc
	s_cbranch_execz .LBB440_66
.LBB440_79:
	s_waitcnt lgkmcnt(6)
	global_store_dword v[2:3], v21, off offset:512
	s_or_b64 exec, exec, s[0:1]
	v_cmp_gt_u32_e32 vcc, s2, v8
	s_and_saveexec_b64 s[0:1], vcc
	s_cbranch_execz .LBB440_67
.LBB440_80:
	s_waitcnt lgkmcnt(5)
	global_store_dword v[2:3], v20, off offset:1024
	s_or_b64 exec, exec, s[0:1]
	v_cmp_gt_u32_e32 vcc, s2, v7
	s_and_saveexec_b64 s[0:1], vcc
	s_cbranch_execz .LBB440_68
.LBB440_81:
	s_waitcnt lgkmcnt(4)
	global_store_dword v[2:3], v14, off offset:1536
	s_or_b64 exec, exec, s[0:1]
	v_cmp_gt_u32_e32 vcc, s2, v6
	s_and_saveexec_b64 s[0:1], vcc
	s_cbranch_execz .LBB440_69
.LBB440_82:
	s_waitcnt lgkmcnt(3)
	global_store_dword v[2:3], v13, off offset:2048
	s_or_b64 exec, exec, s[0:1]
	v_cmp_gt_u32_e32 vcc, s2, v5
	s_and_saveexec_b64 s[0:1], vcc
	s_cbranch_execz .LBB440_70
.LBB440_83:
	s_waitcnt lgkmcnt(2)
	global_store_dword v[2:3], v11, off offset:2560
	s_or_b64 exec, exec, s[0:1]
	v_cmp_gt_u32_e32 vcc, s2, v4
	s_and_saveexec_b64 s[0:1], vcc
	s_cbranch_execnz .LBB440_71
	s_branch .LBB440_72
	.section	.rodata,"a",@progbits
	.p2align	6, 0x0
	.amdhsa_kernel _ZN7rocprim17ROCPRIM_400000_NS6detail17trampoline_kernelINS0_14default_configENS1_38merge_sort_block_merge_config_selectorIiNS0_10empty_typeEEEZZNS1_27merge_sort_block_merge_implIS3_N6thrust23THRUST_200600_302600_NS6detail15normal_iteratorINS9_10device_ptrIiEEEEPS5_m17evens_before_oddsEE10hipError_tT0_T1_T2_jT3_P12ihipStream_tbPNSt15iterator_traitsISI_E10value_typeEPNSO_ISJ_E10value_typeEPSK_NS1_7vsmem_tEENKUlT_SI_SJ_SK_E_clISE_PiSF_SF_EESH_SX_SI_SJ_SK_EUlSX_E0_NS1_11comp_targetILNS1_3genE0ELNS1_11target_archE4294967295ELNS1_3gpuE0ELNS1_3repE0EEENS1_38merge_mergepath_config_static_selectorELNS0_4arch9wavefront6targetE1EEEvSJ_
		.amdhsa_group_segment_fixed_size 4224
		.amdhsa_private_segment_fixed_size 0
		.amdhsa_kernarg_size 328
		.amdhsa_user_sgpr_count 2
		.amdhsa_user_sgpr_dispatch_ptr 0
		.amdhsa_user_sgpr_queue_ptr 0
		.amdhsa_user_sgpr_kernarg_segment_ptr 1
		.amdhsa_user_sgpr_dispatch_id 0
		.amdhsa_user_sgpr_kernarg_preload_length 0
		.amdhsa_user_sgpr_kernarg_preload_offset 0
		.amdhsa_user_sgpr_private_segment_size 0
		.amdhsa_uses_dynamic_stack 0
		.amdhsa_enable_private_segment 0
		.amdhsa_system_sgpr_workgroup_id_x 1
		.amdhsa_system_sgpr_workgroup_id_y 1
		.amdhsa_system_sgpr_workgroup_id_z 1
		.amdhsa_system_sgpr_workgroup_info 0
		.amdhsa_system_vgpr_workitem_id 0
		.amdhsa_next_free_vgpr 26
		.amdhsa_next_free_sgpr 31
		.amdhsa_accum_offset 28
		.amdhsa_reserve_vcc 1
		.amdhsa_float_round_mode_32 0
		.amdhsa_float_round_mode_16_64 0
		.amdhsa_float_denorm_mode_32 3
		.amdhsa_float_denorm_mode_16_64 3
		.amdhsa_dx10_clamp 1
		.amdhsa_ieee_mode 1
		.amdhsa_fp16_overflow 0
		.amdhsa_tg_split 0
		.amdhsa_exception_fp_ieee_invalid_op 0
		.amdhsa_exception_fp_denorm_src 0
		.amdhsa_exception_fp_ieee_div_zero 0
		.amdhsa_exception_fp_ieee_overflow 0
		.amdhsa_exception_fp_ieee_underflow 0
		.amdhsa_exception_fp_ieee_inexact 0
		.amdhsa_exception_int_div_zero 0
	.end_amdhsa_kernel
	.section	.text._ZN7rocprim17ROCPRIM_400000_NS6detail17trampoline_kernelINS0_14default_configENS1_38merge_sort_block_merge_config_selectorIiNS0_10empty_typeEEEZZNS1_27merge_sort_block_merge_implIS3_N6thrust23THRUST_200600_302600_NS6detail15normal_iteratorINS9_10device_ptrIiEEEEPS5_m17evens_before_oddsEE10hipError_tT0_T1_T2_jT3_P12ihipStream_tbPNSt15iterator_traitsISI_E10value_typeEPNSO_ISJ_E10value_typeEPSK_NS1_7vsmem_tEENKUlT_SI_SJ_SK_E_clISE_PiSF_SF_EESH_SX_SI_SJ_SK_EUlSX_E0_NS1_11comp_targetILNS1_3genE0ELNS1_11target_archE4294967295ELNS1_3gpuE0ELNS1_3repE0EEENS1_38merge_mergepath_config_static_selectorELNS0_4arch9wavefront6targetE1EEEvSJ_,"axG",@progbits,_ZN7rocprim17ROCPRIM_400000_NS6detail17trampoline_kernelINS0_14default_configENS1_38merge_sort_block_merge_config_selectorIiNS0_10empty_typeEEEZZNS1_27merge_sort_block_merge_implIS3_N6thrust23THRUST_200600_302600_NS6detail15normal_iteratorINS9_10device_ptrIiEEEEPS5_m17evens_before_oddsEE10hipError_tT0_T1_T2_jT3_P12ihipStream_tbPNSt15iterator_traitsISI_E10value_typeEPNSO_ISJ_E10value_typeEPSK_NS1_7vsmem_tEENKUlT_SI_SJ_SK_E_clISE_PiSF_SF_EESH_SX_SI_SJ_SK_EUlSX_E0_NS1_11comp_targetILNS1_3genE0ELNS1_11target_archE4294967295ELNS1_3gpuE0ELNS1_3repE0EEENS1_38merge_mergepath_config_static_selectorELNS0_4arch9wavefront6targetE1EEEvSJ_,comdat
.Lfunc_end440:
	.size	_ZN7rocprim17ROCPRIM_400000_NS6detail17trampoline_kernelINS0_14default_configENS1_38merge_sort_block_merge_config_selectorIiNS0_10empty_typeEEEZZNS1_27merge_sort_block_merge_implIS3_N6thrust23THRUST_200600_302600_NS6detail15normal_iteratorINS9_10device_ptrIiEEEEPS5_m17evens_before_oddsEE10hipError_tT0_T1_T2_jT3_P12ihipStream_tbPNSt15iterator_traitsISI_E10value_typeEPNSO_ISJ_E10value_typeEPSK_NS1_7vsmem_tEENKUlT_SI_SJ_SK_E_clISE_PiSF_SF_EESH_SX_SI_SJ_SK_EUlSX_E0_NS1_11comp_targetILNS1_3genE0ELNS1_11target_archE4294967295ELNS1_3gpuE0ELNS1_3repE0EEENS1_38merge_mergepath_config_static_selectorELNS0_4arch9wavefront6targetE1EEEvSJ_, .Lfunc_end440-_ZN7rocprim17ROCPRIM_400000_NS6detail17trampoline_kernelINS0_14default_configENS1_38merge_sort_block_merge_config_selectorIiNS0_10empty_typeEEEZZNS1_27merge_sort_block_merge_implIS3_N6thrust23THRUST_200600_302600_NS6detail15normal_iteratorINS9_10device_ptrIiEEEEPS5_m17evens_before_oddsEE10hipError_tT0_T1_T2_jT3_P12ihipStream_tbPNSt15iterator_traitsISI_E10value_typeEPNSO_ISJ_E10value_typeEPSK_NS1_7vsmem_tEENKUlT_SI_SJ_SK_E_clISE_PiSF_SF_EESH_SX_SI_SJ_SK_EUlSX_E0_NS1_11comp_targetILNS1_3genE0ELNS1_11target_archE4294967295ELNS1_3gpuE0ELNS1_3repE0EEENS1_38merge_mergepath_config_static_selectorELNS0_4arch9wavefront6targetE1EEEvSJ_
                                        ; -- End function
	.set _ZN7rocprim17ROCPRIM_400000_NS6detail17trampoline_kernelINS0_14default_configENS1_38merge_sort_block_merge_config_selectorIiNS0_10empty_typeEEEZZNS1_27merge_sort_block_merge_implIS3_N6thrust23THRUST_200600_302600_NS6detail15normal_iteratorINS9_10device_ptrIiEEEEPS5_m17evens_before_oddsEE10hipError_tT0_T1_T2_jT3_P12ihipStream_tbPNSt15iterator_traitsISI_E10value_typeEPNSO_ISJ_E10value_typeEPSK_NS1_7vsmem_tEENKUlT_SI_SJ_SK_E_clISE_PiSF_SF_EESH_SX_SI_SJ_SK_EUlSX_E0_NS1_11comp_targetILNS1_3genE0ELNS1_11target_archE4294967295ELNS1_3gpuE0ELNS1_3repE0EEENS1_38merge_mergepath_config_static_selectorELNS0_4arch9wavefront6targetE1EEEvSJ_.num_vgpr, 26
	.set _ZN7rocprim17ROCPRIM_400000_NS6detail17trampoline_kernelINS0_14default_configENS1_38merge_sort_block_merge_config_selectorIiNS0_10empty_typeEEEZZNS1_27merge_sort_block_merge_implIS3_N6thrust23THRUST_200600_302600_NS6detail15normal_iteratorINS9_10device_ptrIiEEEEPS5_m17evens_before_oddsEE10hipError_tT0_T1_T2_jT3_P12ihipStream_tbPNSt15iterator_traitsISI_E10value_typeEPNSO_ISJ_E10value_typeEPSK_NS1_7vsmem_tEENKUlT_SI_SJ_SK_E_clISE_PiSF_SF_EESH_SX_SI_SJ_SK_EUlSX_E0_NS1_11comp_targetILNS1_3genE0ELNS1_11target_archE4294967295ELNS1_3gpuE0ELNS1_3repE0EEENS1_38merge_mergepath_config_static_selectorELNS0_4arch9wavefront6targetE1EEEvSJ_.num_agpr, 0
	.set _ZN7rocprim17ROCPRIM_400000_NS6detail17trampoline_kernelINS0_14default_configENS1_38merge_sort_block_merge_config_selectorIiNS0_10empty_typeEEEZZNS1_27merge_sort_block_merge_implIS3_N6thrust23THRUST_200600_302600_NS6detail15normal_iteratorINS9_10device_ptrIiEEEEPS5_m17evens_before_oddsEE10hipError_tT0_T1_T2_jT3_P12ihipStream_tbPNSt15iterator_traitsISI_E10value_typeEPNSO_ISJ_E10value_typeEPSK_NS1_7vsmem_tEENKUlT_SI_SJ_SK_E_clISE_PiSF_SF_EESH_SX_SI_SJ_SK_EUlSX_E0_NS1_11comp_targetILNS1_3genE0ELNS1_11target_archE4294967295ELNS1_3gpuE0ELNS1_3repE0EEENS1_38merge_mergepath_config_static_selectorELNS0_4arch9wavefront6targetE1EEEvSJ_.numbered_sgpr, 31
	.set _ZN7rocprim17ROCPRIM_400000_NS6detail17trampoline_kernelINS0_14default_configENS1_38merge_sort_block_merge_config_selectorIiNS0_10empty_typeEEEZZNS1_27merge_sort_block_merge_implIS3_N6thrust23THRUST_200600_302600_NS6detail15normal_iteratorINS9_10device_ptrIiEEEEPS5_m17evens_before_oddsEE10hipError_tT0_T1_T2_jT3_P12ihipStream_tbPNSt15iterator_traitsISI_E10value_typeEPNSO_ISJ_E10value_typeEPSK_NS1_7vsmem_tEENKUlT_SI_SJ_SK_E_clISE_PiSF_SF_EESH_SX_SI_SJ_SK_EUlSX_E0_NS1_11comp_targetILNS1_3genE0ELNS1_11target_archE4294967295ELNS1_3gpuE0ELNS1_3repE0EEENS1_38merge_mergepath_config_static_selectorELNS0_4arch9wavefront6targetE1EEEvSJ_.num_named_barrier, 0
	.set _ZN7rocprim17ROCPRIM_400000_NS6detail17trampoline_kernelINS0_14default_configENS1_38merge_sort_block_merge_config_selectorIiNS0_10empty_typeEEEZZNS1_27merge_sort_block_merge_implIS3_N6thrust23THRUST_200600_302600_NS6detail15normal_iteratorINS9_10device_ptrIiEEEEPS5_m17evens_before_oddsEE10hipError_tT0_T1_T2_jT3_P12ihipStream_tbPNSt15iterator_traitsISI_E10value_typeEPNSO_ISJ_E10value_typeEPSK_NS1_7vsmem_tEENKUlT_SI_SJ_SK_E_clISE_PiSF_SF_EESH_SX_SI_SJ_SK_EUlSX_E0_NS1_11comp_targetILNS1_3genE0ELNS1_11target_archE4294967295ELNS1_3gpuE0ELNS1_3repE0EEENS1_38merge_mergepath_config_static_selectorELNS0_4arch9wavefront6targetE1EEEvSJ_.private_seg_size, 0
	.set _ZN7rocprim17ROCPRIM_400000_NS6detail17trampoline_kernelINS0_14default_configENS1_38merge_sort_block_merge_config_selectorIiNS0_10empty_typeEEEZZNS1_27merge_sort_block_merge_implIS3_N6thrust23THRUST_200600_302600_NS6detail15normal_iteratorINS9_10device_ptrIiEEEEPS5_m17evens_before_oddsEE10hipError_tT0_T1_T2_jT3_P12ihipStream_tbPNSt15iterator_traitsISI_E10value_typeEPNSO_ISJ_E10value_typeEPSK_NS1_7vsmem_tEENKUlT_SI_SJ_SK_E_clISE_PiSF_SF_EESH_SX_SI_SJ_SK_EUlSX_E0_NS1_11comp_targetILNS1_3genE0ELNS1_11target_archE4294967295ELNS1_3gpuE0ELNS1_3repE0EEENS1_38merge_mergepath_config_static_selectorELNS0_4arch9wavefront6targetE1EEEvSJ_.uses_vcc, 1
	.set _ZN7rocprim17ROCPRIM_400000_NS6detail17trampoline_kernelINS0_14default_configENS1_38merge_sort_block_merge_config_selectorIiNS0_10empty_typeEEEZZNS1_27merge_sort_block_merge_implIS3_N6thrust23THRUST_200600_302600_NS6detail15normal_iteratorINS9_10device_ptrIiEEEEPS5_m17evens_before_oddsEE10hipError_tT0_T1_T2_jT3_P12ihipStream_tbPNSt15iterator_traitsISI_E10value_typeEPNSO_ISJ_E10value_typeEPSK_NS1_7vsmem_tEENKUlT_SI_SJ_SK_E_clISE_PiSF_SF_EESH_SX_SI_SJ_SK_EUlSX_E0_NS1_11comp_targetILNS1_3genE0ELNS1_11target_archE4294967295ELNS1_3gpuE0ELNS1_3repE0EEENS1_38merge_mergepath_config_static_selectorELNS0_4arch9wavefront6targetE1EEEvSJ_.uses_flat_scratch, 0
	.set _ZN7rocprim17ROCPRIM_400000_NS6detail17trampoline_kernelINS0_14default_configENS1_38merge_sort_block_merge_config_selectorIiNS0_10empty_typeEEEZZNS1_27merge_sort_block_merge_implIS3_N6thrust23THRUST_200600_302600_NS6detail15normal_iteratorINS9_10device_ptrIiEEEEPS5_m17evens_before_oddsEE10hipError_tT0_T1_T2_jT3_P12ihipStream_tbPNSt15iterator_traitsISI_E10value_typeEPNSO_ISJ_E10value_typeEPSK_NS1_7vsmem_tEENKUlT_SI_SJ_SK_E_clISE_PiSF_SF_EESH_SX_SI_SJ_SK_EUlSX_E0_NS1_11comp_targetILNS1_3genE0ELNS1_11target_archE4294967295ELNS1_3gpuE0ELNS1_3repE0EEENS1_38merge_mergepath_config_static_selectorELNS0_4arch9wavefront6targetE1EEEvSJ_.has_dyn_sized_stack, 0
	.set _ZN7rocprim17ROCPRIM_400000_NS6detail17trampoline_kernelINS0_14default_configENS1_38merge_sort_block_merge_config_selectorIiNS0_10empty_typeEEEZZNS1_27merge_sort_block_merge_implIS3_N6thrust23THRUST_200600_302600_NS6detail15normal_iteratorINS9_10device_ptrIiEEEEPS5_m17evens_before_oddsEE10hipError_tT0_T1_T2_jT3_P12ihipStream_tbPNSt15iterator_traitsISI_E10value_typeEPNSO_ISJ_E10value_typeEPSK_NS1_7vsmem_tEENKUlT_SI_SJ_SK_E_clISE_PiSF_SF_EESH_SX_SI_SJ_SK_EUlSX_E0_NS1_11comp_targetILNS1_3genE0ELNS1_11target_archE4294967295ELNS1_3gpuE0ELNS1_3repE0EEENS1_38merge_mergepath_config_static_selectorELNS0_4arch9wavefront6targetE1EEEvSJ_.has_recursion, 0
	.set _ZN7rocprim17ROCPRIM_400000_NS6detail17trampoline_kernelINS0_14default_configENS1_38merge_sort_block_merge_config_selectorIiNS0_10empty_typeEEEZZNS1_27merge_sort_block_merge_implIS3_N6thrust23THRUST_200600_302600_NS6detail15normal_iteratorINS9_10device_ptrIiEEEEPS5_m17evens_before_oddsEE10hipError_tT0_T1_T2_jT3_P12ihipStream_tbPNSt15iterator_traitsISI_E10value_typeEPNSO_ISJ_E10value_typeEPSK_NS1_7vsmem_tEENKUlT_SI_SJ_SK_E_clISE_PiSF_SF_EESH_SX_SI_SJ_SK_EUlSX_E0_NS1_11comp_targetILNS1_3genE0ELNS1_11target_archE4294967295ELNS1_3gpuE0ELNS1_3repE0EEENS1_38merge_mergepath_config_static_selectorELNS0_4arch9wavefront6targetE1EEEvSJ_.has_indirect_call, 0
	.section	.AMDGPU.csdata,"",@progbits
; Kernel info:
; codeLenInByte = 4252
; TotalNumSgprs: 37
; NumVgprs: 26
; NumAgprs: 0
; TotalNumVgprs: 26
; ScratchSize: 0
; MemoryBound: 0
; FloatMode: 240
; IeeeMode: 1
; LDSByteSize: 4224 bytes/workgroup (compile time only)
; SGPRBlocks: 4
; VGPRBlocks: 3
; NumSGPRsForWavesPerEU: 37
; NumVGPRsForWavesPerEU: 26
; AccumOffset: 28
; Occupancy: 8
; WaveLimiterHint : 1
; COMPUTE_PGM_RSRC2:SCRATCH_EN: 0
; COMPUTE_PGM_RSRC2:USER_SGPR: 2
; COMPUTE_PGM_RSRC2:TRAP_HANDLER: 0
; COMPUTE_PGM_RSRC2:TGID_X_EN: 1
; COMPUTE_PGM_RSRC2:TGID_Y_EN: 1
; COMPUTE_PGM_RSRC2:TGID_Z_EN: 1
; COMPUTE_PGM_RSRC2:TIDIG_COMP_CNT: 0
; COMPUTE_PGM_RSRC3_GFX90A:ACCUM_OFFSET: 6
; COMPUTE_PGM_RSRC3_GFX90A:TG_SPLIT: 0
	.section	.text._ZN7rocprim17ROCPRIM_400000_NS6detail17trampoline_kernelINS0_14default_configENS1_38merge_sort_block_merge_config_selectorIiNS0_10empty_typeEEEZZNS1_27merge_sort_block_merge_implIS3_N6thrust23THRUST_200600_302600_NS6detail15normal_iteratorINS9_10device_ptrIiEEEEPS5_m17evens_before_oddsEE10hipError_tT0_T1_T2_jT3_P12ihipStream_tbPNSt15iterator_traitsISI_E10value_typeEPNSO_ISJ_E10value_typeEPSK_NS1_7vsmem_tEENKUlT_SI_SJ_SK_E_clISE_PiSF_SF_EESH_SX_SI_SJ_SK_EUlSX_E0_NS1_11comp_targetILNS1_3genE10ELNS1_11target_archE1201ELNS1_3gpuE5ELNS1_3repE0EEENS1_38merge_mergepath_config_static_selectorELNS0_4arch9wavefront6targetE1EEEvSJ_,"axG",@progbits,_ZN7rocprim17ROCPRIM_400000_NS6detail17trampoline_kernelINS0_14default_configENS1_38merge_sort_block_merge_config_selectorIiNS0_10empty_typeEEEZZNS1_27merge_sort_block_merge_implIS3_N6thrust23THRUST_200600_302600_NS6detail15normal_iteratorINS9_10device_ptrIiEEEEPS5_m17evens_before_oddsEE10hipError_tT0_T1_T2_jT3_P12ihipStream_tbPNSt15iterator_traitsISI_E10value_typeEPNSO_ISJ_E10value_typeEPSK_NS1_7vsmem_tEENKUlT_SI_SJ_SK_E_clISE_PiSF_SF_EESH_SX_SI_SJ_SK_EUlSX_E0_NS1_11comp_targetILNS1_3genE10ELNS1_11target_archE1201ELNS1_3gpuE5ELNS1_3repE0EEENS1_38merge_mergepath_config_static_selectorELNS0_4arch9wavefront6targetE1EEEvSJ_,comdat
	.protected	_ZN7rocprim17ROCPRIM_400000_NS6detail17trampoline_kernelINS0_14default_configENS1_38merge_sort_block_merge_config_selectorIiNS0_10empty_typeEEEZZNS1_27merge_sort_block_merge_implIS3_N6thrust23THRUST_200600_302600_NS6detail15normal_iteratorINS9_10device_ptrIiEEEEPS5_m17evens_before_oddsEE10hipError_tT0_T1_T2_jT3_P12ihipStream_tbPNSt15iterator_traitsISI_E10value_typeEPNSO_ISJ_E10value_typeEPSK_NS1_7vsmem_tEENKUlT_SI_SJ_SK_E_clISE_PiSF_SF_EESH_SX_SI_SJ_SK_EUlSX_E0_NS1_11comp_targetILNS1_3genE10ELNS1_11target_archE1201ELNS1_3gpuE5ELNS1_3repE0EEENS1_38merge_mergepath_config_static_selectorELNS0_4arch9wavefront6targetE1EEEvSJ_ ; -- Begin function _ZN7rocprim17ROCPRIM_400000_NS6detail17trampoline_kernelINS0_14default_configENS1_38merge_sort_block_merge_config_selectorIiNS0_10empty_typeEEEZZNS1_27merge_sort_block_merge_implIS3_N6thrust23THRUST_200600_302600_NS6detail15normal_iteratorINS9_10device_ptrIiEEEEPS5_m17evens_before_oddsEE10hipError_tT0_T1_T2_jT3_P12ihipStream_tbPNSt15iterator_traitsISI_E10value_typeEPNSO_ISJ_E10value_typeEPSK_NS1_7vsmem_tEENKUlT_SI_SJ_SK_E_clISE_PiSF_SF_EESH_SX_SI_SJ_SK_EUlSX_E0_NS1_11comp_targetILNS1_3genE10ELNS1_11target_archE1201ELNS1_3gpuE5ELNS1_3repE0EEENS1_38merge_mergepath_config_static_selectorELNS0_4arch9wavefront6targetE1EEEvSJ_
	.globl	_ZN7rocprim17ROCPRIM_400000_NS6detail17trampoline_kernelINS0_14default_configENS1_38merge_sort_block_merge_config_selectorIiNS0_10empty_typeEEEZZNS1_27merge_sort_block_merge_implIS3_N6thrust23THRUST_200600_302600_NS6detail15normal_iteratorINS9_10device_ptrIiEEEEPS5_m17evens_before_oddsEE10hipError_tT0_T1_T2_jT3_P12ihipStream_tbPNSt15iterator_traitsISI_E10value_typeEPNSO_ISJ_E10value_typeEPSK_NS1_7vsmem_tEENKUlT_SI_SJ_SK_E_clISE_PiSF_SF_EESH_SX_SI_SJ_SK_EUlSX_E0_NS1_11comp_targetILNS1_3genE10ELNS1_11target_archE1201ELNS1_3gpuE5ELNS1_3repE0EEENS1_38merge_mergepath_config_static_selectorELNS0_4arch9wavefront6targetE1EEEvSJ_
	.p2align	8
	.type	_ZN7rocprim17ROCPRIM_400000_NS6detail17trampoline_kernelINS0_14default_configENS1_38merge_sort_block_merge_config_selectorIiNS0_10empty_typeEEEZZNS1_27merge_sort_block_merge_implIS3_N6thrust23THRUST_200600_302600_NS6detail15normal_iteratorINS9_10device_ptrIiEEEEPS5_m17evens_before_oddsEE10hipError_tT0_T1_T2_jT3_P12ihipStream_tbPNSt15iterator_traitsISI_E10value_typeEPNSO_ISJ_E10value_typeEPSK_NS1_7vsmem_tEENKUlT_SI_SJ_SK_E_clISE_PiSF_SF_EESH_SX_SI_SJ_SK_EUlSX_E0_NS1_11comp_targetILNS1_3genE10ELNS1_11target_archE1201ELNS1_3gpuE5ELNS1_3repE0EEENS1_38merge_mergepath_config_static_selectorELNS0_4arch9wavefront6targetE1EEEvSJ_,@function
_ZN7rocprim17ROCPRIM_400000_NS6detail17trampoline_kernelINS0_14default_configENS1_38merge_sort_block_merge_config_selectorIiNS0_10empty_typeEEEZZNS1_27merge_sort_block_merge_implIS3_N6thrust23THRUST_200600_302600_NS6detail15normal_iteratorINS9_10device_ptrIiEEEEPS5_m17evens_before_oddsEE10hipError_tT0_T1_T2_jT3_P12ihipStream_tbPNSt15iterator_traitsISI_E10value_typeEPNSO_ISJ_E10value_typeEPSK_NS1_7vsmem_tEENKUlT_SI_SJ_SK_E_clISE_PiSF_SF_EESH_SX_SI_SJ_SK_EUlSX_E0_NS1_11comp_targetILNS1_3genE10ELNS1_11target_archE1201ELNS1_3gpuE5ELNS1_3repE0EEENS1_38merge_mergepath_config_static_selectorELNS0_4arch9wavefront6targetE1EEEvSJ_: ; @_ZN7rocprim17ROCPRIM_400000_NS6detail17trampoline_kernelINS0_14default_configENS1_38merge_sort_block_merge_config_selectorIiNS0_10empty_typeEEEZZNS1_27merge_sort_block_merge_implIS3_N6thrust23THRUST_200600_302600_NS6detail15normal_iteratorINS9_10device_ptrIiEEEEPS5_m17evens_before_oddsEE10hipError_tT0_T1_T2_jT3_P12ihipStream_tbPNSt15iterator_traitsISI_E10value_typeEPNSO_ISJ_E10value_typeEPSK_NS1_7vsmem_tEENKUlT_SI_SJ_SK_E_clISE_PiSF_SF_EESH_SX_SI_SJ_SK_EUlSX_E0_NS1_11comp_targetILNS1_3genE10ELNS1_11target_archE1201ELNS1_3gpuE5ELNS1_3repE0EEENS1_38merge_mergepath_config_static_selectorELNS0_4arch9wavefront6targetE1EEEvSJ_
; %bb.0:
	.section	.rodata,"a",@progbits
	.p2align	6, 0x0
	.amdhsa_kernel _ZN7rocprim17ROCPRIM_400000_NS6detail17trampoline_kernelINS0_14default_configENS1_38merge_sort_block_merge_config_selectorIiNS0_10empty_typeEEEZZNS1_27merge_sort_block_merge_implIS3_N6thrust23THRUST_200600_302600_NS6detail15normal_iteratorINS9_10device_ptrIiEEEEPS5_m17evens_before_oddsEE10hipError_tT0_T1_T2_jT3_P12ihipStream_tbPNSt15iterator_traitsISI_E10value_typeEPNSO_ISJ_E10value_typeEPSK_NS1_7vsmem_tEENKUlT_SI_SJ_SK_E_clISE_PiSF_SF_EESH_SX_SI_SJ_SK_EUlSX_E0_NS1_11comp_targetILNS1_3genE10ELNS1_11target_archE1201ELNS1_3gpuE5ELNS1_3repE0EEENS1_38merge_mergepath_config_static_selectorELNS0_4arch9wavefront6targetE1EEEvSJ_
		.amdhsa_group_segment_fixed_size 0
		.amdhsa_private_segment_fixed_size 0
		.amdhsa_kernarg_size 72
		.amdhsa_user_sgpr_count 2
		.amdhsa_user_sgpr_dispatch_ptr 0
		.amdhsa_user_sgpr_queue_ptr 0
		.amdhsa_user_sgpr_kernarg_segment_ptr 1
		.amdhsa_user_sgpr_dispatch_id 0
		.amdhsa_user_sgpr_kernarg_preload_length 0
		.amdhsa_user_sgpr_kernarg_preload_offset 0
		.amdhsa_user_sgpr_private_segment_size 0
		.amdhsa_uses_dynamic_stack 0
		.amdhsa_enable_private_segment 0
		.amdhsa_system_sgpr_workgroup_id_x 1
		.amdhsa_system_sgpr_workgroup_id_y 0
		.amdhsa_system_sgpr_workgroup_id_z 0
		.amdhsa_system_sgpr_workgroup_info 0
		.amdhsa_system_vgpr_workitem_id 0
		.amdhsa_next_free_vgpr 1
		.amdhsa_next_free_sgpr 0
		.amdhsa_accum_offset 4
		.amdhsa_reserve_vcc 0
		.amdhsa_float_round_mode_32 0
		.amdhsa_float_round_mode_16_64 0
		.amdhsa_float_denorm_mode_32 3
		.amdhsa_float_denorm_mode_16_64 3
		.amdhsa_dx10_clamp 1
		.amdhsa_ieee_mode 1
		.amdhsa_fp16_overflow 0
		.amdhsa_tg_split 0
		.amdhsa_exception_fp_ieee_invalid_op 0
		.amdhsa_exception_fp_denorm_src 0
		.amdhsa_exception_fp_ieee_div_zero 0
		.amdhsa_exception_fp_ieee_overflow 0
		.amdhsa_exception_fp_ieee_underflow 0
		.amdhsa_exception_fp_ieee_inexact 0
		.amdhsa_exception_int_div_zero 0
	.end_amdhsa_kernel
	.section	.text._ZN7rocprim17ROCPRIM_400000_NS6detail17trampoline_kernelINS0_14default_configENS1_38merge_sort_block_merge_config_selectorIiNS0_10empty_typeEEEZZNS1_27merge_sort_block_merge_implIS3_N6thrust23THRUST_200600_302600_NS6detail15normal_iteratorINS9_10device_ptrIiEEEEPS5_m17evens_before_oddsEE10hipError_tT0_T1_T2_jT3_P12ihipStream_tbPNSt15iterator_traitsISI_E10value_typeEPNSO_ISJ_E10value_typeEPSK_NS1_7vsmem_tEENKUlT_SI_SJ_SK_E_clISE_PiSF_SF_EESH_SX_SI_SJ_SK_EUlSX_E0_NS1_11comp_targetILNS1_3genE10ELNS1_11target_archE1201ELNS1_3gpuE5ELNS1_3repE0EEENS1_38merge_mergepath_config_static_selectorELNS0_4arch9wavefront6targetE1EEEvSJ_,"axG",@progbits,_ZN7rocprim17ROCPRIM_400000_NS6detail17trampoline_kernelINS0_14default_configENS1_38merge_sort_block_merge_config_selectorIiNS0_10empty_typeEEEZZNS1_27merge_sort_block_merge_implIS3_N6thrust23THRUST_200600_302600_NS6detail15normal_iteratorINS9_10device_ptrIiEEEEPS5_m17evens_before_oddsEE10hipError_tT0_T1_T2_jT3_P12ihipStream_tbPNSt15iterator_traitsISI_E10value_typeEPNSO_ISJ_E10value_typeEPSK_NS1_7vsmem_tEENKUlT_SI_SJ_SK_E_clISE_PiSF_SF_EESH_SX_SI_SJ_SK_EUlSX_E0_NS1_11comp_targetILNS1_3genE10ELNS1_11target_archE1201ELNS1_3gpuE5ELNS1_3repE0EEENS1_38merge_mergepath_config_static_selectorELNS0_4arch9wavefront6targetE1EEEvSJ_,comdat
.Lfunc_end441:
	.size	_ZN7rocprim17ROCPRIM_400000_NS6detail17trampoline_kernelINS0_14default_configENS1_38merge_sort_block_merge_config_selectorIiNS0_10empty_typeEEEZZNS1_27merge_sort_block_merge_implIS3_N6thrust23THRUST_200600_302600_NS6detail15normal_iteratorINS9_10device_ptrIiEEEEPS5_m17evens_before_oddsEE10hipError_tT0_T1_T2_jT3_P12ihipStream_tbPNSt15iterator_traitsISI_E10value_typeEPNSO_ISJ_E10value_typeEPSK_NS1_7vsmem_tEENKUlT_SI_SJ_SK_E_clISE_PiSF_SF_EESH_SX_SI_SJ_SK_EUlSX_E0_NS1_11comp_targetILNS1_3genE10ELNS1_11target_archE1201ELNS1_3gpuE5ELNS1_3repE0EEENS1_38merge_mergepath_config_static_selectorELNS0_4arch9wavefront6targetE1EEEvSJ_, .Lfunc_end441-_ZN7rocprim17ROCPRIM_400000_NS6detail17trampoline_kernelINS0_14default_configENS1_38merge_sort_block_merge_config_selectorIiNS0_10empty_typeEEEZZNS1_27merge_sort_block_merge_implIS3_N6thrust23THRUST_200600_302600_NS6detail15normal_iteratorINS9_10device_ptrIiEEEEPS5_m17evens_before_oddsEE10hipError_tT0_T1_T2_jT3_P12ihipStream_tbPNSt15iterator_traitsISI_E10value_typeEPNSO_ISJ_E10value_typeEPSK_NS1_7vsmem_tEENKUlT_SI_SJ_SK_E_clISE_PiSF_SF_EESH_SX_SI_SJ_SK_EUlSX_E0_NS1_11comp_targetILNS1_3genE10ELNS1_11target_archE1201ELNS1_3gpuE5ELNS1_3repE0EEENS1_38merge_mergepath_config_static_selectorELNS0_4arch9wavefront6targetE1EEEvSJ_
                                        ; -- End function
	.set _ZN7rocprim17ROCPRIM_400000_NS6detail17trampoline_kernelINS0_14default_configENS1_38merge_sort_block_merge_config_selectorIiNS0_10empty_typeEEEZZNS1_27merge_sort_block_merge_implIS3_N6thrust23THRUST_200600_302600_NS6detail15normal_iteratorINS9_10device_ptrIiEEEEPS5_m17evens_before_oddsEE10hipError_tT0_T1_T2_jT3_P12ihipStream_tbPNSt15iterator_traitsISI_E10value_typeEPNSO_ISJ_E10value_typeEPSK_NS1_7vsmem_tEENKUlT_SI_SJ_SK_E_clISE_PiSF_SF_EESH_SX_SI_SJ_SK_EUlSX_E0_NS1_11comp_targetILNS1_3genE10ELNS1_11target_archE1201ELNS1_3gpuE5ELNS1_3repE0EEENS1_38merge_mergepath_config_static_selectorELNS0_4arch9wavefront6targetE1EEEvSJ_.num_vgpr, 0
	.set _ZN7rocprim17ROCPRIM_400000_NS6detail17trampoline_kernelINS0_14default_configENS1_38merge_sort_block_merge_config_selectorIiNS0_10empty_typeEEEZZNS1_27merge_sort_block_merge_implIS3_N6thrust23THRUST_200600_302600_NS6detail15normal_iteratorINS9_10device_ptrIiEEEEPS5_m17evens_before_oddsEE10hipError_tT0_T1_T2_jT3_P12ihipStream_tbPNSt15iterator_traitsISI_E10value_typeEPNSO_ISJ_E10value_typeEPSK_NS1_7vsmem_tEENKUlT_SI_SJ_SK_E_clISE_PiSF_SF_EESH_SX_SI_SJ_SK_EUlSX_E0_NS1_11comp_targetILNS1_3genE10ELNS1_11target_archE1201ELNS1_3gpuE5ELNS1_3repE0EEENS1_38merge_mergepath_config_static_selectorELNS0_4arch9wavefront6targetE1EEEvSJ_.num_agpr, 0
	.set _ZN7rocprim17ROCPRIM_400000_NS6detail17trampoline_kernelINS0_14default_configENS1_38merge_sort_block_merge_config_selectorIiNS0_10empty_typeEEEZZNS1_27merge_sort_block_merge_implIS3_N6thrust23THRUST_200600_302600_NS6detail15normal_iteratorINS9_10device_ptrIiEEEEPS5_m17evens_before_oddsEE10hipError_tT0_T1_T2_jT3_P12ihipStream_tbPNSt15iterator_traitsISI_E10value_typeEPNSO_ISJ_E10value_typeEPSK_NS1_7vsmem_tEENKUlT_SI_SJ_SK_E_clISE_PiSF_SF_EESH_SX_SI_SJ_SK_EUlSX_E0_NS1_11comp_targetILNS1_3genE10ELNS1_11target_archE1201ELNS1_3gpuE5ELNS1_3repE0EEENS1_38merge_mergepath_config_static_selectorELNS0_4arch9wavefront6targetE1EEEvSJ_.numbered_sgpr, 0
	.set _ZN7rocprim17ROCPRIM_400000_NS6detail17trampoline_kernelINS0_14default_configENS1_38merge_sort_block_merge_config_selectorIiNS0_10empty_typeEEEZZNS1_27merge_sort_block_merge_implIS3_N6thrust23THRUST_200600_302600_NS6detail15normal_iteratorINS9_10device_ptrIiEEEEPS5_m17evens_before_oddsEE10hipError_tT0_T1_T2_jT3_P12ihipStream_tbPNSt15iterator_traitsISI_E10value_typeEPNSO_ISJ_E10value_typeEPSK_NS1_7vsmem_tEENKUlT_SI_SJ_SK_E_clISE_PiSF_SF_EESH_SX_SI_SJ_SK_EUlSX_E0_NS1_11comp_targetILNS1_3genE10ELNS1_11target_archE1201ELNS1_3gpuE5ELNS1_3repE0EEENS1_38merge_mergepath_config_static_selectorELNS0_4arch9wavefront6targetE1EEEvSJ_.num_named_barrier, 0
	.set _ZN7rocprim17ROCPRIM_400000_NS6detail17trampoline_kernelINS0_14default_configENS1_38merge_sort_block_merge_config_selectorIiNS0_10empty_typeEEEZZNS1_27merge_sort_block_merge_implIS3_N6thrust23THRUST_200600_302600_NS6detail15normal_iteratorINS9_10device_ptrIiEEEEPS5_m17evens_before_oddsEE10hipError_tT0_T1_T2_jT3_P12ihipStream_tbPNSt15iterator_traitsISI_E10value_typeEPNSO_ISJ_E10value_typeEPSK_NS1_7vsmem_tEENKUlT_SI_SJ_SK_E_clISE_PiSF_SF_EESH_SX_SI_SJ_SK_EUlSX_E0_NS1_11comp_targetILNS1_3genE10ELNS1_11target_archE1201ELNS1_3gpuE5ELNS1_3repE0EEENS1_38merge_mergepath_config_static_selectorELNS0_4arch9wavefront6targetE1EEEvSJ_.private_seg_size, 0
	.set _ZN7rocprim17ROCPRIM_400000_NS6detail17trampoline_kernelINS0_14default_configENS1_38merge_sort_block_merge_config_selectorIiNS0_10empty_typeEEEZZNS1_27merge_sort_block_merge_implIS3_N6thrust23THRUST_200600_302600_NS6detail15normal_iteratorINS9_10device_ptrIiEEEEPS5_m17evens_before_oddsEE10hipError_tT0_T1_T2_jT3_P12ihipStream_tbPNSt15iterator_traitsISI_E10value_typeEPNSO_ISJ_E10value_typeEPSK_NS1_7vsmem_tEENKUlT_SI_SJ_SK_E_clISE_PiSF_SF_EESH_SX_SI_SJ_SK_EUlSX_E0_NS1_11comp_targetILNS1_3genE10ELNS1_11target_archE1201ELNS1_3gpuE5ELNS1_3repE0EEENS1_38merge_mergepath_config_static_selectorELNS0_4arch9wavefront6targetE1EEEvSJ_.uses_vcc, 0
	.set _ZN7rocprim17ROCPRIM_400000_NS6detail17trampoline_kernelINS0_14default_configENS1_38merge_sort_block_merge_config_selectorIiNS0_10empty_typeEEEZZNS1_27merge_sort_block_merge_implIS3_N6thrust23THRUST_200600_302600_NS6detail15normal_iteratorINS9_10device_ptrIiEEEEPS5_m17evens_before_oddsEE10hipError_tT0_T1_T2_jT3_P12ihipStream_tbPNSt15iterator_traitsISI_E10value_typeEPNSO_ISJ_E10value_typeEPSK_NS1_7vsmem_tEENKUlT_SI_SJ_SK_E_clISE_PiSF_SF_EESH_SX_SI_SJ_SK_EUlSX_E0_NS1_11comp_targetILNS1_3genE10ELNS1_11target_archE1201ELNS1_3gpuE5ELNS1_3repE0EEENS1_38merge_mergepath_config_static_selectorELNS0_4arch9wavefront6targetE1EEEvSJ_.uses_flat_scratch, 0
	.set _ZN7rocprim17ROCPRIM_400000_NS6detail17trampoline_kernelINS0_14default_configENS1_38merge_sort_block_merge_config_selectorIiNS0_10empty_typeEEEZZNS1_27merge_sort_block_merge_implIS3_N6thrust23THRUST_200600_302600_NS6detail15normal_iteratorINS9_10device_ptrIiEEEEPS5_m17evens_before_oddsEE10hipError_tT0_T1_T2_jT3_P12ihipStream_tbPNSt15iterator_traitsISI_E10value_typeEPNSO_ISJ_E10value_typeEPSK_NS1_7vsmem_tEENKUlT_SI_SJ_SK_E_clISE_PiSF_SF_EESH_SX_SI_SJ_SK_EUlSX_E0_NS1_11comp_targetILNS1_3genE10ELNS1_11target_archE1201ELNS1_3gpuE5ELNS1_3repE0EEENS1_38merge_mergepath_config_static_selectorELNS0_4arch9wavefront6targetE1EEEvSJ_.has_dyn_sized_stack, 0
	.set _ZN7rocprim17ROCPRIM_400000_NS6detail17trampoline_kernelINS0_14default_configENS1_38merge_sort_block_merge_config_selectorIiNS0_10empty_typeEEEZZNS1_27merge_sort_block_merge_implIS3_N6thrust23THRUST_200600_302600_NS6detail15normal_iteratorINS9_10device_ptrIiEEEEPS5_m17evens_before_oddsEE10hipError_tT0_T1_T2_jT3_P12ihipStream_tbPNSt15iterator_traitsISI_E10value_typeEPNSO_ISJ_E10value_typeEPSK_NS1_7vsmem_tEENKUlT_SI_SJ_SK_E_clISE_PiSF_SF_EESH_SX_SI_SJ_SK_EUlSX_E0_NS1_11comp_targetILNS1_3genE10ELNS1_11target_archE1201ELNS1_3gpuE5ELNS1_3repE0EEENS1_38merge_mergepath_config_static_selectorELNS0_4arch9wavefront6targetE1EEEvSJ_.has_recursion, 0
	.set _ZN7rocprim17ROCPRIM_400000_NS6detail17trampoline_kernelINS0_14default_configENS1_38merge_sort_block_merge_config_selectorIiNS0_10empty_typeEEEZZNS1_27merge_sort_block_merge_implIS3_N6thrust23THRUST_200600_302600_NS6detail15normal_iteratorINS9_10device_ptrIiEEEEPS5_m17evens_before_oddsEE10hipError_tT0_T1_T2_jT3_P12ihipStream_tbPNSt15iterator_traitsISI_E10value_typeEPNSO_ISJ_E10value_typeEPSK_NS1_7vsmem_tEENKUlT_SI_SJ_SK_E_clISE_PiSF_SF_EESH_SX_SI_SJ_SK_EUlSX_E0_NS1_11comp_targetILNS1_3genE10ELNS1_11target_archE1201ELNS1_3gpuE5ELNS1_3repE0EEENS1_38merge_mergepath_config_static_selectorELNS0_4arch9wavefront6targetE1EEEvSJ_.has_indirect_call, 0
	.section	.AMDGPU.csdata,"",@progbits
; Kernel info:
; codeLenInByte = 0
; TotalNumSgprs: 6
; NumVgprs: 0
; NumAgprs: 0
; TotalNumVgprs: 0
; ScratchSize: 0
; MemoryBound: 0
; FloatMode: 240
; IeeeMode: 1
; LDSByteSize: 0 bytes/workgroup (compile time only)
; SGPRBlocks: 0
; VGPRBlocks: 0
; NumSGPRsForWavesPerEU: 6
; NumVGPRsForWavesPerEU: 1
; AccumOffset: 4
; Occupancy: 8
; WaveLimiterHint : 0
; COMPUTE_PGM_RSRC2:SCRATCH_EN: 0
; COMPUTE_PGM_RSRC2:USER_SGPR: 2
; COMPUTE_PGM_RSRC2:TRAP_HANDLER: 0
; COMPUTE_PGM_RSRC2:TGID_X_EN: 1
; COMPUTE_PGM_RSRC2:TGID_Y_EN: 0
; COMPUTE_PGM_RSRC2:TGID_Z_EN: 0
; COMPUTE_PGM_RSRC2:TIDIG_COMP_CNT: 0
; COMPUTE_PGM_RSRC3_GFX90A:ACCUM_OFFSET: 0
; COMPUTE_PGM_RSRC3_GFX90A:TG_SPLIT: 0
	.section	.text._ZN7rocprim17ROCPRIM_400000_NS6detail17trampoline_kernelINS0_14default_configENS1_38merge_sort_block_merge_config_selectorIiNS0_10empty_typeEEEZZNS1_27merge_sort_block_merge_implIS3_N6thrust23THRUST_200600_302600_NS6detail15normal_iteratorINS9_10device_ptrIiEEEEPS5_m17evens_before_oddsEE10hipError_tT0_T1_T2_jT3_P12ihipStream_tbPNSt15iterator_traitsISI_E10value_typeEPNSO_ISJ_E10value_typeEPSK_NS1_7vsmem_tEENKUlT_SI_SJ_SK_E_clISE_PiSF_SF_EESH_SX_SI_SJ_SK_EUlSX_E0_NS1_11comp_targetILNS1_3genE5ELNS1_11target_archE942ELNS1_3gpuE9ELNS1_3repE0EEENS1_38merge_mergepath_config_static_selectorELNS0_4arch9wavefront6targetE1EEEvSJ_,"axG",@progbits,_ZN7rocprim17ROCPRIM_400000_NS6detail17trampoline_kernelINS0_14default_configENS1_38merge_sort_block_merge_config_selectorIiNS0_10empty_typeEEEZZNS1_27merge_sort_block_merge_implIS3_N6thrust23THRUST_200600_302600_NS6detail15normal_iteratorINS9_10device_ptrIiEEEEPS5_m17evens_before_oddsEE10hipError_tT0_T1_T2_jT3_P12ihipStream_tbPNSt15iterator_traitsISI_E10value_typeEPNSO_ISJ_E10value_typeEPSK_NS1_7vsmem_tEENKUlT_SI_SJ_SK_E_clISE_PiSF_SF_EESH_SX_SI_SJ_SK_EUlSX_E0_NS1_11comp_targetILNS1_3genE5ELNS1_11target_archE942ELNS1_3gpuE9ELNS1_3repE0EEENS1_38merge_mergepath_config_static_selectorELNS0_4arch9wavefront6targetE1EEEvSJ_,comdat
	.protected	_ZN7rocprim17ROCPRIM_400000_NS6detail17trampoline_kernelINS0_14default_configENS1_38merge_sort_block_merge_config_selectorIiNS0_10empty_typeEEEZZNS1_27merge_sort_block_merge_implIS3_N6thrust23THRUST_200600_302600_NS6detail15normal_iteratorINS9_10device_ptrIiEEEEPS5_m17evens_before_oddsEE10hipError_tT0_T1_T2_jT3_P12ihipStream_tbPNSt15iterator_traitsISI_E10value_typeEPNSO_ISJ_E10value_typeEPSK_NS1_7vsmem_tEENKUlT_SI_SJ_SK_E_clISE_PiSF_SF_EESH_SX_SI_SJ_SK_EUlSX_E0_NS1_11comp_targetILNS1_3genE5ELNS1_11target_archE942ELNS1_3gpuE9ELNS1_3repE0EEENS1_38merge_mergepath_config_static_selectorELNS0_4arch9wavefront6targetE1EEEvSJ_ ; -- Begin function _ZN7rocprim17ROCPRIM_400000_NS6detail17trampoline_kernelINS0_14default_configENS1_38merge_sort_block_merge_config_selectorIiNS0_10empty_typeEEEZZNS1_27merge_sort_block_merge_implIS3_N6thrust23THRUST_200600_302600_NS6detail15normal_iteratorINS9_10device_ptrIiEEEEPS5_m17evens_before_oddsEE10hipError_tT0_T1_T2_jT3_P12ihipStream_tbPNSt15iterator_traitsISI_E10value_typeEPNSO_ISJ_E10value_typeEPSK_NS1_7vsmem_tEENKUlT_SI_SJ_SK_E_clISE_PiSF_SF_EESH_SX_SI_SJ_SK_EUlSX_E0_NS1_11comp_targetILNS1_3genE5ELNS1_11target_archE942ELNS1_3gpuE9ELNS1_3repE0EEENS1_38merge_mergepath_config_static_selectorELNS0_4arch9wavefront6targetE1EEEvSJ_
	.globl	_ZN7rocprim17ROCPRIM_400000_NS6detail17trampoline_kernelINS0_14default_configENS1_38merge_sort_block_merge_config_selectorIiNS0_10empty_typeEEEZZNS1_27merge_sort_block_merge_implIS3_N6thrust23THRUST_200600_302600_NS6detail15normal_iteratorINS9_10device_ptrIiEEEEPS5_m17evens_before_oddsEE10hipError_tT0_T1_T2_jT3_P12ihipStream_tbPNSt15iterator_traitsISI_E10value_typeEPNSO_ISJ_E10value_typeEPSK_NS1_7vsmem_tEENKUlT_SI_SJ_SK_E_clISE_PiSF_SF_EESH_SX_SI_SJ_SK_EUlSX_E0_NS1_11comp_targetILNS1_3genE5ELNS1_11target_archE942ELNS1_3gpuE9ELNS1_3repE0EEENS1_38merge_mergepath_config_static_selectorELNS0_4arch9wavefront6targetE1EEEvSJ_
	.p2align	8
	.type	_ZN7rocprim17ROCPRIM_400000_NS6detail17trampoline_kernelINS0_14default_configENS1_38merge_sort_block_merge_config_selectorIiNS0_10empty_typeEEEZZNS1_27merge_sort_block_merge_implIS3_N6thrust23THRUST_200600_302600_NS6detail15normal_iteratorINS9_10device_ptrIiEEEEPS5_m17evens_before_oddsEE10hipError_tT0_T1_T2_jT3_P12ihipStream_tbPNSt15iterator_traitsISI_E10value_typeEPNSO_ISJ_E10value_typeEPSK_NS1_7vsmem_tEENKUlT_SI_SJ_SK_E_clISE_PiSF_SF_EESH_SX_SI_SJ_SK_EUlSX_E0_NS1_11comp_targetILNS1_3genE5ELNS1_11target_archE942ELNS1_3gpuE9ELNS1_3repE0EEENS1_38merge_mergepath_config_static_selectorELNS0_4arch9wavefront6targetE1EEEvSJ_,@function
_ZN7rocprim17ROCPRIM_400000_NS6detail17trampoline_kernelINS0_14default_configENS1_38merge_sort_block_merge_config_selectorIiNS0_10empty_typeEEEZZNS1_27merge_sort_block_merge_implIS3_N6thrust23THRUST_200600_302600_NS6detail15normal_iteratorINS9_10device_ptrIiEEEEPS5_m17evens_before_oddsEE10hipError_tT0_T1_T2_jT3_P12ihipStream_tbPNSt15iterator_traitsISI_E10value_typeEPNSO_ISJ_E10value_typeEPSK_NS1_7vsmem_tEENKUlT_SI_SJ_SK_E_clISE_PiSF_SF_EESH_SX_SI_SJ_SK_EUlSX_E0_NS1_11comp_targetILNS1_3genE5ELNS1_11target_archE942ELNS1_3gpuE9ELNS1_3repE0EEENS1_38merge_mergepath_config_static_selectorELNS0_4arch9wavefront6targetE1EEEvSJ_: ; @_ZN7rocprim17ROCPRIM_400000_NS6detail17trampoline_kernelINS0_14default_configENS1_38merge_sort_block_merge_config_selectorIiNS0_10empty_typeEEEZZNS1_27merge_sort_block_merge_implIS3_N6thrust23THRUST_200600_302600_NS6detail15normal_iteratorINS9_10device_ptrIiEEEEPS5_m17evens_before_oddsEE10hipError_tT0_T1_T2_jT3_P12ihipStream_tbPNSt15iterator_traitsISI_E10value_typeEPNSO_ISJ_E10value_typeEPSK_NS1_7vsmem_tEENKUlT_SI_SJ_SK_E_clISE_PiSF_SF_EESH_SX_SI_SJ_SK_EUlSX_E0_NS1_11comp_targetILNS1_3genE5ELNS1_11target_archE942ELNS1_3gpuE9ELNS1_3repE0EEENS1_38merge_mergepath_config_static_selectorELNS0_4arch9wavefront6targetE1EEEvSJ_
; %bb.0:
	.section	.rodata,"a",@progbits
	.p2align	6, 0x0
	.amdhsa_kernel _ZN7rocprim17ROCPRIM_400000_NS6detail17trampoline_kernelINS0_14default_configENS1_38merge_sort_block_merge_config_selectorIiNS0_10empty_typeEEEZZNS1_27merge_sort_block_merge_implIS3_N6thrust23THRUST_200600_302600_NS6detail15normal_iteratorINS9_10device_ptrIiEEEEPS5_m17evens_before_oddsEE10hipError_tT0_T1_T2_jT3_P12ihipStream_tbPNSt15iterator_traitsISI_E10value_typeEPNSO_ISJ_E10value_typeEPSK_NS1_7vsmem_tEENKUlT_SI_SJ_SK_E_clISE_PiSF_SF_EESH_SX_SI_SJ_SK_EUlSX_E0_NS1_11comp_targetILNS1_3genE5ELNS1_11target_archE942ELNS1_3gpuE9ELNS1_3repE0EEENS1_38merge_mergepath_config_static_selectorELNS0_4arch9wavefront6targetE1EEEvSJ_
		.amdhsa_group_segment_fixed_size 0
		.amdhsa_private_segment_fixed_size 0
		.amdhsa_kernarg_size 72
		.amdhsa_user_sgpr_count 2
		.amdhsa_user_sgpr_dispatch_ptr 0
		.amdhsa_user_sgpr_queue_ptr 0
		.amdhsa_user_sgpr_kernarg_segment_ptr 1
		.amdhsa_user_sgpr_dispatch_id 0
		.amdhsa_user_sgpr_kernarg_preload_length 0
		.amdhsa_user_sgpr_kernarg_preload_offset 0
		.amdhsa_user_sgpr_private_segment_size 0
		.amdhsa_uses_dynamic_stack 0
		.amdhsa_enable_private_segment 0
		.amdhsa_system_sgpr_workgroup_id_x 1
		.amdhsa_system_sgpr_workgroup_id_y 0
		.amdhsa_system_sgpr_workgroup_id_z 0
		.amdhsa_system_sgpr_workgroup_info 0
		.amdhsa_system_vgpr_workitem_id 0
		.amdhsa_next_free_vgpr 1
		.amdhsa_next_free_sgpr 0
		.amdhsa_accum_offset 4
		.amdhsa_reserve_vcc 0
		.amdhsa_float_round_mode_32 0
		.amdhsa_float_round_mode_16_64 0
		.amdhsa_float_denorm_mode_32 3
		.amdhsa_float_denorm_mode_16_64 3
		.amdhsa_dx10_clamp 1
		.amdhsa_ieee_mode 1
		.amdhsa_fp16_overflow 0
		.amdhsa_tg_split 0
		.amdhsa_exception_fp_ieee_invalid_op 0
		.amdhsa_exception_fp_denorm_src 0
		.amdhsa_exception_fp_ieee_div_zero 0
		.amdhsa_exception_fp_ieee_overflow 0
		.amdhsa_exception_fp_ieee_underflow 0
		.amdhsa_exception_fp_ieee_inexact 0
		.amdhsa_exception_int_div_zero 0
	.end_amdhsa_kernel
	.section	.text._ZN7rocprim17ROCPRIM_400000_NS6detail17trampoline_kernelINS0_14default_configENS1_38merge_sort_block_merge_config_selectorIiNS0_10empty_typeEEEZZNS1_27merge_sort_block_merge_implIS3_N6thrust23THRUST_200600_302600_NS6detail15normal_iteratorINS9_10device_ptrIiEEEEPS5_m17evens_before_oddsEE10hipError_tT0_T1_T2_jT3_P12ihipStream_tbPNSt15iterator_traitsISI_E10value_typeEPNSO_ISJ_E10value_typeEPSK_NS1_7vsmem_tEENKUlT_SI_SJ_SK_E_clISE_PiSF_SF_EESH_SX_SI_SJ_SK_EUlSX_E0_NS1_11comp_targetILNS1_3genE5ELNS1_11target_archE942ELNS1_3gpuE9ELNS1_3repE0EEENS1_38merge_mergepath_config_static_selectorELNS0_4arch9wavefront6targetE1EEEvSJ_,"axG",@progbits,_ZN7rocprim17ROCPRIM_400000_NS6detail17trampoline_kernelINS0_14default_configENS1_38merge_sort_block_merge_config_selectorIiNS0_10empty_typeEEEZZNS1_27merge_sort_block_merge_implIS3_N6thrust23THRUST_200600_302600_NS6detail15normal_iteratorINS9_10device_ptrIiEEEEPS5_m17evens_before_oddsEE10hipError_tT0_T1_T2_jT3_P12ihipStream_tbPNSt15iterator_traitsISI_E10value_typeEPNSO_ISJ_E10value_typeEPSK_NS1_7vsmem_tEENKUlT_SI_SJ_SK_E_clISE_PiSF_SF_EESH_SX_SI_SJ_SK_EUlSX_E0_NS1_11comp_targetILNS1_3genE5ELNS1_11target_archE942ELNS1_3gpuE9ELNS1_3repE0EEENS1_38merge_mergepath_config_static_selectorELNS0_4arch9wavefront6targetE1EEEvSJ_,comdat
.Lfunc_end442:
	.size	_ZN7rocprim17ROCPRIM_400000_NS6detail17trampoline_kernelINS0_14default_configENS1_38merge_sort_block_merge_config_selectorIiNS0_10empty_typeEEEZZNS1_27merge_sort_block_merge_implIS3_N6thrust23THRUST_200600_302600_NS6detail15normal_iteratorINS9_10device_ptrIiEEEEPS5_m17evens_before_oddsEE10hipError_tT0_T1_T2_jT3_P12ihipStream_tbPNSt15iterator_traitsISI_E10value_typeEPNSO_ISJ_E10value_typeEPSK_NS1_7vsmem_tEENKUlT_SI_SJ_SK_E_clISE_PiSF_SF_EESH_SX_SI_SJ_SK_EUlSX_E0_NS1_11comp_targetILNS1_3genE5ELNS1_11target_archE942ELNS1_3gpuE9ELNS1_3repE0EEENS1_38merge_mergepath_config_static_selectorELNS0_4arch9wavefront6targetE1EEEvSJ_, .Lfunc_end442-_ZN7rocprim17ROCPRIM_400000_NS6detail17trampoline_kernelINS0_14default_configENS1_38merge_sort_block_merge_config_selectorIiNS0_10empty_typeEEEZZNS1_27merge_sort_block_merge_implIS3_N6thrust23THRUST_200600_302600_NS6detail15normal_iteratorINS9_10device_ptrIiEEEEPS5_m17evens_before_oddsEE10hipError_tT0_T1_T2_jT3_P12ihipStream_tbPNSt15iterator_traitsISI_E10value_typeEPNSO_ISJ_E10value_typeEPSK_NS1_7vsmem_tEENKUlT_SI_SJ_SK_E_clISE_PiSF_SF_EESH_SX_SI_SJ_SK_EUlSX_E0_NS1_11comp_targetILNS1_3genE5ELNS1_11target_archE942ELNS1_3gpuE9ELNS1_3repE0EEENS1_38merge_mergepath_config_static_selectorELNS0_4arch9wavefront6targetE1EEEvSJ_
                                        ; -- End function
	.set _ZN7rocprim17ROCPRIM_400000_NS6detail17trampoline_kernelINS0_14default_configENS1_38merge_sort_block_merge_config_selectorIiNS0_10empty_typeEEEZZNS1_27merge_sort_block_merge_implIS3_N6thrust23THRUST_200600_302600_NS6detail15normal_iteratorINS9_10device_ptrIiEEEEPS5_m17evens_before_oddsEE10hipError_tT0_T1_T2_jT3_P12ihipStream_tbPNSt15iterator_traitsISI_E10value_typeEPNSO_ISJ_E10value_typeEPSK_NS1_7vsmem_tEENKUlT_SI_SJ_SK_E_clISE_PiSF_SF_EESH_SX_SI_SJ_SK_EUlSX_E0_NS1_11comp_targetILNS1_3genE5ELNS1_11target_archE942ELNS1_3gpuE9ELNS1_3repE0EEENS1_38merge_mergepath_config_static_selectorELNS0_4arch9wavefront6targetE1EEEvSJ_.num_vgpr, 0
	.set _ZN7rocprim17ROCPRIM_400000_NS6detail17trampoline_kernelINS0_14default_configENS1_38merge_sort_block_merge_config_selectorIiNS0_10empty_typeEEEZZNS1_27merge_sort_block_merge_implIS3_N6thrust23THRUST_200600_302600_NS6detail15normal_iteratorINS9_10device_ptrIiEEEEPS5_m17evens_before_oddsEE10hipError_tT0_T1_T2_jT3_P12ihipStream_tbPNSt15iterator_traitsISI_E10value_typeEPNSO_ISJ_E10value_typeEPSK_NS1_7vsmem_tEENKUlT_SI_SJ_SK_E_clISE_PiSF_SF_EESH_SX_SI_SJ_SK_EUlSX_E0_NS1_11comp_targetILNS1_3genE5ELNS1_11target_archE942ELNS1_3gpuE9ELNS1_3repE0EEENS1_38merge_mergepath_config_static_selectorELNS0_4arch9wavefront6targetE1EEEvSJ_.num_agpr, 0
	.set _ZN7rocprim17ROCPRIM_400000_NS6detail17trampoline_kernelINS0_14default_configENS1_38merge_sort_block_merge_config_selectorIiNS0_10empty_typeEEEZZNS1_27merge_sort_block_merge_implIS3_N6thrust23THRUST_200600_302600_NS6detail15normal_iteratorINS9_10device_ptrIiEEEEPS5_m17evens_before_oddsEE10hipError_tT0_T1_T2_jT3_P12ihipStream_tbPNSt15iterator_traitsISI_E10value_typeEPNSO_ISJ_E10value_typeEPSK_NS1_7vsmem_tEENKUlT_SI_SJ_SK_E_clISE_PiSF_SF_EESH_SX_SI_SJ_SK_EUlSX_E0_NS1_11comp_targetILNS1_3genE5ELNS1_11target_archE942ELNS1_3gpuE9ELNS1_3repE0EEENS1_38merge_mergepath_config_static_selectorELNS0_4arch9wavefront6targetE1EEEvSJ_.numbered_sgpr, 0
	.set _ZN7rocprim17ROCPRIM_400000_NS6detail17trampoline_kernelINS0_14default_configENS1_38merge_sort_block_merge_config_selectorIiNS0_10empty_typeEEEZZNS1_27merge_sort_block_merge_implIS3_N6thrust23THRUST_200600_302600_NS6detail15normal_iteratorINS9_10device_ptrIiEEEEPS5_m17evens_before_oddsEE10hipError_tT0_T1_T2_jT3_P12ihipStream_tbPNSt15iterator_traitsISI_E10value_typeEPNSO_ISJ_E10value_typeEPSK_NS1_7vsmem_tEENKUlT_SI_SJ_SK_E_clISE_PiSF_SF_EESH_SX_SI_SJ_SK_EUlSX_E0_NS1_11comp_targetILNS1_3genE5ELNS1_11target_archE942ELNS1_3gpuE9ELNS1_3repE0EEENS1_38merge_mergepath_config_static_selectorELNS0_4arch9wavefront6targetE1EEEvSJ_.num_named_barrier, 0
	.set _ZN7rocprim17ROCPRIM_400000_NS6detail17trampoline_kernelINS0_14default_configENS1_38merge_sort_block_merge_config_selectorIiNS0_10empty_typeEEEZZNS1_27merge_sort_block_merge_implIS3_N6thrust23THRUST_200600_302600_NS6detail15normal_iteratorINS9_10device_ptrIiEEEEPS5_m17evens_before_oddsEE10hipError_tT0_T1_T2_jT3_P12ihipStream_tbPNSt15iterator_traitsISI_E10value_typeEPNSO_ISJ_E10value_typeEPSK_NS1_7vsmem_tEENKUlT_SI_SJ_SK_E_clISE_PiSF_SF_EESH_SX_SI_SJ_SK_EUlSX_E0_NS1_11comp_targetILNS1_3genE5ELNS1_11target_archE942ELNS1_3gpuE9ELNS1_3repE0EEENS1_38merge_mergepath_config_static_selectorELNS0_4arch9wavefront6targetE1EEEvSJ_.private_seg_size, 0
	.set _ZN7rocprim17ROCPRIM_400000_NS6detail17trampoline_kernelINS0_14default_configENS1_38merge_sort_block_merge_config_selectorIiNS0_10empty_typeEEEZZNS1_27merge_sort_block_merge_implIS3_N6thrust23THRUST_200600_302600_NS6detail15normal_iteratorINS9_10device_ptrIiEEEEPS5_m17evens_before_oddsEE10hipError_tT0_T1_T2_jT3_P12ihipStream_tbPNSt15iterator_traitsISI_E10value_typeEPNSO_ISJ_E10value_typeEPSK_NS1_7vsmem_tEENKUlT_SI_SJ_SK_E_clISE_PiSF_SF_EESH_SX_SI_SJ_SK_EUlSX_E0_NS1_11comp_targetILNS1_3genE5ELNS1_11target_archE942ELNS1_3gpuE9ELNS1_3repE0EEENS1_38merge_mergepath_config_static_selectorELNS0_4arch9wavefront6targetE1EEEvSJ_.uses_vcc, 0
	.set _ZN7rocprim17ROCPRIM_400000_NS6detail17trampoline_kernelINS0_14default_configENS1_38merge_sort_block_merge_config_selectorIiNS0_10empty_typeEEEZZNS1_27merge_sort_block_merge_implIS3_N6thrust23THRUST_200600_302600_NS6detail15normal_iteratorINS9_10device_ptrIiEEEEPS5_m17evens_before_oddsEE10hipError_tT0_T1_T2_jT3_P12ihipStream_tbPNSt15iterator_traitsISI_E10value_typeEPNSO_ISJ_E10value_typeEPSK_NS1_7vsmem_tEENKUlT_SI_SJ_SK_E_clISE_PiSF_SF_EESH_SX_SI_SJ_SK_EUlSX_E0_NS1_11comp_targetILNS1_3genE5ELNS1_11target_archE942ELNS1_3gpuE9ELNS1_3repE0EEENS1_38merge_mergepath_config_static_selectorELNS0_4arch9wavefront6targetE1EEEvSJ_.uses_flat_scratch, 0
	.set _ZN7rocprim17ROCPRIM_400000_NS6detail17trampoline_kernelINS0_14default_configENS1_38merge_sort_block_merge_config_selectorIiNS0_10empty_typeEEEZZNS1_27merge_sort_block_merge_implIS3_N6thrust23THRUST_200600_302600_NS6detail15normal_iteratorINS9_10device_ptrIiEEEEPS5_m17evens_before_oddsEE10hipError_tT0_T1_T2_jT3_P12ihipStream_tbPNSt15iterator_traitsISI_E10value_typeEPNSO_ISJ_E10value_typeEPSK_NS1_7vsmem_tEENKUlT_SI_SJ_SK_E_clISE_PiSF_SF_EESH_SX_SI_SJ_SK_EUlSX_E0_NS1_11comp_targetILNS1_3genE5ELNS1_11target_archE942ELNS1_3gpuE9ELNS1_3repE0EEENS1_38merge_mergepath_config_static_selectorELNS0_4arch9wavefront6targetE1EEEvSJ_.has_dyn_sized_stack, 0
	.set _ZN7rocprim17ROCPRIM_400000_NS6detail17trampoline_kernelINS0_14default_configENS1_38merge_sort_block_merge_config_selectorIiNS0_10empty_typeEEEZZNS1_27merge_sort_block_merge_implIS3_N6thrust23THRUST_200600_302600_NS6detail15normal_iteratorINS9_10device_ptrIiEEEEPS5_m17evens_before_oddsEE10hipError_tT0_T1_T2_jT3_P12ihipStream_tbPNSt15iterator_traitsISI_E10value_typeEPNSO_ISJ_E10value_typeEPSK_NS1_7vsmem_tEENKUlT_SI_SJ_SK_E_clISE_PiSF_SF_EESH_SX_SI_SJ_SK_EUlSX_E0_NS1_11comp_targetILNS1_3genE5ELNS1_11target_archE942ELNS1_3gpuE9ELNS1_3repE0EEENS1_38merge_mergepath_config_static_selectorELNS0_4arch9wavefront6targetE1EEEvSJ_.has_recursion, 0
	.set _ZN7rocprim17ROCPRIM_400000_NS6detail17trampoline_kernelINS0_14default_configENS1_38merge_sort_block_merge_config_selectorIiNS0_10empty_typeEEEZZNS1_27merge_sort_block_merge_implIS3_N6thrust23THRUST_200600_302600_NS6detail15normal_iteratorINS9_10device_ptrIiEEEEPS5_m17evens_before_oddsEE10hipError_tT0_T1_T2_jT3_P12ihipStream_tbPNSt15iterator_traitsISI_E10value_typeEPNSO_ISJ_E10value_typeEPSK_NS1_7vsmem_tEENKUlT_SI_SJ_SK_E_clISE_PiSF_SF_EESH_SX_SI_SJ_SK_EUlSX_E0_NS1_11comp_targetILNS1_3genE5ELNS1_11target_archE942ELNS1_3gpuE9ELNS1_3repE0EEENS1_38merge_mergepath_config_static_selectorELNS0_4arch9wavefront6targetE1EEEvSJ_.has_indirect_call, 0
	.section	.AMDGPU.csdata,"",@progbits
; Kernel info:
; codeLenInByte = 0
; TotalNumSgprs: 6
; NumVgprs: 0
; NumAgprs: 0
; TotalNumVgprs: 0
; ScratchSize: 0
; MemoryBound: 0
; FloatMode: 240
; IeeeMode: 1
; LDSByteSize: 0 bytes/workgroup (compile time only)
; SGPRBlocks: 0
; VGPRBlocks: 0
; NumSGPRsForWavesPerEU: 6
; NumVGPRsForWavesPerEU: 1
; AccumOffset: 4
; Occupancy: 8
; WaveLimiterHint : 0
; COMPUTE_PGM_RSRC2:SCRATCH_EN: 0
; COMPUTE_PGM_RSRC2:USER_SGPR: 2
; COMPUTE_PGM_RSRC2:TRAP_HANDLER: 0
; COMPUTE_PGM_RSRC2:TGID_X_EN: 1
; COMPUTE_PGM_RSRC2:TGID_Y_EN: 0
; COMPUTE_PGM_RSRC2:TGID_Z_EN: 0
; COMPUTE_PGM_RSRC2:TIDIG_COMP_CNT: 0
; COMPUTE_PGM_RSRC3_GFX90A:ACCUM_OFFSET: 0
; COMPUTE_PGM_RSRC3_GFX90A:TG_SPLIT: 0
	.section	.text._ZN7rocprim17ROCPRIM_400000_NS6detail17trampoline_kernelINS0_14default_configENS1_38merge_sort_block_merge_config_selectorIiNS0_10empty_typeEEEZZNS1_27merge_sort_block_merge_implIS3_N6thrust23THRUST_200600_302600_NS6detail15normal_iteratorINS9_10device_ptrIiEEEEPS5_m17evens_before_oddsEE10hipError_tT0_T1_T2_jT3_P12ihipStream_tbPNSt15iterator_traitsISI_E10value_typeEPNSO_ISJ_E10value_typeEPSK_NS1_7vsmem_tEENKUlT_SI_SJ_SK_E_clISE_PiSF_SF_EESH_SX_SI_SJ_SK_EUlSX_E0_NS1_11comp_targetILNS1_3genE4ELNS1_11target_archE910ELNS1_3gpuE8ELNS1_3repE0EEENS1_38merge_mergepath_config_static_selectorELNS0_4arch9wavefront6targetE1EEEvSJ_,"axG",@progbits,_ZN7rocprim17ROCPRIM_400000_NS6detail17trampoline_kernelINS0_14default_configENS1_38merge_sort_block_merge_config_selectorIiNS0_10empty_typeEEEZZNS1_27merge_sort_block_merge_implIS3_N6thrust23THRUST_200600_302600_NS6detail15normal_iteratorINS9_10device_ptrIiEEEEPS5_m17evens_before_oddsEE10hipError_tT0_T1_T2_jT3_P12ihipStream_tbPNSt15iterator_traitsISI_E10value_typeEPNSO_ISJ_E10value_typeEPSK_NS1_7vsmem_tEENKUlT_SI_SJ_SK_E_clISE_PiSF_SF_EESH_SX_SI_SJ_SK_EUlSX_E0_NS1_11comp_targetILNS1_3genE4ELNS1_11target_archE910ELNS1_3gpuE8ELNS1_3repE0EEENS1_38merge_mergepath_config_static_selectorELNS0_4arch9wavefront6targetE1EEEvSJ_,comdat
	.protected	_ZN7rocprim17ROCPRIM_400000_NS6detail17trampoline_kernelINS0_14default_configENS1_38merge_sort_block_merge_config_selectorIiNS0_10empty_typeEEEZZNS1_27merge_sort_block_merge_implIS3_N6thrust23THRUST_200600_302600_NS6detail15normal_iteratorINS9_10device_ptrIiEEEEPS5_m17evens_before_oddsEE10hipError_tT0_T1_T2_jT3_P12ihipStream_tbPNSt15iterator_traitsISI_E10value_typeEPNSO_ISJ_E10value_typeEPSK_NS1_7vsmem_tEENKUlT_SI_SJ_SK_E_clISE_PiSF_SF_EESH_SX_SI_SJ_SK_EUlSX_E0_NS1_11comp_targetILNS1_3genE4ELNS1_11target_archE910ELNS1_3gpuE8ELNS1_3repE0EEENS1_38merge_mergepath_config_static_selectorELNS0_4arch9wavefront6targetE1EEEvSJ_ ; -- Begin function _ZN7rocprim17ROCPRIM_400000_NS6detail17trampoline_kernelINS0_14default_configENS1_38merge_sort_block_merge_config_selectorIiNS0_10empty_typeEEEZZNS1_27merge_sort_block_merge_implIS3_N6thrust23THRUST_200600_302600_NS6detail15normal_iteratorINS9_10device_ptrIiEEEEPS5_m17evens_before_oddsEE10hipError_tT0_T1_T2_jT3_P12ihipStream_tbPNSt15iterator_traitsISI_E10value_typeEPNSO_ISJ_E10value_typeEPSK_NS1_7vsmem_tEENKUlT_SI_SJ_SK_E_clISE_PiSF_SF_EESH_SX_SI_SJ_SK_EUlSX_E0_NS1_11comp_targetILNS1_3genE4ELNS1_11target_archE910ELNS1_3gpuE8ELNS1_3repE0EEENS1_38merge_mergepath_config_static_selectorELNS0_4arch9wavefront6targetE1EEEvSJ_
	.globl	_ZN7rocprim17ROCPRIM_400000_NS6detail17trampoline_kernelINS0_14default_configENS1_38merge_sort_block_merge_config_selectorIiNS0_10empty_typeEEEZZNS1_27merge_sort_block_merge_implIS3_N6thrust23THRUST_200600_302600_NS6detail15normal_iteratorINS9_10device_ptrIiEEEEPS5_m17evens_before_oddsEE10hipError_tT0_T1_T2_jT3_P12ihipStream_tbPNSt15iterator_traitsISI_E10value_typeEPNSO_ISJ_E10value_typeEPSK_NS1_7vsmem_tEENKUlT_SI_SJ_SK_E_clISE_PiSF_SF_EESH_SX_SI_SJ_SK_EUlSX_E0_NS1_11comp_targetILNS1_3genE4ELNS1_11target_archE910ELNS1_3gpuE8ELNS1_3repE0EEENS1_38merge_mergepath_config_static_selectorELNS0_4arch9wavefront6targetE1EEEvSJ_
	.p2align	8
	.type	_ZN7rocprim17ROCPRIM_400000_NS6detail17trampoline_kernelINS0_14default_configENS1_38merge_sort_block_merge_config_selectorIiNS0_10empty_typeEEEZZNS1_27merge_sort_block_merge_implIS3_N6thrust23THRUST_200600_302600_NS6detail15normal_iteratorINS9_10device_ptrIiEEEEPS5_m17evens_before_oddsEE10hipError_tT0_T1_T2_jT3_P12ihipStream_tbPNSt15iterator_traitsISI_E10value_typeEPNSO_ISJ_E10value_typeEPSK_NS1_7vsmem_tEENKUlT_SI_SJ_SK_E_clISE_PiSF_SF_EESH_SX_SI_SJ_SK_EUlSX_E0_NS1_11comp_targetILNS1_3genE4ELNS1_11target_archE910ELNS1_3gpuE8ELNS1_3repE0EEENS1_38merge_mergepath_config_static_selectorELNS0_4arch9wavefront6targetE1EEEvSJ_,@function
_ZN7rocprim17ROCPRIM_400000_NS6detail17trampoline_kernelINS0_14default_configENS1_38merge_sort_block_merge_config_selectorIiNS0_10empty_typeEEEZZNS1_27merge_sort_block_merge_implIS3_N6thrust23THRUST_200600_302600_NS6detail15normal_iteratorINS9_10device_ptrIiEEEEPS5_m17evens_before_oddsEE10hipError_tT0_T1_T2_jT3_P12ihipStream_tbPNSt15iterator_traitsISI_E10value_typeEPNSO_ISJ_E10value_typeEPSK_NS1_7vsmem_tEENKUlT_SI_SJ_SK_E_clISE_PiSF_SF_EESH_SX_SI_SJ_SK_EUlSX_E0_NS1_11comp_targetILNS1_3genE4ELNS1_11target_archE910ELNS1_3gpuE8ELNS1_3repE0EEENS1_38merge_mergepath_config_static_selectorELNS0_4arch9wavefront6targetE1EEEvSJ_: ; @_ZN7rocprim17ROCPRIM_400000_NS6detail17trampoline_kernelINS0_14default_configENS1_38merge_sort_block_merge_config_selectorIiNS0_10empty_typeEEEZZNS1_27merge_sort_block_merge_implIS3_N6thrust23THRUST_200600_302600_NS6detail15normal_iteratorINS9_10device_ptrIiEEEEPS5_m17evens_before_oddsEE10hipError_tT0_T1_T2_jT3_P12ihipStream_tbPNSt15iterator_traitsISI_E10value_typeEPNSO_ISJ_E10value_typeEPSK_NS1_7vsmem_tEENKUlT_SI_SJ_SK_E_clISE_PiSF_SF_EESH_SX_SI_SJ_SK_EUlSX_E0_NS1_11comp_targetILNS1_3genE4ELNS1_11target_archE910ELNS1_3gpuE8ELNS1_3repE0EEENS1_38merge_mergepath_config_static_selectorELNS0_4arch9wavefront6targetE1EEEvSJ_
; %bb.0:
	.section	.rodata,"a",@progbits
	.p2align	6, 0x0
	.amdhsa_kernel _ZN7rocprim17ROCPRIM_400000_NS6detail17trampoline_kernelINS0_14default_configENS1_38merge_sort_block_merge_config_selectorIiNS0_10empty_typeEEEZZNS1_27merge_sort_block_merge_implIS3_N6thrust23THRUST_200600_302600_NS6detail15normal_iteratorINS9_10device_ptrIiEEEEPS5_m17evens_before_oddsEE10hipError_tT0_T1_T2_jT3_P12ihipStream_tbPNSt15iterator_traitsISI_E10value_typeEPNSO_ISJ_E10value_typeEPSK_NS1_7vsmem_tEENKUlT_SI_SJ_SK_E_clISE_PiSF_SF_EESH_SX_SI_SJ_SK_EUlSX_E0_NS1_11comp_targetILNS1_3genE4ELNS1_11target_archE910ELNS1_3gpuE8ELNS1_3repE0EEENS1_38merge_mergepath_config_static_selectorELNS0_4arch9wavefront6targetE1EEEvSJ_
		.amdhsa_group_segment_fixed_size 0
		.amdhsa_private_segment_fixed_size 0
		.amdhsa_kernarg_size 72
		.amdhsa_user_sgpr_count 2
		.amdhsa_user_sgpr_dispatch_ptr 0
		.amdhsa_user_sgpr_queue_ptr 0
		.amdhsa_user_sgpr_kernarg_segment_ptr 1
		.amdhsa_user_sgpr_dispatch_id 0
		.amdhsa_user_sgpr_kernarg_preload_length 0
		.amdhsa_user_sgpr_kernarg_preload_offset 0
		.amdhsa_user_sgpr_private_segment_size 0
		.amdhsa_uses_dynamic_stack 0
		.amdhsa_enable_private_segment 0
		.amdhsa_system_sgpr_workgroup_id_x 1
		.amdhsa_system_sgpr_workgroup_id_y 0
		.amdhsa_system_sgpr_workgroup_id_z 0
		.amdhsa_system_sgpr_workgroup_info 0
		.amdhsa_system_vgpr_workitem_id 0
		.amdhsa_next_free_vgpr 1
		.amdhsa_next_free_sgpr 0
		.amdhsa_accum_offset 4
		.amdhsa_reserve_vcc 0
		.amdhsa_float_round_mode_32 0
		.amdhsa_float_round_mode_16_64 0
		.amdhsa_float_denorm_mode_32 3
		.amdhsa_float_denorm_mode_16_64 3
		.amdhsa_dx10_clamp 1
		.amdhsa_ieee_mode 1
		.amdhsa_fp16_overflow 0
		.amdhsa_tg_split 0
		.amdhsa_exception_fp_ieee_invalid_op 0
		.amdhsa_exception_fp_denorm_src 0
		.amdhsa_exception_fp_ieee_div_zero 0
		.amdhsa_exception_fp_ieee_overflow 0
		.amdhsa_exception_fp_ieee_underflow 0
		.amdhsa_exception_fp_ieee_inexact 0
		.amdhsa_exception_int_div_zero 0
	.end_amdhsa_kernel
	.section	.text._ZN7rocprim17ROCPRIM_400000_NS6detail17trampoline_kernelINS0_14default_configENS1_38merge_sort_block_merge_config_selectorIiNS0_10empty_typeEEEZZNS1_27merge_sort_block_merge_implIS3_N6thrust23THRUST_200600_302600_NS6detail15normal_iteratorINS9_10device_ptrIiEEEEPS5_m17evens_before_oddsEE10hipError_tT0_T1_T2_jT3_P12ihipStream_tbPNSt15iterator_traitsISI_E10value_typeEPNSO_ISJ_E10value_typeEPSK_NS1_7vsmem_tEENKUlT_SI_SJ_SK_E_clISE_PiSF_SF_EESH_SX_SI_SJ_SK_EUlSX_E0_NS1_11comp_targetILNS1_3genE4ELNS1_11target_archE910ELNS1_3gpuE8ELNS1_3repE0EEENS1_38merge_mergepath_config_static_selectorELNS0_4arch9wavefront6targetE1EEEvSJ_,"axG",@progbits,_ZN7rocprim17ROCPRIM_400000_NS6detail17trampoline_kernelINS0_14default_configENS1_38merge_sort_block_merge_config_selectorIiNS0_10empty_typeEEEZZNS1_27merge_sort_block_merge_implIS3_N6thrust23THRUST_200600_302600_NS6detail15normal_iteratorINS9_10device_ptrIiEEEEPS5_m17evens_before_oddsEE10hipError_tT0_T1_T2_jT3_P12ihipStream_tbPNSt15iterator_traitsISI_E10value_typeEPNSO_ISJ_E10value_typeEPSK_NS1_7vsmem_tEENKUlT_SI_SJ_SK_E_clISE_PiSF_SF_EESH_SX_SI_SJ_SK_EUlSX_E0_NS1_11comp_targetILNS1_3genE4ELNS1_11target_archE910ELNS1_3gpuE8ELNS1_3repE0EEENS1_38merge_mergepath_config_static_selectorELNS0_4arch9wavefront6targetE1EEEvSJ_,comdat
.Lfunc_end443:
	.size	_ZN7rocprim17ROCPRIM_400000_NS6detail17trampoline_kernelINS0_14default_configENS1_38merge_sort_block_merge_config_selectorIiNS0_10empty_typeEEEZZNS1_27merge_sort_block_merge_implIS3_N6thrust23THRUST_200600_302600_NS6detail15normal_iteratorINS9_10device_ptrIiEEEEPS5_m17evens_before_oddsEE10hipError_tT0_T1_T2_jT3_P12ihipStream_tbPNSt15iterator_traitsISI_E10value_typeEPNSO_ISJ_E10value_typeEPSK_NS1_7vsmem_tEENKUlT_SI_SJ_SK_E_clISE_PiSF_SF_EESH_SX_SI_SJ_SK_EUlSX_E0_NS1_11comp_targetILNS1_3genE4ELNS1_11target_archE910ELNS1_3gpuE8ELNS1_3repE0EEENS1_38merge_mergepath_config_static_selectorELNS0_4arch9wavefront6targetE1EEEvSJ_, .Lfunc_end443-_ZN7rocprim17ROCPRIM_400000_NS6detail17trampoline_kernelINS0_14default_configENS1_38merge_sort_block_merge_config_selectorIiNS0_10empty_typeEEEZZNS1_27merge_sort_block_merge_implIS3_N6thrust23THRUST_200600_302600_NS6detail15normal_iteratorINS9_10device_ptrIiEEEEPS5_m17evens_before_oddsEE10hipError_tT0_T1_T2_jT3_P12ihipStream_tbPNSt15iterator_traitsISI_E10value_typeEPNSO_ISJ_E10value_typeEPSK_NS1_7vsmem_tEENKUlT_SI_SJ_SK_E_clISE_PiSF_SF_EESH_SX_SI_SJ_SK_EUlSX_E0_NS1_11comp_targetILNS1_3genE4ELNS1_11target_archE910ELNS1_3gpuE8ELNS1_3repE0EEENS1_38merge_mergepath_config_static_selectorELNS0_4arch9wavefront6targetE1EEEvSJ_
                                        ; -- End function
	.set _ZN7rocprim17ROCPRIM_400000_NS6detail17trampoline_kernelINS0_14default_configENS1_38merge_sort_block_merge_config_selectorIiNS0_10empty_typeEEEZZNS1_27merge_sort_block_merge_implIS3_N6thrust23THRUST_200600_302600_NS6detail15normal_iteratorINS9_10device_ptrIiEEEEPS5_m17evens_before_oddsEE10hipError_tT0_T1_T2_jT3_P12ihipStream_tbPNSt15iterator_traitsISI_E10value_typeEPNSO_ISJ_E10value_typeEPSK_NS1_7vsmem_tEENKUlT_SI_SJ_SK_E_clISE_PiSF_SF_EESH_SX_SI_SJ_SK_EUlSX_E0_NS1_11comp_targetILNS1_3genE4ELNS1_11target_archE910ELNS1_3gpuE8ELNS1_3repE0EEENS1_38merge_mergepath_config_static_selectorELNS0_4arch9wavefront6targetE1EEEvSJ_.num_vgpr, 0
	.set _ZN7rocprim17ROCPRIM_400000_NS6detail17trampoline_kernelINS0_14default_configENS1_38merge_sort_block_merge_config_selectorIiNS0_10empty_typeEEEZZNS1_27merge_sort_block_merge_implIS3_N6thrust23THRUST_200600_302600_NS6detail15normal_iteratorINS9_10device_ptrIiEEEEPS5_m17evens_before_oddsEE10hipError_tT0_T1_T2_jT3_P12ihipStream_tbPNSt15iterator_traitsISI_E10value_typeEPNSO_ISJ_E10value_typeEPSK_NS1_7vsmem_tEENKUlT_SI_SJ_SK_E_clISE_PiSF_SF_EESH_SX_SI_SJ_SK_EUlSX_E0_NS1_11comp_targetILNS1_3genE4ELNS1_11target_archE910ELNS1_3gpuE8ELNS1_3repE0EEENS1_38merge_mergepath_config_static_selectorELNS0_4arch9wavefront6targetE1EEEvSJ_.num_agpr, 0
	.set _ZN7rocprim17ROCPRIM_400000_NS6detail17trampoline_kernelINS0_14default_configENS1_38merge_sort_block_merge_config_selectorIiNS0_10empty_typeEEEZZNS1_27merge_sort_block_merge_implIS3_N6thrust23THRUST_200600_302600_NS6detail15normal_iteratorINS9_10device_ptrIiEEEEPS5_m17evens_before_oddsEE10hipError_tT0_T1_T2_jT3_P12ihipStream_tbPNSt15iterator_traitsISI_E10value_typeEPNSO_ISJ_E10value_typeEPSK_NS1_7vsmem_tEENKUlT_SI_SJ_SK_E_clISE_PiSF_SF_EESH_SX_SI_SJ_SK_EUlSX_E0_NS1_11comp_targetILNS1_3genE4ELNS1_11target_archE910ELNS1_3gpuE8ELNS1_3repE0EEENS1_38merge_mergepath_config_static_selectorELNS0_4arch9wavefront6targetE1EEEvSJ_.numbered_sgpr, 0
	.set _ZN7rocprim17ROCPRIM_400000_NS6detail17trampoline_kernelINS0_14default_configENS1_38merge_sort_block_merge_config_selectorIiNS0_10empty_typeEEEZZNS1_27merge_sort_block_merge_implIS3_N6thrust23THRUST_200600_302600_NS6detail15normal_iteratorINS9_10device_ptrIiEEEEPS5_m17evens_before_oddsEE10hipError_tT0_T1_T2_jT3_P12ihipStream_tbPNSt15iterator_traitsISI_E10value_typeEPNSO_ISJ_E10value_typeEPSK_NS1_7vsmem_tEENKUlT_SI_SJ_SK_E_clISE_PiSF_SF_EESH_SX_SI_SJ_SK_EUlSX_E0_NS1_11comp_targetILNS1_3genE4ELNS1_11target_archE910ELNS1_3gpuE8ELNS1_3repE0EEENS1_38merge_mergepath_config_static_selectorELNS0_4arch9wavefront6targetE1EEEvSJ_.num_named_barrier, 0
	.set _ZN7rocprim17ROCPRIM_400000_NS6detail17trampoline_kernelINS0_14default_configENS1_38merge_sort_block_merge_config_selectorIiNS0_10empty_typeEEEZZNS1_27merge_sort_block_merge_implIS3_N6thrust23THRUST_200600_302600_NS6detail15normal_iteratorINS9_10device_ptrIiEEEEPS5_m17evens_before_oddsEE10hipError_tT0_T1_T2_jT3_P12ihipStream_tbPNSt15iterator_traitsISI_E10value_typeEPNSO_ISJ_E10value_typeEPSK_NS1_7vsmem_tEENKUlT_SI_SJ_SK_E_clISE_PiSF_SF_EESH_SX_SI_SJ_SK_EUlSX_E0_NS1_11comp_targetILNS1_3genE4ELNS1_11target_archE910ELNS1_3gpuE8ELNS1_3repE0EEENS1_38merge_mergepath_config_static_selectorELNS0_4arch9wavefront6targetE1EEEvSJ_.private_seg_size, 0
	.set _ZN7rocprim17ROCPRIM_400000_NS6detail17trampoline_kernelINS0_14default_configENS1_38merge_sort_block_merge_config_selectorIiNS0_10empty_typeEEEZZNS1_27merge_sort_block_merge_implIS3_N6thrust23THRUST_200600_302600_NS6detail15normal_iteratorINS9_10device_ptrIiEEEEPS5_m17evens_before_oddsEE10hipError_tT0_T1_T2_jT3_P12ihipStream_tbPNSt15iterator_traitsISI_E10value_typeEPNSO_ISJ_E10value_typeEPSK_NS1_7vsmem_tEENKUlT_SI_SJ_SK_E_clISE_PiSF_SF_EESH_SX_SI_SJ_SK_EUlSX_E0_NS1_11comp_targetILNS1_3genE4ELNS1_11target_archE910ELNS1_3gpuE8ELNS1_3repE0EEENS1_38merge_mergepath_config_static_selectorELNS0_4arch9wavefront6targetE1EEEvSJ_.uses_vcc, 0
	.set _ZN7rocprim17ROCPRIM_400000_NS6detail17trampoline_kernelINS0_14default_configENS1_38merge_sort_block_merge_config_selectorIiNS0_10empty_typeEEEZZNS1_27merge_sort_block_merge_implIS3_N6thrust23THRUST_200600_302600_NS6detail15normal_iteratorINS9_10device_ptrIiEEEEPS5_m17evens_before_oddsEE10hipError_tT0_T1_T2_jT3_P12ihipStream_tbPNSt15iterator_traitsISI_E10value_typeEPNSO_ISJ_E10value_typeEPSK_NS1_7vsmem_tEENKUlT_SI_SJ_SK_E_clISE_PiSF_SF_EESH_SX_SI_SJ_SK_EUlSX_E0_NS1_11comp_targetILNS1_3genE4ELNS1_11target_archE910ELNS1_3gpuE8ELNS1_3repE0EEENS1_38merge_mergepath_config_static_selectorELNS0_4arch9wavefront6targetE1EEEvSJ_.uses_flat_scratch, 0
	.set _ZN7rocprim17ROCPRIM_400000_NS6detail17trampoline_kernelINS0_14default_configENS1_38merge_sort_block_merge_config_selectorIiNS0_10empty_typeEEEZZNS1_27merge_sort_block_merge_implIS3_N6thrust23THRUST_200600_302600_NS6detail15normal_iteratorINS9_10device_ptrIiEEEEPS5_m17evens_before_oddsEE10hipError_tT0_T1_T2_jT3_P12ihipStream_tbPNSt15iterator_traitsISI_E10value_typeEPNSO_ISJ_E10value_typeEPSK_NS1_7vsmem_tEENKUlT_SI_SJ_SK_E_clISE_PiSF_SF_EESH_SX_SI_SJ_SK_EUlSX_E0_NS1_11comp_targetILNS1_3genE4ELNS1_11target_archE910ELNS1_3gpuE8ELNS1_3repE0EEENS1_38merge_mergepath_config_static_selectorELNS0_4arch9wavefront6targetE1EEEvSJ_.has_dyn_sized_stack, 0
	.set _ZN7rocprim17ROCPRIM_400000_NS6detail17trampoline_kernelINS0_14default_configENS1_38merge_sort_block_merge_config_selectorIiNS0_10empty_typeEEEZZNS1_27merge_sort_block_merge_implIS3_N6thrust23THRUST_200600_302600_NS6detail15normal_iteratorINS9_10device_ptrIiEEEEPS5_m17evens_before_oddsEE10hipError_tT0_T1_T2_jT3_P12ihipStream_tbPNSt15iterator_traitsISI_E10value_typeEPNSO_ISJ_E10value_typeEPSK_NS1_7vsmem_tEENKUlT_SI_SJ_SK_E_clISE_PiSF_SF_EESH_SX_SI_SJ_SK_EUlSX_E0_NS1_11comp_targetILNS1_3genE4ELNS1_11target_archE910ELNS1_3gpuE8ELNS1_3repE0EEENS1_38merge_mergepath_config_static_selectorELNS0_4arch9wavefront6targetE1EEEvSJ_.has_recursion, 0
	.set _ZN7rocprim17ROCPRIM_400000_NS6detail17trampoline_kernelINS0_14default_configENS1_38merge_sort_block_merge_config_selectorIiNS0_10empty_typeEEEZZNS1_27merge_sort_block_merge_implIS3_N6thrust23THRUST_200600_302600_NS6detail15normal_iteratorINS9_10device_ptrIiEEEEPS5_m17evens_before_oddsEE10hipError_tT0_T1_T2_jT3_P12ihipStream_tbPNSt15iterator_traitsISI_E10value_typeEPNSO_ISJ_E10value_typeEPSK_NS1_7vsmem_tEENKUlT_SI_SJ_SK_E_clISE_PiSF_SF_EESH_SX_SI_SJ_SK_EUlSX_E0_NS1_11comp_targetILNS1_3genE4ELNS1_11target_archE910ELNS1_3gpuE8ELNS1_3repE0EEENS1_38merge_mergepath_config_static_selectorELNS0_4arch9wavefront6targetE1EEEvSJ_.has_indirect_call, 0
	.section	.AMDGPU.csdata,"",@progbits
; Kernel info:
; codeLenInByte = 0
; TotalNumSgprs: 6
; NumVgprs: 0
; NumAgprs: 0
; TotalNumVgprs: 0
; ScratchSize: 0
; MemoryBound: 0
; FloatMode: 240
; IeeeMode: 1
; LDSByteSize: 0 bytes/workgroup (compile time only)
; SGPRBlocks: 0
; VGPRBlocks: 0
; NumSGPRsForWavesPerEU: 6
; NumVGPRsForWavesPerEU: 1
; AccumOffset: 4
; Occupancy: 8
; WaveLimiterHint : 0
; COMPUTE_PGM_RSRC2:SCRATCH_EN: 0
; COMPUTE_PGM_RSRC2:USER_SGPR: 2
; COMPUTE_PGM_RSRC2:TRAP_HANDLER: 0
; COMPUTE_PGM_RSRC2:TGID_X_EN: 1
; COMPUTE_PGM_RSRC2:TGID_Y_EN: 0
; COMPUTE_PGM_RSRC2:TGID_Z_EN: 0
; COMPUTE_PGM_RSRC2:TIDIG_COMP_CNT: 0
; COMPUTE_PGM_RSRC3_GFX90A:ACCUM_OFFSET: 0
; COMPUTE_PGM_RSRC3_GFX90A:TG_SPLIT: 0
	.section	.text._ZN7rocprim17ROCPRIM_400000_NS6detail17trampoline_kernelINS0_14default_configENS1_38merge_sort_block_merge_config_selectorIiNS0_10empty_typeEEEZZNS1_27merge_sort_block_merge_implIS3_N6thrust23THRUST_200600_302600_NS6detail15normal_iteratorINS9_10device_ptrIiEEEEPS5_m17evens_before_oddsEE10hipError_tT0_T1_T2_jT3_P12ihipStream_tbPNSt15iterator_traitsISI_E10value_typeEPNSO_ISJ_E10value_typeEPSK_NS1_7vsmem_tEENKUlT_SI_SJ_SK_E_clISE_PiSF_SF_EESH_SX_SI_SJ_SK_EUlSX_E0_NS1_11comp_targetILNS1_3genE3ELNS1_11target_archE908ELNS1_3gpuE7ELNS1_3repE0EEENS1_38merge_mergepath_config_static_selectorELNS0_4arch9wavefront6targetE1EEEvSJ_,"axG",@progbits,_ZN7rocprim17ROCPRIM_400000_NS6detail17trampoline_kernelINS0_14default_configENS1_38merge_sort_block_merge_config_selectorIiNS0_10empty_typeEEEZZNS1_27merge_sort_block_merge_implIS3_N6thrust23THRUST_200600_302600_NS6detail15normal_iteratorINS9_10device_ptrIiEEEEPS5_m17evens_before_oddsEE10hipError_tT0_T1_T2_jT3_P12ihipStream_tbPNSt15iterator_traitsISI_E10value_typeEPNSO_ISJ_E10value_typeEPSK_NS1_7vsmem_tEENKUlT_SI_SJ_SK_E_clISE_PiSF_SF_EESH_SX_SI_SJ_SK_EUlSX_E0_NS1_11comp_targetILNS1_3genE3ELNS1_11target_archE908ELNS1_3gpuE7ELNS1_3repE0EEENS1_38merge_mergepath_config_static_selectorELNS0_4arch9wavefront6targetE1EEEvSJ_,comdat
	.protected	_ZN7rocprim17ROCPRIM_400000_NS6detail17trampoline_kernelINS0_14default_configENS1_38merge_sort_block_merge_config_selectorIiNS0_10empty_typeEEEZZNS1_27merge_sort_block_merge_implIS3_N6thrust23THRUST_200600_302600_NS6detail15normal_iteratorINS9_10device_ptrIiEEEEPS5_m17evens_before_oddsEE10hipError_tT0_T1_T2_jT3_P12ihipStream_tbPNSt15iterator_traitsISI_E10value_typeEPNSO_ISJ_E10value_typeEPSK_NS1_7vsmem_tEENKUlT_SI_SJ_SK_E_clISE_PiSF_SF_EESH_SX_SI_SJ_SK_EUlSX_E0_NS1_11comp_targetILNS1_3genE3ELNS1_11target_archE908ELNS1_3gpuE7ELNS1_3repE0EEENS1_38merge_mergepath_config_static_selectorELNS0_4arch9wavefront6targetE1EEEvSJ_ ; -- Begin function _ZN7rocprim17ROCPRIM_400000_NS6detail17trampoline_kernelINS0_14default_configENS1_38merge_sort_block_merge_config_selectorIiNS0_10empty_typeEEEZZNS1_27merge_sort_block_merge_implIS3_N6thrust23THRUST_200600_302600_NS6detail15normal_iteratorINS9_10device_ptrIiEEEEPS5_m17evens_before_oddsEE10hipError_tT0_T1_T2_jT3_P12ihipStream_tbPNSt15iterator_traitsISI_E10value_typeEPNSO_ISJ_E10value_typeEPSK_NS1_7vsmem_tEENKUlT_SI_SJ_SK_E_clISE_PiSF_SF_EESH_SX_SI_SJ_SK_EUlSX_E0_NS1_11comp_targetILNS1_3genE3ELNS1_11target_archE908ELNS1_3gpuE7ELNS1_3repE0EEENS1_38merge_mergepath_config_static_selectorELNS0_4arch9wavefront6targetE1EEEvSJ_
	.globl	_ZN7rocprim17ROCPRIM_400000_NS6detail17trampoline_kernelINS0_14default_configENS1_38merge_sort_block_merge_config_selectorIiNS0_10empty_typeEEEZZNS1_27merge_sort_block_merge_implIS3_N6thrust23THRUST_200600_302600_NS6detail15normal_iteratorINS9_10device_ptrIiEEEEPS5_m17evens_before_oddsEE10hipError_tT0_T1_T2_jT3_P12ihipStream_tbPNSt15iterator_traitsISI_E10value_typeEPNSO_ISJ_E10value_typeEPSK_NS1_7vsmem_tEENKUlT_SI_SJ_SK_E_clISE_PiSF_SF_EESH_SX_SI_SJ_SK_EUlSX_E0_NS1_11comp_targetILNS1_3genE3ELNS1_11target_archE908ELNS1_3gpuE7ELNS1_3repE0EEENS1_38merge_mergepath_config_static_selectorELNS0_4arch9wavefront6targetE1EEEvSJ_
	.p2align	8
	.type	_ZN7rocprim17ROCPRIM_400000_NS6detail17trampoline_kernelINS0_14default_configENS1_38merge_sort_block_merge_config_selectorIiNS0_10empty_typeEEEZZNS1_27merge_sort_block_merge_implIS3_N6thrust23THRUST_200600_302600_NS6detail15normal_iteratorINS9_10device_ptrIiEEEEPS5_m17evens_before_oddsEE10hipError_tT0_T1_T2_jT3_P12ihipStream_tbPNSt15iterator_traitsISI_E10value_typeEPNSO_ISJ_E10value_typeEPSK_NS1_7vsmem_tEENKUlT_SI_SJ_SK_E_clISE_PiSF_SF_EESH_SX_SI_SJ_SK_EUlSX_E0_NS1_11comp_targetILNS1_3genE3ELNS1_11target_archE908ELNS1_3gpuE7ELNS1_3repE0EEENS1_38merge_mergepath_config_static_selectorELNS0_4arch9wavefront6targetE1EEEvSJ_,@function
_ZN7rocprim17ROCPRIM_400000_NS6detail17trampoline_kernelINS0_14default_configENS1_38merge_sort_block_merge_config_selectorIiNS0_10empty_typeEEEZZNS1_27merge_sort_block_merge_implIS3_N6thrust23THRUST_200600_302600_NS6detail15normal_iteratorINS9_10device_ptrIiEEEEPS5_m17evens_before_oddsEE10hipError_tT0_T1_T2_jT3_P12ihipStream_tbPNSt15iterator_traitsISI_E10value_typeEPNSO_ISJ_E10value_typeEPSK_NS1_7vsmem_tEENKUlT_SI_SJ_SK_E_clISE_PiSF_SF_EESH_SX_SI_SJ_SK_EUlSX_E0_NS1_11comp_targetILNS1_3genE3ELNS1_11target_archE908ELNS1_3gpuE7ELNS1_3repE0EEENS1_38merge_mergepath_config_static_selectorELNS0_4arch9wavefront6targetE1EEEvSJ_: ; @_ZN7rocprim17ROCPRIM_400000_NS6detail17trampoline_kernelINS0_14default_configENS1_38merge_sort_block_merge_config_selectorIiNS0_10empty_typeEEEZZNS1_27merge_sort_block_merge_implIS3_N6thrust23THRUST_200600_302600_NS6detail15normal_iteratorINS9_10device_ptrIiEEEEPS5_m17evens_before_oddsEE10hipError_tT0_T1_T2_jT3_P12ihipStream_tbPNSt15iterator_traitsISI_E10value_typeEPNSO_ISJ_E10value_typeEPSK_NS1_7vsmem_tEENKUlT_SI_SJ_SK_E_clISE_PiSF_SF_EESH_SX_SI_SJ_SK_EUlSX_E0_NS1_11comp_targetILNS1_3genE3ELNS1_11target_archE908ELNS1_3gpuE7ELNS1_3repE0EEENS1_38merge_mergepath_config_static_selectorELNS0_4arch9wavefront6targetE1EEEvSJ_
; %bb.0:
	.section	.rodata,"a",@progbits
	.p2align	6, 0x0
	.amdhsa_kernel _ZN7rocprim17ROCPRIM_400000_NS6detail17trampoline_kernelINS0_14default_configENS1_38merge_sort_block_merge_config_selectorIiNS0_10empty_typeEEEZZNS1_27merge_sort_block_merge_implIS3_N6thrust23THRUST_200600_302600_NS6detail15normal_iteratorINS9_10device_ptrIiEEEEPS5_m17evens_before_oddsEE10hipError_tT0_T1_T2_jT3_P12ihipStream_tbPNSt15iterator_traitsISI_E10value_typeEPNSO_ISJ_E10value_typeEPSK_NS1_7vsmem_tEENKUlT_SI_SJ_SK_E_clISE_PiSF_SF_EESH_SX_SI_SJ_SK_EUlSX_E0_NS1_11comp_targetILNS1_3genE3ELNS1_11target_archE908ELNS1_3gpuE7ELNS1_3repE0EEENS1_38merge_mergepath_config_static_selectorELNS0_4arch9wavefront6targetE1EEEvSJ_
		.amdhsa_group_segment_fixed_size 0
		.amdhsa_private_segment_fixed_size 0
		.amdhsa_kernarg_size 72
		.amdhsa_user_sgpr_count 2
		.amdhsa_user_sgpr_dispatch_ptr 0
		.amdhsa_user_sgpr_queue_ptr 0
		.amdhsa_user_sgpr_kernarg_segment_ptr 1
		.amdhsa_user_sgpr_dispatch_id 0
		.amdhsa_user_sgpr_kernarg_preload_length 0
		.amdhsa_user_sgpr_kernarg_preload_offset 0
		.amdhsa_user_sgpr_private_segment_size 0
		.amdhsa_uses_dynamic_stack 0
		.amdhsa_enable_private_segment 0
		.amdhsa_system_sgpr_workgroup_id_x 1
		.amdhsa_system_sgpr_workgroup_id_y 0
		.amdhsa_system_sgpr_workgroup_id_z 0
		.amdhsa_system_sgpr_workgroup_info 0
		.amdhsa_system_vgpr_workitem_id 0
		.amdhsa_next_free_vgpr 1
		.amdhsa_next_free_sgpr 0
		.amdhsa_accum_offset 4
		.amdhsa_reserve_vcc 0
		.amdhsa_float_round_mode_32 0
		.amdhsa_float_round_mode_16_64 0
		.amdhsa_float_denorm_mode_32 3
		.amdhsa_float_denorm_mode_16_64 3
		.amdhsa_dx10_clamp 1
		.amdhsa_ieee_mode 1
		.amdhsa_fp16_overflow 0
		.amdhsa_tg_split 0
		.amdhsa_exception_fp_ieee_invalid_op 0
		.amdhsa_exception_fp_denorm_src 0
		.amdhsa_exception_fp_ieee_div_zero 0
		.amdhsa_exception_fp_ieee_overflow 0
		.amdhsa_exception_fp_ieee_underflow 0
		.amdhsa_exception_fp_ieee_inexact 0
		.amdhsa_exception_int_div_zero 0
	.end_amdhsa_kernel
	.section	.text._ZN7rocprim17ROCPRIM_400000_NS6detail17trampoline_kernelINS0_14default_configENS1_38merge_sort_block_merge_config_selectorIiNS0_10empty_typeEEEZZNS1_27merge_sort_block_merge_implIS3_N6thrust23THRUST_200600_302600_NS6detail15normal_iteratorINS9_10device_ptrIiEEEEPS5_m17evens_before_oddsEE10hipError_tT0_T1_T2_jT3_P12ihipStream_tbPNSt15iterator_traitsISI_E10value_typeEPNSO_ISJ_E10value_typeEPSK_NS1_7vsmem_tEENKUlT_SI_SJ_SK_E_clISE_PiSF_SF_EESH_SX_SI_SJ_SK_EUlSX_E0_NS1_11comp_targetILNS1_3genE3ELNS1_11target_archE908ELNS1_3gpuE7ELNS1_3repE0EEENS1_38merge_mergepath_config_static_selectorELNS0_4arch9wavefront6targetE1EEEvSJ_,"axG",@progbits,_ZN7rocprim17ROCPRIM_400000_NS6detail17trampoline_kernelINS0_14default_configENS1_38merge_sort_block_merge_config_selectorIiNS0_10empty_typeEEEZZNS1_27merge_sort_block_merge_implIS3_N6thrust23THRUST_200600_302600_NS6detail15normal_iteratorINS9_10device_ptrIiEEEEPS5_m17evens_before_oddsEE10hipError_tT0_T1_T2_jT3_P12ihipStream_tbPNSt15iterator_traitsISI_E10value_typeEPNSO_ISJ_E10value_typeEPSK_NS1_7vsmem_tEENKUlT_SI_SJ_SK_E_clISE_PiSF_SF_EESH_SX_SI_SJ_SK_EUlSX_E0_NS1_11comp_targetILNS1_3genE3ELNS1_11target_archE908ELNS1_3gpuE7ELNS1_3repE0EEENS1_38merge_mergepath_config_static_selectorELNS0_4arch9wavefront6targetE1EEEvSJ_,comdat
.Lfunc_end444:
	.size	_ZN7rocprim17ROCPRIM_400000_NS6detail17trampoline_kernelINS0_14default_configENS1_38merge_sort_block_merge_config_selectorIiNS0_10empty_typeEEEZZNS1_27merge_sort_block_merge_implIS3_N6thrust23THRUST_200600_302600_NS6detail15normal_iteratorINS9_10device_ptrIiEEEEPS5_m17evens_before_oddsEE10hipError_tT0_T1_T2_jT3_P12ihipStream_tbPNSt15iterator_traitsISI_E10value_typeEPNSO_ISJ_E10value_typeEPSK_NS1_7vsmem_tEENKUlT_SI_SJ_SK_E_clISE_PiSF_SF_EESH_SX_SI_SJ_SK_EUlSX_E0_NS1_11comp_targetILNS1_3genE3ELNS1_11target_archE908ELNS1_3gpuE7ELNS1_3repE0EEENS1_38merge_mergepath_config_static_selectorELNS0_4arch9wavefront6targetE1EEEvSJ_, .Lfunc_end444-_ZN7rocprim17ROCPRIM_400000_NS6detail17trampoline_kernelINS0_14default_configENS1_38merge_sort_block_merge_config_selectorIiNS0_10empty_typeEEEZZNS1_27merge_sort_block_merge_implIS3_N6thrust23THRUST_200600_302600_NS6detail15normal_iteratorINS9_10device_ptrIiEEEEPS5_m17evens_before_oddsEE10hipError_tT0_T1_T2_jT3_P12ihipStream_tbPNSt15iterator_traitsISI_E10value_typeEPNSO_ISJ_E10value_typeEPSK_NS1_7vsmem_tEENKUlT_SI_SJ_SK_E_clISE_PiSF_SF_EESH_SX_SI_SJ_SK_EUlSX_E0_NS1_11comp_targetILNS1_3genE3ELNS1_11target_archE908ELNS1_3gpuE7ELNS1_3repE0EEENS1_38merge_mergepath_config_static_selectorELNS0_4arch9wavefront6targetE1EEEvSJ_
                                        ; -- End function
	.set _ZN7rocprim17ROCPRIM_400000_NS6detail17trampoline_kernelINS0_14default_configENS1_38merge_sort_block_merge_config_selectorIiNS0_10empty_typeEEEZZNS1_27merge_sort_block_merge_implIS3_N6thrust23THRUST_200600_302600_NS6detail15normal_iteratorINS9_10device_ptrIiEEEEPS5_m17evens_before_oddsEE10hipError_tT0_T1_T2_jT3_P12ihipStream_tbPNSt15iterator_traitsISI_E10value_typeEPNSO_ISJ_E10value_typeEPSK_NS1_7vsmem_tEENKUlT_SI_SJ_SK_E_clISE_PiSF_SF_EESH_SX_SI_SJ_SK_EUlSX_E0_NS1_11comp_targetILNS1_3genE3ELNS1_11target_archE908ELNS1_3gpuE7ELNS1_3repE0EEENS1_38merge_mergepath_config_static_selectorELNS0_4arch9wavefront6targetE1EEEvSJ_.num_vgpr, 0
	.set _ZN7rocprim17ROCPRIM_400000_NS6detail17trampoline_kernelINS0_14default_configENS1_38merge_sort_block_merge_config_selectorIiNS0_10empty_typeEEEZZNS1_27merge_sort_block_merge_implIS3_N6thrust23THRUST_200600_302600_NS6detail15normal_iteratorINS9_10device_ptrIiEEEEPS5_m17evens_before_oddsEE10hipError_tT0_T1_T2_jT3_P12ihipStream_tbPNSt15iterator_traitsISI_E10value_typeEPNSO_ISJ_E10value_typeEPSK_NS1_7vsmem_tEENKUlT_SI_SJ_SK_E_clISE_PiSF_SF_EESH_SX_SI_SJ_SK_EUlSX_E0_NS1_11comp_targetILNS1_3genE3ELNS1_11target_archE908ELNS1_3gpuE7ELNS1_3repE0EEENS1_38merge_mergepath_config_static_selectorELNS0_4arch9wavefront6targetE1EEEvSJ_.num_agpr, 0
	.set _ZN7rocprim17ROCPRIM_400000_NS6detail17trampoline_kernelINS0_14default_configENS1_38merge_sort_block_merge_config_selectorIiNS0_10empty_typeEEEZZNS1_27merge_sort_block_merge_implIS3_N6thrust23THRUST_200600_302600_NS6detail15normal_iteratorINS9_10device_ptrIiEEEEPS5_m17evens_before_oddsEE10hipError_tT0_T1_T2_jT3_P12ihipStream_tbPNSt15iterator_traitsISI_E10value_typeEPNSO_ISJ_E10value_typeEPSK_NS1_7vsmem_tEENKUlT_SI_SJ_SK_E_clISE_PiSF_SF_EESH_SX_SI_SJ_SK_EUlSX_E0_NS1_11comp_targetILNS1_3genE3ELNS1_11target_archE908ELNS1_3gpuE7ELNS1_3repE0EEENS1_38merge_mergepath_config_static_selectorELNS0_4arch9wavefront6targetE1EEEvSJ_.numbered_sgpr, 0
	.set _ZN7rocprim17ROCPRIM_400000_NS6detail17trampoline_kernelINS0_14default_configENS1_38merge_sort_block_merge_config_selectorIiNS0_10empty_typeEEEZZNS1_27merge_sort_block_merge_implIS3_N6thrust23THRUST_200600_302600_NS6detail15normal_iteratorINS9_10device_ptrIiEEEEPS5_m17evens_before_oddsEE10hipError_tT0_T1_T2_jT3_P12ihipStream_tbPNSt15iterator_traitsISI_E10value_typeEPNSO_ISJ_E10value_typeEPSK_NS1_7vsmem_tEENKUlT_SI_SJ_SK_E_clISE_PiSF_SF_EESH_SX_SI_SJ_SK_EUlSX_E0_NS1_11comp_targetILNS1_3genE3ELNS1_11target_archE908ELNS1_3gpuE7ELNS1_3repE0EEENS1_38merge_mergepath_config_static_selectorELNS0_4arch9wavefront6targetE1EEEvSJ_.num_named_barrier, 0
	.set _ZN7rocprim17ROCPRIM_400000_NS6detail17trampoline_kernelINS0_14default_configENS1_38merge_sort_block_merge_config_selectorIiNS0_10empty_typeEEEZZNS1_27merge_sort_block_merge_implIS3_N6thrust23THRUST_200600_302600_NS6detail15normal_iteratorINS9_10device_ptrIiEEEEPS5_m17evens_before_oddsEE10hipError_tT0_T1_T2_jT3_P12ihipStream_tbPNSt15iterator_traitsISI_E10value_typeEPNSO_ISJ_E10value_typeEPSK_NS1_7vsmem_tEENKUlT_SI_SJ_SK_E_clISE_PiSF_SF_EESH_SX_SI_SJ_SK_EUlSX_E0_NS1_11comp_targetILNS1_3genE3ELNS1_11target_archE908ELNS1_3gpuE7ELNS1_3repE0EEENS1_38merge_mergepath_config_static_selectorELNS0_4arch9wavefront6targetE1EEEvSJ_.private_seg_size, 0
	.set _ZN7rocprim17ROCPRIM_400000_NS6detail17trampoline_kernelINS0_14default_configENS1_38merge_sort_block_merge_config_selectorIiNS0_10empty_typeEEEZZNS1_27merge_sort_block_merge_implIS3_N6thrust23THRUST_200600_302600_NS6detail15normal_iteratorINS9_10device_ptrIiEEEEPS5_m17evens_before_oddsEE10hipError_tT0_T1_T2_jT3_P12ihipStream_tbPNSt15iterator_traitsISI_E10value_typeEPNSO_ISJ_E10value_typeEPSK_NS1_7vsmem_tEENKUlT_SI_SJ_SK_E_clISE_PiSF_SF_EESH_SX_SI_SJ_SK_EUlSX_E0_NS1_11comp_targetILNS1_3genE3ELNS1_11target_archE908ELNS1_3gpuE7ELNS1_3repE0EEENS1_38merge_mergepath_config_static_selectorELNS0_4arch9wavefront6targetE1EEEvSJ_.uses_vcc, 0
	.set _ZN7rocprim17ROCPRIM_400000_NS6detail17trampoline_kernelINS0_14default_configENS1_38merge_sort_block_merge_config_selectorIiNS0_10empty_typeEEEZZNS1_27merge_sort_block_merge_implIS3_N6thrust23THRUST_200600_302600_NS6detail15normal_iteratorINS9_10device_ptrIiEEEEPS5_m17evens_before_oddsEE10hipError_tT0_T1_T2_jT3_P12ihipStream_tbPNSt15iterator_traitsISI_E10value_typeEPNSO_ISJ_E10value_typeEPSK_NS1_7vsmem_tEENKUlT_SI_SJ_SK_E_clISE_PiSF_SF_EESH_SX_SI_SJ_SK_EUlSX_E0_NS1_11comp_targetILNS1_3genE3ELNS1_11target_archE908ELNS1_3gpuE7ELNS1_3repE0EEENS1_38merge_mergepath_config_static_selectorELNS0_4arch9wavefront6targetE1EEEvSJ_.uses_flat_scratch, 0
	.set _ZN7rocprim17ROCPRIM_400000_NS6detail17trampoline_kernelINS0_14default_configENS1_38merge_sort_block_merge_config_selectorIiNS0_10empty_typeEEEZZNS1_27merge_sort_block_merge_implIS3_N6thrust23THRUST_200600_302600_NS6detail15normal_iteratorINS9_10device_ptrIiEEEEPS5_m17evens_before_oddsEE10hipError_tT0_T1_T2_jT3_P12ihipStream_tbPNSt15iterator_traitsISI_E10value_typeEPNSO_ISJ_E10value_typeEPSK_NS1_7vsmem_tEENKUlT_SI_SJ_SK_E_clISE_PiSF_SF_EESH_SX_SI_SJ_SK_EUlSX_E0_NS1_11comp_targetILNS1_3genE3ELNS1_11target_archE908ELNS1_3gpuE7ELNS1_3repE0EEENS1_38merge_mergepath_config_static_selectorELNS0_4arch9wavefront6targetE1EEEvSJ_.has_dyn_sized_stack, 0
	.set _ZN7rocprim17ROCPRIM_400000_NS6detail17trampoline_kernelINS0_14default_configENS1_38merge_sort_block_merge_config_selectorIiNS0_10empty_typeEEEZZNS1_27merge_sort_block_merge_implIS3_N6thrust23THRUST_200600_302600_NS6detail15normal_iteratorINS9_10device_ptrIiEEEEPS5_m17evens_before_oddsEE10hipError_tT0_T1_T2_jT3_P12ihipStream_tbPNSt15iterator_traitsISI_E10value_typeEPNSO_ISJ_E10value_typeEPSK_NS1_7vsmem_tEENKUlT_SI_SJ_SK_E_clISE_PiSF_SF_EESH_SX_SI_SJ_SK_EUlSX_E0_NS1_11comp_targetILNS1_3genE3ELNS1_11target_archE908ELNS1_3gpuE7ELNS1_3repE0EEENS1_38merge_mergepath_config_static_selectorELNS0_4arch9wavefront6targetE1EEEvSJ_.has_recursion, 0
	.set _ZN7rocprim17ROCPRIM_400000_NS6detail17trampoline_kernelINS0_14default_configENS1_38merge_sort_block_merge_config_selectorIiNS0_10empty_typeEEEZZNS1_27merge_sort_block_merge_implIS3_N6thrust23THRUST_200600_302600_NS6detail15normal_iteratorINS9_10device_ptrIiEEEEPS5_m17evens_before_oddsEE10hipError_tT0_T1_T2_jT3_P12ihipStream_tbPNSt15iterator_traitsISI_E10value_typeEPNSO_ISJ_E10value_typeEPSK_NS1_7vsmem_tEENKUlT_SI_SJ_SK_E_clISE_PiSF_SF_EESH_SX_SI_SJ_SK_EUlSX_E0_NS1_11comp_targetILNS1_3genE3ELNS1_11target_archE908ELNS1_3gpuE7ELNS1_3repE0EEENS1_38merge_mergepath_config_static_selectorELNS0_4arch9wavefront6targetE1EEEvSJ_.has_indirect_call, 0
	.section	.AMDGPU.csdata,"",@progbits
; Kernel info:
; codeLenInByte = 0
; TotalNumSgprs: 6
; NumVgprs: 0
; NumAgprs: 0
; TotalNumVgprs: 0
; ScratchSize: 0
; MemoryBound: 0
; FloatMode: 240
; IeeeMode: 1
; LDSByteSize: 0 bytes/workgroup (compile time only)
; SGPRBlocks: 0
; VGPRBlocks: 0
; NumSGPRsForWavesPerEU: 6
; NumVGPRsForWavesPerEU: 1
; AccumOffset: 4
; Occupancy: 8
; WaveLimiterHint : 0
; COMPUTE_PGM_RSRC2:SCRATCH_EN: 0
; COMPUTE_PGM_RSRC2:USER_SGPR: 2
; COMPUTE_PGM_RSRC2:TRAP_HANDLER: 0
; COMPUTE_PGM_RSRC2:TGID_X_EN: 1
; COMPUTE_PGM_RSRC2:TGID_Y_EN: 0
; COMPUTE_PGM_RSRC2:TGID_Z_EN: 0
; COMPUTE_PGM_RSRC2:TIDIG_COMP_CNT: 0
; COMPUTE_PGM_RSRC3_GFX90A:ACCUM_OFFSET: 0
; COMPUTE_PGM_RSRC3_GFX90A:TG_SPLIT: 0
	.section	.text._ZN7rocprim17ROCPRIM_400000_NS6detail17trampoline_kernelINS0_14default_configENS1_38merge_sort_block_merge_config_selectorIiNS0_10empty_typeEEEZZNS1_27merge_sort_block_merge_implIS3_N6thrust23THRUST_200600_302600_NS6detail15normal_iteratorINS9_10device_ptrIiEEEEPS5_m17evens_before_oddsEE10hipError_tT0_T1_T2_jT3_P12ihipStream_tbPNSt15iterator_traitsISI_E10value_typeEPNSO_ISJ_E10value_typeEPSK_NS1_7vsmem_tEENKUlT_SI_SJ_SK_E_clISE_PiSF_SF_EESH_SX_SI_SJ_SK_EUlSX_E0_NS1_11comp_targetILNS1_3genE2ELNS1_11target_archE906ELNS1_3gpuE6ELNS1_3repE0EEENS1_38merge_mergepath_config_static_selectorELNS0_4arch9wavefront6targetE1EEEvSJ_,"axG",@progbits,_ZN7rocprim17ROCPRIM_400000_NS6detail17trampoline_kernelINS0_14default_configENS1_38merge_sort_block_merge_config_selectorIiNS0_10empty_typeEEEZZNS1_27merge_sort_block_merge_implIS3_N6thrust23THRUST_200600_302600_NS6detail15normal_iteratorINS9_10device_ptrIiEEEEPS5_m17evens_before_oddsEE10hipError_tT0_T1_T2_jT3_P12ihipStream_tbPNSt15iterator_traitsISI_E10value_typeEPNSO_ISJ_E10value_typeEPSK_NS1_7vsmem_tEENKUlT_SI_SJ_SK_E_clISE_PiSF_SF_EESH_SX_SI_SJ_SK_EUlSX_E0_NS1_11comp_targetILNS1_3genE2ELNS1_11target_archE906ELNS1_3gpuE6ELNS1_3repE0EEENS1_38merge_mergepath_config_static_selectorELNS0_4arch9wavefront6targetE1EEEvSJ_,comdat
	.protected	_ZN7rocprim17ROCPRIM_400000_NS6detail17trampoline_kernelINS0_14default_configENS1_38merge_sort_block_merge_config_selectorIiNS0_10empty_typeEEEZZNS1_27merge_sort_block_merge_implIS3_N6thrust23THRUST_200600_302600_NS6detail15normal_iteratorINS9_10device_ptrIiEEEEPS5_m17evens_before_oddsEE10hipError_tT0_T1_T2_jT3_P12ihipStream_tbPNSt15iterator_traitsISI_E10value_typeEPNSO_ISJ_E10value_typeEPSK_NS1_7vsmem_tEENKUlT_SI_SJ_SK_E_clISE_PiSF_SF_EESH_SX_SI_SJ_SK_EUlSX_E0_NS1_11comp_targetILNS1_3genE2ELNS1_11target_archE906ELNS1_3gpuE6ELNS1_3repE0EEENS1_38merge_mergepath_config_static_selectorELNS0_4arch9wavefront6targetE1EEEvSJ_ ; -- Begin function _ZN7rocprim17ROCPRIM_400000_NS6detail17trampoline_kernelINS0_14default_configENS1_38merge_sort_block_merge_config_selectorIiNS0_10empty_typeEEEZZNS1_27merge_sort_block_merge_implIS3_N6thrust23THRUST_200600_302600_NS6detail15normal_iteratorINS9_10device_ptrIiEEEEPS5_m17evens_before_oddsEE10hipError_tT0_T1_T2_jT3_P12ihipStream_tbPNSt15iterator_traitsISI_E10value_typeEPNSO_ISJ_E10value_typeEPSK_NS1_7vsmem_tEENKUlT_SI_SJ_SK_E_clISE_PiSF_SF_EESH_SX_SI_SJ_SK_EUlSX_E0_NS1_11comp_targetILNS1_3genE2ELNS1_11target_archE906ELNS1_3gpuE6ELNS1_3repE0EEENS1_38merge_mergepath_config_static_selectorELNS0_4arch9wavefront6targetE1EEEvSJ_
	.globl	_ZN7rocprim17ROCPRIM_400000_NS6detail17trampoline_kernelINS0_14default_configENS1_38merge_sort_block_merge_config_selectorIiNS0_10empty_typeEEEZZNS1_27merge_sort_block_merge_implIS3_N6thrust23THRUST_200600_302600_NS6detail15normal_iteratorINS9_10device_ptrIiEEEEPS5_m17evens_before_oddsEE10hipError_tT0_T1_T2_jT3_P12ihipStream_tbPNSt15iterator_traitsISI_E10value_typeEPNSO_ISJ_E10value_typeEPSK_NS1_7vsmem_tEENKUlT_SI_SJ_SK_E_clISE_PiSF_SF_EESH_SX_SI_SJ_SK_EUlSX_E0_NS1_11comp_targetILNS1_3genE2ELNS1_11target_archE906ELNS1_3gpuE6ELNS1_3repE0EEENS1_38merge_mergepath_config_static_selectorELNS0_4arch9wavefront6targetE1EEEvSJ_
	.p2align	8
	.type	_ZN7rocprim17ROCPRIM_400000_NS6detail17trampoline_kernelINS0_14default_configENS1_38merge_sort_block_merge_config_selectorIiNS0_10empty_typeEEEZZNS1_27merge_sort_block_merge_implIS3_N6thrust23THRUST_200600_302600_NS6detail15normal_iteratorINS9_10device_ptrIiEEEEPS5_m17evens_before_oddsEE10hipError_tT0_T1_T2_jT3_P12ihipStream_tbPNSt15iterator_traitsISI_E10value_typeEPNSO_ISJ_E10value_typeEPSK_NS1_7vsmem_tEENKUlT_SI_SJ_SK_E_clISE_PiSF_SF_EESH_SX_SI_SJ_SK_EUlSX_E0_NS1_11comp_targetILNS1_3genE2ELNS1_11target_archE906ELNS1_3gpuE6ELNS1_3repE0EEENS1_38merge_mergepath_config_static_selectorELNS0_4arch9wavefront6targetE1EEEvSJ_,@function
_ZN7rocprim17ROCPRIM_400000_NS6detail17trampoline_kernelINS0_14default_configENS1_38merge_sort_block_merge_config_selectorIiNS0_10empty_typeEEEZZNS1_27merge_sort_block_merge_implIS3_N6thrust23THRUST_200600_302600_NS6detail15normal_iteratorINS9_10device_ptrIiEEEEPS5_m17evens_before_oddsEE10hipError_tT0_T1_T2_jT3_P12ihipStream_tbPNSt15iterator_traitsISI_E10value_typeEPNSO_ISJ_E10value_typeEPSK_NS1_7vsmem_tEENKUlT_SI_SJ_SK_E_clISE_PiSF_SF_EESH_SX_SI_SJ_SK_EUlSX_E0_NS1_11comp_targetILNS1_3genE2ELNS1_11target_archE906ELNS1_3gpuE6ELNS1_3repE0EEENS1_38merge_mergepath_config_static_selectorELNS0_4arch9wavefront6targetE1EEEvSJ_: ; @_ZN7rocprim17ROCPRIM_400000_NS6detail17trampoline_kernelINS0_14default_configENS1_38merge_sort_block_merge_config_selectorIiNS0_10empty_typeEEEZZNS1_27merge_sort_block_merge_implIS3_N6thrust23THRUST_200600_302600_NS6detail15normal_iteratorINS9_10device_ptrIiEEEEPS5_m17evens_before_oddsEE10hipError_tT0_T1_T2_jT3_P12ihipStream_tbPNSt15iterator_traitsISI_E10value_typeEPNSO_ISJ_E10value_typeEPSK_NS1_7vsmem_tEENKUlT_SI_SJ_SK_E_clISE_PiSF_SF_EESH_SX_SI_SJ_SK_EUlSX_E0_NS1_11comp_targetILNS1_3genE2ELNS1_11target_archE906ELNS1_3gpuE6ELNS1_3repE0EEENS1_38merge_mergepath_config_static_selectorELNS0_4arch9wavefront6targetE1EEEvSJ_
; %bb.0:
	.section	.rodata,"a",@progbits
	.p2align	6, 0x0
	.amdhsa_kernel _ZN7rocprim17ROCPRIM_400000_NS6detail17trampoline_kernelINS0_14default_configENS1_38merge_sort_block_merge_config_selectorIiNS0_10empty_typeEEEZZNS1_27merge_sort_block_merge_implIS3_N6thrust23THRUST_200600_302600_NS6detail15normal_iteratorINS9_10device_ptrIiEEEEPS5_m17evens_before_oddsEE10hipError_tT0_T1_T2_jT3_P12ihipStream_tbPNSt15iterator_traitsISI_E10value_typeEPNSO_ISJ_E10value_typeEPSK_NS1_7vsmem_tEENKUlT_SI_SJ_SK_E_clISE_PiSF_SF_EESH_SX_SI_SJ_SK_EUlSX_E0_NS1_11comp_targetILNS1_3genE2ELNS1_11target_archE906ELNS1_3gpuE6ELNS1_3repE0EEENS1_38merge_mergepath_config_static_selectorELNS0_4arch9wavefront6targetE1EEEvSJ_
		.amdhsa_group_segment_fixed_size 0
		.amdhsa_private_segment_fixed_size 0
		.amdhsa_kernarg_size 72
		.amdhsa_user_sgpr_count 2
		.amdhsa_user_sgpr_dispatch_ptr 0
		.amdhsa_user_sgpr_queue_ptr 0
		.amdhsa_user_sgpr_kernarg_segment_ptr 1
		.amdhsa_user_sgpr_dispatch_id 0
		.amdhsa_user_sgpr_kernarg_preload_length 0
		.amdhsa_user_sgpr_kernarg_preload_offset 0
		.amdhsa_user_sgpr_private_segment_size 0
		.amdhsa_uses_dynamic_stack 0
		.amdhsa_enable_private_segment 0
		.amdhsa_system_sgpr_workgroup_id_x 1
		.amdhsa_system_sgpr_workgroup_id_y 0
		.amdhsa_system_sgpr_workgroup_id_z 0
		.amdhsa_system_sgpr_workgroup_info 0
		.amdhsa_system_vgpr_workitem_id 0
		.amdhsa_next_free_vgpr 1
		.amdhsa_next_free_sgpr 0
		.amdhsa_accum_offset 4
		.amdhsa_reserve_vcc 0
		.amdhsa_float_round_mode_32 0
		.amdhsa_float_round_mode_16_64 0
		.amdhsa_float_denorm_mode_32 3
		.amdhsa_float_denorm_mode_16_64 3
		.amdhsa_dx10_clamp 1
		.amdhsa_ieee_mode 1
		.amdhsa_fp16_overflow 0
		.amdhsa_tg_split 0
		.amdhsa_exception_fp_ieee_invalid_op 0
		.amdhsa_exception_fp_denorm_src 0
		.amdhsa_exception_fp_ieee_div_zero 0
		.amdhsa_exception_fp_ieee_overflow 0
		.amdhsa_exception_fp_ieee_underflow 0
		.amdhsa_exception_fp_ieee_inexact 0
		.amdhsa_exception_int_div_zero 0
	.end_amdhsa_kernel
	.section	.text._ZN7rocprim17ROCPRIM_400000_NS6detail17trampoline_kernelINS0_14default_configENS1_38merge_sort_block_merge_config_selectorIiNS0_10empty_typeEEEZZNS1_27merge_sort_block_merge_implIS3_N6thrust23THRUST_200600_302600_NS6detail15normal_iteratorINS9_10device_ptrIiEEEEPS5_m17evens_before_oddsEE10hipError_tT0_T1_T2_jT3_P12ihipStream_tbPNSt15iterator_traitsISI_E10value_typeEPNSO_ISJ_E10value_typeEPSK_NS1_7vsmem_tEENKUlT_SI_SJ_SK_E_clISE_PiSF_SF_EESH_SX_SI_SJ_SK_EUlSX_E0_NS1_11comp_targetILNS1_3genE2ELNS1_11target_archE906ELNS1_3gpuE6ELNS1_3repE0EEENS1_38merge_mergepath_config_static_selectorELNS0_4arch9wavefront6targetE1EEEvSJ_,"axG",@progbits,_ZN7rocprim17ROCPRIM_400000_NS6detail17trampoline_kernelINS0_14default_configENS1_38merge_sort_block_merge_config_selectorIiNS0_10empty_typeEEEZZNS1_27merge_sort_block_merge_implIS3_N6thrust23THRUST_200600_302600_NS6detail15normal_iteratorINS9_10device_ptrIiEEEEPS5_m17evens_before_oddsEE10hipError_tT0_T1_T2_jT3_P12ihipStream_tbPNSt15iterator_traitsISI_E10value_typeEPNSO_ISJ_E10value_typeEPSK_NS1_7vsmem_tEENKUlT_SI_SJ_SK_E_clISE_PiSF_SF_EESH_SX_SI_SJ_SK_EUlSX_E0_NS1_11comp_targetILNS1_3genE2ELNS1_11target_archE906ELNS1_3gpuE6ELNS1_3repE0EEENS1_38merge_mergepath_config_static_selectorELNS0_4arch9wavefront6targetE1EEEvSJ_,comdat
.Lfunc_end445:
	.size	_ZN7rocprim17ROCPRIM_400000_NS6detail17trampoline_kernelINS0_14default_configENS1_38merge_sort_block_merge_config_selectorIiNS0_10empty_typeEEEZZNS1_27merge_sort_block_merge_implIS3_N6thrust23THRUST_200600_302600_NS6detail15normal_iteratorINS9_10device_ptrIiEEEEPS5_m17evens_before_oddsEE10hipError_tT0_T1_T2_jT3_P12ihipStream_tbPNSt15iterator_traitsISI_E10value_typeEPNSO_ISJ_E10value_typeEPSK_NS1_7vsmem_tEENKUlT_SI_SJ_SK_E_clISE_PiSF_SF_EESH_SX_SI_SJ_SK_EUlSX_E0_NS1_11comp_targetILNS1_3genE2ELNS1_11target_archE906ELNS1_3gpuE6ELNS1_3repE0EEENS1_38merge_mergepath_config_static_selectorELNS0_4arch9wavefront6targetE1EEEvSJ_, .Lfunc_end445-_ZN7rocprim17ROCPRIM_400000_NS6detail17trampoline_kernelINS0_14default_configENS1_38merge_sort_block_merge_config_selectorIiNS0_10empty_typeEEEZZNS1_27merge_sort_block_merge_implIS3_N6thrust23THRUST_200600_302600_NS6detail15normal_iteratorINS9_10device_ptrIiEEEEPS5_m17evens_before_oddsEE10hipError_tT0_T1_T2_jT3_P12ihipStream_tbPNSt15iterator_traitsISI_E10value_typeEPNSO_ISJ_E10value_typeEPSK_NS1_7vsmem_tEENKUlT_SI_SJ_SK_E_clISE_PiSF_SF_EESH_SX_SI_SJ_SK_EUlSX_E0_NS1_11comp_targetILNS1_3genE2ELNS1_11target_archE906ELNS1_3gpuE6ELNS1_3repE0EEENS1_38merge_mergepath_config_static_selectorELNS0_4arch9wavefront6targetE1EEEvSJ_
                                        ; -- End function
	.set _ZN7rocprim17ROCPRIM_400000_NS6detail17trampoline_kernelINS0_14default_configENS1_38merge_sort_block_merge_config_selectorIiNS0_10empty_typeEEEZZNS1_27merge_sort_block_merge_implIS3_N6thrust23THRUST_200600_302600_NS6detail15normal_iteratorINS9_10device_ptrIiEEEEPS5_m17evens_before_oddsEE10hipError_tT0_T1_T2_jT3_P12ihipStream_tbPNSt15iterator_traitsISI_E10value_typeEPNSO_ISJ_E10value_typeEPSK_NS1_7vsmem_tEENKUlT_SI_SJ_SK_E_clISE_PiSF_SF_EESH_SX_SI_SJ_SK_EUlSX_E0_NS1_11comp_targetILNS1_3genE2ELNS1_11target_archE906ELNS1_3gpuE6ELNS1_3repE0EEENS1_38merge_mergepath_config_static_selectorELNS0_4arch9wavefront6targetE1EEEvSJ_.num_vgpr, 0
	.set _ZN7rocprim17ROCPRIM_400000_NS6detail17trampoline_kernelINS0_14default_configENS1_38merge_sort_block_merge_config_selectorIiNS0_10empty_typeEEEZZNS1_27merge_sort_block_merge_implIS3_N6thrust23THRUST_200600_302600_NS6detail15normal_iteratorINS9_10device_ptrIiEEEEPS5_m17evens_before_oddsEE10hipError_tT0_T1_T2_jT3_P12ihipStream_tbPNSt15iterator_traitsISI_E10value_typeEPNSO_ISJ_E10value_typeEPSK_NS1_7vsmem_tEENKUlT_SI_SJ_SK_E_clISE_PiSF_SF_EESH_SX_SI_SJ_SK_EUlSX_E0_NS1_11comp_targetILNS1_3genE2ELNS1_11target_archE906ELNS1_3gpuE6ELNS1_3repE0EEENS1_38merge_mergepath_config_static_selectorELNS0_4arch9wavefront6targetE1EEEvSJ_.num_agpr, 0
	.set _ZN7rocprim17ROCPRIM_400000_NS6detail17trampoline_kernelINS0_14default_configENS1_38merge_sort_block_merge_config_selectorIiNS0_10empty_typeEEEZZNS1_27merge_sort_block_merge_implIS3_N6thrust23THRUST_200600_302600_NS6detail15normal_iteratorINS9_10device_ptrIiEEEEPS5_m17evens_before_oddsEE10hipError_tT0_T1_T2_jT3_P12ihipStream_tbPNSt15iterator_traitsISI_E10value_typeEPNSO_ISJ_E10value_typeEPSK_NS1_7vsmem_tEENKUlT_SI_SJ_SK_E_clISE_PiSF_SF_EESH_SX_SI_SJ_SK_EUlSX_E0_NS1_11comp_targetILNS1_3genE2ELNS1_11target_archE906ELNS1_3gpuE6ELNS1_3repE0EEENS1_38merge_mergepath_config_static_selectorELNS0_4arch9wavefront6targetE1EEEvSJ_.numbered_sgpr, 0
	.set _ZN7rocprim17ROCPRIM_400000_NS6detail17trampoline_kernelINS0_14default_configENS1_38merge_sort_block_merge_config_selectorIiNS0_10empty_typeEEEZZNS1_27merge_sort_block_merge_implIS3_N6thrust23THRUST_200600_302600_NS6detail15normal_iteratorINS9_10device_ptrIiEEEEPS5_m17evens_before_oddsEE10hipError_tT0_T1_T2_jT3_P12ihipStream_tbPNSt15iterator_traitsISI_E10value_typeEPNSO_ISJ_E10value_typeEPSK_NS1_7vsmem_tEENKUlT_SI_SJ_SK_E_clISE_PiSF_SF_EESH_SX_SI_SJ_SK_EUlSX_E0_NS1_11comp_targetILNS1_3genE2ELNS1_11target_archE906ELNS1_3gpuE6ELNS1_3repE0EEENS1_38merge_mergepath_config_static_selectorELNS0_4arch9wavefront6targetE1EEEvSJ_.num_named_barrier, 0
	.set _ZN7rocprim17ROCPRIM_400000_NS6detail17trampoline_kernelINS0_14default_configENS1_38merge_sort_block_merge_config_selectorIiNS0_10empty_typeEEEZZNS1_27merge_sort_block_merge_implIS3_N6thrust23THRUST_200600_302600_NS6detail15normal_iteratorINS9_10device_ptrIiEEEEPS5_m17evens_before_oddsEE10hipError_tT0_T1_T2_jT3_P12ihipStream_tbPNSt15iterator_traitsISI_E10value_typeEPNSO_ISJ_E10value_typeEPSK_NS1_7vsmem_tEENKUlT_SI_SJ_SK_E_clISE_PiSF_SF_EESH_SX_SI_SJ_SK_EUlSX_E0_NS1_11comp_targetILNS1_3genE2ELNS1_11target_archE906ELNS1_3gpuE6ELNS1_3repE0EEENS1_38merge_mergepath_config_static_selectorELNS0_4arch9wavefront6targetE1EEEvSJ_.private_seg_size, 0
	.set _ZN7rocprim17ROCPRIM_400000_NS6detail17trampoline_kernelINS0_14default_configENS1_38merge_sort_block_merge_config_selectorIiNS0_10empty_typeEEEZZNS1_27merge_sort_block_merge_implIS3_N6thrust23THRUST_200600_302600_NS6detail15normal_iteratorINS9_10device_ptrIiEEEEPS5_m17evens_before_oddsEE10hipError_tT0_T1_T2_jT3_P12ihipStream_tbPNSt15iterator_traitsISI_E10value_typeEPNSO_ISJ_E10value_typeEPSK_NS1_7vsmem_tEENKUlT_SI_SJ_SK_E_clISE_PiSF_SF_EESH_SX_SI_SJ_SK_EUlSX_E0_NS1_11comp_targetILNS1_3genE2ELNS1_11target_archE906ELNS1_3gpuE6ELNS1_3repE0EEENS1_38merge_mergepath_config_static_selectorELNS0_4arch9wavefront6targetE1EEEvSJ_.uses_vcc, 0
	.set _ZN7rocprim17ROCPRIM_400000_NS6detail17trampoline_kernelINS0_14default_configENS1_38merge_sort_block_merge_config_selectorIiNS0_10empty_typeEEEZZNS1_27merge_sort_block_merge_implIS3_N6thrust23THRUST_200600_302600_NS6detail15normal_iteratorINS9_10device_ptrIiEEEEPS5_m17evens_before_oddsEE10hipError_tT0_T1_T2_jT3_P12ihipStream_tbPNSt15iterator_traitsISI_E10value_typeEPNSO_ISJ_E10value_typeEPSK_NS1_7vsmem_tEENKUlT_SI_SJ_SK_E_clISE_PiSF_SF_EESH_SX_SI_SJ_SK_EUlSX_E0_NS1_11comp_targetILNS1_3genE2ELNS1_11target_archE906ELNS1_3gpuE6ELNS1_3repE0EEENS1_38merge_mergepath_config_static_selectorELNS0_4arch9wavefront6targetE1EEEvSJ_.uses_flat_scratch, 0
	.set _ZN7rocprim17ROCPRIM_400000_NS6detail17trampoline_kernelINS0_14default_configENS1_38merge_sort_block_merge_config_selectorIiNS0_10empty_typeEEEZZNS1_27merge_sort_block_merge_implIS3_N6thrust23THRUST_200600_302600_NS6detail15normal_iteratorINS9_10device_ptrIiEEEEPS5_m17evens_before_oddsEE10hipError_tT0_T1_T2_jT3_P12ihipStream_tbPNSt15iterator_traitsISI_E10value_typeEPNSO_ISJ_E10value_typeEPSK_NS1_7vsmem_tEENKUlT_SI_SJ_SK_E_clISE_PiSF_SF_EESH_SX_SI_SJ_SK_EUlSX_E0_NS1_11comp_targetILNS1_3genE2ELNS1_11target_archE906ELNS1_3gpuE6ELNS1_3repE0EEENS1_38merge_mergepath_config_static_selectorELNS0_4arch9wavefront6targetE1EEEvSJ_.has_dyn_sized_stack, 0
	.set _ZN7rocprim17ROCPRIM_400000_NS6detail17trampoline_kernelINS0_14default_configENS1_38merge_sort_block_merge_config_selectorIiNS0_10empty_typeEEEZZNS1_27merge_sort_block_merge_implIS3_N6thrust23THRUST_200600_302600_NS6detail15normal_iteratorINS9_10device_ptrIiEEEEPS5_m17evens_before_oddsEE10hipError_tT0_T1_T2_jT3_P12ihipStream_tbPNSt15iterator_traitsISI_E10value_typeEPNSO_ISJ_E10value_typeEPSK_NS1_7vsmem_tEENKUlT_SI_SJ_SK_E_clISE_PiSF_SF_EESH_SX_SI_SJ_SK_EUlSX_E0_NS1_11comp_targetILNS1_3genE2ELNS1_11target_archE906ELNS1_3gpuE6ELNS1_3repE0EEENS1_38merge_mergepath_config_static_selectorELNS0_4arch9wavefront6targetE1EEEvSJ_.has_recursion, 0
	.set _ZN7rocprim17ROCPRIM_400000_NS6detail17trampoline_kernelINS0_14default_configENS1_38merge_sort_block_merge_config_selectorIiNS0_10empty_typeEEEZZNS1_27merge_sort_block_merge_implIS3_N6thrust23THRUST_200600_302600_NS6detail15normal_iteratorINS9_10device_ptrIiEEEEPS5_m17evens_before_oddsEE10hipError_tT0_T1_T2_jT3_P12ihipStream_tbPNSt15iterator_traitsISI_E10value_typeEPNSO_ISJ_E10value_typeEPSK_NS1_7vsmem_tEENKUlT_SI_SJ_SK_E_clISE_PiSF_SF_EESH_SX_SI_SJ_SK_EUlSX_E0_NS1_11comp_targetILNS1_3genE2ELNS1_11target_archE906ELNS1_3gpuE6ELNS1_3repE0EEENS1_38merge_mergepath_config_static_selectorELNS0_4arch9wavefront6targetE1EEEvSJ_.has_indirect_call, 0
	.section	.AMDGPU.csdata,"",@progbits
; Kernel info:
; codeLenInByte = 0
; TotalNumSgprs: 6
; NumVgprs: 0
; NumAgprs: 0
; TotalNumVgprs: 0
; ScratchSize: 0
; MemoryBound: 0
; FloatMode: 240
; IeeeMode: 1
; LDSByteSize: 0 bytes/workgroup (compile time only)
; SGPRBlocks: 0
; VGPRBlocks: 0
; NumSGPRsForWavesPerEU: 6
; NumVGPRsForWavesPerEU: 1
; AccumOffset: 4
; Occupancy: 8
; WaveLimiterHint : 0
; COMPUTE_PGM_RSRC2:SCRATCH_EN: 0
; COMPUTE_PGM_RSRC2:USER_SGPR: 2
; COMPUTE_PGM_RSRC2:TRAP_HANDLER: 0
; COMPUTE_PGM_RSRC2:TGID_X_EN: 1
; COMPUTE_PGM_RSRC2:TGID_Y_EN: 0
; COMPUTE_PGM_RSRC2:TGID_Z_EN: 0
; COMPUTE_PGM_RSRC2:TIDIG_COMP_CNT: 0
; COMPUTE_PGM_RSRC3_GFX90A:ACCUM_OFFSET: 0
; COMPUTE_PGM_RSRC3_GFX90A:TG_SPLIT: 0
	.section	.text._ZN7rocprim17ROCPRIM_400000_NS6detail17trampoline_kernelINS0_14default_configENS1_38merge_sort_block_merge_config_selectorIiNS0_10empty_typeEEEZZNS1_27merge_sort_block_merge_implIS3_N6thrust23THRUST_200600_302600_NS6detail15normal_iteratorINS9_10device_ptrIiEEEEPS5_m17evens_before_oddsEE10hipError_tT0_T1_T2_jT3_P12ihipStream_tbPNSt15iterator_traitsISI_E10value_typeEPNSO_ISJ_E10value_typeEPSK_NS1_7vsmem_tEENKUlT_SI_SJ_SK_E_clISE_PiSF_SF_EESH_SX_SI_SJ_SK_EUlSX_E0_NS1_11comp_targetILNS1_3genE9ELNS1_11target_archE1100ELNS1_3gpuE3ELNS1_3repE0EEENS1_38merge_mergepath_config_static_selectorELNS0_4arch9wavefront6targetE1EEEvSJ_,"axG",@progbits,_ZN7rocprim17ROCPRIM_400000_NS6detail17trampoline_kernelINS0_14default_configENS1_38merge_sort_block_merge_config_selectorIiNS0_10empty_typeEEEZZNS1_27merge_sort_block_merge_implIS3_N6thrust23THRUST_200600_302600_NS6detail15normal_iteratorINS9_10device_ptrIiEEEEPS5_m17evens_before_oddsEE10hipError_tT0_T1_T2_jT3_P12ihipStream_tbPNSt15iterator_traitsISI_E10value_typeEPNSO_ISJ_E10value_typeEPSK_NS1_7vsmem_tEENKUlT_SI_SJ_SK_E_clISE_PiSF_SF_EESH_SX_SI_SJ_SK_EUlSX_E0_NS1_11comp_targetILNS1_3genE9ELNS1_11target_archE1100ELNS1_3gpuE3ELNS1_3repE0EEENS1_38merge_mergepath_config_static_selectorELNS0_4arch9wavefront6targetE1EEEvSJ_,comdat
	.protected	_ZN7rocprim17ROCPRIM_400000_NS6detail17trampoline_kernelINS0_14default_configENS1_38merge_sort_block_merge_config_selectorIiNS0_10empty_typeEEEZZNS1_27merge_sort_block_merge_implIS3_N6thrust23THRUST_200600_302600_NS6detail15normal_iteratorINS9_10device_ptrIiEEEEPS5_m17evens_before_oddsEE10hipError_tT0_T1_T2_jT3_P12ihipStream_tbPNSt15iterator_traitsISI_E10value_typeEPNSO_ISJ_E10value_typeEPSK_NS1_7vsmem_tEENKUlT_SI_SJ_SK_E_clISE_PiSF_SF_EESH_SX_SI_SJ_SK_EUlSX_E0_NS1_11comp_targetILNS1_3genE9ELNS1_11target_archE1100ELNS1_3gpuE3ELNS1_3repE0EEENS1_38merge_mergepath_config_static_selectorELNS0_4arch9wavefront6targetE1EEEvSJ_ ; -- Begin function _ZN7rocprim17ROCPRIM_400000_NS6detail17trampoline_kernelINS0_14default_configENS1_38merge_sort_block_merge_config_selectorIiNS0_10empty_typeEEEZZNS1_27merge_sort_block_merge_implIS3_N6thrust23THRUST_200600_302600_NS6detail15normal_iteratorINS9_10device_ptrIiEEEEPS5_m17evens_before_oddsEE10hipError_tT0_T1_T2_jT3_P12ihipStream_tbPNSt15iterator_traitsISI_E10value_typeEPNSO_ISJ_E10value_typeEPSK_NS1_7vsmem_tEENKUlT_SI_SJ_SK_E_clISE_PiSF_SF_EESH_SX_SI_SJ_SK_EUlSX_E0_NS1_11comp_targetILNS1_3genE9ELNS1_11target_archE1100ELNS1_3gpuE3ELNS1_3repE0EEENS1_38merge_mergepath_config_static_selectorELNS0_4arch9wavefront6targetE1EEEvSJ_
	.globl	_ZN7rocprim17ROCPRIM_400000_NS6detail17trampoline_kernelINS0_14default_configENS1_38merge_sort_block_merge_config_selectorIiNS0_10empty_typeEEEZZNS1_27merge_sort_block_merge_implIS3_N6thrust23THRUST_200600_302600_NS6detail15normal_iteratorINS9_10device_ptrIiEEEEPS5_m17evens_before_oddsEE10hipError_tT0_T1_T2_jT3_P12ihipStream_tbPNSt15iterator_traitsISI_E10value_typeEPNSO_ISJ_E10value_typeEPSK_NS1_7vsmem_tEENKUlT_SI_SJ_SK_E_clISE_PiSF_SF_EESH_SX_SI_SJ_SK_EUlSX_E0_NS1_11comp_targetILNS1_3genE9ELNS1_11target_archE1100ELNS1_3gpuE3ELNS1_3repE0EEENS1_38merge_mergepath_config_static_selectorELNS0_4arch9wavefront6targetE1EEEvSJ_
	.p2align	8
	.type	_ZN7rocprim17ROCPRIM_400000_NS6detail17trampoline_kernelINS0_14default_configENS1_38merge_sort_block_merge_config_selectorIiNS0_10empty_typeEEEZZNS1_27merge_sort_block_merge_implIS3_N6thrust23THRUST_200600_302600_NS6detail15normal_iteratorINS9_10device_ptrIiEEEEPS5_m17evens_before_oddsEE10hipError_tT0_T1_T2_jT3_P12ihipStream_tbPNSt15iterator_traitsISI_E10value_typeEPNSO_ISJ_E10value_typeEPSK_NS1_7vsmem_tEENKUlT_SI_SJ_SK_E_clISE_PiSF_SF_EESH_SX_SI_SJ_SK_EUlSX_E0_NS1_11comp_targetILNS1_3genE9ELNS1_11target_archE1100ELNS1_3gpuE3ELNS1_3repE0EEENS1_38merge_mergepath_config_static_selectorELNS0_4arch9wavefront6targetE1EEEvSJ_,@function
_ZN7rocprim17ROCPRIM_400000_NS6detail17trampoline_kernelINS0_14default_configENS1_38merge_sort_block_merge_config_selectorIiNS0_10empty_typeEEEZZNS1_27merge_sort_block_merge_implIS3_N6thrust23THRUST_200600_302600_NS6detail15normal_iteratorINS9_10device_ptrIiEEEEPS5_m17evens_before_oddsEE10hipError_tT0_T1_T2_jT3_P12ihipStream_tbPNSt15iterator_traitsISI_E10value_typeEPNSO_ISJ_E10value_typeEPSK_NS1_7vsmem_tEENKUlT_SI_SJ_SK_E_clISE_PiSF_SF_EESH_SX_SI_SJ_SK_EUlSX_E0_NS1_11comp_targetILNS1_3genE9ELNS1_11target_archE1100ELNS1_3gpuE3ELNS1_3repE0EEENS1_38merge_mergepath_config_static_selectorELNS0_4arch9wavefront6targetE1EEEvSJ_: ; @_ZN7rocprim17ROCPRIM_400000_NS6detail17trampoline_kernelINS0_14default_configENS1_38merge_sort_block_merge_config_selectorIiNS0_10empty_typeEEEZZNS1_27merge_sort_block_merge_implIS3_N6thrust23THRUST_200600_302600_NS6detail15normal_iteratorINS9_10device_ptrIiEEEEPS5_m17evens_before_oddsEE10hipError_tT0_T1_T2_jT3_P12ihipStream_tbPNSt15iterator_traitsISI_E10value_typeEPNSO_ISJ_E10value_typeEPSK_NS1_7vsmem_tEENKUlT_SI_SJ_SK_E_clISE_PiSF_SF_EESH_SX_SI_SJ_SK_EUlSX_E0_NS1_11comp_targetILNS1_3genE9ELNS1_11target_archE1100ELNS1_3gpuE3ELNS1_3repE0EEENS1_38merge_mergepath_config_static_selectorELNS0_4arch9wavefront6targetE1EEEvSJ_
; %bb.0:
	.section	.rodata,"a",@progbits
	.p2align	6, 0x0
	.amdhsa_kernel _ZN7rocprim17ROCPRIM_400000_NS6detail17trampoline_kernelINS0_14default_configENS1_38merge_sort_block_merge_config_selectorIiNS0_10empty_typeEEEZZNS1_27merge_sort_block_merge_implIS3_N6thrust23THRUST_200600_302600_NS6detail15normal_iteratorINS9_10device_ptrIiEEEEPS5_m17evens_before_oddsEE10hipError_tT0_T1_T2_jT3_P12ihipStream_tbPNSt15iterator_traitsISI_E10value_typeEPNSO_ISJ_E10value_typeEPSK_NS1_7vsmem_tEENKUlT_SI_SJ_SK_E_clISE_PiSF_SF_EESH_SX_SI_SJ_SK_EUlSX_E0_NS1_11comp_targetILNS1_3genE9ELNS1_11target_archE1100ELNS1_3gpuE3ELNS1_3repE0EEENS1_38merge_mergepath_config_static_selectorELNS0_4arch9wavefront6targetE1EEEvSJ_
		.amdhsa_group_segment_fixed_size 0
		.amdhsa_private_segment_fixed_size 0
		.amdhsa_kernarg_size 72
		.amdhsa_user_sgpr_count 2
		.amdhsa_user_sgpr_dispatch_ptr 0
		.amdhsa_user_sgpr_queue_ptr 0
		.amdhsa_user_sgpr_kernarg_segment_ptr 1
		.amdhsa_user_sgpr_dispatch_id 0
		.amdhsa_user_sgpr_kernarg_preload_length 0
		.amdhsa_user_sgpr_kernarg_preload_offset 0
		.amdhsa_user_sgpr_private_segment_size 0
		.amdhsa_uses_dynamic_stack 0
		.amdhsa_enable_private_segment 0
		.amdhsa_system_sgpr_workgroup_id_x 1
		.amdhsa_system_sgpr_workgroup_id_y 0
		.amdhsa_system_sgpr_workgroup_id_z 0
		.amdhsa_system_sgpr_workgroup_info 0
		.amdhsa_system_vgpr_workitem_id 0
		.amdhsa_next_free_vgpr 1
		.amdhsa_next_free_sgpr 0
		.amdhsa_accum_offset 4
		.amdhsa_reserve_vcc 0
		.amdhsa_float_round_mode_32 0
		.amdhsa_float_round_mode_16_64 0
		.amdhsa_float_denorm_mode_32 3
		.amdhsa_float_denorm_mode_16_64 3
		.amdhsa_dx10_clamp 1
		.amdhsa_ieee_mode 1
		.amdhsa_fp16_overflow 0
		.amdhsa_tg_split 0
		.amdhsa_exception_fp_ieee_invalid_op 0
		.amdhsa_exception_fp_denorm_src 0
		.amdhsa_exception_fp_ieee_div_zero 0
		.amdhsa_exception_fp_ieee_overflow 0
		.amdhsa_exception_fp_ieee_underflow 0
		.amdhsa_exception_fp_ieee_inexact 0
		.amdhsa_exception_int_div_zero 0
	.end_amdhsa_kernel
	.section	.text._ZN7rocprim17ROCPRIM_400000_NS6detail17trampoline_kernelINS0_14default_configENS1_38merge_sort_block_merge_config_selectorIiNS0_10empty_typeEEEZZNS1_27merge_sort_block_merge_implIS3_N6thrust23THRUST_200600_302600_NS6detail15normal_iteratorINS9_10device_ptrIiEEEEPS5_m17evens_before_oddsEE10hipError_tT0_T1_T2_jT3_P12ihipStream_tbPNSt15iterator_traitsISI_E10value_typeEPNSO_ISJ_E10value_typeEPSK_NS1_7vsmem_tEENKUlT_SI_SJ_SK_E_clISE_PiSF_SF_EESH_SX_SI_SJ_SK_EUlSX_E0_NS1_11comp_targetILNS1_3genE9ELNS1_11target_archE1100ELNS1_3gpuE3ELNS1_3repE0EEENS1_38merge_mergepath_config_static_selectorELNS0_4arch9wavefront6targetE1EEEvSJ_,"axG",@progbits,_ZN7rocprim17ROCPRIM_400000_NS6detail17trampoline_kernelINS0_14default_configENS1_38merge_sort_block_merge_config_selectorIiNS0_10empty_typeEEEZZNS1_27merge_sort_block_merge_implIS3_N6thrust23THRUST_200600_302600_NS6detail15normal_iteratorINS9_10device_ptrIiEEEEPS5_m17evens_before_oddsEE10hipError_tT0_T1_T2_jT3_P12ihipStream_tbPNSt15iterator_traitsISI_E10value_typeEPNSO_ISJ_E10value_typeEPSK_NS1_7vsmem_tEENKUlT_SI_SJ_SK_E_clISE_PiSF_SF_EESH_SX_SI_SJ_SK_EUlSX_E0_NS1_11comp_targetILNS1_3genE9ELNS1_11target_archE1100ELNS1_3gpuE3ELNS1_3repE0EEENS1_38merge_mergepath_config_static_selectorELNS0_4arch9wavefront6targetE1EEEvSJ_,comdat
.Lfunc_end446:
	.size	_ZN7rocprim17ROCPRIM_400000_NS6detail17trampoline_kernelINS0_14default_configENS1_38merge_sort_block_merge_config_selectorIiNS0_10empty_typeEEEZZNS1_27merge_sort_block_merge_implIS3_N6thrust23THRUST_200600_302600_NS6detail15normal_iteratorINS9_10device_ptrIiEEEEPS5_m17evens_before_oddsEE10hipError_tT0_T1_T2_jT3_P12ihipStream_tbPNSt15iterator_traitsISI_E10value_typeEPNSO_ISJ_E10value_typeEPSK_NS1_7vsmem_tEENKUlT_SI_SJ_SK_E_clISE_PiSF_SF_EESH_SX_SI_SJ_SK_EUlSX_E0_NS1_11comp_targetILNS1_3genE9ELNS1_11target_archE1100ELNS1_3gpuE3ELNS1_3repE0EEENS1_38merge_mergepath_config_static_selectorELNS0_4arch9wavefront6targetE1EEEvSJ_, .Lfunc_end446-_ZN7rocprim17ROCPRIM_400000_NS6detail17trampoline_kernelINS0_14default_configENS1_38merge_sort_block_merge_config_selectorIiNS0_10empty_typeEEEZZNS1_27merge_sort_block_merge_implIS3_N6thrust23THRUST_200600_302600_NS6detail15normal_iteratorINS9_10device_ptrIiEEEEPS5_m17evens_before_oddsEE10hipError_tT0_T1_T2_jT3_P12ihipStream_tbPNSt15iterator_traitsISI_E10value_typeEPNSO_ISJ_E10value_typeEPSK_NS1_7vsmem_tEENKUlT_SI_SJ_SK_E_clISE_PiSF_SF_EESH_SX_SI_SJ_SK_EUlSX_E0_NS1_11comp_targetILNS1_3genE9ELNS1_11target_archE1100ELNS1_3gpuE3ELNS1_3repE0EEENS1_38merge_mergepath_config_static_selectorELNS0_4arch9wavefront6targetE1EEEvSJ_
                                        ; -- End function
	.set _ZN7rocprim17ROCPRIM_400000_NS6detail17trampoline_kernelINS0_14default_configENS1_38merge_sort_block_merge_config_selectorIiNS0_10empty_typeEEEZZNS1_27merge_sort_block_merge_implIS3_N6thrust23THRUST_200600_302600_NS6detail15normal_iteratorINS9_10device_ptrIiEEEEPS5_m17evens_before_oddsEE10hipError_tT0_T1_T2_jT3_P12ihipStream_tbPNSt15iterator_traitsISI_E10value_typeEPNSO_ISJ_E10value_typeEPSK_NS1_7vsmem_tEENKUlT_SI_SJ_SK_E_clISE_PiSF_SF_EESH_SX_SI_SJ_SK_EUlSX_E0_NS1_11comp_targetILNS1_3genE9ELNS1_11target_archE1100ELNS1_3gpuE3ELNS1_3repE0EEENS1_38merge_mergepath_config_static_selectorELNS0_4arch9wavefront6targetE1EEEvSJ_.num_vgpr, 0
	.set _ZN7rocprim17ROCPRIM_400000_NS6detail17trampoline_kernelINS0_14default_configENS1_38merge_sort_block_merge_config_selectorIiNS0_10empty_typeEEEZZNS1_27merge_sort_block_merge_implIS3_N6thrust23THRUST_200600_302600_NS6detail15normal_iteratorINS9_10device_ptrIiEEEEPS5_m17evens_before_oddsEE10hipError_tT0_T1_T2_jT3_P12ihipStream_tbPNSt15iterator_traitsISI_E10value_typeEPNSO_ISJ_E10value_typeEPSK_NS1_7vsmem_tEENKUlT_SI_SJ_SK_E_clISE_PiSF_SF_EESH_SX_SI_SJ_SK_EUlSX_E0_NS1_11comp_targetILNS1_3genE9ELNS1_11target_archE1100ELNS1_3gpuE3ELNS1_3repE0EEENS1_38merge_mergepath_config_static_selectorELNS0_4arch9wavefront6targetE1EEEvSJ_.num_agpr, 0
	.set _ZN7rocprim17ROCPRIM_400000_NS6detail17trampoline_kernelINS0_14default_configENS1_38merge_sort_block_merge_config_selectorIiNS0_10empty_typeEEEZZNS1_27merge_sort_block_merge_implIS3_N6thrust23THRUST_200600_302600_NS6detail15normal_iteratorINS9_10device_ptrIiEEEEPS5_m17evens_before_oddsEE10hipError_tT0_T1_T2_jT3_P12ihipStream_tbPNSt15iterator_traitsISI_E10value_typeEPNSO_ISJ_E10value_typeEPSK_NS1_7vsmem_tEENKUlT_SI_SJ_SK_E_clISE_PiSF_SF_EESH_SX_SI_SJ_SK_EUlSX_E0_NS1_11comp_targetILNS1_3genE9ELNS1_11target_archE1100ELNS1_3gpuE3ELNS1_3repE0EEENS1_38merge_mergepath_config_static_selectorELNS0_4arch9wavefront6targetE1EEEvSJ_.numbered_sgpr, 0
	.set _ZN7rocprim17ROCPRIM_400000_NS6detail17trampoline_kernelINS0_14default_configENS1_38merge_sort_block_merge_config_selectorIiNS0_10empty_typeEEEZZNS1_27merge_sort_block_merge_implIS3_N6thrust23THRUST_200600_302600_NS6detail15normal_iteratorINS9_10device_ptrIiEEEEPS5_m17evens_before_oddsEE10hipError_tT0_T1_T2_jT3_P12ihipStream_tbPNSt15iterator_traitsISI_E10value_typeEPNSO_ISJ_E10value_typeEPSK_NS1_7vsmem_tEENKUlT_SI_SJ_SK_E_clISE_PiSF_SF_EESH_SX_SI_SJ_SK_EUlSX_E0_NS1_11comp_targetILNS1_3genE9ELNS1_11target_archE1100ELNS1_3gpuE3ELNS1_3repE0EEENS1_38merge_mergepath_config_static_selectorELNS0_4arch9wavefront6targetE1EEEvSJ_.num_named_barrier, 0
	.set _ZN7rocprim17ROCPRIM_400000_NS6detail17trampoline_kernelINS0_14default_configENS1_38merge_sort_block_merge_config_selectorIiNS0_10empty_typeEEEZZNS1_27merge_sort_block_merge_implIS3_N6thrust23THRUST_200600_302600_NS6detail15normal_iteratorINS9_10device_ptrIiEEEEPS5_m17evens_before_oddsEE10hipError_tT0_T1_T2_jT3_P12ihipStream_tbPNSt15iterator_traitsISI_E10value_typeEPNSO_ISJ_E10value_typeEPSK_NS1_7vsmem_tEENKUlT_SI_SJ_SK_E_clISE_PiSF_SF_EESH_SX_SI_SJ_SK_EUlSX_E0_NS1_11comp_targetILNS1_3genE9ELNS1_11target_archE1100ELNS1_3gpuE3ELNS1_3repE0EEENS1_38merge_mergepath_config_static_selectorELNS0_4arch9wavefront6targetE1EEEvSJ_.private_seg_size, 0
	.set _ZN7rocprim17ROCPRIM_400000_NS6detail17trampoline_kernelINS0_14default_configENS1_38merge_sort_block_merge_config_selectorIiNS0_10empty_typeEEEZZNS1_27merge_sort_block_merge_implIS3_N6thrust23THRUST_200600_302600_NS6detail15normal_iteratorINS9_10device_ptrIiEEEEPS5_m17evens_before_oddsEE10hipError_tT0_T1_T2_jT3_P12ihipStream_tbPNSt15iterator_traitsISI_E10value_typeEPNSO_ISJ_E10value_typeEPSK_NS1_7vsmem_tEENKUlT_SI_SJ_SK_E_clISE_PiSF_SF_EESH_SX_SI_SJ_SK_EUlSX_E0_NS1_11comp_targetILNS1_3genE9ELNS1_11target_archE1100ELNS1_3gpuE3ELNS1_3repE0EEENS1_38merge_mergepath_config_static_selectorELNS0_4arch9wavefront6targetE1EEEvSJ_.uses_vcc, 0
	.set _ZN7rocprim17ROCPRIM_400000_NS6detail17trampoline_kernelINS0_14default_configENS1_38merge_sort_block_merge_config_selectorIiNS0_10empty_typeEEEZZNS1_27merge_sort_block_merge_implIS3_N6thrust23THRUST_200600_302600_NS6detail15normal_iteratorINS9_10device_ptrIiEEEEPS5_m17evens_before_oddsEE10hipError_tT0_T1_T2_jT3_P12ihipStream_tbPNSt15iterator_traitsISI_E10value_typeEPNSO_ISJ_E10value_typeEPSK_NS1_7vsmem_tEENKUlT_SI_SJ_SK_E_clISE_PiSF_SF_EESH_SX_SI_SJ_SK_EUlSX_E0_NS1_11comp_targetILNS1_3genE9ELNS1_11target_archE1100ELNS1_3gpuE3ELNS1_3repE0EEENS1_38merge_mergepath_config_static_selectorELNS0_4arch9wavefront6targetE1EEEvSJ_.uses_flat_scratch, 0
	.set _ZN7rocprim17ROCPRIM_400000_NS6detail17trampoline_kernelINS0_14default_configENS1_38merge_sort_block_merge_config_selectorIiNS0_10empty_typeEEEZZNS1_27merge_sort_block_merge_implIS3_N6thrust23THRUST_200600_302600_NS6detail15normal_iteratorINS9_10device_ptrIiEEEEPS5_m17evens_before_oddsEE10hipError_tT0_T1_T2_jT3_P12ihipStream_tbPNSt15iterator_traitsISI_E10value_typeEPNSO_ISJ_E10value_typeEPSK_NS1_7vsmem_tEENKUlT_SI_SJ_SK_E_clISE_PiSF_SF_EESH_SX_SI_SJ_SK_EUlSX_E0_NS1_11comp_targetILNS1_3genE9ELNS1_11target_archE1100ELNS1_3gpuE3ELNS1_3repE0EEENS1_38merge_mergepath_config_static_selectorELNS0_4arch9wavefront6targetE1EEEvSJ_.has_dyn_sized_stack, 0
	.set _ZN7rocprim17ROCPRIM_400000_NS6detail17trampoline_kernelINS0_14default_configENS1_38merge_sort_block_merge_config_selectorIiNS0_10empty_typeEEEZZNS1_27merge_sort_block_merge_implIS3_N6thrust23THRUST_200600_302600_NS6detail15normal_iteratorINS9_10device_ptrIiEEEEPS5_m17evens_before_oddsEE10hipError_tT0_T1_T2_jT3_P12ihipStream_tbPNSt15iterator_traitsISI_E10value_typeEPNSO_ISJ_E10value_typeEPSK_NS1_7vsmem_tEENKUlT_SI_SJ_SK_E_clISE_PiSF_SF_EESH_SX_SI_SJ_SK_EUlSX_E0_NS1_11comp_targetILNS1_3genE9ELNS1_11target_archE1100ELNS1_3gpuE3ELNS1_3repE0EEENS1_38merge_mergepath_config_static_selectorELNS0_4arch9wavefront6targetE1EEEvSJ_.has_recursion, 0
	.set _ZN7rocprim17ROCPRIM_400000_NS6detail17trampoline_kernelINS0_14default_configENS1_38merge_sort_block_merge_config_selectorIiNS0_10empty_typeEEEZZNS1_27merge_sort_block_merge_implIS3_N6thrust23THRUST_200600_302600_NS6detail15normal_iteratorINS9_10device_ptrIiEEEEPS5_m17evens_before_oddsEE10hipError_tT0_T1_T2_jT3_P12ihipStream_tbPNSt15iterator_traitsISI_E10value_typeEPNSO_ISJ_E10value_typeEPSK_NS1_7vsmem_tEENKUlT_SI_SJ_SK_E_clISE_PiSF_SF_EESH_SX_SI_SJ_SK_EUlSX_E0_NS1_11comp_targetILNS1_3genE9ELNS1_11target_archE1100ELNS1_3gpuE3ELNS1_3repE0EEENS1_38merge_mergepath_config_static_selectorELNS0_4arch9wavefront6targetE1EEEvSJ_.has_indirect_call, 0
	.section	.AMDGPU.csdata,"",@progbits
; Kernel info:
; codeLenInByte = 0
; TotalNumSgprs: 6
; NumVgprs: 0
; NumAgprs: 0
; TotalNumVgprs: 0
; ScratchSize: 0
; MemoryBound: 0
; FloatMode: 240
; IeeeMode: 1
; LDSByteSize: 0 bytes/workgroup (compile time only)
; SGPRBlocks: 0
; VGPRBlocks: 0
; NumSGPRsForWavesPerEU: 6
; NumVGPRsForWavesPerEU: 1
; AccumOffset: 4
; Occupancy: 8
; WaveLimiterHint : 0
; COMPUTE_PGM_RSRC2:SCRATCH_EN: 0
; COMPUTE_PGM_RSRC2:USER_SGPR: 2
; COMPUTE_PGM_RSRC2:TRAP_HANDLER: 0
; COMPUTE_PGM_RSRC2:TGID_X_EN: 1
; COMPUTE_PGM_RSRC2:TGID_Y_EN: 0
; COMPUTE_PGM_RSRC2:TGID_Z_EN: 0
; COMPUTE_PGM_RSRC2:TIDIG_COMP_CNT: 0
; COMPUTE_PGM_RSRC3_GFX90A:ACCUM_OFFSET: 0
; COMPUTE_PGM_RSRC3_GFX90A:TG_SPLIT: 0
	.section	.text._ZN7rocprim17ROCPRIM_400000_NS6detail17trampoline_kernelINS0_14default_configENS1_38merge_sort_block_merge_config_selectorIiNS0_10empty_typeEEEZZNS1_27merge_sort_block_merge_implIS3_N6thrust23THRUST_200600_302600_NS6detail15normal_iteratorINS9_10device_ptrIiEEEEPS5_m17evens_before_oddsEE10hipError_tT0_T1_T2_jT3_P12ihipStream_tbPNSt15iterator_traitsISI_E10value_typeEPNSO_ISJ_E10value_typeEPSK_NS1_7vsmem_tEENKUlT_SI_SJ_SK_E_clISE_PiSF_SF_EESH_SX_SI_SJ_SK_EUlSX_E0_NS1_11comp_targetILNS1_3genE8ELNS1_11target_archE1030ELNS1_3gpuE2ELNS1_3repE0EEENS1_38merge_mergepath_config_static_selectorELNS0_4arch9wavefront6targetE1EEEvSJ_,"axG",@progbits,_ZN7rocprim17ROCPRIM_400000_NS6detail17trampoline_kernelINS0_14default_configENS1_38merge_sort_block_merge_config_selectorIiNS0_10empty_typeEEEZZNS1_27merge_sort_block_merge_implIS3_N6thrust23THRUST_200600_302600_NS6detail15normal_iteratorINS9_10device_ptrIiEEEEPS5_m17evens_before_oddsEE10hipError_tT0_T1_T2_jT3_P12ihipStream_tbPNSt15iterator_traitsISI_E10value_typeEPNSO_ISJ_E10value_typeEPSK_NS1_7vsmem_tEENKUlT_SI_SJ_SK_E_clISE_PiSF_SF_EESH_SX_SI_SJ_SK_EUlSX_E0_NS1_11comp_targetILNS1_3genE8ELNS1_11target_archE1030ELNS1_3gpuE2ELNS1_3repE0EEENS1_38merge_mergepath_config_static_selectorELNS0_4arch9wavefront6targetE1EEEvSJ_,comdat
	.protected	_ZN7rocprim17ROCPRIM_400000_NS6detail17trampoline_kernelINS0_14default_configENS1_38merge_sort_block_merge_config_selectorIiNS0_10empty_typeEEEZZNS1_27merge_sort_block_merge_implIS3_N6thrust23THRUST_200600_302600_NS6detail15normal_iteratorINS9_10device_ptrIiEEEEPS5_m17evens_before_oddsEE10hipError_tT0_T1_T2_jT3_P12ihipStream_tbPNSt15iterator_traitsISI_E10value_typeEPNSO_ISJ_E10value_typeEPSK_NS1_7vsmem_tEENKUlT_SI_SJ_SK_E_clISE_PiSF_SF_EESH_SX_SI_SJ_SK_EUlSX_E0_NS1_11comp_targetILNS1_3genE8ELNS1_11target_archE1030ELNS1_3gpuE2ELNS1_3repE0EEENS1_38merge_mergepath_config_static_selectorELNS0_4arch9wavefront6targetE1EEEvSJ_ ; -- Begin function _ZN7rocprim17ROCPRIM_400000_NS6detail17trampoline_kernelINS0_14default_configENS1_38merge_sort_block_merge_config_selectorIiNS0_10empty_typeEEEZZNS1_27merge_sort_block_merge_implIS3_N6thrust23THRUST_200600_302600_NS6detail15normal_iteratorINS9_10device_ptrIiEEEEPS5_m17evens_before_oddsEE10hipError_tT0_T1_T2_jT3_P12ihipStream_tbPNSt15iterator_traitsISI_E10value_typeEPNSO_ISJ_E10value_typeEPSK_NS1_7vsmem_tEENKUlT_SI_SJ_SK_E_clISE_PiSF_SF_EESH_SX_SI_SJ_SK_EUlSX_E0_NS1_11comp_targetILNS1_3genE8ELNS1_11target_archE1030ELNS1_3gpuE2ELNS1_3repE0EEENS1_38merge_mergepath_config_static_selectorELNS0_4arch9wavefront6targetE1EEEvSJ_
	.globl	_ZN7rocprim17ROCPRIM_400000_NS6detail17trampoline_kernelINS0_14default_configENS1_38merge_sort_block_merge_config_selectorIiNS0_10empty_typeEEEZZNS1_27merge_sort_block_merge_implIS3_N6thrust23THRUST_200600_302600_NS6detail15normal_iteratorINS9_10device_ptrIiEEEEPS5_m17evens_before_oddsEE10hipError_tT0_T1_T2_jT3_P12ihipStream_tbPNSt15iterator_traitsISI_E10value_typeEPNSO_ISJ_E10value_typeEPSK_NS1_7vsmem_tEENKUlT_SI_SJ_SK_E_clISE_PiSF_SF_EESH_SX_SI_SJ_SK_EUlSX_E0_NS1_11comp_targetILNS1_3genE8ELNS1_11target_archE1030ELNS1_3gpuE2ELNS1_3repE0EEENS1_38merge_mergepath_config_static_selectorELNS0_4arch9wavefront6targetE1EEEvSJ_
	.p2align	8
	.type	_ZN7rocprim17ROCPRIM_400000_NS6detail17trampoline_kernelINS0_14default_configENS1_38merge_sort_block_merge_config_selectorIiNS0_10empty_typeEEEZZNS1_27merge_sort_block_merge_implIS3_N6thrust23THRUST_200600_302600_NS6detail15normal_iteratorINS9_10device_ptrIiEEEEPS5_m17evens_before_oddsEE10hipError_tT0_T1_T2_jT3_P12ihipStream_tbPNSt15iterator_traitsISI_E10value_typeEPNSO_ISJ_E10value_typeEPSK_NS1_7vsmem_tEENKUlT_SI_SJ_SK_E_clISE_PiSF_SF_EESH_SX_SI_SJ_SK_EUlSX_E0_NS1_11comp_targetILNS1_3genE8ELNS1_11target_archE1030ELNS1_3gpuE2ELNS1_3repE0EEENS1_38merge_mergepath_config_static_selectorELNS0_4arch9wavefront6targetE1EEEvSJ_,@function
_ZN7rocprim17ROCPRIM_400000_NS6detail17trampoline_kernelINS0_14default_configENS1_38merge_sort_block_merge_config_selectorIiNS0_10empty_typeEEEZZNS1_27merge_sort_block_merge_implIS3_N6thrust23THRUST_200600_302600_NS6detail15normal_iteratorINS9_10device_ptrIiEEEEPS5_m17evens_before_oddsEE10hipError_tT0_T1_T2_jT3_P12ihipStream_tbPNSt15iterator_traitsISI_E10value_typeEPNSO_ISJ_E10value_typeEPSK_NS1_7vsmem_tEENKUlT_SI_SJ_SK_E_clISE_PiSF_SF_EESH_SX_SI_SJ_SK_EUlSX_E0_NS1_11comp_targetILNS1_3genE8ELNS1_11target_archE1030ELNS1_3gpuE2ELNS1_3repE0EEENS1_38merge_mergepath_config_static_selectorELNS0_4arch9wavefront6targetE1EEEvSJ_: ; @_ZN7rocprim17ROCPRIM_400000_NS6detail17trampoline_kernelINS0_14default_configENS1_38merge_sort_block_merge_config_selectorIiNS0_10empty_typeEEEZZNS1_27merge_sort_block_merge_implIS3_N6thrust23THRUST_200600_302600_NS6detail15normal_iteratorINS9_10device_ptrIiEEEEPS5_m17evens_before_oddsEE10hipError_tT0_T1_T2_jT3_P12ihipStream_tbPNSt15iterator_traitsISI_E10value_typeEPNSO_ISJ_E10value_typeEPSK_NS1_7vsmem_tEENKUlT_SI_SJ_SK_E_clISE_PiSF_SF_EESH_SX_SI_SJ_SK_EUlSX_E0_NS1_11comp_targetILNS1_3genE8ELNS1_11target_archE1030ELNS1_3gpuE2ELNS1_3repE0EEENS1_38merge_mergepath_config_static_selectorELNS0_4arch9wavefront6targetE1EEEvSJ_
; %bb.0:
	.section	.rodata,"a",@progbits
	.p2align	6, 0x0
	.amdhsa_kernel _ZN7rocprim17ROCPRIM_400000_NS6detail17trampoline_kernelINS0_14default_configENS1_38merge_sort_block_merge_config_selectorIiNS0_10empty_typeEEEZZNS1_27merge_sort_block_merge_implIS3_N6thrust23THRUST_200600_302600_NS6detail15normal_iteratorINS9_10device_ptrIiEEEEPS5_m17evens_before_oddsEE10hipError_tT0_T1_T2_jT3_P12ihipStream_tbPNSt15iterator_traitsISI_E10value_typeEPNSO_ISJ_E10value_typeEPSK_NS1_7vsmem_tEENKUlT_SI_SJ_SK_E_clISE_PiSF_SF_EESH_SX_SI_SJ_SK_EUlSX_E0_NS1_11comp_targetILNS1_3genE8ELNS1_11target_archE1030ELNS1_3gpuE2ELNS1_3repE0EEENS1_38merge_mergepath_config_static_selectorELNS0_4arch9wavefront6targetE1EEEvSJ_
		.amdhsa_group_segment_fixed_size 0
		.amdhsa_private_segment_fixed_size 0
		.amdhsa_kernarg_size 72
		.amdhsa_user_sgpr_count 2
		.amdhsa_user_sgpr_dispatch_ptr 0
		.amdhsa_user_sgpr_queue_ptr 0
		.amdhsa_user_sgpr_kernarg_segment_ptr 1
		.amdhsa_user_sgpr_dispatch_id 0
		.amdhsa_user_sgpr_kernarg_preload_length 0
		.amdhsa_user_sgpr_kernarg_preload_offset 0
		.amdhsa_user_sgpr_private_segment_size 0
		.amdhsa_uses_dynamic_stack 0
		.amdhsa_enable_private_segment 0
		.amdhsa_system_sgpr_workgroup_id_x 1
		.amdhsa_system_sgpr_workgroup_id_y 0
		.amdhsa_system_sgpr_workgroup_id_z 0
		.amdhsa_system_sgpr_workgroup_info 0
		.amdhsa_system_vgpr_workitem_id 0
		.amdhsa_next_free_vgpr 1
		.amdhsa_next_free_sgpr 0
		.amdhsa_accum_offset 4
		.amdhsa_reserve_vcc 0
		.amdhsa_float_round_mode_32 0
		.amdhsa_float_round_mode_16_64 0
		.amdhsa_float_denorm_mode_32 3
		.amdhsa_float_denorm_mode_16_64 3
		.amdhsa_dx10_clamp 1
		.amdhsa_ieee_mode 1
		.amdhsa_fp16_overflow 0
		.amdhsa_tg_split 0
		.amdhsa_exception_fp_ieee_invalid_op 0
		.amdhsa_exception_fp_denorm_src 0
		.amdhsa_exception_fp_ieee_div_zero 0
		.amdhsa_exception_fp_ieee_overflow 0
		.amdhsa_exception_fp_ieee_underflow 0
		.amdhsa_exception_fp_ieee_inexact 0
		.amdhsa_exception_int_div_zero 0
	.end_amdhsa_kernel
	.section	.text._ZN7rocprim17ROCPRIM_400000_NS6detail17trampoline_kernelINS0_14default_configENS1_38merge_sort_block_merge_config_selectorIiNS0_10empty_typeEEEZZNS1_27merge_sort_block_merge_implIS3_N6thrust23THRUST_200600_302600_NS6detail15normal_iteratorINS9_10device_ptrIiEEEEPS5_m17evens_before_oddsEE10hipError_tT0_T1_T2_jT3_P12ihipStream_tbPNSt15iterator_traitsISI_E10value_typeEPNSO_ISJ_E10value_typeEPSK_NS1_7vsmem_tEENKUlT_SI_SJ_SK_E_clISE_PiSF_SF_EESH_SX_SI_SJ_SK_EUlSX_E0_NS1_11comp_targetILNS1_3genE8ELNS1_11target_archE1030ELNS1_3gpuE2ELNS1_3repE0EEENS1_38merge_mergepath_config_static_selectorELNS0_4arch9wavefront6targetE1EEEvSJ_,"axG",@progbits,_ZN7rocprim17ROCPRIM_400000_NS6detail17trampoline_kernelINS0_14default_configENS1_38merge_sort_block_merge_config_selectorIiNS0_10empty_typeEEEZZNS1_27merge_sort_block_merge_implIS3_N6thrust23THRUST_200600_302600_NS6detail15normal_iteratorINS9_10device_ptrIiEEEEPS5_m17evens_before_oddsEE10hipError_tT0_T1_T2_jT3_P12ihipStream_tbPNSt15iterator_traitsISI_E10value_typeEPNSO_ISJ_E10value_typeEPSK_NS1_7vsmem_tEENKUlT_SI_SJ_SK_E_clISE_PiSF_SF_EESH_SX_SI_SJ_SK_EUlSX_E0_NS1_11comp_targetILNS1_3genE8ELNS1_11target_archE1030ELNS1_3gpuE2ELNS1_3repE0EEENS1_38merge_mergepath_config_static_selectorELNS0_4arch9wavefront6targetE1EEEvSJ_,comdat
.Lfunc_end447:
	.size	_ZN7rocprim17ROCPRIM_400000_NS6detail17trampoline_kernelINS0_14default_configENS1_38merge_sort_block_merge_config_selectorIiNS0_10empty_typeEEEZZNS1_27merge_sort_block_merge_implIS3_N6thrust23THRUST_200600_302600_NS6detail15normal_iteratorINS9_10device_ptrIiEEEEPS5_m17evens_before_oddsEE10hipError_tT0_T1_T2_jT3_P12ihipStream_tbPNSt15iterator_traitsISI_E10value_typeEPNSO_ISJ_E10value_typeEPSK_NS1_7vsmem_tEENKUlT_SI_SJ_SK_E_clISE_PiSF_SF_EESH_SX_SI_SJ_SK_EUlSX_E0_NS1_11comp_targetILNS1_3genE8ELNS1_11target_archE1030ELNS1_3gpuE2ELNS1_3repE0EEENS1_38merge_mergepath_config_static_selectorELNS0_4arch9wavefront6targetE1EEEvSJ_, .Lfunc_end447-_ZN7rocprim17ROCPRIM_400000_NS6detail17trampoline_kernelINS0_14default_configENS1_38merge_sort_block_merge_config_selectorIiNS0_10empty_typeEEEZZNS1_27merge_sort_block_merge_implIS3_N6thrust23THRUST_200600_302600_NS6detail15normal_iteratorINS9_10device_ptrIiEEEEPS5_m17evens_before_oddsEE10hipError_tT0_T1_T2_jT3_P12ihipStream_tbPNSt15iterator_traitsISI_E10value_typeEPNSO_ISJ_E10value_typeEPSK_NS1_7vsmem_tEENKUlT_SI_SJ_SK_E_clISE_PiSF_SF_EESH_SX_SI_SJ_SK_EUlSX_E0_NS1_11comp_targetILNS1_3genE8ELNS1_11target_archE1030ELNS1_3gpuE2ELNS1_3repE0EEENS1_38merge_mergepath_config_static_selectorELNS0_4arch9wavefront6targetE1EEEvSJ_
                                        ; -- End function
	.set _ZN7rocprim17ROCPRIM_400000_NS6detail17trampoline_kernelINS0_14default_configENS1_38merge_sort_block_merge_config_selectorIiNS0_10empty_typeEEEZZNS1_27merge_sort_block_merge_implIS3_N6thrust23THRUST_200600_302600_NS6detail15normal_iteratorINS9_10device_ptrIiEEEEPS5_m17evens_before_oddsEE10hipError_tT0_T1_T2_jT3_P12ihipStream_tbPNSt15iterator_traitsISI_E10value_typeEPNSO_ISJ_E10value_typeEPSK_NS1_7vsmem_tEENKUlT_SI_SJ_SK_E_clISE_PiSF_SF_EESH_SX_SI_SJ_SK_EUlSX_E0_NS1_11comp_targetILNS1_3genE8ELNS1_11target_archE1030ELNS1_3gpuE2ELNS1_3repE0EEENS1_38merge_mergepath_config_static_selectorELNS0_4arch9wavefront6targetE1EEEvSJ_.num_vgpr, 0
	.set _ZN7rocprim17ROCPRIM_400000_NS6detail17trampoline_kernelINS0_14default_configENS1_38merge_sort_block_merge_config_selectorIiNS0_10empty_typeEEEZZNS1_27merge_sort_block_merge_implIS3_N6thrust23THRUST_200600_302600_NS6detail15normal_iteratorINS9_10device_ptrIiEEEEPS5_m17evens_before_oddsEE10hipError_tT0_T1_T2_jT3_P12ihipStream_tbPNSt15iterator_traitsISI_E10value_typeEPNSO_ISJ_E10value_typeEPSK_NS1_7vsmem_tEENKUlT_SI_SJ_SK_E_clISE_PiSF_SF_EESH_SX_SI_SJ_SK_EUlSX_E0_NS1_11comp_targetILNS1_3genE8ELNS1_11target_archE1030ELNS1_3gpuE2ELNS1_3repE0EEENS1_38merge_mergepath_config_static_selectorELNS0_4arch9wavefront6targetE1EEEvSJ_.num_agpr, 0
	.set _ZN7rocprim17ROCPRIM_400000_NS6detail17trampoline_kernelINS0_14default_configENS1_38merge_sort_block_merge_config_selectorIiNS0_10empty_typeEEEZZNS1_27merge_sort_block_merge_implIS3_N6thrust23THRUST_200600_302600_NS6detail15normal_iteratorINS9_10device_ptrIiEEEEPS5_m17evens_before_oddsEE10hipError_tT0_T1_T2_jT3_P12ihipStream_tbPNSt15iterator_traitsISI_E10value_typeEPNSO_ISJ_E10value_typeEPSK_NS1_7vsmem_tEENKUlT_SI_SJ_SK_E_clISE_PiSF_SF_EESH_SX_SI_SJ_SK_EUlSX_E0_NS1_11comp_targetILNS1_3genE8ELNS1_11target_archE1030ELNS1_3gpuE2ELNS1_3repE0EEENS1_38merge_mergepath_config_static_selectorELNS0_4arch9wavefront6targetE1EEEvSJ_.numbered_sgpr, 0
	.set _ZN7rocprim17ROCPRIM_400000_NS6detail17trampoline_kernelINS0_14default_configENS1_38merge_sort_block_merge_config_selectorIiNS0_10empty_typeEEEZZNS1_27merge_sort_block_merge_implIS3_N6thrust23THRUST_200600_302600_NS6detail15normal_iteratorINS9_10device_ptrIiEEEEPS5_m17evens_before_oddsEE10hipError_tT0_T1_T2_jT3_P12ihipStream_tbPNSt15iterator_traitsISI_E10value_typeEPNSO_ISJ_E10value_typeEPSK_NS1_7vsmem_tEENKUlT_SI_SJ_SK_E_clISE_PiSF_SF_EESH_SX_SI_SJ_SK_EUlSX_E0_NS1_11comp_targetILNS1_3genE8ELNS1_11target_archE1030ELNS1_3gpuE2ELNS1_3repE0EEENS1_38merge_mergepath_config_static_selectorELNS0_4arch9wavefront6targetE1EEEvSJ_.num_named_barrier, 0
	.set _ZN7rocprim17ROCPRIM_400000_NS6detail17trampoline_kernelINS0_14default_configENS1_38merge_sort_block_merge_config_selectorIiNS0_10empty_typeEEEZZNS1_27merge_sort_block_merge_implIS3_N6thrust23THRUST_200600_302600_NS6detail15normal_iteratorINS9_10device_ptrIiEEEEPS5_m17evens_before_oddsEE10hipError_tT0_T1_T2_jT3_P12ihipStream_tbPNSt15iterator_traitsISI_E10value_typeEPNSO_ISJ_E10value_typeEPSK_NS1_7vsmem_tEENKUlT_SI_SJ_SK_E_clISE_PiSF_SF_EESH_SX_SI_SJ_SK_EUlSX_E0_NS1_11comp_targetILNS1_3genE8ELNS1_11target_archE1030ELNS1_3gpuE2ELNS1_3repE0EEENS1_38merge_mergepath_config_static_selectorELNS0_4arch9wavefront6targetE1EEEvSJ_.private_seg_size, 0
	.set _ZN7rocprim17ROCPRIM_400000_NS6detail17trampoline_kernelINS0_14default_configENS1_38merge_sort_block_merge_config_selectorIiNS0_10empty_typeEEEZZNS1_27merge_sort_block_merge_implIS3_N6thrust23THRUST_200600_302600_NS6detail15normal_iteratorINS9_10device_ptrIiEEEEPS5_m17evens_before_oddsEE10hipError_tT0_T1_T2_jT3_P12ihipStream_tbPNSt15iterator_traitsISI_E10value_typeEPNSO_ISJ_E10value_typeEPSK_NS1_7vsmem_tEENKUlT_SI_SJ_SK_E_clISE_PiSF_SF_EESH_SX_SI_SJ_SK_EUlSX_E0_NS1_11comp_targetILNS1_3genE8ELNS1_11target_archE1030ELNS1_3gpuE2ELNS1_3repE0EEENS1_38merge_mergepath_config_static_selectorELNS0_4arch9wavefront6targetE1EEEvSJ_.uses_vcc, 0
	.set _ZN7rocprim17ROCPRIM_400000_NS6detail17trampoline_kernelINS0_14default_configENS1_38merge_sort_block_merge_config_selectorIiNS0_10empty_typeEEEZZNS1_27merge_sort_block_merge_implIS3_N6thrust23THRUST_200600_302600_NS6detail15normal_iteratorINS9_10device_ptrIiEEEEPS5_m17evens_before_oddsEE10hipError_tT0_T1_T2_jT3_P12ihipStream_tbPNSt15iterator_traitsISI_E10value_typeEPNSO_ISJ_E10value_typeEPSK_NS1_7vsmem_tEENKUlT_SI_SJ_SK_E_clISE_PiSF_SF_EESH_SX_SI_SJ_SK_EUlSX_E0_NS1_11comp_targetILNS1_3genE8ELNS1_11target_archE1030ELNS1_3gpuE2ELNS1_3repE0EEENS1_38merge_mergepath_config_static_selectorELNS0_4arch9wavefront6targetE1EEEvSJ_.uses_flat_scratch, 0
	.set _ZN7rocprim17ROCPRIM_400000_NS6detail17trampoline_kernelINS0_14default_configENS1_38merge_sort_block_merge_config_selectorIiNS0_10empty_typeEEEZZNS1_27merge_sort_block_merge_implIS3_N6thrust23THRUST_200600_302600_NS6detail15normal_iteratorINS9_10device_ptrIiEEEEPS5_m17evens_before_oddsEE10hipError_tT0_T1_T2_jT3_P12ihipStream_tbPNSt15iterator_traitsISI_E10value_typeEPNSO_ISJ_E10value_typeEPSK_NS1_7vsmem_tEENKUlT_SI_SJ_SK_E_clISE_PiSF_SF_EESH_SX_SI_SJ_SK_EUlSX_E0_NS1_11comp_targetILNS1_3genE8ELNS1_11target_archE1030ELNS1_3gpuE2ELNS1_3repE0EEENS1_38merge_mergepath_config_static_selectorELNS0_4arch9wavefront6targetE1EEEvSJ_.has_dyn_sized_stack, 0
	.set _ZN7rocprim17ROCPRIM_400000_NS6detail17trampoline_kernelINS0_14default_configENS1_38merge_sort_block_merge_config_selectorIiNS0_10empty_typeEEEZZNS1_27merge_sort_block_merge_implIS3_N6thrust23THRUST_200600_302600_NS6detail15normal_iteratorINS9_10device_ptrIiEEEEPS5_m17evens_before_oddsEE10hipError_tT0_T1_T2_jT3_P12ihipStream_tbPNSt15iterator_traitsISI_E10value_typeEPNSO_ISJ_E10value_typeEPSK_NS1_7vsmem_tEENKUlT_SI_SJ_SK_E_clISE_PiSF_SF_EESH_SX_SI_SJ_SK_EUlSX_E0_NS1_11comp_targetILNS1_3genE8ELNS1_11target_archE1030ELNS1_3gpuE2ELNS1_3repE0EEENS1_38merge_mergepath_config_static_selectorELNS0_4arch9wavefront6targetE1EEEvSJ_.has_recursion, 0
	.set _ZN7rocprim17ROCPRIM_400000_NS6detail17trampoline_kernelINS0_14default_configENS1_38merge_sort_block_merge_config_selectorIiNS0_10empty_typeEEEZZNS1_27merge_sort_block_merge_implIS3_N6thrust23THRUST_200600_302600_NS6detail15normal_iteratorINS9_10device_ptrIiEEEEPS5_m17evens_before_oddsEE10hipError_tT0_T1_T2_jT3_P12ihipStream_tbPNSt15iterator_traitsISI_E10value_typeEPNSO_ISJ_E10value_typeEPSK_NS1_7vsmem_tEENKUlT_SI_SJ_SK_E_clISE_PiSF_SF_EESH_SX_SI_SJ_SK_EUlSX_E0_NS1_11comp_targetILNS1_3genE8ELNS1_11target_archE1030ELNS1_3gpuE2ELNS1_3repE0EEENS1_38merge_mergepath_config_static_selectorELNS0_4arch9wavefront6targetE1EEEvSJ_.has_indirect_call, 0
	.section	.AMDGPU.csdata,"",@progbits
; Kernel info:
; codeLenInByte = 0
; TotalNumSgprs: 6
; NumVgprs: 0
; NumAgprs: 0
; TotalNumVgprs: 0
; ScratchSize: 0
; MemoryBound: 0
; FloatMode: 240
; IeeeMode: 1
; LDSByteSize: 0 bytes/workgroup (compile time only)
; SGPRBlocks: 0
; VGPRBlocks: 0
; NumSGPRsForWavesPerEU: 6
; NumVGPRsForWavesPerEU: 1
; AccumOffset: 4
; Occupancy: 8
; WaveLimiterHint : 0
; COMPUTE_PGM_RSRC2:SCRATCH_EN: 0
; COMPUTE_PGM_RSRC2:USER_SGPR: 2
; COMPUTE_PGM_RSRC2:TRAP_HANDLER: 0
; COMPUTE_PGM_RSRC2:TGID_X_EN: 1
; COMPUTE_PGM_RSRC2:TGID_Y_EN: 0
; COMPUTE_PGM_RSRC2:TGID_Z_EN: 0
; COMPUTE_PGM_RSRC2:TIDIG_COMP_CNT: 0
; COMPUTE_PGM_RSRC3_GFX90A:ACCUM_OFFSET: 0
; COMPUTE_PGM_RSRC3_GFX90A:TG_SPLIT: 0
	.section	.text._ZN7rocprim17ROCPRIM_400000_NS6detail17trampoline_kernelINS0_14default_configENS1_38merge_sort_block_merge_config_selectorIiNS0_10empty_typeEEEZZNS1_27merge_sort_block_merge_implIS3_N6thrust23THRUST_200600_302600_NS6detail15normal_iteratorINS9_10device_ptrIiEEEEPS5_m17evens_before_oddsEE10hipError_tT0_T1_T2_jT3_P12ihipStream_tbPNSt15iterator_traitsISI_E10value_typeEPNSO_ISJ_E10value_typeEPSK_NS1_7vsmem_tEENKUlT_SI_SJ_SK_E_clISE_PiSF_SF_EESH_SX_SI_SJ_SK_EUlSX_E1_NS1_11comp_targetILNS1_3genE0ELNS1_11target_archE4294967295ELNS1_3gpuE0ELNS1_3repE0EEENS1_36merge_oddeven_config_static_selectorELNS0_4arch9wavefront6targetE1EEEvSJ_,"axG",@progbits,_ZN7rocprim17ROCPRIM_400000_NS6detail17trampoline_kernelINS0_14default_configENS1_38merge_sort_block_merge_config_selectorIiNS0_10empty_typeEEEZZNS1_27merge_sort_block_merge_implIS3_N6thrust23THRUST_200600_302600_NS6detail15normal_iteratorINS9_10device_ptrIiEEEEPS5_m17evens_before_oddsEE10hipError_tT0_T1_T2_jT3_P12ihipStream_tbPNSt15iterator_traitsISI_E10value_typeEPNSO_ISJ_E10value_typeEPSK_NS1_7vsmem_tEENKUlT_SI_SJ_SK_E_clISE_PiSF_SF_EESH_SX_SI_SJ_SK_EUlSX_E1_NS1_11comp_targetILNS1_3genE0ELNS1_11target_archE4294967295ELNS1_3gpuE0ELNS1_3repE0EEENS1_36merge_oddeven_config_static_selectorELNS0_4arch9wavefront6targetE1EEEvSJ_,comdat
	.protected	_ZN7rocprim17ROCPRIM_400000_NS6detail17trampoline_kernelINS0_14default_configENS1_38merge_sort_block_merge_config_selectorIiNS0_10empty_typeEEEZZNS1_27merge_sort_block_merge_implIS3_N6thrust23THRUST_200600_302600_NS6detail15normal_iteratorINS9_10device_ptrIiEEEEPS5_m17evens_before_oddsEE10hipError_tT0_T1_T2_jT3_P12ihipStream_tbPNSt15iterator_traitsISI_E10value_typeEPNSO_ISJ_E10value_typeEPSK_NS1_7vsmem_tEENKUlT_SI_SJ_SK_E_clISE_PiSF_SF_EESH_SX_SI_SJ_SK_EUlSX_E1_NS1_11comp_targetILNS1_3genE0ELNS1_11target_archE4294967295ELNS1_3gpuE0ELNS1_3repE0EEENS1_36merge_oddeven_config_static_selectorELNS0_4arch9wavefront6targetE1EEEvSJ_ ; -- Begin function _ZN7rocprim17ROCPRIM_400000_NS6detail17trampoline_kernelINS0_14default_configENS1_38merge_sort_block_merge_config_selectorIiNS0_10empty_typeEEEZZNS1_27merge_sort_block_merge_implIS3_N6thrust23THRUST_200600_302600_NS6detail15normal_iteratorINS9_10device_ptrIiEEEEPS5_m17evens_before_oddsEE10hipError_tT0_T1_T2_jT3_P12ihipStream_tbPNSt15iterator_traitsISI_E10value_typeEPNSO_ISJ_E10value_typeEPSK_NS1_7vsmem_tEENKUlT_SI_SJ_SK_E_clISE_PiSF_SF_EESH_SX_SI_SJ_SK_EUlSX_E1_NS1_11comp_targetILNS1_3genE0ELNS1_11target_archE4294967295ELNS1_3gpuE0ELNS1_3repE0EEENS1_36merge_oddeven_config_static_selectorELNS0_4arch9wavefront6targetE1EEEvSJ_
	.globl	_ZN7rocprim17ROCPRIM_400000_NS6detail17trampoline_kernelINS0_14default_configENS1_38merge_sort_block_merge_config_selectorIiNS0_10empty_typeEEEZZNS1_27merge_sort_block_merge_implIS3_N6thrust23THRUST_200600_302600_NS6detail15normal_iteratorINS9_10device_ptrIiEEEEPS5_m17evens_before_oddsEE10hipError_tT0_T1_T2_jT3_P12ihipStream_tbPNSt15iterator_traitsISI_E10value_typeEPNSO_ISJ_E10value_typeEPSK_NS1_7vsmem_tEENKUlT_SI_SJ_SK_E_clISE_PiSF_SF_EESH_SX_SI_SJ_SK_EUlSX_E1_NS1_11comp_targetILNS1_3genE0ELNS1_11target_archE4294967295ELNS1_3gpuE0ELNS1_3repE0EEENS1_36merge_oddeven_config_static_selectorELNS0_4arch9wavefront6targetE1EEEvSJ_
	.p2align	8
	.type	_ZN7rocprim17ROCPRIM_400000_NS6detail17trampoline_kernelINS0_14default_configENS1_38merge_sort_block_merge_config_selectorIiNS0_10empty_typeEEEZZNS1_27merge_sort_block_merge_implIS3_N6thrust23THRUST_200600_302600_NS6detail15normal_iteratorINS9_10device_ptrIiEEEEPS5_m17evens_before_oddsEE10hipError_tT0_T1_T2_jT3_P12ihipStream_tbPNSt15iterator_traitsISI_E10value_typeEPNSO_ISJ_E10value_typeEPSK_NS1_7vsmem_tEENKUlT_SI_SJ_SK_E_clISE_PiSF_SF_EESH_SX_SI_SJ_SK_EUlSX_E1_NS1_11comp_targetILNS1_3genE0ELNS1_11target_archE4294967295ELNS1_3gpuE0ELNS1_3repE0EEENS1_36merge_oddeven_config_static_selectorELNS0_4arch9wavefront6targetE1EEEvSJ_,@function
_ZN7rocprim17ROCPRIM_400000_NS6detail17trampoline_kernelINS0_14default_configENS1_38merge_sort_block_merge_config_selectorIiNS0_10empty_typeEEEZZNS1_27merge_sort_block_merge_implIS3_N6thrust23THRUST_200600_302600_NS6detail15normal_iteratorINS9_10device_ptrIiEEEEPS5_m17evens_before_oddsEE10hipError_tT0_T1_T2_jT3_P12ihipStream_tbPNSt15iterator_traitsISI_E10value_typeEPNSO_ISJ_E10value_typeEPSK_NS1_7vsmem_tEENKUlT_SI_SJ_SK_E_clISE_PiSF_SF_EESH_SX_SI_SJ_SK_EUlSX_E1_NS1_11comp_targetILNS1_3genE0ELNS1_11target_archE4294967295ELNS1_3gpuE0ELNS1_3repE0EEENS1_36merge_oddeven_config_static_selectorELNS0_4arch9wavefront6targetE1EEEvSJ_: ; @_ZN7rocprim17ROCPRIM_400000_NS6detail17trampoline_kernelINS0_14default_configENS1_38merge_sort_block_merge_config_selectorIiNS0_10empty_typeEEEZZNS1_27merge_sort_block_merge_implIS3_N6thrust23THRUST_200600_302600_NS6detail15normal_iteratorINS9_10device_ptrIiEEEEPS5_m17evens_before_oddsEE10hipError_tT0_T1_T2_jT3_P12ihipStream_tbPNSt15iterator_traitsISI_E10value_typeEPNSO_ISJ_E10value_typeEPSK_NS1_7vsmem_tEENKUlT_SI_SJ_SK_E_clISE_PiSF_SF_EESH_SX_SI_SJ_SK_EUlSX_E1_NS1_11comp_targetILNS1_3genE0ELNS1_11target_archE4294967295ELNS1_3gpuE0ELNS1_3repE0EEENS1_36merge_oddeven_config_static_selectorELNS0_4arch9wavefront6targetE1EEEvSJ_
; %bb.0:
	s_load_dword s3, s[0:1], 0x20
	s_waitcnt lgkmcnt(0)
	s_lshr_b32 s4, s3, 8
	s_cmp_lg_u32 s2, s4
	s_cselect_b64 s[12:13], -1, 0
	s_cmp_eq_u32 s2, s4
	s_cselect_b64 s[14:15], -1, 0
	s_lshl_b32 s16, s2, 8
	s_sub_i32 s4, s3, s16
	v_cmp_gt_u32_e64 s[4:5], s4, v0
	s_or_b64 s[6:7], s[12:13], s[4:5]
	s_and_saveexec_b64 s[8:9], s[6:7]
	s_cbranch_execz .LBB448_28
; %bb.1:
	s_load_dwordx4 s[8:11], s[0:1], 0x0
	s_load_dword s18, s[0:1], 0x28
	s_mov_b32 s17, 0
	s_lshl_b64 s[0:1], s[16:17], 2
	v_lshlrev_b32_e32 v1, 2, v0
	s_waitcnt lgkmcnt(0)
	s_add_u32 s0, s8, s0
	s_addc_u32 s1, s9, s1
	global_load_dword v2, v1, s[0:1]
	s_lshr_b32 s0, s18, 8
	s_sub_i32 s1, 0, s0
	s_and_b32 s1, s2, s1
	s_and_b32 s0, s1, s0
	s_cmp_lg_u32 s0, 0
	s_cselect_b64 s[6:7], -1, 0
	s_lshl_b32 s2, s1, 8
	s_sub_i32 s1, 0, s18
	s_cmp_eq_u32 s0, 0
	s_cselect_b32 s22, s18, s1
	s_add_i32 s22, s22, s2
	s_cmp_lt_u32 s22, s3
	v_add_u32_e32 v0, s16, v0
	s_cbranch_scc1 .LBB448_3
; %bb.2:
	v_cmp_gt_u32_e32 vcc, s3, v0
	s_or_b64 s[12:13], vcc, s[12:13]
	s_and_b64 s[12:13], s[12:13], exec
	s_cbranch_execz .LBB448_4
	s_branch .LBB448_26
.LBB448_3:
	s_mov_b64 s[12:13], 0
.LBB448_4:
	s_min_u32 s23, s22, s3
	s_add_i32 s0, s23, s18
	s_min_u32 s24, s0, s3
	s_min_u32 s0, s2, s23
	s_add_i32 s2, s2, s23
	v_subrev_u32_e32 v0, s2, v0
	v_add_u32_e32 v3, s0, v0
	s_waitcnt vmcnt(0)
	v_lshrrev_b32_e32 v0, 31, v2
	v_add_u32_e32 v0, v2, v0
	v_and_b32_e32 v0, -2, v0
	v_sub_u32_e32 v4, v2, v0
	v_cmp_ne_u32_e64 s[0:1], 0, v4
	s_and_b64 vcc, exec, s[14:15]
	s_cbranch_vccz .LBB448_13
; %bb.5:
                                        ; implicit-def: $vgpr0
	s_and_saveexec_b64 s[14:15], s[4:5]
	s_cbranch_execz .LBB448_16
; %bb.6:
	s_cmp_ge_u32 s22, s24
	v_mov_b32_e32 v5, s23
	s_cbranch_scc1 .LBB448_15
; %bb.7:
	v_cndmask_b32_e64 v0, 0, 1, s[6:7]
	s_mov_b64 s[16:17], 0
	v_mov_b32_e32 v6, s24
	v_mov_b32_e32 v5, s23
	;; [unrolled: 1-line block ×3, first 2 shown]
	v_cmp_ne_u32_e64 s[2:3], 1, v0
	v_cndmask_b32_e64 v7, 0, 1, s[0:1]
	s_branch .LBB448_9
.LBB448_8:                              ;   in Loop: Header=BB448_9 Depth=1
	v_add_u32_e32 v8, 1, v0
	v_cndmask_b32_e64 v6, v0, v6, s[18:19]
	v_cndmask_b32_e64 v5, v5, v8, s[18:19]
	v_cmp_ge_u32_e32 vcc, v5, v6
	s_or_b64 s[16:17], vcc, s[16:17]
	s_andn2_b64 exec, exec, s[16:17]
	s_cbranch_execz .LBB448_14
.LBB448_9:                              ; =>This Inner Loop Header: Depth=1
	v_add_u32_e32 v0, v5, v6
	v_lshrrev_b32_e32 v0, 1, v0
	v_lshl_add_u64 v[8:9], v[0:1], 2, s[8:9]
	global_load_dword v8, v[8:9], off
	s_and_b64 vcc, exec, s[2:3]
	s_mov_b64 s[20:21], -1
                                        ; implicit-def: $sgpr18_sgpr19
	s_waitcnt vmcnt(0)
	v_lshrrev_b32_e32 v9, 31, v8
	v_add_u32_e32 v9, v8, v9
	v_and_b32_e32 v9, -2, v9
	v_sub_u32_e32 v9, v8, v9
	v_cmp_eq_u32_e64 s[4:5], v9, v4
	s_cbranch_vccnz .LBB448_11
; %bb.10:                               ;   in Loop: Header=BB448_9 Depth=1
	v_cmp_ge_i32_e32 vcc, v2, v8
	s_mov_b64 s[20:21], 0
	s_nop 0
	v_cndmask_b32_e64 v10, 0, 1, vcc
	v_cndmask_b32_e64 v10, v7, v10, s[4:5]
	v_and_b32_e32 v10, 1, v10
	v_cmp_eq_u32_e64 s[18:19], 1, v10
.LBB448_11:                             ;   in Loop: Header=BB448_9 Depth=1
	s_andn2_b64 vcc, exec, s[20:21]
	s_cbranch_vccnz .LBB448_8
; %bb.12:                               ;   in Loop: Header=BB448_9 Depth=1
	v_cmp_lt_i32_e32 vcc, v8, v2
	s_nop 1
	v_cndmask_b32_e64 v8, 0, 1, vcc
	v_cmp_eq_u32_e32 vcc, 0, v9
	s_nop 1
	v_cndmask_b32_e64 v9, 0, 1, vcc
	v_cndmask_b32_e64 v8, v9, v8, s[4:5]
	v_and_b32_e32 v8, 1, v8
	v_cmp_eq_u32_e32 vcc, 1, v8
	s_andn2_b64 s[4:5], s[18:19], exec
	s_and_b64 s[18:19], vcc, exec
	s_or_b64 s[18:19], s[4:5], s[18:19]
	s_branch .LBB448_8
.LBB448_13:
                                        ; implicit-def: $vgpr0
	s_cbranch_execnz .LBB448_17
	s_branch .LBB448_26
.LBB448_14:
	s_or_b64 exec, exec, s[16:17]
.LBB448_15:
	v_add_u32_e32 v0, v5, v3
	s_or_b64 s[12:13], s[12:13], exec
.LBB448_16:
	s_or_b64 exec, exec, s[14:15]
	s_branch .LBB448_26
.LBB448_17:
	s_cmp_ge_u32 s22, s24
	v_mov_b32_e32 v5, s23
	s_cbranch_scc1 .LBB448_25
; %bb.18:
	v_cndmask_b32_e64 v0, 0, 1, s[6:7]
	s_mov_b64 s[4:5], 0
	v_mov_b32_e32 v6, s24
	v_mov_b32_e32 v5, s23
	;; [unrolled: 1-line block ×3, first 2 shown]
	v_cmp_ne_u32_e64 s[2:3], 1, v0
	v_cndmask_b32_e64 v7, 0, 1, s[0:1]
	s_branch .LBB448_20
.LBB448_19:                             ;   in Loop: Header=BB448_20 Depth=1
	v_add_u32_e32 v8, 1, v0
	v_cndmask_b32_e64 v6, v0, v6, s[6:7]
	v_cndmask_b32_e64 v5, v5, v8, s[6:7]
	v_cmp_ge_u32_e32 vcc, v5, v6
	s_or_b64 s[4:5], vcc, s[4:5]
	s_andn2_b64 exec, exec, s[4:5]
	s_cbranch_execz .LBB448_24
.LBB448_20:                             ; =>This Inner Loop Header: Depth=1
	v_add_u32_e32 v0, v5, v6
	v_lshrrev_b32_e32 v0, 1, v0
	v_lshl_add_u64 v[8:9], v[0:1], 2, s[8:9]
	global_load_dword v8, v[8:9], off
	s_and_b64 vcc, exec, s[2:3]
	s_mov_b64 s[12:13], -1
                                        ; implicit-def: $sgpr6_sgpr7
	s_waitcnt vmcnt(0)
	v_lshrrev_b32_e32 v9, 31, v8
	v_add_u32_e32 v9, v8, v9
	v_and_b32_e32 v9, -2, v9
	v_sub_u32_e32 v9, v8, v9
	v_cmp_eq_u32_e64 s[0:1], v9, v4
	s_cbranch_vccnz .LBB448_22
; %bb.21:                               ;   in Loop: Header=BB448_20 Depth=1
	v_cmp_ge_i32_e32 vcc, v2, v8
	s_mov_b64 s[12:13], 0
	s_nop 0
	v_cndmask_b32_e64 v10, 0, 1, vcc
	v_cndmask_b32_e64 v10, v7, v10, s[0:1]
	v_and_b32_e32 v10, 1, v10
	v_cmp_eq_u32_e64 s[6:7], 1, v10
.LBB448_22:                             ;   in Loop: Header=BB448_20 Depth=1
	s_andn2_b64 vcc, exec, s[12:13]
	s_cbranch_vccnz .LBB448_19
; %bb.23:                               ;   in Loop: Header=BB448_20 Depth=1
	v_cmp_lt_i32_e32 vcc, v8, v2
	s_nop 1
	v_cndmask_b32_e64 v8, 0, 1, vcc
	v_cmp_eq_u32_e32 vcc, 0, v9
	s_nop 1
	v_cndmask_b32_e64 v9, 0, 1, vcc
	v_cndmask_b32_e64 v8, v9, v8, s[0:1]
	v_and_b32_e32 v8, 1, v8
	v_cmp_eq_u32_e32 vcc, 1, v8
	s_andn2_b64 s[0:1], s[6:7], exec
	s_and_b64 s[6:7], vcc, exec
	s_or_b64 s[6:7], s[0:1], s[6:7]
	s_branch .LBB448_19
.LBB448_24:
	s_or_b64 exec, exec, s[4:5]
.LBB448_25:
	v_add_u32_e32 v0, v5, v3
	s_mov_b64 s[12:13], -1
.LBB448_26:
	s_and_b64 exec, exec, s[12:13]
	s_cbranch_execz .LBB448_28
; %bb.27:
	v_mov_b32_e32 v4, s10
	v_mov_b32_e32 v5, s11
	;; [unrolled: 1-line block ×3, first 2 shown]
	v_lshl_add_u64 v[0:1], v[0:1], 2, v[4:5]
	s_waitcnt vmcnt(0)
	global_store_dword v[0:1], v2, off
.LBB448_28:
	s_endpgm
	.section	.rodata,"a",@progbits
	.p2align	6, 0x0
	.amdhsa_kernel _ZN7rocprim17ROCPRIM_400000_NS6detail17trampoline_kernelINS0_14default_configENS1_38merge_sort_block_merge_config_selectorIiNS0_10empty_typeEEEZZNS1_27merge_sort_block_merge_implIS3_N6thrust23THRUST_200600_302600_NS6detail15normal_iteratorINS9_10device_ptrIiEEEEPS5_m17evens_before_oddsEE10hipError_tT0_T1_T2_jT3_P12ihipStream_tbPNSt15iterator_traitsISI_E10value_typeEPNSO_ISJ_E10value_typeEPSK_NS1_7vsmem_tEENKUlT_SI_SJ_SK_E_clISE_PiSF_SF_EESH_SX_SI_SJ_SK_EUlSX_E1_NS1_11comp_targetILNS1_3genE0ELNS1_11target_archE4294967295ELNS1_3gpuE0ELNS1_3repE0EEENS1_36merge_oddeven_config_static_selectorELNS0_4arch9wavefront6targetE1EEEvSJ_
		.amdhsa_group_segment_fixed_size 0
		.amdhsa_private_segment_fixed_size 0
		.amdhsa_kernarg_size 56
		.amdhsa_user_sgpr_count 2
		.amdhsa_user_sgpr_dispatch_ptr 0
		.amdhsa_user_sgpr_queue_ptr 0
		.amdhsa_user_sgpr_kernarg_segment_ptr 1
		.amdhsa_user_sgpr_dispatch_id 0
		.amdhsa_user_sgpr_kernarg_preload_length 0
		.amdhsa_user_sgpr_kernarg_preload_offset 0
		.amdhsa_user_sgpr_private_segment_size 0
		.amdhsa_uses_dynamic_stack 0
		.amdhsa_enable_private_segment 0
		.amdhsa_system_sgpr_workgroup_id_x 1
		.amdhsa_system_sgpr_workgroup_id_y 0
		.amdhsa_system_sgpr_workgroup_id_z 0
		.amdhsa_system_sgpr_workgroup_info 0
		.amdhsa_system_vgpr_workitem_id 0
		.amdhsa_next_free_vgpr 11
		.amdhsa_next_free_sgpr 25
		.amdhsa_accum_offset 12
		.amdhsa_reserve_vcc 1
		.amdhsa_float_round_mode_32 0
		.amdhsa_float_round_mode_16_64 0
		.amdhsa_float_denorm_mode_32 3
		.amdhsa_float_denorm_mode_16_64 3
		.amdhsa_dx10_clamp 1
		.amdhsa_ieee_mode 1
		.amdhsa_fp16_overflow 0
		.amdhsa_tg_split 0
		.amdhsa_exception_fp_ieee_invalid_op 0
		.amdhsa_exception_fp_denorm_src 0
		.amdhsa_exception_fp_ieee_div_zero 0
		.amdhsa_exception_fp_ieee_overflow 0
		.amdhsa_exception_fp_ieee_underflow 0
		.amdhsa_exception_fp_ieee_inexact 0
		.amdhsa_exception_int_div_zero 0
	.end_amdhsa_kernel
	.section	.text._ZN7rocprim17ROCPRIM_400000_NS6detail17trampoline_kernelINS0_14default_configENS1_38merge_sort_block_merge_config_selectorIiNS0_10empty_typeEEEZZNS1_27merge_sort_block_merge_implIS3_N6thrust23THRUST_200600_302600_NS6detail15normal_iteratorINS9_10device_ptrIiEEEEPS5_m17evens_before_oddsEE10hipError_tT0_T1_T2_jT3_P12ihipStream_tbPNSt15iterator_traitsISI_E10value_typeEPNSO_ISJ_E10value_typeEPSK_NS1_7vsmem_tEENKUlT_SI_SJ_SK_E_clISE_PiSF_SF_EESH_SX_SI_SJ_SK_EUlSX_E1_NS1_11comp_targetILNS1_3genE0ELNS1_11target_archE4294967295ELNS1_3gpuE0ELNS1_3repE0EEENS1_36merge_oddeven_config_static_selectorELNS0_4arch9wavefront6targetE1EEEvSJ_,"axG",@progbits,_ZN7rocprim17ROCPRIM_400000_NS6detail17trampoline_kernelINS0_14default_configENS1_38merge_sort_block_merge_config_selectorIiNS0_10empty_typeEEEZZNS1_27merge_sort_block_merge_implIS3_N6thrust23THRUST_200600_302600_NS6detail15normal_iteratorINS9_10device_ptrIiEEEEPS5_m17evens_before_oddsEE10hipError_tT0_T1_T2_jT3_P12ihipStream_tbPNSt15iterator_traitsISI_E10value_typeEPNSO_ISJ_E10value_typeEPSK_NS1_7vsmem_tEENKUlT_SI_SJ_SK_E_clISE_PiSF_SF_EESH_SX_SI_SJ_SK_EUlSX_E1_NS1_11comp_targetILNS1_3genE0ELNS1_11target_archE4294967295ELNS1_3gpuE0ELNS1_3repE0EEENS1_36merge_oddeven_config_static_selectorELNS0_4arch9wavefront6targetE1EEEvSJ_,comdat
.Lfunc_end448:
	.size	_ZN7rocprim17ROCPRIM_400000_NS6detail17trampoline_kernelINS0_14default_configENS1_38merge_sort_block_merge_config_selectorIiNS0_10empty_typeEEEZZNS1_27merge_sort_block_merge_implIS3_N6thrust23THRUST_200600_302600_NS6detail15normal_iteratorINS9_10device_ptrIiEEEEPS5_m17evens_before_oddsEE10hipError_tT0_T1_T2_jT3_P12ihipStream_tbPNSt15iterator_traitsISI_E10value_typeEPNSO_ISJ_E10value_typeEPSK_NS1_7vsmem_tEENKUlT_SI_SJ_SK_E_clISE_PiSF_SF_EESH_SX_SI_SJ_SK_EUlSX_E1_NS1_11comp_targetILNS1_3genE0ELNS1_11target_archE4294967295ELNS1_3gpuE0ELNS1_3repE0EEENS1_36merge_oddeven_config_static_selectorELNS0_4arch9wavefront6targetE1EEEvSJ_, .Lfunc_end448-_ZN7rocprim17ROCPRIM_400000_NS6detail17trampoline_kernelINS0_14default_configENS1_38merge_sort_block_merge_config_selectorIiNS0_10empty_typeEEEZZNS1_27merge_sort_block_merge_implIS3_N6thrust23THRUST_200600_302600_NS6detail15normal_iteratorINS9_10device_ptrIiEEEEPS5_m17evens_before_oddsEE10hipError_tT0_T1_T2_jT3_P12ihipStream_tbPNSt15iterator_traitsISI_E10value_typeEPNSO_ISJ_E10value_typeEPSK_NS1_7vsmem_tEENKUlT_SI_SJ_SK_E_clISE_PiSF_SF_EESH_SX_SI_SJ_SK_EUlSX_E1_NS1_11comp_targetILNS1_3genE0ELNS1_11target_archE4294967295ELNS1_3gpuE0ELNS1_3repE0EEENS1_36merge_oddeven_config_static_selectorELNS0_4arch9wavefront6targetE1EEEvSJ_
                                        ; -- End function
	.set _ZN7rocprim17ROCPRIM_400000_NS6detail17trampoline_kernelINS0_14default_configENS1_38merge_sort_block_merge_config_selectorIiNS0_10empty_typeEEEZZNS1_27merge_sort_block_merge_implIS3_N6thrust23THRUST_200600_302600_NS6detail15normal_iteratorINS9_10device_ptrIiEEEEPS5_m17evens_before_oddsEE10hipError_tT0_T1_T2_jT3_P12ihipStream_tbPNSt15iterator_traitsISI_E10value_typeEPNSO_ISJ_E10value_typeEPSK_NS1_7vsmem_tEENKUlT_SI_SJ_SK_E_clISE_PiSF_SF_EESH_SX_SI_SJ_SK_EUlSX_E1_NS1_11comp_targetILNS1_3genE0ELNS1_11target_archE4294967295ELNS1_3gpuE0ELNS1_3repE0EEENS1_36merge_oddeven_config_static_selectorELNS0_4arch9wavefront6targetE1EEEvSJ_.num_vgpr, 11
	.set _ZN7rocprim17ROCPRIM_400000_NS6detail17trampoline_kernelINS0_14default_configENS1_38merge_sort_block_merge_config_selectorIiNS0_10empty_typeEEEZZNS1_27merge_sort_block_merge_implIS3_N6thrust23THRUST_200600_302600_NS6detail15normal_iteratorINS9_10device_ptrIiEEEEPS5_m17evens_before_oddsEE10hipError_tT0_T1_T2_jT3_P12ihipStream_tbPNSt15iterator_traitsISI_E10value_typeEPNSO_ISJ_E10value_typeEPSK_NS1_7vsmem_tEENKUlT_SI_SJ_SK_E_clISE_PiSF_SF_EESH_SX_SI_SJ_SK_EUlSX_E1_NS1_11comp_targetILNS1_3genE0ELNS1_11target_archE4294967295ELNS1_3gpuE0ELNS1_3repE0EEENS1_36merge_oddeven_config_static_selectorELNS0_4arch9wavefront6targetE1EEEvSJ_.num_agpr, 0
	.set _ZN7rocprim17ROCPRIM_400000_NS6detail17trampoline_kernelINS0_14default_configENS1_38merge_sort_block_merge_config_selectorIiNS0_10empty_typeEEEZZNS1_27merge_sort_block_merge_implIS3_N6thrust23THRUST_200600_302600_NS6detail15normal_iteratorINS9_10device_ptrIiEEEEPS5_m17evens_before_oddsEE10hipError_tT0_T1_T2_jT3_P12ihipStream_tbPNSt15iterator_traitsISI_E10value_typeEPNSO_ISJ_E10value_typeEPSK_NS1_7vsmem_tEENKUlT_SI_SJ_SK_E_clISE_PiSF_SF_EESH_SX_SI_SJ_SK_EUlSX_E1_NS1_11comp_targetILNS1_3genE0ELNS1_11target_archE4294967295ELNS1_3gpuE0ELNS1_3repE0EEENS1_36merge_oddeven_config_static_selectorELNS0_4arch9wavefront6targetE1EEEvSJ_.numbered_sgpr, 25
	.set _ZN7rocprim17ROCPRIM_400000_NS6detail17trampoline_kernelINS0_14default_configENS1_38merge_sort_block_merge_config_selectorIiNS0_10empty_typeEEEZZNS1_27merge_sort_block_merge_implIS3_N6thrust23THRUST_200600_302600_NS6detail15normal_iteratorINS9_10device_ptrIiEEEEPS5_m17evens_before_oddsEE10hipError_tT0_T1_T2_jT3_P12ihipStream_tbPNSt15iterator_traitsISI_E10value_typeEPNSO_ISJ_E10value_typeEPSK_NS1_7vsmem_tEENKUlT_SI_SJ_SK_E_clISE_PiSF_SF_EESH_SX_SI_SJ_SK_EUlSX_E1_NS1_11comp_targetILNS1_3genE0ELNS1_11target_archE4294967295ELNS1_3gpuE0ELNS1_3repE0EEENS1_36merge_oddeven_config_static_selectorELNS0_4arch9wavefront6targetE1EEEvSJ_.num_named_barrier, 0
	.set _ZN7rocprim17ROCPRIM_400000_NS6detail17trampoline_kernelINS0_14default_configENS1_38merge_sort_block_merge_config_selectorIiNS0_10empty_typeEEEZZNS1_27merge_sort_block_merge_implIS3_N6thrust23THRUST_200600_302600_NS6detail15normal_iteratorINS9_10device_ptrIiEEEEPS5_m17evens_before_oddsEE10hipError_tT0_T1_T2_jT3_P12ihipStream_tbPNSt15iterator_traitsISI_E10value_typeEPNSO_ISJ_E10value_typeEPSK_NS1_7vsmem_tEENKUlT_SI_SJ_SK_E_clISE_PiSF_SF_EESH_SX_SI_SJ_SK_EUlSX_E1_NS1_11comp_targetILNS1_3genE0ELNS1_11target_archE4294967295ELNS1_3gpuE0ELNS1_3repE0EEENS1_36merge_oddeven_config_static_selectorELNS0_4arch9wavefront6targetE1EEEvSJ_.private_seg_size, 0
	.set _ZN7rocprim17ROCPRIM_400000_NS6detail17trampoline_kernelINS0_14default_configENS1_38merge_sort_block_merge_config_selectorIiNS0_10empty_typeEEEZZNS1_27merge_sort_block_merge_implIS3_N6thrust23THRUST_200600_302600_NS6detail15normal_iteratorINS9_10device_ptrIiEEEEPS5_m17evens_before_oddsEE10hipError_tT0_T1_T2_jT3_P12ihipStream_tbPNSt15iterator_traitsISI_E10value_typeEPNSO_ISJ_E10value_typeEPSK_NS1_7vsmem_tEENKUlT_SI_SJ_SK_E_clISE_PiSF_SF_EESH_SX_SI_SJ_SK_EUlSX_E1_NS1_11comp_targetILNS1_3genE0ELNS1_11target_archE4294967295ELNS1_3gpuE0ELNS1_3repE0EEENS1_36merge_oddeven_config_static_selectorELNS0_4arch9wavefront6targetE1EEEvSJ_.uses_vcc, 1
	.set _ZN7rocprim17ROCPRIM_400000_NS6detail17trampoline_kernelINS0_14default_configENS1_38merge_sort_block_merge_config_selectorIiNS0_10empty_typeEEEZZNS1_27merge_sort_block_merge_implIS3_N6thrust23THRUST_200600_302600_NS6detail15normal_iteratorINS9_10device_ptrIiEEEEPS5_m17evens_before_oddsEE10hipError_tT0_T1_T2_jT3_P12ihipStream_tbPNSt15iterator_traitsISI_E10value_typeEPNSO_ISJ_E10value_typeEPSK_NS1_7vsmem_tEENKUlT_SI_SJ_SK_E_clISE_PiSF_SF_EESH_SX_SI_SJ_SK_EUlSX_E1_NS1_11comp_targetILNS1_3genE0ELNS1_11target_archE4294967295ELNS1_3gpuE0ELNS1_3repE0EEENS1_36merge_oddeven_config_static_selectorELNS0_4arch9wavefront6targetE1EEEvSJ_.uses_flat_scratch, 0
	.set _ZN7rocprim17ROCPRIM_400000_NS6detail17trampoline_kernelINS0_14default_configENS1_38merge_sort_block_merge_config_selectorIiNS0_10empty_typeEEEZZNS1_27merge_sort_block_merge_implIS3_N6thrust23THRUST_200600_302600_NS6detail15normal_iteratorINS9_10device_ptrIiEEEEPS5_m17evens_before_oddsEE10hipError_tT0_T1_T2_jT3_P12ihipStream_tbPNSt15iterator_traitsISI_E10value_typeEPNSO_ISJ_E10value_typeEPSK_NS1_7vsmem_tEENKUlT_SI_SJ_SK_E_clISE_PiSF_SF_EESH_SX_SI_SJ_SK_EUlSX_E1_NS1_11comp_targetILNS1_3genE0ELNS1_11target_archE4294967295ELNS1_3gpuE0ELNS1_3repE0EEENS1_36merge_oddeven_config_static_selectorELNS0_4arch9wavefront6targetE1EEEvSJ_.has_dyn_sized_stack, 0
	.set _ZN7rocprim17ROCPRIM_400000_NS6detail17trampoline_kernelINS0_14default_configENS1_38merge_sort_block_merge_config_selectorIiNS0_10empty_typeEEEZZNS1_27merge_sort_block_merge_implIS3_N6thrust23THRUST_200600_302600_NS6detail15normal_iteratorINS9_10device_ptrIiEEEEPS5_m17evens_before_oddsEE10hipError_tT0_T1_T2_jT3_P12ihipStream_tbPNSt15iterator_traitsISI_E10value_typeEPNSO_ISJ_E10value_typeEPSK_NS1_7vsmem_tEENKUlT_SI_SJ_SK_E_clISE_PiSF_SF_EESH_SX_SI_SJ_SK_EUlSX_E1_NS1_11comp_targetILNS1_3genE0ELNS1_11target_archE4294967295ELNS1_3gpuE0ELNS1_3repE0EEENS1_36merge_oddeven_config_static_selectorELNS0_4arch9wavefront6targetE1EEEvSJ_.has_recursion, 0
	.set _ZN7rocprim17ROCPRIM_400000_NS6detail17trampoline_kernelINS0_14default_configENS1_38merge_sort_block_merge_config_selectorIiNS0_10empty_typeEEEZZNS1_27merge_sort_block_merge_implIS3_N6thrust23THRUST_200600_302600_NS6detail15normal_iteratorINS9_10device_ptrIiEEEEPS5_m17evens_before_oddsEE10hipError_tT0_T1_T2_jT3_P12ihipStream_tbPNSt15iterator_traitsISI_E10value_typeEPNSO_ISJ_E10value_typeEPSK_NS1_7vsmem_tEENKUlT_SI_SJ_SK_E_clISE_PiSF_SF_EESH_SX_SI_SJ_SK_EUlSX_E1_NS1_11comp_targetILNS1_3genE0ELNS1_11target_archE4294967295ELNS1_3gpuE0ELNS1_3repE0EEENS1_36merge_oddeven_config_static_selectorELNS0_4arch9wavefront6targetE1EEEvSJ_.has_indirect_call, 0
	.section	.AMDGPU.csdata,"",@progbits
; Kernel info:
; codeLenInByte = 880
; TotalNumSgprs: 31
; NumVgprs: 11
; NumAgprs: 0
; TotalNumVgprs: 11
; ScratchSize: 0
; MemoryBound: 0
; FloatMode: 240
; IeeeMode: 1
; LDSByteSize: 0 bytes/workgroup (compile time only)
; SGPRBlocks: 3
; VGPRBlocks: 1
; NumSGPRsForWavesPerEU: 31
; NumVGPRsForWavesPerEU: 11
; AccumOffset: 12
; Occupancy: 8
; WaveLimiterHint : 0
; COMPUTE_PGM_RSRC2:SCRATCH_EN: 0
; COMPUTE_PGM_RSRC2:USER_SGPR: 2
; COMPUTE_PGM_RSRC2:TRAP_HANDLER: 0
; COMPUTE_PGM_RSRC2:TGID_X_EN: 1
; COMPUTE_PGM_RSRC2:TGID_Y_EN: 0
; COMPUTE_PGM_RSRC2:TGID_Z_EN: 0
; COMPUTE_PGM_RSRC2:TIDIG_COMP_CNT: 0
; COMPUTE_PGM_RSRC3_GFX90A:ACCUM_OFFSET: 2
; COMPUTE_PGM_RSRC3_GFX90A:TG_SPLIT: 0
	.section	.text._ZN7rocprim17ROCPRIM_400000_NS6detail17trampoline_kernelINS0_14default_configENS1_38merge_sort_block_merge_config_selectorIiNS0_10empty_typeEEEZZNS1_27merge_sort_block_merge_implIS3_N6thrust23THRUST_200600_302600_NS6detail15normal_iteratorINS9_10device_ptrIiEEEEPS5_m17evens_before_oddsEE10hipError_tT0_T1_T2_jT3_P12ihipStream_tbPNSt15iterator_traitsISI_E10value_typeEPNSO_ISJ_E10value_typeEPSK_NS1_7vsmem_tEENKUlT_SI_SJ_SK_E_clISE_PiSF_SF_EESH_SX_SI_SJ_SK_EUlSX_E1_NS1_11comp_targetILNS1_3genE10ELNS1_11target_archE1201ELNS1_3gpuE5ELNS1_3repE0EEENS1_36merge_oddeven_config_static_selectorELNS0_4arch9wavefront6targetE1EEEvSJ_,"axG",@progbits,_ZN7rocprim17ROCPRIM_400000_NS6detail17trampoline_kernelINS0_14default_configENS1_38merge_sort_block_merge_config_selectorIiNS0_10empty_typeEEEZZNS1_27merge_sort_block_merge_implIS3_N6thrust23THRUST_200600_302600_NS6detail15normal_iteratorINS9_10device_ptrIiEEEEPS5_m17evens_before_oddsEE10hipError_tT0_T1_T2_jT3_P12ihipStream_tbPNSt15iterator_traitsISI_E10value_typeEPNSO_ISJ_E10value_typeEPSK_NS1_7vsmem_tEENKUlT_SI_SJ_SK_E_clISE_PiSF_SF_EESH_SX_SI_SJ_SK_EUlSX_E1_NS1_11comp_targetILNS1_3genE10ELNS1_11target_archE1201ELNS1_3gpuE5ELNS1_3repE0EEENS1_36merge_oddeven_config_static_selectorELNS0_4arch9wavefront6targetE1EEEvSJ_,comdat
	.protected	_ZN7rocprim17ROCPRIM_400000_NS6detail17trampoline_kernelINS0_14default_configENS1_38merge_sort_block_merge_config_selectorIiNS0_10empty_typeEEEZZNS1_27merge_sort_block_merge_implIS3_N6thrust23THRUST_200600_302600_NS6detail15normal_iteratorINS9_10device_ptrIiEEEEPS5_m17evens_before_oddsEE10hipError_tT0_T1_T2_jT3_P12ihipStream_tbPNSt15iterator_traitsISI_E10value_typeEPNSO_ISJ_E10value_typeEPSK_NS1_7vsmem_tEENKUlT_SI_SJ_SK_E_clISE_PiSF_SF_EESH_SX_SI_SJ_SK_EUlSX_E1_NS1_11comp_targetILNS1_3genE10ELNS1_11target_archE1201ELNS1_3gpuE5ELNS1_3repE0EEENS1_36merge_oddeven_config_static_selectorELNS0_4arch9wavefront6targetE1EEEvSJ_ ; -- Begin function _ZN7rocprim17ROCPRIM_400000_NS6detail17trampoline_kernelINS0_14default_configENS1_38merge_sort_block_merge_config_selectorIiNS0_10empty_typeEEEZZNS1_27merge_sort_block_merge_implIS3_N6thrust23THRUST_200600_302600_NS6detail15normal_iteratorINS9_10device_ptrIiEEEEPS5_m17evens_before_oddsEE10hipError_tT0_T1_T2_jT3_P12ihipStream_tbPNSt15iterator_traitsISI_E10value_typeEPNSO_ISJ_E10value_typeEPSK_NS1_7vsmem_tEENKUlT_SI_SJ_SK_E_clISE_PiSF_SF_EESH_SX_SI_SJ_SK_EUlSX_E1_NS1_11comp_targetILNS1_3genE10ELNS1_11target_archE1201ELNS1_3gpuE5ELNS1_3repE0EEENS1_36merge_oddeven_config_static_selectorELNS0_4arch9wavefront6targetE1EEEvSJ_
	.globl	_ZN7rocprim17ROCPRIM_400000_NS6detail17trampoline_kernelINS0_14default_configENS1_38merge_sort_block_merge_config_selectorIiNS0_10empty_typeEEEZZNS1_27merge_sort_block_merge_implIS3_N6thrust23THRUST_200600_302600_NS6detail15normal_iteratorINS9_10device_ptrIiEEEEPS5_m17evens_before_oddsEE10hipError_tT0_T1_T2_jT3_P12ihipStream_tbPNSt15iterator_traitsISI_E10value_typeEPNSO_ISJ_E10value_typeEPSK_NS1_7vsmem_tEENKUlT_SI_SJ_SK_E_clISE_PiSF_SF_EESH_SX_SI_SJ_SK_EUlSX_E1_NS1_11comp_targetILNS1_3genE10ELNS1_11target_archE1201ELNS1_3gpuE5ELNS1_3repE0EEENS1_36merge_oddeven_config_static_selectorELNS0_4arch9wavefront6targetE1EEEvSJ_
	.p2align	8
	.type	_ZN7rocprim17ROCPRIM_400000_NS6detail17trampoline_kernelINS0_14default_configENS1_38merge_sort_block_merge_config_selectorIiNS0_10empty_typeEEEZZNS1_27merge_sort_block_merge_implIS3_N6thrust23THRUST_200600_302600_NS6detail15normal_iteratorINS9_10device_ptrIiEEEEPS5_m17evens_before_oddsEE10hipError_tT0_T1_T2_jT3_P12ihipStream_tbPNSt15iterator_traitsISI_E10value_typeEPNSO_ISJ_E10value_typeEPSK_NS1_7vsmem_tEENKUlT_SI_SJ_SK_E_clISE_PiSF_SF_EESH_SX_SI_SJ_SK_EUlSX_E1_NS1_11comp_targetILNS1_3genE10ELNS1_11target_archE1201ELNS1_3gpuE5ELNS1_3repE0EEENS1_36merge_oddeven_config_static_selectorELNS0_4arch9wavefront6targetE1EEEvSJ_,@function
_ZN7rocprim17ROCPRIM_400000_NS6detail17trampoline_kernelINS0_14default_configENS1_38merge_sort_block_merge_config_selectorIiNS0_10empty_typeEEEZZNS1_27merge_sort_block_merge_implIS3_N6thrust23THRUST_200600_302600_NS6detail15normal_iteratorINS9_10device_ptrIiEEEEPS5_m17evens_before_oddsEE10hipError_tT0_T1_T2_jT3_P12ihipStream_tbPNSt15iterator_traitsISI_E10value_typeEPNSO_ISJ_E10value_typeEPSK_NS1_7vsmem_tEENKUlT_SI_SJ_SK_E_clISE_PiSF_SF_EESH_SX_SI_SJ_SK_EUlSX_E1_NS1_11comp_targetILNS1_3genE10ELNS1_11target_archE1201ELNS1_3gpuE5ELNS1_3repE0EEENS1_36merge_oddeven_config_static_selectorELNS0_4arch9wavefront6targetE1EEEvSJ_: ; @_ZN7rocprim17ROCPRIM_400000_NS6detail17trampoline_kernelINS0_14default_configENS1_38merge_sort_block_merge_config_selectorIiNS0_10empty_typeEEEZZNS1_27merge_sort_block_merge_implIS3_N6thrust23THRUST_200600_302600_NS6detail15normal_iteratorINS9_10device_ptrIiEEEEPS5_m17evens_before_oddsEE10hipError_tT0_T1_T2_jT3_P12ihipStream_tbPNSt15iterator_traitsISI_E10value_typeEPNSO_ISJ_E10value_typeEPSK_NS1_7vsmem_tEENKUlT_SI_SJ_SK_E_clISE_PiSF_SF_EESH_SX_SI_SJ_SK_EUlSX_E1_NS1_11comp_targetILNS1_3genE10ELNS1_11target_archE1201ELNS1_3gpuE5ELNS1_3repE0EEENS1_36merge_oddeven_config_static_selectorELNS0_4arch9wavefront6targetE1EEEvSJ_
; %bb.0:
	.section	.rodata,"a",@progbits
	.p2align	6, 0x0
	.amdhsa_kernel _ZN7rocprim17ROCPRIM_400000_NS6detail17trampoline_kernelINS0_14default_configENS1_38merge_sort_block_merge_config_selectorIiNS0_10empty_typeEEEZZNS1_27merge_sort_block_merge_implIS3_N6thrust23THRUST_200600_302600_NS6detail15normal_iteratorINS9_10device_ptrIiEEEEPS5_m17evens_before_oddsEE10hipError_tT0_T1_T2_jT3_P12ihipStream_tbPNSt15iterator_traitsISI_E10value_typeEPNSO_ISJ_E10value_typeEPSK_NS1_7vsmem_tEENKUlT_SI_SJ_SK_E_clISE_PiSF_SF_EESH_SX_SI_SJ_SK_EUlSX_E1_NS1_11comp_targetILNS1_3genE10ELNS1_11target_archE1201ELNS1_3gpuE5ELNS1_3repE0EEENS1_36merge_oddeven_config_static_selectorELNS0_4arch9wavefront6targetE1EEEvSJ_
		.amdhsa_group_segment_fixed_size 0
		.amdhsa_private_segment_fixed_size 0
		.amdhsa_kernarg_size 56
		.amdhsa_user_sgpr_count 2
		.amdhsa_user_sgpr_dispatch_ptr 0
		.amdhsa_user_sgpr_queue_ptr 0
		.amdhsa_user_sgpr_kernarg_segment_ptr 1
		.amdhsa_user_sgpr_dispatch_id 0
		.amdhsa_user_sgpr_kernarg_preload_length 0
		.amdhsa_user_sgpr_kernarg_preload_offset 0
		.amdhsa_user_sgpr_private_segment_size 0
		.amdhsa_uses_dynamic_stack 0
		.amdhsa_enable_private_segment 0
		.amdhsa_system_sgpr_workgroup_id_x 1
		.amdhsa_system_sgpr_workgroup_id_y 0
		.amdhsa_system_sgpr_workgroup_id_z 0
		.amdhsa_system_sgpr_workgroup_info 0
		.amdhsa_system_vgpr_workitem_id 0
		.amdhsa_next_free_vgpr 1
		.amdhsa_next_free_sgpr 0
		.amdhsa_accum_offset 4
		.amdhsa_reserve_vcc 0
		.amdhsa_float_round_mode_32 0
		.amdhsa_float_round_mode_16_64 0
		.amdhsa_float_denorm_mode_32 3
		.amdhsa_float_denorm_mode_16_64 3
		.amdhsa_dx10_clamp 1
		.amdhsa_ieee_mode 1
		.amdhsa_fp16_overflow 0
		.amdhsa_tg_split 0
		.amdhsa_exception_fp_ieee_invalid_op 0
		.amdhsa_exception_fp_denorm_src 0
		.amdhsa_exception_fp_ieee_div_zero 0
		.amdhsa_exception_fp_ieee_overflow 0
		.amdhsa_exception_fp_ieee_underflow 0
		.amdhsa_exception_fp_ieee_inexact 0
		.amdhsa_exception_int_div_zero 0
	.end_amdhsa_kernel
	.section	.text._ZN7rocprim17ROCPRIM_400000_NS6detail17trampoline_kernelINS0_14default_configENS1_38merge_sort_block_merge_config_selectorIiNS0_10empty_typeEEEZZNS1_27merge_sort_block_merge_implIS3_N6thrust23THRUST_200600_302600_NS6detail15normal_iteratorINS9_10device_ptrIiEEEEPS5_m17evens_before_oddsEE10hipError_tT0_T1_T2_jT3_P12ihipStream_tbPNSt15iterator_traitsISI_E10value_typeEPNSO_ISJ_E10value_typeEPSK_NS1_7vsmem_tEENKUlT_SI_SJ_SK_E_clISE_PiSF_SF_EESH_SX_SI_SJ_SK_EUlSX_E1_NS1_11comp_targetILNS1_3genE10ELNS1_11target_archE1201ELNS1_3gpuE5ELNS1_3repE0EEENS1_36merge_oddeven_config_static_selectorELNS0_4arch9wavefront6targetE1EEEvSJ_,"axG",@progbits,_ZN7rocprim17ROCPRIM_400000_NS6detail17trampoline_kernelINS0_14default_configENS1_38merge_sort_block_merge_config_selectorIiNS0_10empty_typeEEEZZNS1_27merge_sort_block_merge_implIS3_N6thrust23THRUST_200600_302600_NS6detail15normal_iteratorINS9_10device_ptrIiEEEEPS5_m17evens_before_oddsEE10hipError_tT0_T1_T2_jT3_P12ihipStream_tbPNSt15iterator_traitsISI_E10value_typeEPNSO_ISJ_E10value_typeEPSK_NS1_7vsmem_tEENKUlT_SI_SJ_SK_E_clISE_PiSF_SF_EESH_SX_SI_SJ_SK_EUlSX_E1_NS1_11comp_targetILNS1_3genE10ELNS1_11target_archE1201ELNS1_3gpuE5ELNS1_3repE0EEENS1_36merge_oddeven_config_static_selectorELNS0_4arch9wavefront6targetE1EEEvSJ_,comdat
.Lfunc_end449:
	.size	_ZN7rocprim17ROCPRIM_400000_NS6detail17trampoline_kernelINS0_14default_configENS1_38merge_sort_block_merge_config_selectorIiNS0_10empty_typeEEEZZNS1_27merge_sort_block_merge_implIS3_N6thrust23THRUST_200600_302600_NS6detail15normal_iteratorINS9_10device_ptrIiEEEEPS5_m17evens_before_oddsEE10hipError_tT0_T1_T2_jT3_P12ihipStream_tbPNSt15iterator_traitsISI_E10value_typeEPNSO_ISJ_E10value_typeEPSK_NS1_7vsmem_tEENKUlT_SI_SJ_SK_E_clISE_PiSF_SF_EESH_SX_SI_SJ_SK_EUlSX_E1_NS1_11comp_targetILNS1_3genE10ELNS1_11target_archE1201ELNS1_3gpuE5ELNS1_3repE0EEENS1_36merge_oddeven_config_static_selectorELNS0_4arch9wavefront6targetE1EEEvSJ_, .Lfunc_end449-_ZN7rocprim17ROCPRIM_400000_NS6detail17trampoline_kernelINS0_14default_configENS1_38merge_sort_block_merge_config_selectorIiNS0_10empty_typeEEEZZNS1_27merge_sort_block_merge_implIS3_N6thrust23THRUST_200600_302600_NS6detail15normal_iteratorINS9_10device_ptrIiEEEEPS5_m17evens_before_oddsEE10hipError_tT0_T1_T2_jT3_P12ihipStream_tbPNSt15iterator_traitsISI_E10value_typeEPNSO_ISJ_E10value_typeEPSK_NS1_7vsmem_tEENKUlT_SI_SJ_SK_E_clISE_PiSF_SF_EESH_SX_SI_SJ_SK_EUlSX_E1_NS1_11comp_targetILNS1_3genE10ELNS1_11target_archE1201ELNS1_3gpuE5ELNS1_3repE0EEENS1_36merge_oddeven_config_static_selectorELNS0_4arch9wavefront6targetE1EEEvSJ_
                                        ; -- End function
	.set _ZN7rocprim17ROCPRIM_400000_NS6detail17trampoline_kernelINS0_14default_configENS1_38merge_sort_block_merge_config_selectorIiNS0_10empty_typeEEEZZNS1_27merge_sort_block_merge_implIS3_N6thrust23THRUST_200600_302600_NS6detail15normal_iteratorINS9_10device_ptrIiEEEEPS5_m17evens_before_oddsEE10hipError_tT0_T1_T2_jT3_P12ihipStream_tbPNSt15iterator_traitsISI_E10value_typeEPNSO_ISJ_E10value_typeEPSK_NS1_7vsmem_tEENKUlT_SI_SJ_SK_E_clISE_PiSF_SF_EESH_SX_SI_SJ_SK_EUlSX_E1_NS1_11comp_targetILNS1_3genE10ELNS1_11target_archE1201ELNS1_3gpuE5ELNS1_3repE0EEENS1_36merge_oddeven_config_static_selectorELNS0_4arch9wavefront6targetE1EEEvSJ_.num_vgpr, 0
	.set _ZN7rocprim17ROCPRIM_400000_NS6detail17trampoline_kernelINS0_14default_configENS1_38merge_sort_block_merge_config_selectorIiNS0_10empty_typeEEEZZNS1_27merge_sort_block_merge_implIS3_N6thrust23THRUST_200600_302600_NS6detail15normal_iteratorINS9_10device_ptrIiEEEEPS5_m17evens_before_oddsEE10hipError_tT0_T1_T2_jT3_P12ihipStream_tbPNSt15iterator_traitsISI_E10value_typeEPNSO_ISJ_E10value_typeEPSK_NS1_7vsmem_tEENKUlT_SI_SJ_SK_E_clISE_PiSF_SF_EESH_SX_SI_SJ_SK_EUlSX_E1_NS1_11comp_targetILNS1_3genE10ELNS1_11target_archE1201ELNS1_3gpuE5ELNS1_3repE0EEENS1_36merge_oddeven_config_static_selectorELNS0_4arch9wavefront6targetE1EEEvSJ_.num_agpr, 0
	.set _ZN7rocprim17ROCPRIM_400000_NS6detail17trampoline_kernelINS0_14default_configENS1_38merge_sort_block_merge_config_selectorIiNS0_10empty_typeEEEZZNS1_27merge_sort_block_merge_implIS3_N6thrust23THRUST_200600_302600_NS6detail15normal_iteratorINS9_10device_ptrIiEEEEPS5_m17evens_before_oddsEE10hipError_tT0_T1_T2_jT3_P12ihipStream_tbPNSt15iterator_traitsISI_E10value_typeEPNSO_ISJ_E10value_typeEPSK_NS1_7vsmem_tEENKUlT_SI_SJ_SK_E_clISE_PiSF_SF_EESH_SX_SI_SJ_SK_EUlSX_E1_NS1_11comp_targetILNS1_3genE10ELNS1_11target_archE1201ELNS1_3gpuE5ELNS1_3repE0EEENS1_36merge_oddeven_config_static_selectorELNS0_4arch9wavefront6targetE1EEEvSJ_.numbered_sgpr, 0
	.set _ZN7rocprim17ROCPRIM_400000_NS6detail17trampoline_kernelINS0_14default_configENS1_38merge_sort_block_merge_config_selectorIiNS0_10empty_typeEEEZZNS1_27merge_sort_block_merge_implIS3_N6thrust23THRUST_200600_302600_NS6detail15normal_iteratorINS9_10device_ptrIiEEEEPS5_m17evens_before_oddsEE10hipError_tT0_T1_T2_jT3_P12ihipStream_tbPNSt15iterator_traitsISI_E10value_typeEPNSO_ISJ_E10value_typeEPSK_NS1_7vsmem_tEENKUlT_SI_SJ_SK_E_clISE_PiSF_SF_EESH_SX_SI_SJ_SK_EUlSX_E1_NS1_11comp_targetILNS1_3genE10ELNS1_11target_archE1201ELNS1_3gpuE5ELNS1_3repE0EEENS1_36merge_oddeven_config_static_selectorELNS0_4arch9wavefront6targetE1EEEvSJ_.num_named_barrier, 0
	.set _ZN7rocprim17ROCPRIM_400000_NS6detail17trampoline_kernelINS0_14default_configENS1_38merge_sort_block_merge_config_selectorIiNS0_10empty_typeEEEZZNS1_27merge_sort_block_merge_implIS3_N6thrust23THRUST_200600_302600_NS6detail15normal_iteratorINS9_10device_ptrIiEEEEPS5_m17evens_before_oddsEE10hipError_tT0_T1_T2_jT3_P12ihipStream_tbPNSt15iterator_traitsISI_E10value_typeEPNSO_ISJ_E10value_typeEPSK_NS1_7vsmem_tEENKUlT_SI_SJ_SK_E_clISE_PiSF_SF_EESH_SX_SI_SJ_SK_EUlSX_E1_NS1_11comp_targetILNS1_3genE10ELNS1_11target_archE1201ELNS1_3gpuE5ELNS1_3repE0EEENS1_36merge_oddeven_config_static_selectorELNS0_4arch9wavefront6targetE1EEEvSJ_.private_seg_size, 0
	.set _ZN7rocprim17ROCPRIM_400000_NS6detail17trampoline_kernelINS0_14default_configENS1_38merge_sort_block_merge_config_selectorIiNS0_10empty_typeEEEZZNS1_27merge_sort_block_merge_implIS3_N6thrust23THRUST_200600_302600_NS6detail15normal_iteratorINS9_10device_ptrIiEEEEPS5_m17evens_before_oddsEE10hipError_tT0_T1_T2_jT3_P12ihipStream_tbPNSt15iterator_traitsISI_E10value_typeEPNSO_ISJ_E10value_typeEPSK_NS1_7vsmem_tEENKUlT_SI_SJ_SK_E_clISE_PiSF_SF_EESH_SX_SI_SJ_SK_EUlSX_E1_NS1_11comp_targetILNS1_3genE10ELNS1_11target_archE1201ELNS1_3gpuE5ELNS1_3repE0EEENS1_36merge_oddeven_config_static_selectorELNS0_4arch9wavefront6targetE1EEEvSJ_.uses_vcc, 0
	.set _ZN7rocprim17ROCPRIM_400000_NS6detail17trampoline_kernelINS0_14default_configENS1_38merge_sort_block_merge_config_selectorIiNS0_10empty_typeEEEZZNS1_27merge_sort_block_merge_implIS3_N6thrust23THRUST_200600_302600_NS6detail15normal_iteratorINS9_10device_ptrIiEEEEPS5_m17evens_before_oddsEE10hipError_tT0_T1_T2_jT3_P12ihipStream_tbPNSt15iterator_traitsISI_E10value_typeEPNSO_ISJ_E10value_typeEPSK_NS1_7vsmem_tEENKUlT_SI_SJ_SK_E_clISE_PiSF_SF_EESH_SX_SI_SJ_SK_EUlSX_E1_NS1_11comp_targetILNS1_3genE10ELNS1_11target_archE1201ELNS1_3gpuE5ELNS1_3repE0EEENS1_36merge_oddeven_config_static_selectorELNS0_4arch9wavefront6targetE1EEEvSJ_.uses_flat_scratch, 0
	.set _ZN7rocprim17ROCPRIM_400000_NS6detail17trampoline_kernelINS0_14default_configENS1_38merge_sort_block_merge_config_selectorIiNS0_10empty_typeEEEZZNS1_27merge_sort_block_merge_implIS3_N6thrust23THRUST_200600_302600_NS6detail15normal_iteratorINS9_10device_ptrIiEEEEPS5_m17evens_before_oddsEE10hipError_tT0_T1_T2_jT3_P12ihipStream_tbPNSt15iterator_traitsISI_E10value_typeEPNSO_ISJ_E10value_typeEPSK_NS1_7vsmem_tEENKUlT_SI_SJ_SK_E_clISE_PiSF_SF_EESH_SX_SI_SJ_SK_EUlSX_E1_NS1_11comp_targetILNS1_3genE10ELNS1_11target_archE1201ELNS1_3gpuE5ELNS1_3repE0EEENS1_36merge_oddeven_config_static_selectorELNS0_4arch9wavefront6targetE1EEEvSJ_.has_dyn_sized_stack, 0
	.set _ZN7rocprim17ROCPRIM_400000_NS6detail17trampoline_kernelINS0_14default_configENS1_38merge_sort_block_merge_config_selectorIiNS0_10empty_typeEEEZZNS1_27merge_sort_block_merge_implIS3_N6thrust23THRUST_200600_302600_NS6detail15normal_iteratorINS9_10device_ptrIiEEEEPS5_m17evens_before_oddsEE10hipError_tT0_T1_T2_jT3_P12ihipStream_tbPNSt15iterator_traitsISI_E10value_typeEPNSO_ISJ_E10value_typeEPSK_NS1_7vsmem_tEENKUlT_SI_SJ_SK_E_clISE_PiSF_SF_EESH_SX_SI_SJ_SK_EUlSX_E1_NS1_11comp_targetILNS1_3genE10ELNS1_11target_archE1201ELNS1_3gpuE5ELNS1_3repE0EEENS1_36merge_oddeven_config_static_selectorELNS0_4arch9wavefront6targetE1EEEvSJ_.has_recursion, 0
	.set _ZN7rocprim17ROCPRIM_400000_NS6detail17trampoline_kernelINS0_14default_configENS1_38merge_sort_block_merge_config_selectorIiNS0_10empty_typeEEEZZNS1_27merge_sort_block_merge_implIS3_N6thrust23THRUST_200600_302600_NS6detail15normal_iteratorINS9_10device_ptrIiEEEEPS5_m17evens_before_oddsEE10hipError_tT0_T1_T2_jT3_P12ihipStream_tbPNSt15iterator_traitsISI_E10value_typeEPNSO_ISJ_E10value_typeEPSK_NS1_7vsmem_tEENKUlT_SI_SJ_SK_E_clISE_PiSF_SF_EESH_SX_SI_SJ_SK_EUlSX_E1_NS1_11comp_targetILNS1_3genE10ELNS1_11target_archE1201ELNS1_3gpuE5ELNS1_3repE0EEENS1_36merge_oddeven_config_static_selectorELNS0_4arch9wavefront6targetE1EEEvSJ_.has_indirect_call, 0
	.section	.AMDGPU.csdata,"",@progbits
; Kernel info:
; codeLenInByte = 0
; TotalNumSgprs: 6
; NumVgprs: 0
; NumAgprs: 0
; TotalNumVgprs: 0
; ScratchSize: 0
; MemoryBound: 0
; FloatMode: 240
; IeeeMode: 1
; LDSByteSize: 0 bytes/workgroup (compile time only)
; SGPRBlocks: 0
; VGPRBlocks: 0
; NumSGPRsForWavesPerEU: 6
; NumVGPRsForWavesPerEU: 1
; AccumOffset: 4
; Occupancy: 8
; WaveLimiterHint : 0
; COMPUTE_PGM_RSRC2:SCRATCH_EN: 0
; COMPUTE_PGM_RSRC2:USER_SGPR: 2
; COMPUTE_PGM_RSRC2:TRAP_HANDLER: 0
; COMPUTE_PGM_RSRC2:TGID_X_EN: 1
; COMPUTE_PGM_RSRC2:TGID_Y_EN: 0
; COMPUTE_PGM_RSRC2:TGID_Z_EN: 0
; COMPUTE_PGM_RSRC2:TIDIG_COMP_CNT: 0
; COMPUTE_PGM_RSRC3_GFX90A:ACCUM_OFFSET: 0
; COMPUTE_PGM_RSRC3_GFX90A:TG_SPLIT: 0
	.section	.text._ZN7rocprim17ROCPRIM_400000_NS6detail17trampoline_kernelINS0_14default_configENS1_38merge_sort_block_merge_config_selectorIiNS0_10empty_typeEEEZZNS1_27merge_sort_block_merge_implIS3_N6thrust23THRUST_200600_302600_NS6detail15normal_iteratorINS9_10device_ptrIiEEEEPS5_m17evens_before_oddsEE10hipError_tT0_T1_T2_jT3_P12ihipStream_tbPNSt15iterator_traitsISI_E10value_typeEPNSO_ISJ_E10value_typeEPSK_NS1_7vsmem_tEENKUlT_SI_SJ_SK_E_clISE_PiSF_SF_EESH_SX_SI_SJ_SK_EUlSX_E1_NS1_11comp_targetILNS1_3genE5ELNS1_11target_archE942ELNS1_3gpuE9ELNS1_3repE0EEENS1_36merge_oddeven_config_static_selectorELNS0_4arch9wavefront6targetE1EEEvSJ_,"axG",@progbits,_ZN7rocprim17ROCPRIM_400000_NS6detail17trampoline_kernelINS0_14default_configENS1_38merge_sort_block_merge_config_selectorIiNS0_10empty_typeEEEZZNS1_27merge_sort_block_merge_implIS3_N6thrust23THRUST_200600_302600_NS6detail15normal_iteratorINS9_10device_ptrIiEEEEPS5_m17evens_before_oddsEE10hipError_tT0_T1_T2_jT3_P12ihipStream_tbPNSt15iterator_traitsISI_E10value_typeEPNSO_ISJ_E10value_typeEPSK_NS1_7vsmem_tEENKUlT_SI_SJ_SK_E_clISE_PiSF_SF_EESH_SX_SI_SJ_SK_EUlSX_E1_NS1_11comp_targetILNS1_3genE5ELNS1_11target_archE942ELNS1_3gpuE9ELNS1_3repE0EEENS1_36merge_oddeven_config_static_selectorELNS0_4arch9wavefront6targetE1EEEvSJ_,comdat
	.protected	_ZN7rocprim17ROCPRIM_400000_NS6detail17trampoline_kernelINS0_14default_configENS1_38merge_sort_block_merge_config_selectorIiNS0_10empty_typeEEEZZNS1_27merge_sort_block_merge_implIS3_N6thrust23THRUST_200600_302600_NS6detail15normal_iteratorINS9_10device_ptrIiEEEEPS5_m17evens_before_oddsEE10hipError_tT0_T1_T2_jT3_P12ihipStream_tbPNSt15iterator_traitsISI_E10value_typeEPNSO_ISJ_E10value_typeEPSK_NS1_7vsmem_tEENKUlT_SI_SJ_SK_E_clISE_PiSF_SF_EESH_SX_SI_SJ_SK_EUlSX_E1_NS1_11comp_targetILNS1_3genE5ELNS1_11target_archE942ELNS1_3gpuE9ELNS1_3repE0EEENS1_36merge_oddeven_config_static_selectorELNS0_4arch9wavefront6targetE1EEEvSJ_ ; -- Begin function _ZN7rocprim17ROCPRIM_400000_NS6detail17trampoline_kernelINS0_14default_configENS1_38merge_sort_block_merge_config_selectorIiNS0_10empty_typeEEEZZNS1_27merge_sort_block_merge_implIS3_N6thrust23THRUST_200600_302600_NS6detail15normal_iteratorINS9_10device_ptrIiEEEEPS5_m17evens_before_oddsEE10hipError_tT0_T1_T2_jT3_P12ihipStream_tbPNSt15iterator_traitsISI_E10value_typeEPNSO_ISJ_E10value_typeEPSK_NS1_7vsmem_tEENKUlT_SI_SJ_SK_E_clISE_PiSF_SF_EESH_SX_SI_SJ_SK_EUlSX_E1_NS1_11comp_targetILNS1_3genE5ELNS1_11target_archE942ELNS1_3gpuE9ELNS1_3repE0EEENS1_36merge_oddeven_config_static_selectorELNS0_4arch9wavefront6targetE1EEEvSJ_
	.globl	_ZN7rocprim17ROCPRIM_400000_NS6detail17trampoline_kernelINS0_14default_configENS1_38merge_sort_block_merge_config_selectorIiNS0_10empty_typeEEEZZNS1_27merge_sort_block_merge_implIS3_N6thrust23THRUST_200600_302600_NS6detail15normal_iteratorINS9_10device_ptrIiEEEEPS5_m17evens_before_oddsEE10hipError_tT0_T1_T2_jT3_P12ihipStream_tbPNSt15iterator_traitsISI_E10value_typeEPNSO_ISJ_E10value_typeEPSK_NS1_7vsmem_tEENKUlT_SI_SJ_SK_E_clISE_PiSF_SF_EESH_SX_SI_SJ_SK_EUlSX_E1_NS1_11comp_targetILNS1_3genE5ELNS1_11target_archE942ELNS1_3gpuE9ELNS1_3repE0EEENS1_36merge_oddeven_config_static_selectorELNS0_4arch9wavefront6targetE1EEEvSJ_
	.p2align	8
	.type	_ZN7rocprim17ROCPRIM_400000_NS6detail17trampoline_kernelINS0_14default_configENS1_38merge_sort_block_merge_config_selectorIiNS0_10empty_typeEEEZZNS1_27merge_sort_block_merge_implIS3_N6thrust23THRUST_200600_302600_NS6detail15normal_iteratorINS9_10device_ptrIiEEEEPS5_m17evens_before_oddsEE10hipError_tT0_T1_T2_jT3_P12ihipStream_tbPNSt15iterator_traitsISI_E10value_typeEPNSO_ISJ_E10value_typeEPSK_NS1_7vsmem_tEENKUlT_SI_SJ_SK_E_clISE_PiSF_SF_EESH_SX_SI_SJ_SK_EUlSX_E1_NS1_11comp_targetILNS1_3genE5ELNS1_11target_archE942ELNS1_3gpuE9ELNS1_3repE0EEENS1_36merge_oddeven_config_static_selectorELNS0_4arch9wavefront6targetE1EEEvSJ_,@function
_ZN7rocprim17ROCPRIM_400000_NS6detail17trampoline_kernelINS0_14default_configENS1_38merge_sort_block_merge_config_selectorIiNS0_10empty_typeEEEZZNS1_27merge_sort_block_merge_implIS3_N6thrust23THRUST_200600_302600_NS6detail15normal_iteratorINS9_10device_ptrIiEEEEPS5_m17evens_before_oddsEE10hipError_tT0_T1_T2_jT3_P12ihipStream_tbPNSt15iterator_traitsISI_E10value_typeEPNSO_ISJ_E10value_typeEPSK_NS1_7vsmem_tEENKUlT_SI_SJ_SK_E_clISE_PiSF_SF_EESH_SX_SI_SJ_SK_EUlSX_E1_NS1_11comp_targetILNS1_3genE5ELNS1_11target_archE942ELNS1_3gpuE9ELNS1_3repE0EEENS1_36merge_oddeven_config_static_selectorELNS0_4arch9wavefront6targetE1EEEvSJ_: ; @_ZN7rocprim17ROCPRIM_400000_NS6detail17trampoline_kernelINS0_14default_configENS1_38merge_sort_block_merge_config_selectorIiNS0_10empty_typeEEEZZNS1_27merge_sort_block_merge_implIS3_N6thrust23THRUST_200600_302600_NS6detail15normal_iteratorINS9_10device_ptrIiEEEEPS5_m17evens_before_oddsEE10hipError_tT0_T1_T2_jT3_P12ihipStream_tbPNSt15iterator_traitsISI_E10value_typeEPNSO_ISJ_E10value_typeEPSK_NS1_7vsmem_tEENKUlT_SI_SJ_SK_E_clISE_PiSF_SF_EESH_SX_SI_SJ_SK_EUlSX_E1_NS1_11comp_targetILNS1_3genE5ELNS1_11target_archE942ELNS1_3gpuE9ELNS1_3repE0EEENS1_36merge_oddeven_config_static_selectorELNS0_4arch9wavefront6targetE1EEEvSJ_
; %bb.0:
	.section	.rodata,"a",@progbits
	.p2align	6, 0x0
	.amdhsa_kernel _ZN7rocprim17ROCPRIM_400000_NS6detail17trampoline_kernelINS0_14default_configENS1_38merge_sort_block_merge_config_selectorIiNS0_10empty_typeEEEZZNS1_27merge_sort_block_merge_implIS3_N6thrust23THRUST_200600_302600_NS6detail15normal_iteratorINS9_10device_ptrIiEEEEPS5_m17evens_before_oddsEE10hipError_tT0_T1_T2_jT3_P12ihipStream_tbPNSt15iterator_traitsISI_E10value_typeEPNSO_ISJ_E10value_typeEPSK_NS1_7vsmem_tEENKUlT_SI_SJ_SK_E_clISE_PiSF_SF_EESH_SX_SI_SJ_SK_EUlSX_E1_NS1_11comp_targetILNS1_3genE5ELNS1_11target_archE942ELNS1_3gpuE9ELNS1_3repE0EEENS1_36merge_oddeven_config_static_selectorELNS0_4arch9wavefront6targetE1EEEvSJ_
		.amdhsa_group_segment_fixed_size 0
		.amdhsa_private_segment_fixed_size 0
		.amdhsa_kernarg_size 56
		.amdhsa_user_sgpr_count 2
		.amdhsa_user_sgpr_dispatch_ptr 0
		.amdhsa_user_sgpr_queue_ptr 0
		.amdhsa_user_sgpr_kernarg_segment_ptr 1
		.amdhsa_user_sgpr_dispatch_id 0
		.amdhsa_user_sgpr_kernarg_preload_length 0
		.amdhsa_user_sgpr_kernarg_preload_offset 0
		.amdhsa_user_sgpr_private_segment_size 0
		.amdhsa_uses_dynamic_stack 0
		.amdhsa_enable_private_segment 0
		.amdhsa_system_sgpr_workgroup_id_x 1
		.amdhsa_system_sgpr_workgroup_id_y 0
		.amdhsa_system_sgpr_workgroup_id_z 0
		.amdhsa_system_sgpr_workgroup_info 0
		.amdhsa_system_vgpr_workitem_id 0
		.amdhsa_next_free_vgpr 1
		.amdhsa_next_free_sgpr 0
		.amdhsa_accum_offset 4
		.amdhsa_reserve_vcc 0
		.amdhsa_float_round_mode_32 0
		.amdhsa_float_round_mode_16_64 0
		.amdhsa_float_denorm_mode_32 3
		.amdhsa_float_denorm_mode_16_64 3
		.amdhsa_dx10_clamp 1
		.amdhsa_ieee_mode 1
		.amdhsa_fp16_overflow 0
		.amdhsa_tg_split 0
		.amdhsa_exception_fp_ieee_invalid_op 0
		.amdhsa_exception_fp_denorm_src 0
		.amdhsa_exception_fp_ieee_div_zero 0
		.amdhsa_exception_fp_ieee_overflow 0
		.amdhsa_exception_fp_ieee_underflow 0
		.amdhsa_exception_fp_ieee_inexact 0
		.amdhsa_exception_int_div_zero 0
	.end_amdhsa_kernel
	.section	.text._ZN7rocprim17ROCPRIM_400000_NS6detail17trampoline_kernelINS0_14default_configENS1_38merge_sort_block_merge_config_selectorIiNS0_10empty_typeEEEZZNS1_27merge_sort_block_merge_implIS3_N6thrust23THRUST_200600_302600_NS6detail15normal_iteratorINS9_10device_ptrIiEEEEPS5_m17evens_before_oddsEE10hipError_tT0_T1_T2_jT3_P12ihipStream_tbPNSt15iterator_traitsISI_E10value_typeEPNSO_ISJ_E10value_typeEPSK_NS1_7vsmem_tEENKUlT_SI_SJ_SK_E_clISE_PiSF_SF_EESH_SX_SI_SJ_SK_EUlSX_E1_NS1_11comp_targetILNS1_3genE5ELNS1_11target_archE942ELNS1_3gpuE9ELNS1_3repE0EEENS1_36merge_oddeven_config_static_selectorELNS0_4arch9wavefront6targetE1EEEvSJ_,"axG",@progbits,_ZN7rocprim17ROCPRIM_400000_NS6detail17trampoline_kernelINS0_14default_configENS1_38merge_sort_block_merge_config_selectorIiNS0_10empty_typeEEEZZNS1_27merge_sort_block_merge_implIS3_N6thrust23THRUST_200600_302600_NS6detail15normal_iteratorINS9_10device_ptrIiEEEEPS5_m17evens_before_oddsEE10hipError_tT0_T1_T2_jT3_P12ihipStream_tbPNSt15iterator_traitsISI_E10value_typeEPNSO_ISJ_E10value_typeEPSK_NS1_7vsmem_tEENKUlT_SI_SJ_SK_E_clISE_PiSF_SF_EESH_SX_SI_SJ_SK_EUlSX_E1_NS1_11comp_targetILNS1_3genE5ELNS1_11target_archE942ELNS1_3gpuE9ELNS1_3repE0EEENS1_36merge_oddeven_config_static_selectorELNS0_4arch9wavefront6targetE1EEEvSJ_,comdat
.Lfunc_end450:
	.size	_ZN7rocprim17ROCPRIM_400000_NS6detail17trampoline_kernelINS0_14default_configENS1_38merge_sort_block_merge_config_selectorIiNS0_10empty_typeEEEZZNS1_27merge_sort_block_merge_implIS3_N6thrust23THRUST_200600_302600_NS6detail15normal_iteratorINS9_10device_ptrIiEEEEPS5_m17evens_before_oddsEE10hipError_tT0_T1_T2_jT3_P12ihipStream_tbPNSt15iterator_traitsISI_E10value_typeEPNSO_ISJ_E10value_typeEPSK_NS1_7vsmem_tEENKUlT_SI_SJ_SK_E_clISE_PiSF_SF_EESH_SX_SI_SJ_SK_EUlSX_E1_NS1_11comp_targetILNS1_3genE5ELNS1_11target_archE942ELNS1_3gpuE9ELNS1_3repE0EEENS1_36merge_oddeven_config_static_selectorELNS0_4arch9wavefront6targetE1EEEvSJ_, .Lfunc_end450-_ZN7rocprim17ROCPRIM_400000_NS6detail17trampoline_kernelINS0_14default_configENS1_38merge_sort_block_merge_config_selectorIiNS0_10empty_typeEEEZZNS1_27merge_sort_block_merge_implIS3_N6thrust23THRUST_200600_302600_NS6detail15normal_iteratorINS9_10device_ptrIiEEEEPS5_m17evens_before_oddsEE10hipError_tT0_T1_T2_jT3_P12ihipStream_tbPNSt15iterator_traitsISI_E10value_typeEPNSO_ISJ_E10value_typeEPSK_NS1_7vsmem_tEENKUlT_SI_SJ_SK_E_clISE_PiSF_SF_EESH_SX_SI_SJ_SK_EUlSX_E1_NS1_11comp_targetILNS1_3genE5ELNS1_11target_archE942ELNS1_3gpuE9ELNS1_3repE0EEENS1_36merge_oddeven_config_static_selectorELNS0_4arch9wavefront6targetE1EEEvSJ_
                                        ; -- End function
	.set _ZN7rocprim17ROCPRIM_400000_NS6detail17trampoline_kernelINS0_14default_configENS1_38merge_sort_block_merge_config_selectorIiNS0_10empty_typeEEEZZNS1_27merge_sort_block_merge_implIS3_N6thrust23THRUST_200600_302600_NS6detail15normal_iteratorINS9_10device_ptrIiEEEEPS5_m17evens_before_oddsEE10hipError_tT0_T1_T2_jT3_P12ihipStream_tbPNSt15iterator_traitsISI_E10value_typeEPNSO_ISJ_E10value_typeEPSK_NS1_7vsmem_tEENKUlT_SI_SJ_SK_E_clISE_PiSF_SF_EESH_SX_SI_SJ_SK_EUlSX_E1_NS1_11comp_targetILNS1_3genE5ELNS1_11target_archE942ELNS1_3gpuE9ELNS1_3repE0EEENS1_36merge_oddeven_config_static_selectorELNS0_4arch9wavefront6targetE1EEEvSJ_.num_vgpr, 0
	.set _ZN7rocprim17ROCPRIM_400000_NS6detail17trampoline_kernelINS0_14default_configENS1_38merge_sort_block_merge_config_selectorIiNS0_10empty_typeEEEZZNS1_27merge_sort_block_merge_implIS3_N6thrust23THRUST_200600_302600_NS6detail15normal_iteratorINS9_10device_ptrIiEEEEPS5_m17evens_before_oddsEE10hipError_tT0_T1_T2_jT3_P12ihipStream_tbPNSt15iterator_traitsISI_E10value_typeEPNSO_ISJ_E10value_typeEPSK_NS1_7vsmem_tEENKUlT_SI_SJ_SK_E_clISE_PiSF_SF_EESH_SX_SI_SJ_SK_EUlSX_E1_NS1_11comp_targetILNS1_3genE5ELNS1_11target_archE942ELNS1_3gpuE9ELNS1_3repE0EEENS1_36merge_oddeven_config_static_selectorELNS0_4arch9wavefront6targetE1EEEvSJ_.num_agpr, 0
	.set _ZN7rocprim17ROCPRIM_400000_NS6detail17trampoline_kernelINS0_14default_configENS1_38merge_sort_block_merge_config_selectorIiNS0_10empty_typeEEEZZNS1_27merge_sort_block_merge_implIS3_N6thrust23THRUST_200600_302600_NS6detail15normal_iteratorINS9_10device_ptrIiEEEEPS5_m17evens_before_oddsEE10hipError_tT0_T1_T2_jT3_P12ihipStream_tbPNSt15iterator_traitsISI_E10value_typeEPNSO_ISJ_E10value_typeEPSK_NS1_7vsmem_tEENKUlT_SI_SJ_SK_E_clISE_PiSF_SF_EESH_SX_SI_SJ_SK_EUlSX_E1_NS1_11comp_targetILNS1_3genE5ELNS1_11target_archE942ELNS1_3gpuE9ELNS1_3repE0EEENS1_36merge_oddeven_config_static_selectorELNS0_4arch9wavefront6targetE1EEEvSJ_.numbered_sgpr, 0
	.set _ZN7rocprim17ROCPRIM_400000_NS6detail17trampoline_kernelINS0_14default_configENS1_38merge_sort_block_merge_config_selectorIiNS0_10empty_typeEEEZZNS1_27merge_sort_block_merge_implIS3_N6thrust23THRUST_200600_302600_NS6detail15normal_iteratorINS9_10device_ptrIiEEEEPS5_m17evens_before_oddsEE10hipError_tT0_T1_T2_jT3_P12ihipStream_tbPNSt15iterator_traitsISI_E10value_typeEPNSO_ISJ_E10value_typeEPSK_NS1_7vsmem_tEENKUlT_SI_SJ_SK_E_clISE_PiSF_SF_EESH_SX_SI_SJ_SK_EUlSX_E1_NS1_11comp_targetILNS1_3genE5ELNS1_11target_archE942ELNS1_3gpuE9ELNS1_3repE0EEENS1_36merge_oddeven_config_static_selectorELNS0_4arch9wavefront6targetE1EEEvSJ_.num_named_barrier, 0
	.set _ZN7rocprim17ROCPRIM_400000_NS6detail17trampoline_kernelINS0_14default_configENS1_38merge_sort_block_merge_config_selectorIiNS0_10empty_typeEEEZZNS1_27merge_sort_block_merge_implIS3_N6thrust23THRUST_200600_302600_NS6detail15normal_iteratorINS9_10device_ptrIiEEEEPS5_m17evens_before_oddsEE10hipError_tT0_T1_T2_jT3_P12ihipStream_tbPNSt15iterator_traitsISI_E10value_typeEPNSO_ISJ_E10value_typeEPSK_NS1_7vsmem_tEENKUlT_SI_SJ_SK_E_clISE_PiSF_SF_EESH_SX_SI_SJ_SK_EUlSX_E1_NS1_11comp_targetILNS1_3genE5ELNS1_11target_archE942ELNS1_3gpuE9ELNS1_3repE0EEENS1_36merge_oddeven_config_static_selectorELNS0_4arch9wavefront6targetE1EEEvSJ_.private_seg_size, 0
	.set _ZN7rocprim17ROCPRIM_400000_NS6detail17trampoline_kernelINS0_14default_configENS1_38merge_sort_block_merge_config_selectorIiNS0_10empty_typeEEEZZNS1_27merge_sort_block_merge_implIS3_N6thrust23THRUST_200600_302600_NS6detail15normal_iteratorINS9_10device_ptrIiEEEEPS5_m17evens_before_oddsEE10hipError_tT0_T1_T2_jT3_P12ihipStream_tbPNSt15iterator_traitsISI_E10value_typeEPNSO_ISJ_E10value_typeEPSK_NS1_7vsmem_tEENKUlT_SI_SJ_SK_E_clISE_PiSF_SF_EESH_SX_SI_SJ_SK_EUlSX_E1_NS1_11comp_targetILNS1_3genE5ELNS1_11target_archE942ELNS1_3gpuE9ELNS1_3repE0EEENS1_36merge_oddeven_config_static_selectorELNS0_4arch9wavefront6targetE1EEEvSJ_.uses_vcc, 0
	.set _ZN7rocprim17ROCPRIM_400000_NS6detail17trampoline_kernelINS0_14default_configENS1_38merge_sort_block_merge_config_selectorIiNS0_10empty_typeEEEZZNS1_27merge_sort_block_merge_implIS3_N6thrust23THRUST_200600_302600_NS6detail15normal_iteratorINS9_10device_ptrIiEEEEPS5_m17evens_before_oddsEE10hipError_tT0_T1_T2_jT3_P12ihipStream_tbPNSt15iterator_traitsISI_E10value_typeEPNSO_ISJ_E10value_typeEPSK_NS1_7vsmem_tEENKUlT_SI_SJ_SK_E_clISE_PiSF_SF_EESH_SX_SI_SJ_SK_EUlSX_E1_NS1_11comp_targetILNS1_3genE5ELNS1_11target_archE942ELNS1_3gpuE9ELNS1_3repE0EEENS1_36merge_oddeven_config_static_selectorELNS0_4arch9wavefront6targetE1EEEvSJ_.uses_flat_scratch, 0
	.set _ZN7rocprim17ROCPRIM_400000_NS6detail17trampoline_kernelINS0_14default_configENS1_38merge_sort_block_merge_config_selectorIiNS0_10empty_typeEEEZZNS1_27merge_sort_block_merge_implIS3_N6thrust23THRUST_200600_302600_NS6detail15normal_iteratorINS9_10device_ptrIiEEEEPS5_m17evens_before_oddsEE10hipError_tT0_T1_T2_jT3_P12ihipStream_tbPNSt15iterator_traitsISI_E10value_typeEPNSO_ISJ_E10value_typeEPSK_NS1_7vsmem_tEENKUlT_SI_SJ_SK_E_clISE_PiSF_SF_EESH_SX_SI_SJ_SK_EUlSX_E1_NS1_11comp_targetILNS1_3genE5ELNS1_11target_archE942ELNS1_3gpuE9ELNS1_3repE0EEENS1_36merge_oddeven_config_static_selectorELNS0_4arch9wavefront6targetE1EEEvSJ_.has_dyn_sized_stack, 0
	.set _ZN7rocprim17ROCPRIM_400000_NS6detail17trampoline_kernelINS0_14default_configENS1_38merge_sort_block_merge_config_selectorIiNS0_10empty_typeEEEZZNS1_27merge_sort_block_merge_implIS3_N6thrust23THRUST_200600_302600_NS6detail15normal_iteratorINS9_10device_ptrIiEEEEPS5_m17evens_before_oddsEE10hipError_tT0_T1_T2_jT3_P12ihipStream_tbPNSt15iterator_traitsISI_E10value_typeEPNSO_ISJ_E10value_typeEPSK_NS1_7vsmem_tEENKUlT_SI_SJ_SK_E_clISE_PiSF_SF_EESH_SX_SI_SJ_SK_EUlSX_E1_NS1_11comp_targetILNS1_3genE5ELNS1_11target_archE942ELNS1_3gpuE9ELNS1_3repE0EEENS1_36merge_oddeven_config_static_selectorELNS0_4arch9wavefront6targetE1EEEvSJ_.has_recursion, 0
	.set _ZN7rocprim17ROCPRIM_400000_NS6detail17trampoline_kernelINS0_14default_configENS1_38merge_sort_block_merge_config_selectorIiNS0_10empty_typeEEEZZNS1_27merge_sort_block_merge_implIS3_N6thrust23THRUST_200600_302600_NS6detail15normal_iteratorINS9_10device_ptrIiEEEEPS5_m17evens_before_oddsEE10hipError_tT0_T1_T2_jT3_P12ihipStream_tbPNSt15iterator_traitsISI_E10value_typeEPNSO_ISJ_E10value_typeEPSK_NS1_7vsmem_tEENKUlT_SI_SJ_SK_E_clISE_PiSF_SF_EESH_SX_SI_SJ_SK_EUlSX_E1_NS1_11comp_targetILNS1_3genE5ELNS1_11target_archE942ELNS1_3gpuE9ELNS1_3repE0EEENS1_36merge_oddeven_config_static_selectorELNS0_4arch9wavefront6targetE1EEEvSJ_.has_indirect_call, 0
	.section	.AMDGPU.csdata,"",@progbits
; Kernel info:
; codeLenInByte = 0
; TotalNumSgprs: 6
; NumVgprs: 0
; NumAgprs: 0
; TotalNumVgprs: 0
; ScratchSize: 0
; MemoryBound: 0
; FloatMode: 240
; IeeeMode: 1
; LDSByteSize: 0 bytes/workgroup (compile time only)
; SGPRBlocks: 0
; VGPRBlocks: 0
; NumSGPRsForWavesPerEU: 6
; NumVGPRsForWavesPerEU: 1
; AccumOffset: 4
; Occupancy: 8
; WaveLimiterHint : 0
; COMPUTE_PGM_RSRC2:SCRATCH_EN: 0
; COMPUTE_PGM_RSRC2:USER_SGPR: 2
; COMPUTE_PGM_RSRC2:TRAP_HANDLER: 0
; COMPUTE_PGM_RSRC2:TGID_X_EN: 1
; COMPUTE_PGM_RSRC2:TGID_Y_EN: 0
; COMPUTE_PGM_RSRC2:TGID_Z_EN: 0
; COMPUTE_PGM_RSRC2:TIDIG_COMP_CNT: 0
; COMPUTE_PGM_RSRC3_GFX90A:ACCUM_OFFSET: 0
; COMPUTE_PGM_RSRC3_GFX90A:TG_SPLIT: 0
	.section	.text._ZN7rocprim17ROCPRIM_400000_NS6detail17trampoline_kernelINS0_14default_configENS1_38merge_sort_block_merge_config_selectorIiNS0_10empty_typeEEEZZNS1_27merge_sort_block_merge_implIS3_N6thrust23THRUST_200600_302600_NS6detail15normal_iteratorINS9_10device_ptrIiEEEEPS5_m17evens_before_oddsEE10hipError_tT0_T1_T2_jT3_P12ihipStream_tbPNSt15iterator_traitsISI_E10value_typeEPNSO_ISJ_E10value_typeEPSK_NS1_7vsmem_tEENKUlT_SI_SJ_SK_E_clISE_PiSF_SF_EESH_SX_SI_SJ_SK_EUlSX_E1_NS1_11comp_targetILNS1_3genE4ELNS1_11target_archE910ELNS1_3gpuE8ELNS1_3repE0EEENS1_36merge_oddeven_config_static_selectorELNS0_4arch9wavefront6targetE1EEEvSJ_,"axG",@progbits,_ZN7rocprim17ROCPRIM_400000_NS6detail17trampoline_kernelINS0_14default_configENS1_38merge_sort_block_merge_config_selectorIiNS0_10empty_typeEEEZZNS1_27merge_sort_block_merge_implIS3_N6thrust23THRUST_200600_302600_NS6detail15normal_iteratorINS9_10device_ptrIiEEEEPS5_m17evens_before_oddsEE10hipError_tT0_T1_T2_jT3_P12ihipStream_tbPNSt15iterator_traitsISI_E10value_typeEPNSO_ISJ_E10value_typeEPSK_NS1_7vsmem_tEENKUlT_SI_SJ_SK_E_clISE_PiSF_SF_EESH_SX_SI_SJ_SK_EUlSX_E1_NS1_11comp_targetILNS1_3genE4ELNS1_11target_archE910ELNS1_3gpuE8ELNS1_3repE0EEENS1_36merge_oddeven_config_static_selectorELNS0_4arch9wavefront6targetE1EEEvSJ_,comdat
	.protected	_ZN7rocprim17ROCPRIM_400000_NS6detail17trampoline_kernelINS0_14default_configENS1_38merge_sort_block_merge_config_selectorIiNS0_10empty_typeEEEZZNS1_27merge_sort_block_merge_implIS3_N6thrust23THRUST_200600_302600_NS6detail15normal_iteratorINS9_10device_ptrIiEEEEPS5_m17evens_before_oddsEE10hipError_tT0_T1_T2_jT3_P12ihipStream_tbPNSt15iterator_traitsISI_E10value_typeEPNSO_ISJ_E10value_typeEPSK_NS1_7vsmem_tEENKUlT_SI_SJ_SK_E_clISE_PiSF_SF_EESH_SX_SI_SJ_SK_EUlSX_E1_NS1_11comp_targetILNS1_3genE4ELNS1_11target_archE910ELNS1_3gpuE8ELNS1_3repE0EEENS1_36merge_oddeven_config_static_selectorELNS0_4arch9wavefront6targetE1EEEvSJ_ ; -- Begin function _ZN7rocprim17ROCPRIM_400000_NS6detail17trampoline_kernelINS0_14default_configENS1_38merge_sort_block_merge_config_selectorIiNS0_10empty_typeEEEZZNS1_27merge_sort_block_merge_implIS3_N6thrust23THRUST_200600_302600_NS6detail15normal_iteratorINS9_10device_ptrIiEEEEPS5_m17evens_before_oddsEE10hipError_tT0_T1_T2_jT3_P12ihipStream_tbPNSt15iterator_traitsISI_E10value_typeEPNSO_ISJ_E10value_typeEPSK_NS1_7vsmem_tEENKUlT_SI_SJ_SK_E_clISE_PiSF_SF_EESH_SX_SI_SJ_SK_EUlSX_E1_NS1_11comp_targetILNS1_3genE4ELNS1_11target_archE910ELNS1_3gpuE8ELNS1_3repE0EEENS1_36merge_oddeven_config_static_selectorELNS0_4arch9wavefront6targetE1EEEvSJ_
	.globl	_ZN7rocprim17ROCPRIM_400000_NS6detail17trampoline_kernelINS0_14default_configENS1_38merge_sort_block_merge_config_selectorIiNS0_10empty_typeEEEZZNS1_27merge_sort_block_merge_implIS3_N6thrust23THRUST_200600_302600_NS6detail15normal_iteratorINS9_10device_ptrIiEEEEPS5_m17evens_before_oddsEE10hipError_tT0_T1_T2_jT3_P12ihipStream_tbPNSt15iterator_traitsISI_E10value_typeEPNSO_ISJ_E10value_typeEPSK_NS1_7vsmem_tEENKUlT_SI_SJ_SK_E_clISE_PiSF_SF_EESH_SX_SI_SJ_SK_EUlSX_E1_NS1_11comp_targetILNS1_3genE4ELNS1_11target_archE910ELNS1_3gpuE8ELNS1_3repE0EEENS1_36merge_oddeven_config_static_selectorELNS0_4arch9wavefront6targetE1EEEvSJ_
	.p2align	8
	.type	_ZN7rocprim17ROCPRIM_400000_NS6detail17trampoline_kernelINS0_14default_configENS1_38merge_sort_block_merge_config_selectorIiNS0_10empty_typeEEEZZNS1_27merge_sort_block_merge_implIS3_N6thrust23THRUST_200600_302600_NS6detail15normal_iteratorINS9_10device_ptrIiEEEEPS5_m17evens_before_oddsEE10hipError_tT0_T1_T2_jT3_P12ihipStream_tbPNSt15iterator_traitsISI_E10value_typeEPNSO_ISJ_E10value_typeEPSK_NS1_7vsmem_tEENKUlT_SI_SJ_SK_E_clISE_PiSF_SF_EESH_SX_SI_SJ_SK_EUlSX_E1_NS1_11comp_targetILNS1_3genE4ELNS1_11target_archE910ELNS1_3gpuE8ELNS1_3repE0EEENS1_36merge_oddeven_config_static_selectorELNS0_4arch9wavefront6targetE1EEEvSJ_,@function
_ZN7rocprim17ROCPRIM_400000_NS6detail17trampoline_kernelINS0_14default_configENS1_38merge_sort_block_merge_config_selectorIiNS0_10empty_typeEEEZZNS1_27merge_sort_block_merge_implIS3_N6thrust23THRUST_200600_302600_NS6detail15normal_iteratorINS9_10device_ptrIiEEEEPS5_m17evens_before_oddsEE10hipError_tT0_T1_T2_jT3_P12ihipStream_tbPNSt15iterator_traitsISI_E10value_typeEPNSO_ISJ_E10value_typeEPSK_NS1_7vsmem_tEENKUlT_SI_SJ_SK_E_clISE_PiSF_SF_EESH_SX_SI_SJ_SK_EUlSX_E1_NS1_11comp_targetILNS1_3genE4ELNS1_11target_archE910ELNS1_3gpuE8ELNS1_3repE0EEENS1_36merge_oddeven_config_static_selectorELNS0_4arch9wavefront6targetE1EEEvSJ_: ; @_ZN7rocprim17ROCPRIM_400000_NS6detail17trampoline_kernelINS0_14default_configENS1_38merge_sort_block_merge_config_selectorIiNS0_10empty_typeEEEZZNS1_27merge_sort_block_merge_implIS3_N6thrust23THRUST_200600_302600_NS6detail15normal_iteratorINS9_10device_ptrIiEEEEPS5_m17evens_before_oddsEE10hipError_tT0_T1_T2_jT3_P12ihipStream_tbPNSt15iterator_traitsISI_E10value_typeEPNSO_ISJ_E10value_typeEPSK_NS1_7vsmem_tEENKUlT_SI_SJ_SK_E_clISE_PiSF_SF_EESH_SX_SI_SJ_SK_EUlSX_E1_NS1_11comp_targetILNS1_3genE4ELNS1_11target_archE910ELNS1_3gpuE8ELNS1_3repE0EEENS1_36merge_oddeven_config_static_selectorELNS0_4arch9wavefront6targetE1EEEvSJ_
; %bb.0:
	.section	.rodata,"a",@progbits
	.p2align	6, 0x0
	.amdhsa_kernel _ZN7rocprim17ROCPRIM_400000_NS6detail17trampoline_kernelINS0_14default_configENS1_38merge_sort_block_merge_config_selectorIiNS0_10empty_typeEEEZZNS1_27merge_sort_block_merge_implIS3_N6thrust23THRUST_200600_302600_NS6detail15normal_iteratorINS9_10device_ptrIiEEEEPS5_m17evens_before_oddsEE10hipError_tT0_T1_T2_jT3_P12ihipStream_tbPNSt15iterator_traitsISI_E10value_typeEPNSO_ISJ_E10value_typeEPSK_NS1_7vsmem_tEENKUlT_SI_SJ_SK_E_clISE_PiSF_SF_EESH_SX_SI_SJ_SK_EUlSX_E1_NS1_11comp_targetILNS1_3genE4ELNS1_11target_archE910ELNS1_3gpuE8ELNS1_3repE0EEENS1_36merge_oddeven_config_static_selectorELNS0_4arch9wavefront6targetE1EEEvSJ_
		.amdhsa_group_segment_fixed_size 0
		.amdhsa_private_segment_fixed_size 0
		.amdhsa_kernarg_size 56
		.amdhsa_user_sgpr_count 2
		.amdhsa_user_sgpr_dispatch_ptr 0
		.amdhsa_user_sgpr_queue_ptr 0
		.amdhsa_user_sgpr_kernarg_segment_ptr 1
		.amdhsa_user_sgpr_dispatch_id 0
		.amdhsa_user_sgpr_kernarg_preload_length 0
		.amdhsa_user_sgpr_kernarg_preload_offset 0
		.amdhsa_user_sgpr_private_segment_size 0
		.amdhsa_uses_dynamic_stack 0
		.amdhsa_enable_private_segment 0
		.amdhsa_system_sgpr_workgroup_id_x 1
		.amdhsa_system_sgpr_workgroup_id_y 0
		.amdhsa_system_sgpr_workgroup_id_z 0
		.amdhsa_system_sgpr_workgroup_info 0
		.amdhsa_system_vgpr_workitem_id 0
		.amdhsa_next_free_vgpr 1
		.amdhsa_next_free_sgpr 0
		.amdhsa_accum_offset 4
		.amdhsa_reserve_vcc 0
		.amdhsa_float_round_mode_32 0
		.amdhsa_float_round_mode_16_64 0
		.amdhsa_float_denorm_mode_32 3
		.amdhsa_float_denorm_mode_16_64 3
		.amdhsa_dx10_clamp 1
		.amdhsa_ieee_mode 1
		.amdhsa_fp16_overflow 0
		.amdhsa_tg_split 0
		.amdhsa_exception_fp_ieee_invalid_op 0
		.amdhsa_exception_fp_denorm_src 0
		.amdhsa_exception_fp_ieee_div_zero 0
		.amdhsa_exception_fp_ieee_overflow 0
		.amdhsa_exception_fp_ieee_underflow 0
		.amdhsa_exception_fp_ieee_inexact 0
		.amdhsa_exception_int_div_zero 0
	.end_amdhsa_kernel
	.section	.text._ZN7rocprim17ROCPRIM_400000_NS6detail17trampoline_kernelINS0_14default_configENS1_38merge_sort_block_merge_config_selectorIiNS0_10empty_typeEEEZZNS1_27merge_sort_block_merge_implIS3_N6thrust23THRUST_200600_302600_NS6detail15normal_iteratorINS9_10device_ptrIiEEEEPS5_m17evens_before_oddsEE10hipError_tT0_T1_T2_jT3_P12ihipStream_tbPNSt15iterator_traitsISI_E10value_typeEPNSO_ISJ_E10value_typeEPSK_NS1_7vsmem_tEENKUlT_SI_SJ_SK_E_clISE_PiSF_SF_EESH_SX_SI_SJ_SK_EUlSX_E1_NS1_11comp_targetILNS1_3genE4ELNS1_11target_archE910ELNS1_3gpuE8ELNS1_3repE0EEENS1_36merge_oddeven_config_static_selectorELNS0_4arch9wavefront6targetE1EEEvSJ_,"axG",@progbits,_ZN7rocprim17ROCPRIM_400000_NS6detail17trampoline_kernelINS0_14default_configENS1_38merge_sort_block_merge_config_selectorIiNS0_10empty_typeEEEZZNS1_27merge_sort_block_merge_implIS3_N6thrust23THRUST_200600_302600_NS6detail15normal_iteratorINS9_10device_ptrIiEEEEPS5_m17evens_before_oddsEE10hipError_tT0_T1_T2_jT3_P12ihipStream_tbPNSt15iterator_traitsISI_E10value_typeEPNSO_ISJ_E10value_typeEPSK_NS1_7vsmem_tEENKUlT_SI_SJ_SK_E_clISE_PiSF_SF_EESH_SX_SI_SJ_SK_EUlSX_E1_NS1_11comp_targetILNS1_3genE4ELNS1_11target_archE910ELNS1_3gpuE8ELNS1_3repE0EEENS1_36merge_oddeven_config_static_selectorELNS0_4arch9wavefront6targetE1EEEvSJ_,comdat
.Lfunc_end451:
	.size	_ZN7rocprim17ROCPRIM_400000_NS6detail17trampoline_kernelINS0_14default_configENS1_38merge_sort_block_merge_config_selectorIiNS0_10empty_typeEEEZZNS1_27merge_sort_block_merge_implIS3_N6thrust23THRUST_200600_302600_NS6detail15normal_iteratorINS9_10device_ptrIiEEEEPS5_m17evens_before_oddsEE10hipError_tT0_T1_T2_jT3_P12ihipStream_tbPNSt15iterator_traitsISI_E10value_typeEPNSO_ISJ_E10value_typeEPSK_NS1_7vsmem_tEENKUlT_SI_SJ_SK_E_clISE_PiSF_SF_EESH_SX_SI_SJ_SK_EUlSX_E1_NS1_11comp_targetILNS1_3genE4ELNS1_11target_archE910ELNS1_3gpuE8ELNS1_3repE0EEENS1_36merge_oddeven_config_static_selectorELNS0_4arch9wavefront6targetE1EEEvSJ_, .Lfunc_end451-_ZN7rocprim17ROCPRIM_400000_NS6detail17trampoline_kernelINS0_14default_configENS1_38merge_sort_block_merge_config_selectorIiNS0_10empty_typeEEEZZNS1_27merge_sort_block_merge_implIS3_N6thrust23THRUST_200600_302600_NS6detail15normal_iteratorINS9_10device_ptrIiEEEEPS5_m17evens_before_oddsEE10hipError_tT0_T1_T2_jT3_P12ihipStream_tbPNSt15iterator_traitsISI_E10value_typeEPNSO_ISJ_E10value_typeEPSK_NS1_7vsmem_tEENKUlT_SI_SJ_SK_E_clISE_PiSF_SF_EESH_SX_SI_SJ_SK_EUlSX_E1_NS1_11comp_targetILNS1_3genE4ELNS1_11target_archE910ELNS1_3gpuE8ELNS1_3repE0EEENS1_36merge_oddeven_config_static_selectorELNS0_4arch9wavefront6targetE1EEEvSJ_
                                        ; -- End function
	.set _ZN7rocprim17ROCPRIM_400000_NS6detail17trampoline_kernelINS0_14default_configENS1_38merge_sort_block_merge_config_selectorIiNS0_10empty_typeEEEZZNS1_27merge_sort_block_merge_implIS3_N6thrust23THRUST_200600_302600_NS6detail15normal_iteratorINS9_10device_ptrIiEEEEPS5_m17evens_before_oddsEE10hipError_tT0_T1_T2_jT3_P12ihipStream_tbPNSt15iterator_traitsISI_E10value_typeEPNSO_ISJ_E10value_typeEPSK_NS1_7vsmem_tEENKUlT_SI_SJ_SK_E_clISE_PiSF_SF_EESH_SX_SI_SJ_SK_EUlSX_E1_NS1_11comp_targetILNS1_3genE4ELNS1_11target_archE910ELNS1_3gpuE8ELNS1_3repE0EEENS1_36merge_oddeven_config_static_selectorELNS0_4arch9wavefront6targetE1EEEvSJ_.num_vgpr, 0
	.set _ZN7rocprim17ROCPRIM_400000_NS6detail17trampoline_kernelINS0_14default_configENS1_38merge_sort_block_merge_config_selectorIiNS0_10empty_typeEEEZZNS1_27merge_sort_block_merge_implIS3_N6thrust23THRUST_200600_302600_NS6detail15normal_iteratorINS9_10device_ptrIiEEEEPS5_m17evens_before_oddsEE10hipError_tT0_T1_T2_jT3_P12ihipStream_tbPNSt15iterator_traitsISI_E10value_typeEPNSO_ISJ_E10value_typeEPSK_NS1_7vsmem_tEENKUlT_SI_SJ_SK_E_clISE_PiSF_SF_EESH_SX_SI_SJ_SK_EUlSX_E1_NS1_11comp_targetILNS1_3genE4ELNS1_11target_archE910ELNS1_3gpuE8ELNS1_3repE0EEENS1_36merge_oddeven_config_static_selectorELNS0_4arch9wavefront6targetE1EEEvSJ_.num_agpr, 0
	.set _ZN7rocprim17ROCPRIM_400000_NS6detail17trampoline_kernelINS0_14default_configENS1_38merge_sort_block_merge_config_selectorIiNS0_10empty_typeEEEZZNS1_27merge_sort_block_merge_implIS3_N6thrust23THRUST_200600_302600_NS6detail15normal_iteratorINS9_10device_ptrIiEEEEPS5_m17evens_before_oddsEE10hipError_tT0_T1_T2_jT3_P12ihipStream_tbPNSt15iterator_traitsISI_E10value_typeEPNSO_ISJ_E10value_typeEPSK_NS1_7vsmem_tEENKUlT_SI_SJ_SK_E_clISE_PiSF_SF_EESH_SX_SI_SJ_SK_EUlSX_E1_NS1_11comp_targetILNS1_3genE4ELNS1_11target_archE910ELNS1_3gpuE8ELNS1_3repE0EEENS1_36merge_oddeven_config_static_selectorELNS0_4arch9wavefront6targetE1EEEvSJ_.numbered_sgpr, 0
	.set _ZN7rocprim17ROCPRIM_400000_NS6detail17trampoline_kernelINS0_14default_configENS1_38merge_sort_block_merge_config_selectorIiNS0_10empty_typeEEEZZNS1_27merge_sort_block_merge_implIS3_N6thrust23THRUST_200600_302600_NS6detail15normal_iteratorINS9_10device_ptrIiEEEEPS5_m17evens_before_oddsEE10hipError_tT0_T1_T2_jT3_P12ihipStream_tbPNSt15iterator_traitsISI_E10value_typeEPNSO_ISJ_E10value_typeEPSK_NS1_7vsmem_tEENKUlT_SI_SJ_SK_E_clISE_PiSF_SF_EESH_SX_SI_SJ_SK_EUlSX_E1_NS1_11comp_targetILNS1_3genE4ELNS1_11target_archE910ELNS1_3gpuE8ELNS1_3repE0EEENS1_36merge_oddeven_config_static_selectorELNS0_4arch9wavefront6targetE1EEEvSJ_.num_named_barrier, 0
	.set _ZN7rocprim17ROCPRIM_400000_NS6detail17trampoline_kernelINS0_14default_configENS1_38merge_sort_block_merge_config_selectorIiNS0_10empty_typeEEEZZNS1_27merge_sort_block_merge_implIS3_N6thrust23THRUST_200600_302600_NS6detail15normal_iteratorINS9_10device_ptrIiEEEEPS5_m17evens_before_oddsEE10hipError_tT0_T1_T2_jT3_P12ihipStream_tbPNSt15iterator_traitsISI_E10value_typeEPNSO_ISJ_E10value_typeEPSK_NS1_7vsmem_tEENKUlT_SI_SJ_SK_E_clISE_PiSF_SF_EESH_SX_SI_SJ_SK_EUlSX_E1_NS1_11comp_targetILNS1_3genE4ELNS1_11target_archE910ELNS1_3gpuE8ELNS1_3repE0EEENS1_36merge_oddeven_config_static_selectorELNS0_4arch9wavefront6targetE1EEEvSJ_.private_seg_size, 0
	.set _ZN7rocprim17ROCPRIM_400000_NS6detail17trampoline_kernelINS0_14default_configENS1_38merge_sort_block_merge_config_selectorIiNS0_10empty_typeEEEZZNS1_27merge_sort_block_merge_implIS3_N6thrust23THRUST_200600_302600_NS6detail15normal_iteratorINS9_10device_ptrIiEEEEPS5_m17evens_before_oddsEE10hipError_tT0_T1_T2_jT3_P12ihipStream_tbPNSt15iterator_traitsISI_E10value_typeEPNSO_ISJ_E10value_typeEPSK_NS1_7vsmem_tEENKUlT_SI_SJ_SK_E_clISE_PiSF_SF_EESH_SX_SI_SJ_SK_EUlSX_E1_NS1_11comp_targetILNS1_3genE4ELNS1_11target_archE910ELNS1_3gpuE8ELNS1_3repE0EEENS1_36merge_oddeven_config_static_selectorELNS0_4arch9wavefront6targetE1EEEvSJ_.uses_vcc, 0
	.set _ZN7rocprim17ROCPRIM_400000_NS6detail17trampoline_kernelINS0_14default_configENS1_38merge_sort_block_merge_config_selectorIiNS0_10empty_typeEEEZZNS1_27merge_sort_block_merge_implIS3_N6thrust23THRUST_200600_302600_NS6detail15normal_iteratorINS9_10device_ptrIiEEEEPS5_m17evens_before_oddsEE10hipError_tT0_T1_T2_jT3_P12ihipStream_tbPNSt15iterator_traitsISI_E10value_typeEPNSO_ISJ_E10value_typeEPSK_NS1_7vsmem_tEENKUlT_SI_SJ_SK_E_clISE_PiSF_SF_EESH_SX_SI_SJ_SK_EUlSX_E1_NS1_11comp_targetILNS1_3genE4ELNS1_11target_archE910ELNS1_3gpuE8ELNS1_3repE0EEENS1_36merge_oddeven_config_static_selectorELNS0_4arch9wavefront6targetE1EEEvSJ_.uses_flat_scratch, 0
	.set _ZN7rocprim17ROCPRIM_400000_NS6detail17trampoline_kernelINS0_14default_configENS1_38merge_sort_block_merge_config_selectorIiNS0_10empty_typeEEEZZNS1_27merge_sort_block_merge_implIS3_N6thrust23THRUST_200600_302600_NS6detail15normal_iteratorINS9_10device_ptrIiEEEEPS5_m17evens_before_oddsEE10hipError_tT0_T1_T2_jT3_P12ihipStream_tbPNSt15iterator_traitsISI_E10value_typeEPNSO_ISJ_E10value_typeEPSK_NS1_7vsmem_tEENKUlT_SI_SJ_SK_E_clISE_PiSF_SF_EESH_SX_SI_SJ_SK_EUlSX_E1_NS1_11comp_targetILNS1_3genE4ELNS1_11target_archE910ELNS1_3gpuE8ELNS1_3repE0EEENS1_36merge_oddeven_config_static_selectorELNS0_4arch9wavefront6targetE1EEEvSJ_.has_dyn_sized_stack, 0
	.set _ZN7rocprim17ROCPRIM_400000_NS6detail17trampoline_kernelINS0_14default_configENS1_38merge_sort_block_merge_config_selectorIiNS0_10empty_typeEEEZZNS1_27merge_sort_block_merge_implIS3_N6thrust23THRUST_200600_302600_NS6detail15normal_iteratorINS9_10device_ptrIiEEEEPS5_m17evens_before_oddsEE10hipError_tT0_T1_T2_jT3_P12ihipStream_tbPNSt15iterator_traitsISI_E10value_typeEPNSO_ISJ_E10value_typeEPSK_NS1_7vsmem_tEENKUlT_SI_SJ_SK_E_clISE_PiSF_SF_EESH_SX_SI_SJ_SK_EUlSX_E1_NS1_11comp_targetILNS1_3genE4ELNS1_11target_archE910ELNS1_3gpuE8ELNS1_3repE0EEENS1_36merge_oddeven_config_static_selectorELNS0_4arch9wavefront6targetE1EEEvSJ_.has_recursion, 0
	.set _ZN7rocprim17ROCPRIM_400000_NS6detail17trampoline_kernelINS0_14default_configENS1_38merge_sort_block_merge_config_selectorIiNS0_10empty_typeEEEZZNS1_27merge_sort_block_merge_implIS3_N6thrust23THRUST_200600_302600_NS6detail15normal_iteratorINS9_10device_ptrIiEEEEPS5_m17evens_before_oddsEE10hipError_tT0_T1_T2_jT3_P12ihipStream_tbPNSt15iterator_traitsISI_E10value_typeEPNSO_ISJ_E10value_typeEPSK_NS1_7vsmem_tEENKUlT_SI_SJ_SK_E_clISE_PiSF_SF_EESH_SX_SI_SJ_SK_EUlSX_E1_NS1_11comp_targetILNS1_3genE4ELNS1_11target_archE910ELNS1_3gpuE8ELNS1_3repE0EEENS1_36merge_oddeven_config_static_selectorELNS0_4arch9wavefront6targetE1EEEvSJ_.has_indirect_call, 0
	.section	.AMDGPU.csdata,"",@progbits
; Kernel info:
; codeLenInByte = 0
; TotalNumSgprs: 6
; NumVgprs: 0
; NumAgprs: 0
; TotalNumVgprs: 0
; ScratchSize: 0
; MemoryBound: 0
; FloatMode: 240
; IeeeMode: 1
; LDSByteSize: 0 bytes/workgroup (compile time only)
; SGPRBlocks: 0
; VGPRBlocks: 0
; NumSGPRsForWavesPerEU: 6
; NumVGPRsForWavesPerEU: 1
; AccumOffset: 4
; Occupancy: 8
; WaveLimiterHint : 0
; COMPUTE_PGM_RSRC2:SCRATCH_EN: 0
; COMPUTE_PGM_RSRC2:USER_SGPR: 2
; COMPUTE_PGM_RSRC2:TRAP_HANDLER: 0
; COMPUTE_PGM_RSRC2:TGID_X_EN: 1
; COMPUTE_PGM_RSRC2:TGID_Y_EN: 0
; COMPUTE_PGM_RSRC2:TGID_Z_EN: 0
; COMPUTE_PGM_RSRC2:TIDIG_COMP_CNT: 0
; COMPUTE_PGM_RSRC3_GFX90A:ACCUM_OFFSET: 0
; COMPUTE_PGM_RSRC3_GFX90A:TG_SPLIT: 0
	.section	.text._ZN7rocprim17ROCPRIM_400000_NS6detail17trampoline_kernelINS0_14default_configENS1_38merge_sort_block_merge_config_selectorIiNS0_10empty_typeEEEZZNS1_27merge_sort_block_merge_implIS3_N6thrust23THRUST_200600_302600_NS6detail15normal_iteratorINS9_10device_ptrIiEEEEPS5_m17evens_before_oddsEE10hipError_tT0_T1_T2_jT3_P12ihipStream_tbPNSt15iterator_traitsISI_E10value_typeEPNSO_ISJ_E10value_typeEPSK_NS1_7vsmem_tEENKUlT_SI_SJ_SK_E_clISE_PiSF_SF_EESH_SX_SI_SJ_SK_EUlSX_E1_NS1_11comp_targetILNS1_3genE3ELNS1_11target_archE908ELNS1_3gpuE7ELNS1_3repE0EEENS1_36merge_oddeven_config_static_selectorELNS0_4arch9wavefront6targetE1EEEvSJ_,"axG",@progbits,_ZN7rocprim17ROCPRIM_400000_NS6detail17trampoline_kernelINS0_14default_configENS1_38merge_sort_block_merge_config_selectorIiNS0_10empty_typeEEEZZNS1_27merge_sort_block_merge_implIS3_N6thrust23THRUST_200600_302600_NS6detail15normal_iteratorINS9_10device_ptrIiEEEEPS5_m17evens_before_oddsEE10hipError_tT0_T1_T2_jT3_P12ihipStream_tbPNSt15iterator_traitsISI_E10value_typeEPNSO_ISJ_E10value_typeEPSK_NS1_7vsmem_tEENKUlT_SI_SJ_SK_E_clISE_PiSF_SF_EESH_SX_SI_SJ_SK_EUlSX_E1_NS1_11comp_targetILNS1_3genE3ELNS1_11target_archE908ELNS1_3gpuE7ELNS1_3repE0EEENS1_36merge_oddeven_config_static_selectorELNS0_4arch9wavefront6targetE1EEEvSJ_,comdat
	.protected	_ZN7rocprim17ROCPRIM_400000_NS6detail17trampoline_kernelINS0_14default_configENS1_38merge_sort_block_merge_config_selectorIiNS0_10empty_typeEEEZZNS1_27merge_sort_block_merge_implIS3_N6thrust23THRUST_200600_302600_NS6detail15normal_iteratorINS9_10device_ptrIiEEEEPS5_m17evens_before_oddsEE10hipError_tT0_T1_T2_jT3_P12ihipStream_tbPNSt15iterator_traitsISI_E10value_typeEPNSO_ISJ_E10value_typeEPSK_NS1_7vsmem_tEENKUlT_SI_SJ_SK_E_clISE_PiSF_SF_EESH_SX_SI_SJ_SK_EUlSX_E1_NS1_11comp_targetILNS1_3genE3ELNS1_11target_archE908ELNS1_3gpuE7ELNS1_3repE0EEENS1_36merge_oddeven_config_static_selectorELNS0_4arch9wavefront6targetE1EEEvSJ_ ; -- Begin function _ZN7rocprim17ROCPRIM_400000_NS6detail17trampoline_kernelINS0_14default_configENS1_38merge_sort_block_merge_config_selectorIiNS0_10empty_typeEEEZZNS1_27merge_sort_block_merge_implIS3_N6thrust23THRUST_200600_302600_NS6detail15normal_iteratorINS9_10device_ptrIiEEEEPS5_m17evens_before_oddsEE10hipError_tT0_T1_T2_jT3_P12ihipStream_tbPNSt15iterator_traitsISI_E10value_typeEPNSO_ISJ_E10value_typeEPSK_NS1_7vsmem_tEENKUlT_SI_SJ_SK_E_clISE_PiSF_SF_EESH_SX_SI_SJ_SK_EUlSX_E1_NS1_11comp_targetILNS1_3genE3ELNS1_11target_archE908ELNS1_3gpuE7ELNS1_3repE0EEENS1_36merge_oddeven_config_static_selectorELNS0_4arch9wavefront6targetE1EEEvSJ_
	.globl	_ZN7rocprim17ROCPRIM_400000_NS6detail17trampoline_kernelINS0_14default_configENS1_38merge_sort_block_merge_config_selectorIiNS0_10empty_typeEEEZZNS1_27merge_sort_block_merge_implIS3_N6thrust23THRUST_200600_302600_NS6detail15normal_iteratorINS9_10device_ptrIiEEEEPS5_m17evens_before_oddsEE10hipError_tT0_T1_T2_jT3_P12ihipStream_tbPNSt15iterator_traitsISI_E10value_typeEPNSO_ISJ_E10value_typeEPSK_NS1_7vsmem_tEENKUlT_SI_SJ_SK_E_clISE_PiSF_SF_EESH_SX_SI_SJ_SK_EUlSX_E1_NS1_11comp_targetILNS1_3genE3ELNS1_11target_archE908ELNS1_3gpuE7ELNS1_3repE0EEENS1_36merge_oddeven_config_static_selectorELNS0_4arch9wavefront6targetE1EEEvSJ_
	.p2align	8
	.type	_ZN7rocprim17ROCPRIM_400000_NS6detail17trampoline_kernelINS0_14default_configENS1_38merge_sort_block_merge_config_selectorIiNS0_10empty_typeEEEZZNS1_27merge_sort_block_merge_implIS3_N6thrust23THRUST_200600_302600_NS6detail15normal_iteratorINS9_10device_ptrIiEEEEPS5_m17evens_before_oddsEE10hipError_tT0_T1_T2_jT3_P12ihipStream_tbPNSt15iterator_traitsISI_E10value_typeEPNSO_ISJ_E10value_typeEPSK_NS1_7vsmem_tEENKUlT_SI_SJ_SK_E_clISE_PiSF_SF_EESH_SX_SI_SJ_SK_EUlSX_E1_NS1_11comp_targetILNS1_3genE3ELNS1_11target_archE908ELNS1_3gpuE7ELNS1_3repE0EEENS1_36merge_oddeven_config_static_selectorELNS0_4arch9wavefront6targetE1EEEvSJ_,@function
_ZN7rocprim17ROCPRIM_400000_NS6detail17trampoline_kernelINS0_14default_configENS1_38merge_sort_block_merge_config_selectorIiNS0_10empty_typeEEEZZNS1_27merge_sort_block_merge_implIS3_N6thrust23THRUST_200600_302600_NS6detail15normal_iteratorINS9_10device_ptrIiEEEEPS5_m17evens_before_oddsEE10hipError_tT0_T1_T2_jT3_P12ihipStream_tbPNSt15iterator_traitsISI_E10value_typeEPNSO_ISJ_E10value_typeEPSK_NS1_7vsmem_tEENKUlT_SI_SJ_SK_E_clISE_PiSF_SF_EESH_SX_SI_SJ_SK_EUlSX_E1_NS1_11comp_targetILNS1_3genE3ELNS1_11target_archE908ELNS1_3gpuE7ELNS1_3repE0EEENS1_36merge_oddeven_config_static_selectorELNS0_4arch9wavefront6targetE1EEEvSJ_: ; @_ZN7rocprim17ROCPRIM_400000_NS6detail17trampoline_kernelINS0_14default_configENS1_38merge_sort_block_merge_config_selectorIiNS0_10empty_typeEEEZZNS1_27merge_sort_block_merge_implIS3_N6thrust23THRUST_200600_302600_NS6detail15normal_iteratorINS9_10device_ptrIiEEEEPS5_m17evens_before_oddsEE10hipError_tT0_T1_T2_jT3_P12ihipStream_tbPNSt15iterator_traitsISI_E10value_typeEPNSO_ISJ_E10value_typeEPSK_NS1_7vsmem_tEENKUlT_SI_SJ_SK_E_clISE_PiSF_SF_EESH_SX_SI_SJ_SK_EUlSX_E1_NS1_11comp_targetILNS1_3genE3ELNS1_11target_archE908ELNS1_3gpuE7ELNS1_3repE0EEENS1_36merge_oddeven_config_static_selectorELNS0_4arch9wavefront6targetE1EEEvSJ_
; %bb.0:
	.section	.rodata,"a",@progbits
	.p2align	6, 0x0
	.amdhsa_kernel _ZN7rocprim17ROCPRIM_400000_NS6detail17trampoline_kernelINS0_14default_configENS1_38merge_sort_block_merge_config_selectorIiNS0_10empty_typeEEEZZNS1_27merge_sort_block_merge_implIS3_N6thrust23THRUST_200600_302600_NS6detail15normal_iteratorINS9_10device_ptrIiEEEEPS5_m17evens_before_oddsEE10hipError_tT0_T1_T2_jT3_P12ihipStream_tbPNSt15iterator_traitsISI_E10value_typeEPNSO_ISJ_E10value_typeEPSK_NS1_7vsmem_tEENKUlT_SI_SJ_SK_E_clISE_PiSF_SF_EESH_SX_SI_SJ_SK_EUlSX_E1_NS1_11comp_targetILNS1_3genE3ELNS1_11target_archE908ELNS1_3gpuE7ELNS1_3repE0EEENS1_36merge_oddeven_config_static_selectorELNS0_4arch9wavefront6targetE1EEEvSJ_
		.amdhsa_group_segment_fixed_size 0
		.amdhsa_private_segment_fixed_size 0
		.amdhsa_kernarg_size 56
		.amdhsa_user_sgpr_count 2
		.amdhsa_user_sgpr_dispatch_ptr 0
		.amdhsa_user_sgpr_queue_ptr 0
		.amdhsa_user_sgpr_kernarg_segment_ptr 1
		.amdhsa_user_sgpr_dispatch_id 0
		.amdhsa_user_sgpr_kernarg_preload_length 0
		.amdhsa_user_sgpr_kernarg_preload_offset 0
		.amdhsa_user_sgpr_private_segment_size 0
		.amdhsa_uses_dynamic_stack 0
		.amdhsa_enable_private_segment 0
		.amdhsa_system_sgpr_workgroup_id_x 1
		.amdhsa_system_sgpr_workgroup_id_y 0
		.amdhsa_system_sgpr_workgroup_id_z 0
		.amdhsa_system_sgpr_workgroup_info 0
		.amdhsa_system_vgpr_workitem_id 0
		.amdhsa_next_free_vgpr 1
		.amdhsa_next_free_sgpr 0
		.amdhsa_accum_offset 4
		.amdhsa_reserve_vcc 0
		.amdhsa_float_round_mode_32 0
		.amdhsa_float_round_mode_16_64 0
		.amdhsa_float_denorm_mode_32 3
		.amdhsa_float_denorm_mode_16_64 3
		.amdhsa_dx10_clamp 1
		.amdhsa_ieee_mode 1
		.amdhsa_fp16_overflow 0
		.amdhsa_tg_split 0
		.amdhsa_exception_fp_ieee_invalid_op 0
		.amdhsa_exception_fp_denorm_src 0
		.amdhsa_exception_fp_ieee_div_zero 0
		.amdhsa_exception_fp_ieee_overflow 0
		.amdhsa_exception_fp_ieee_underflow 0
		.amdhsa_exception_fp_ieee_inexact 0
		.amdhsa_exception_int_div_zero 0
	.end_amdhsa_kernel
	.section	.text._ZN7rocprim17ROCPRIM_400000_NS6detail17trampoline_kernelINS0_14default_configENS1_38merge_sort_block_merge_config_selectorIiNS0_10empty_typeEEEZZNS1_27merge_sort_block_merge_implIS3_N6thrust23THRUST_200600_302600_NS6detail15normal_iteratorINS9_10device_ptrIiEEEEPS5_m17evens_before_oddsEE10hipError_tT0_T1_T2_jT3_P12ihipStream_tbPNSt15iterator_traitsISI_E10value_typeEPNSO_ISJ_E10value_typeEPSK_NS1_7vsmem_tEENKUlT_SI_SJ_SK_E_clISE_PiSF_SF_EESH_SX_SI_SJ_SK_EUlSX_E1_NS1_11comp_targetILNS1_3genE3ELNS1_11target_archE908ELNS1_3gpuE7ELNS1_3repE0EEENS1_36merge_oddeven_config_static_selectorELNS0_4arch9wavefront6targetE1EEEvSJ_,"axG",@progbits,_ZN7rocprim17ROCPRIM_400000_NS6detail17trampoline_kernelINS0_14default_configENS1_38merge_sort_block_merge_config_selectorIiNS0_10empty_typeEEEZZNS1_27merge_sort_block_merge_implIS3_N6thrust23THRUST_200600_302600_NS6detail15normal_iteratorINS9_10device_ptrIiEEEEPS5_m17evens_before_oddsEE10hipError_tT0_T1_T2_jT3_P12ihipStream_tbPNSt15iterator_traitsISI_E10value_typeEPNSO_ISJ_E10value_typeEPSK_NS1_7vsmem_tEENKUlT_SI_SJ_SK_E_clISE_PiSF_SF_EESH_SX_SI_SJ_SK_EUlSX_E1_NS1_11comp_targetILNS1_3genE3ELNS1_11target_archE908ELNS1_3gpuE7ELNS1_3repE0EEENS1_36merge_oddeven_config_static_selectorELNS0_4arch9wavefront6targetE1EEEvSJ_,comdat
.Lfunc_end452:
	.size	_ZN7rocprim17ROCPRIM_400000_NS6detail17trampoline_kernelINS0_14default_configENS1_38merge_sort_block_merge_config_selectorIiNS0_10empty_typeEEEZZNS1_27merge_sort_block_merge_implIS3_N6thrust23THRUST_200600_302600_NS6detail15normal_iteratorINS9_10device_ptrIiEEEEPS5_m17evens_before_oddsEE10hipError_tT0_T1_T2_jT3_P12ihipStream_tbPNSt15iterator_traitsISI_E10value_typeEPNSO_ISJ_E10value_typeEPSK_NS1_7vsmem_tEENKUlT_SI_SJ_SK_E_clISE_PiSF_SF_EESH_SX_SI_SJ_SK_EUlSX_E1_NS1_11comp_targetILNS1_3genE3ELNS1_11target_archE908ELNS1_3gpuE7ELNS1_3repE0EEENS1_36merge_oddeven_config_static_selectorELNS0_4arch9wavefront6targetE1EEEvSJ_, .Lfunc_end452-_ZN7rocprim17ROCPRIM_400000_NS6detail17trampoline_kernelINS0_14default_configENS1_38merge_sort_block_merge_config_selectorIiNS0_10empty_typeEEEZZNS1_27merge_sort_block_merge_implIS3_N6thrust23THRUST_200600_302600_NS6detail15normal_iteratorINS9_10device_ptrIiEEEEPS5_m17evens_before_oddsEE10hipError_tT0_T1_T2_jT3_P12ihipStream_tbPNSt15iterator_traitsISI_E10value_typeEPNSO_ISJ_E10value_typeEPSK_NS1_7vsmem_tEENKUlT_SI_SJ_SK_E_clISE_PiSF_SF_EESH_SX_SI_SJ_SK_EUlSX_E1_NS1_11comp_targetILNS1_3genE3ELNS1_11target_archE908ELNS1_3gpuE7ELNS1_3repE0EEENS1_36merge_oddeven_config_static_selectorELNS0_4arch9wavefront6targetE1EEEvSJ_
                                        ; -- End function
	.set _ZN7rocprim17ROCPRIM_400000_NS6detail17trampoline_kernelINS0_14default_configENS1_38merge_sort_block_merge_config_selectorIiNS0_10empty_typeEEEZZNS1_27merge_sort_block_merge_implIS3_N6thrust23THRUST_200600_302600_NS6detail15normal_iteratorINS9_10device_ptrIiEEEEPS5_m17evens_before_oddsEE10hipError_tT0_T1_T2_jT3_P12ihipStream_tbPNSt15iterator_traitsISI_E10value_typeEPNSO_ISJ_E10value_typeEPSK_NS1_7vsmem_tEENKUlT_SI_SJ_SK_E_clISE_PiSF_SF_EESH_SX_SI_SJ_SK_EUlSX_E1_NS1_11comp_targetILNS1_3genE3ELNS1_11target_archE908ELNS1_3gpuE7ELNS1_3repE0EEENS1_36merge_oddeven_config_static_selectorELNS0_4arch9wavefront6targetE1EEEvSJ_.num_vgpr, 0
	.set _ZN7rocprim17ROCPRIM_400000_NS6detail17trampoline_kernelINS0_14default_configENS1_38merge_sort_block_merge_config_selectorIiNS0_10empty_typeEEEZZNS1_27merge_sort_block_merge_implIS3_N6thrust23THRUST_200600_302600_NS6detail15normal_iteratorINS9_10device_ptrIiEEEEPS5_m17evens_before_oddsEE10hipError_tT0_T1_T2_jT3_P12ihipStream_tbPNSt15iterator_traitsISI_E10value_typeEPNSO_ISJ_E10value_typeEPSK_NS1_7vsmem_tEENKUlT_SI_SJ_SK_E_clISE_PiSF_SF_EESH_SX_SI_SJ_SK_EUlSX_E1_NS1_11comp_targetILNS1_3genE3ELNS1_11target_archE908ELNS1_3gpuE7ELNS1_3repE0EEENS1_36merge_oddeven_config_static_selectorELNS0_4arch9wavefront6targetE1EEEvSJ_.num_agpr, 0
	.set _ZN7rocprim17ROCPRIM_400000_NS6detail17trampoline_kernelINS0_14default_configENS1_38merge_sort_block_merge_config_selectorIiNS0_10empty_typeEEEZZNS1_27merge_sort_block_merge_implIS3_N6thrust23THRUST_200600_302600_NS6detail15normal_iteratorINS9_10device_ptrIiEEEEPS5_m17evens_before_oddsEE10hipError_tT0_T1_T2_jT3_P12ihipStream_tbPNSt15iterator_traitsISI_E10value_typeEPNSO_ISJ_E10value_typeEPSK_NS1_7vsmem_tEENKUlT_SI_SJ_SK_E_clISE_PiSF_SF_EESH_SX_SI_SJ_SK_EUlSX_E1_NS1_11comp_targetILNS1_3genE3ELNS1_11target_archE908ELNS1_3gpuE7ELNS1_3repE0EEENS1_36merge_oddeven_config_static_selectorELNS0_4arch9wavefront6targetE1EEEvSJ_.numbered_sgpr, 0
	.set _ZN7rocprim17ROCPRIM_400000_NS6detail17trampoline_kernelINS0_14default_configENS1_38merge_sort_block_merge_config_selectorIiNS0_10empty_typeEEEZZNS1_27merge_sort_block_merge_implIS3_N6thrust23THRUST_200600_302600_NS6detail15normal_iteratorINS9_10device_ptrIiEEEEPS5_m17evens_before_oddsEE10hipError_tT0_T1_T2_jT3_P12ihipStream_tbPNSt15iterator_traitsISI_E10value_typeEPNSO_ISJ_E10value_typeEPSK_NS1_7vsmem_tEENKUlT_SI_SJ_SK_E_clISE_PiSF_SF_EESH_SX_SI_SJ_SK_EUlSX_E1_NS1_11comp_targetILNS1_3genE3ELNS1_11target_archE908ELNS1_3gpuE7ELNS1_3repE0EEENS1_36merge_oddeven_config_static_selectorELNS0_4arch9wavefront6targetE1EEEvSJ_.num_named_barrier, 0
	.set _ZN7rocprim17ROCPRIM_400000_NS6detail17trampoline_kernelINS0_14default_configENS1_38merge_sort_block_merge_config_selectorIiNS0_10empty_typeEEEZZNS1_27merge_sort_block_merge_implIS3_N6thrust23THRUST_200600_302600_NS6detail15normal_iteratorINS9_10device_ptrIiEEEEPS5_m17evens_before_oddsEE10hipError_tT0_T1_T2_jT3_P12ihipStream_tbPNSt15iterator_traitsISI_E10value_typeEPNSO_ISJ_E10value_typeEPSK_NS1_7vsmem_tEENKUlT_SI_SJ_SK_E_clISE_PiSF_SF_EESH_SX_SI_SJ_SK_EUlSX_E1_NS1_11comp_targetILNS1_3genE3ELNS1_11target_archE908ELNS1_3gpuE7ELNS1_3repE0EEENS1_36merge_oddeven_config_static_selectorELNS0_4arch9wavefront6targetE1EEEvSJ_.private_seg_size, 0
	.set _ZN7rocprim17ROCPRIM_400000_NS6detail17trampoline_kernelINS0_14default_configENS1_38merge_sort_block_merge_config_selectorIiNS0_10empty_typeEEEZZNS1_27merge_sort_block_merge_implIS3_N6thrust23THRUST_200600_302600_NS6detail15normal_iteratorINS9_10device_ptrIiEEEEPS5_m17evens_before_oddsEE10hipError_tT0_T1_T2_jT3_P12ihipStream_tbPNSt15iterator_traitsISI_E10value_typeEPNSO_ISJ_E10value_typeEPSK_NS1_7vsmem_tEENKUlT_SI_SJ_SK_E_clISE_PiSF_SF_EESH_SX_SI_SJ_SK_EUlSX_E1_NS1_11comp_targetILNS1_3genE3ELNS1_11target_archE908ELNS1_3gpuE7ELNS1_3repE0EEENS1_36merge_oddeven_config_static_selectorELNS0_4arch9wavefront6targetE1EEEvSJ_.uses_vcc, 0
	.set _ZN7rocprim17ROCPRIM_400000_NS6detail17trampoline_kernelINS0_14default_configENS1_38merge_sort_block_merge_config_selectorIiNS0_10empty_typeEEEZZNS1_27merge_sort_block_merge_implIS3_N6thrust23THRUST_200600_302600_NS6detail15normal_iteratorINS9_10device_ptrIiEEEEPS5_m17evens_before_oddsEE10hipError_tT0_T1_T2_jT3_P12ihipStream_tbPNSt15iterator_traitsISI_E10value_typeEPNSO_ISJ_E10value_typeEPSK_NS1_7vsmem_tEENKUlT_SI_SJ_SK_E_clISE_PiSF_SF_EESH_SX_SI_SJ_SK_EUlSX_E1_NS1_11comp_targetILNS1_3genE3ELNS1_11target_archE908ELNS1_3gpuE7ELNS1_3repE0EEENS1_36merge_oddeven_config_static_selectorELNS0_4arch9wavefront6targetE1EEEvSJ_.uses_flat_scratch, 0
	.set _ZN7rocprim17ROCPRIM_400000_NS6detail17trampoline_kernelINS0_14default_configENS1_38merge_sort_block_merge_config_selectorIiNS0_10empty_typeEEEZZNS1_27merge_sort_block_merge_implIS3_N6thrust23THRUST_200600_302600_NS6detail15normal_iteratorINS9_10device_ptrIiEEEEPS5_m17evens_before_oddsEE10hipError_tT0_T1_T2_jT3_P12ihipStream_tbPNSt15iterator_traitsISI_E10value_typeEPNSO_ISJ_E10value_typeEPSK_NS1_7vsmem_tEENKUlT_SI_SJ_SK_E_clISE_PiSF_SF_EESH_SX_SI_SJ_SK_EUlSX_E1_NS1_11comp_targetILNS1_3genE3ELNS1_11target_archE908ELNS1_3gpuE7ELNS1_3repE0EEENS1_36merge_oddeven_config_static_selectorELNS0_4arch9wavefront6targetE1EEEvSJ_.has_dyn_sized_stack, 0
	.set _ZN7rocprim17ROCPRIM_400000_NS6detail17trampoline_kernelINS0_14default_configENS1_38merge_sort_block_merge_config_selectorIiNS0_10empty_typeEEEZZNS1_27merge_sort_block_merge_implIS3_N6thrust23THRUST_200600_302600_NS6detail15normal_iteratorINS9_10device_ptrIiEEEEPS5_m17evens_before_oddsEE10hipError_tT0_T1_T2_jT3_P12ihipStream_tbPNSt15iterator_traitsISI_E10value_typeEPNSO_ISJ_E10value_typeEPSK_NS1_7vsmem_tEENKUlT_SI_SJ_SK_E_clISE_PiSF_SF_EESH_SX_SI_SJ_SK_EUlSX_E1_NS1_11comp_targetILNS1_3genE3ELNS1_11target_archE908ELNS1_3gpuE7ELNS1_3repE0EEENS1_36merge_oddeven_config_static_selectorELNS0_4arch9wavefront6targetE1EEEvSJ_.has_recursion, 0
	.set _ZN7rocprim17ROCPRIM_400000_NS6detail17trampoline_kernelINS0_14default_configENS1_38merge_sort_block_merge_config_selectorIiNS0_10empty_typeEEEZZNS1_27merge_sort_block_merge_implIS3_N6thrust23THRUST_200600_302600_NS6detail15normal_iteratorINS9_10device_ptrIiEEEEPS5_m17evens_before_oddsEE10hipError_tT0_T1_T2_jT3_P12ihipStream_tbPNSt15iterator_traitsISI_E10value_typeEPNSO_ISJ_E10value_typeEPSK_NS1_7vsmem_tEENKUlT_SI_SJ_SK_E_clISE_PiSF_SF_EESH_SX_SI_SJ_SK_EUlSX_E1_NS1_11comp_targetILNS1_3genE3ELNS1_11target_archE908ELNS1_3gpuE7ELNS1_3repE0EEENS1_36merge_oddeven_config_static_selectorELNS0_4arch9wavefront6targetE1EEEvSJ_.has_indirect_call, 0
	.section	.AMDGPU.csdata,"",@progbits
; Kernel info:
; codeLenInByte = 0
; TotalNumSgprs: 6
; NumVgprs: 0
; NumAgprs: 0
; TotalNumVgprs: 0
; ScratchSize: 0
; MemoryBound: 0
; FloatMode: 240
; IeeeMode: 1
; LDSByteSize: 0 bytes/workgroup (compile time only)
; SGPRBlocks: 0
; VGPRBlocks: 0
; NumSGPRsForWavesPerEU: 6
; NumVGPRsForWavesPerEU: 1
; AccumOffset: 4
; Occupancy: 8
; WaveLimiterHint : 0
; COMPUTE_PGM_RSRC2:SCRATCH_EN: 0
; COMPUTE_PGM_RSRC2:USER_SGPR: 2
; COMPUTE_PGM_RSRC2:TRAP_HANDLER: 0
; COMPUTE_PGM_RSRC2:TGID_X_EN: 1
; COMPUTE_PGM_RSRC2:TGID_Y_EN: 0
; COMPUTE_PGM_RSRC2:TGID_Z_EN: 0
; COMPUTE_PGM_RSRC2:TIDIG_COMP_CNT: 0
; COMPUTE_PGM_RSRC3_GFX90A:ACCUM_OFFSET: 0
; COMPUTE_PGM_RSRC3_GFX90A:TG_SPLIT: 0
	.section	.text._ZN7rocprim17ROCPRIM_400000_NS6detail17trampoline_kernelINS0_14default_configENS1_38merge_sort_block_merge_config_selectorIiNS0_10empty_typeEEEZZNS1_27merge_sort_block_merge_implIS3_N6thrust23THRUST_200600_302600_NS6detail15normal_iteratorINS9_10device_ptrIiEEEEPS5_m17evens_before_oddsEE10hipError_tT0_T1_T2_jT3_P12ihipStream_tbPNSt15iterator_traitsISI_E10value_typeEPNSO_ISJ_E10value_typeEPSK_NS1_7vsmem_tEENKUlT_SI_SJ_SK_E_clISE_PiSF_SF_EESH_SX_SI_SJ_SK_EUlSX_E1_NS1_11comp_targetILNS1_3genE2ELNS1_11target_archE906ELNS1_3gpuE6ELNS1_3repE0EEENS1_36merge_oddeven_config_static_selectorELNS0_4arch9wavefront6targetE1EEEvSJ_,"axG",@progbits,_ZN7rocprim17ROCPRIM_400000_NS6detail17trampoline_kernelINS0_14default_configENS1_38merge_sort_block_merge_config_selectorIiNS0_10empty_typeEEEZZNS1_27merge_sort_block_merge_implIS3_N6thrust23THRUST_200600_302600_NS6detail15normal_iteratorINS9_10device_ptrIiEEEEPS5_m17evens_before_oddsEE10hipError_tT0_T1_T2_jT3_P12ihipStream_tbPNSt15iterator_traitsISI_E10value_typeEPNSO_ISJ_E10value_typeEPSK_NS1_7vsmem_tEENKUlT_SI_SJ_SK_E_clISE_PiSF_SF_EESH_SX_SI_SJ_SK_EUlSX_E1_NS1_11comp_targetILNS1_3genE2ELNS1_11target_archE906ELNS1_3gpuE6ELNS1_3repE0EEENS1_36merge_oddeven_config_static_selectorELNS0_4arch9wavefront6targetE1EEEvSJ_,comdat
	.protected	_ZN7rocprim17ROCPRIM_400000_NS6detail17trampoline_kernelINS0_14default_configENS1_38merge_sort_block_merge_config_selectorIiNS0_10empty_typeEEEZZNS1_27merge_sort_block_merge_implIS3_N6thrust23THRUST_200600_302600_NS6detail15normal_iteratorINS9_10device_ptrIiEEEEPS5_m17evens_before_oddsEE10hipError_tT0_T1_T2_jT3_P12ihipStream_tbPNSt15iterator_traitsISI_E10value_typeEPNSO_ISJ_E10value_typeEPSK_NS1_7vsmem_tEENKUlT_SI_SJ_SK_E_clISE_PiSF_SF_EESH_SX_SI_SJ_SK_EUlSX_E1_NS1_11comp_targetILNS1_3genE2ELNS1_11target_archE906ELNS1_3gpuE6ELNS1_3repE0EEENS1_36merge_oddeven_config_static_selectorELNS0_4arch9wavefront6targetE1EEEvSJ_ ; -- Begin function _ZN7rocprim17ROCPRIM_400000_NS6detail17trampoline_kernelINS0_14default_configENS1_38merge_sort_block_merge_config_selectorIiNS0_10empty_typeEEEZZNS1_27merge_sort_block_merge_implIS3_N6thrust23THRUST_200600_302600_NS6detail15normal_iteratorINS9_10device_ptrIiEEEEPS5_m17evens_before_oddsEE10hipError_tT0_T1_T2_jT3_P12ihipStream_tbPNSt15iterator_traitsISI_E10value_typeEPNSO_ISJ_E10value_typeEPSK_NS1_7vsmem_tEENKUlT_SI_SJ_SK_E_clISE_PiSF_SF_EESH_SX_SI_SJ_SK_EUlSX_E1_NS1_11comp_targetILNS1_3genE2ELNS1_11target_archE906ELNS1_3gpuE6ELNS1_3repE0EEENS1_36merge_oddeven_config_static_selectorELNS0_4arch9wavefront6targetE1EEEvSJ_
	.globl	_ZN7rocprim17ROCPRIM_400000_NS6detail17trampoline_kernelINS0_14default_configENS1_38merge_sort_block_merge_config_selectorIiNS0_10empty_typeEEEZZNS1_27merge_sort_block_merge_implIS3_N6thrust23THRUST_200600_302600_NS6detail15normal_iteratorINS9_10device_ptrIiEEEEPS5_m17evens_before_oddsEE10hipError_tT0_T1_T2_jT3_P12ihipStream_tbPNSt15iterator_traitsISI_E10value_typeEPNSO_ISJ_E10value_typeEPSK_NS1_7vsmem_tEENKUlT_SI_SJ_SK_E_clISE_PiSF_SF_EESH_SX_SI_SJ_SK_EUlSX_E1_NS1_11comp_targetILNS1_3genE2ELNS1_11target_archE906ELNS1_3gpuE6ELNS1_3repE0EEENS1_36merge_oddeven_config_static_selectorELNS0_4arch9wavefront6targetE1EEEvSJ_
	.p2align	8
	.type	_ZN7rocprim17ROCPRIM_400000_NS6detail17trampoline_kernelINS0_14default_configENS1_38merge_sort_block_merge_config_selectorIiNS0_10empty_typeEEEZZNS1_27merge_sort_block_merge_implIS3_N6thrust23THRUST_200600_302600_NS6detail15normal_iteratorINS9_10device_ptrIiEEEEPS5_m17evens_before_oddsEE10hipError_tT0_T1_T2_jT3_P12ihipStream_tbPNSt15iterator_traitsISI_E10value_typeEPNSO_ISJ_E10value_typeEPSK_NS1_7vsmem_tEENKUlT_SI_SJ_SK_E_clISE_PiSF_SF_EESH_SX_SI_SJ_SK_EUlSX_E1_NS1_11comp_targetILNS1_3genE2ELNS1_11target_archE906ELNS1_3gpuE6ELNS1_3repE0EEENS1_36merge_oddeven_config_static_selectorELNS0_4arch9wavefront6targetE1EEEvSJ_,@function
_ZN7rocprim17ROCPRIM_400000_NS6detail17trampoline_kernelINS0_14default_configENS1_38merge_sort_block_merge_config_selectorIiNS0_10empty_typeEEEZZNS1_27merge_sort_block_merge_implIS3_N6thrust23THRUST_200600_302600_NS6detail15normal_iteratorINS9_10device_ptrIiEEEEPS5_m17evens_before_oddsEE10hipError_tT0_T1_T2_jT3_P12ihipStream_tbPNSt15iterator_traitsISI_E10value_typeEPNSO_ISJ_E10value_typeEPSK_NS1_7vsmem_tEENKUlT_SI_SJ_SK_E_clISE_PiSF_SF_EESH_SX_SI_SJ_SK_EUlSX_E1_NS1_11comp_targetILNS1_3genE2ELNS1_11target_archE906ELNS1_3gpuE6ELNS1_3repE0EEENS1_36merge_oddeven_config_static_selectorELNS0_4arch9wavefront6targetE1EEEvSJ_: ; @_ZN7rocprim17ROCPRIM_400000_NS6detail17trampoline_kernelINS0_14default_configENS1_38merge_sort_block_merge_config_selectorIiNS0_10empty_typeEEEZZNS1_27merge_sort_block_merge_implIS3_N6thrust23THRUST_200600_302600_NS6detail15normal_iteratorINS9_10device_ptrIiEEEEPS5_m17evens_before_oddsEE10hipError_tT0_T1_T2_jT3_P12ihipStream_tbPNSt15iterator_traitsISI_E10value_typeEPNSO_ISJ_E10value_typeEPSK_NS1_7vsmem_tEENKUlT_SI_SJ_SK_E_clISE_PiSF_SF_EESH_SX_SI_SJ_SK_EUlSX_E1_NS1_11comp_targetILNS1_3genE2ELNS1_11target_archE906ELNS1_3gpuE6ELNS1_3repE0EEENS1_36merge_oddeven_config_static_selectorELNS0_4arch9wavefront6targetE1EEEvSJ_
; %bb.0:
	.section	.rodata,"a",@progbits
	.p2align	6, 0x0
	.amdhsa_kernel _ZN7rocprim17ROCPRIM_400000_NS6detail17trampoline_kernelINS0_14default_configENS1_38merge_sort_block_merge_config_selectorIiNS0_10empty_typeEEEZZNS1_27merge_sort_block_merge_implIS3_N6thrust23THRUST_200600_302600_NS6detail15normal_iteratorINS9_10device_ptrIiEEEEPS5_m17evens_before_oddsEE10hipError_tT0_T1_T2_jT3_P12ihipStream_tbPNSt15iterator_traitsISI_E10value_typeEPNSO_ISJ_E10value_typeEPSK_NS1_7vsmem_tEENKUlT_SI_SJ_SK_E_clISE_PiSF_SF_EESH_SX_SI_SJ_SK_EUlSX_E1_NS1_11comp_targetILNS1_3genE2ELNS1_11target_archE906ELNS1_3gpuE6ELNS1_3repE0EEENS1_36merge_oddeven_config_static_selectorELNS0_4arch9wavefront6targetE1EEEvSJ_
		.amdhsa_group_segment_fixed_size 0
		.amdhsa_private_segment_fixed_size 0
		.amdhsa_kernarg_size 56
		.amdhsa_user_sgpr_count 2
		.amdhsa_user_sgpr_dispatch_ptr 0
		.amdhsa_user_sgpr_queue_ptr 0
		.amdhsa_user_sgpr_kernarg_segment_ptr 1
		.amdhsa_user_sgpr_dispatch_id 0
		.amdhsa_user_sgpr_kernarg_preload_length 0
		.amdhsa_user_sgpr_kernarg_preload_offset 0
		.amdhsa_user_sgpr_private_segment_size 0
		.amdhsa_uses_dynamic_stack 0
		.amdhsa_enable_private_segment 0
		.amdhsa_system_sgpr_workgroup_id_x 1
		.amdhsa_system_sgpr_workgroup_id_y 0
		.amdhsa_system_sgpr_workgroup_id_z 0
		.amdhsa_system_sgpr_workgroup_info 0
		.amdhsa_system_vgpr_workitem_id 0
		.amdhsa_next_free_vgpr 1
		.amdhsa_next_free_sgpr 0
		.amdhsa_accum_offset 4
		.amdhsa_reserve_vcc 0
		.amdhsa_float_round_mode_32 0
		.amdhsa_float_round_mode_16_64 0
		.amdhsa_float_denorm_mode_32 3
		.amdhsa_float_denorm_mode_16_64 3
		.amdhsa_dx10_clamp 1
		.amdhsa_ieee_mode 1
		.amdhsa_fp16_overflow 0
		.amdhsa_tg_split 0
		.amdhsa_exception_fp_ieee_invalid_op 0
		.amdhsa_exception_fp_denorm_src 0
		.amdhsa_exception_fp_ieee_div_zero 0
		.amdhsa_exception_fp_ieee_overflow 0
		.amdhsa_exception_fp_ieee_underflow 0
		.amdhsa_exception_fp_ieee_inexact 0
		.amdhsa_exception_int_div_zero 0
	.end_amdhsa_kernel
	.section	.text._ZN7rocprim17ROCPRIM_400000_NS6detail17trampoline_kernelINS0_14default_configENS1_38merge_sort_block_merge_config_selectorIiNS0_10empty_typeEEEZZNS1_27merge_sort_block_merge_implIS3_N6thrust23THRUST_200600_302600_NS6detail15normal_iteratorINS9_10device_ptrIiEEEEPS5_m17evens_before_oddsEE10hipError_tT0_T1_T2_jT3_P12ihipStream_tbPNSt15iterator_traitsISI_E10value_typeEPNSO_ISJ_E10value_typeEPSK_NS1_7vsmem_tEENKUlT_SI_SJ_SK_E_clISE_PiSF_SF_EESH_SX_SI_SJ_SK_EUlSX_E1_NS1_11comp_targetILNS1_3genE2ELNS1_11target_archE906ELNS1_3gpuE6ELNS1_3repE0EEENS1_36merge_oddeven_config_static_selectorELNS0_4arch9wavefront6targetE1EEEvSJ_,"axG",@progbits,_ZN7rocprim17ROCPRIM_400000_NS6detail17trampoline_kernelINS0_14default_configENS1_38merge_sort_block_merge_config_selectorIiNS0_10empty_typeEEEZZNS1_27merge_sort_block_merge_implIS3_N6thrust23THRUST_200600_302600_NS6detail15normal_iteratorINS9_10device_ptrIiEEEEPS5_m17evens_before_oddsEE10hipError_tT0_T1_T2_jT3_P12ihipStream_tbPNSt15iterator_traitsISI_E10value_typeEPNSO_ISJ_E10value_typeEPSK_NS1_7vsmem_tEENKUlT_SI_SJ_SK_E_clISE_PiSF_SF_EESH_SX_SI_SJ_SK_EUlSX_E1_NS1_11comp_targetILNS1_3genE2ELNS1_11target_archE906ELNS1_3gpuE6ELNS1_3repE0EEENS1_36merge_oddeven_config_static_selectorELNS0_4arch9wavefront6targetE1EEEvSJ_,comdat
.Lfunc_end453:
	.size	_ZN7rocprim17ROCPRIM_400000_NS6detail17trampoline_kernelINS0_14default_configENS1_38merge_sort_block_merge_config_selectorIiNS0_10empty_typeEEEZZNS1_27merge_sort_block_merge_implIS3_N6thrust23THRUST_200600_302600_NS6detail15normal_iteratorINS9_10device_ptrIiEEEEPS5_m17evens_before_oddsEE10hipError_tT0_T1_T2_jT3_P12ihipStream_tbPNSt15iterator_traitsISI_E10value_typeEPNSO_ISJ_E10value_typeEPSK_NS1_7vsmem_tEENKUlT_SI_SJ_SK_E_clISE_PiSF_SF_EESH_SX_SI_SJ_SK_EUlSX_E1_NS1_11comp_targetILNS1_3genE2ELNS1_11target_archE906ELNS1_3gpuE6ELNS1_3repE0EEENS1_36merge_oddeven_config_static_selectorELNS0_4arch9wavefront6targetE1EEEvSJ_, .Lfunc_end453-_ZN7rocprim17ROCPRIM_400000_NS6detail17trampoline_kernelINS0_14default_configENS1_38merge_sort_block_merge_config_selectorIiNS0_10empty_typeEEEZZNS1_27merge_sort_block_merge_implIS3_N6thrust23THRUST_200600_302600_NS6detail15normal_iteratorINS9_10device_ptrIiEEEEPS5_m17evens_before_oddsEE10hipError_tT0_T1_T2_jT3_P12ihipStream_tbPNSt15iterator_traitsISI_E10value_typeEPNSO_ISJ_E10value_typeEPSK_NS1_7vsmem_tEENKUlT_SI_SJ_SK_E_clISE_PiSF_SF_EESH_SX_SI_SJ_SK_EUlSX_E1_NS1_11comp_targetILNS1_3genE2ELNS1_11target_archE906ELNS1_3gpuE6ELNS1_3repE0EEENS1_36merge_oddeven_config_static_selectorELNS0_4arch9wavefront6targetE1EEEvSJ_
                                        ; -- End function
	.set _ZN7rocprim17ROCPRIM_400000_NS6detail17trampoline_kernelINS0_14default_configENS1_38merge_sort_block_merge_config_selectorIiNS0_10empty_typeEEEZZNS1_27merge_sort_block_merge_implIS3_N6thrust23THRUST_200600_302600_NS6detail15normal_iteratorINS9_10device_ptrIiEEEEPS5_m17evens_before_oddsEE10hipError_tT0_T1_T2_jT3_P12ihipStream_tbPNSt15iterator_traitsISI_E10value_typeEPNSO_ISJ_E10value_typeEPSK_NS1_7vsmem_tEENKUlT_SI_SJ_SK_E_clISE_PiSF_SF_EESH_SX_SI_SJ_SK_EUlSX_E1_NS1_11comp_targetILNS1_3genE2ELNS1_11target_archE906ELNS1_3gpuE6ELNS1_3repE0EEENS1_36merge_oddeven_config_static_selectorELNS0_4arch9wavefront6targetE1EEEvSJ_.num_vgpr, 0
	.set _ZN7rocprim17ROCPRIM_400000_NS6detail17trampoline_kernelINS0_14default_configENS1_38merge_sort_block_merge_config_selectorIiNS0_10empty_typeEEEZZNS1_27merge_sort_block_merge_implIS3_N6thrust23THRUST_200600_302600_NS6detail15normal_iteratorINS9_10device_ptrIiEEEEPS5_m17evens_before_oddsEE10hipError_tT0_T1_T2_jT3_P12ihipStream_tbPNSt15iterator_traitsISI_E10value_typeEPNSO_ISJ_E10value_typeEPSK_NS1_7vsmem_tEENKUlT_SI_SJ_SK_E_clISE_PiSF_SF_EESH_SX_SI_SJ_SK_EUlSX_E1_NS1_11comp_targetILNS1_3genE2ELNS1_11target_archE906ELNS1_3gpuE6ELNS1_3repE0EEENS1_36merge_oddeven_config_static_selectorELNS0_4arch9wavefront6targetE1EEEvSJ_.num_agpr, 0
	.set _ZN7rocprim17ROCPRIM_400000_NS6detail17trampoline_kernelINS0_14default_configENS1_38merge_sort_block_merge_config_selectorIiNS0_10empty_typeEEEZZNS1_27merge_sort_block_merge_implIS3_N6thrust23THRUST_200600_302600_NS6detail15normal_iteratorINS9_10device_ptrIiEEEEPS5_m17evens_before_oddsEE10hipError_tT0_T1_T2_jT3_P12ihipStream_tbPNSt15iterator_traitsISI_E10value_typeEPNSO_ISJ_E10value_typeEPSK_NS1_7vsmem_tEENKUlT_SI_SJ_SK_E_clISE_PiSF_SF_EESH_SX_SI_SJ_SK_EUlSX_E1_NS1_11comp_targetILNS1_3genE2ELNS1_11target_archE906ELNS1_3gpuE6ELNS1_3repE0EEENS1_36merge_oddeven_config_static_selectorELNS0_4arch9wavefront6targetE1EEEvSJ_.numbered_sgpr, 0
	.set _ZN7rocprim17ROCPRIM_400000_NS6detail17trampoline_kernelINS0_14default_configENS1_38merge_sort_block_merge_config_selectorIiNS0_10empty_typeEEEZZNS1_27merge_sort_block_merge_implIS3_N6thrust23THRUST_200600_302600_NS6detail15normal_iteratorINS9_10device_ptrIiEEEEPS5_m17evens_before_oddsEE10hipError_tT0_T1_T2_jT3_P12ihipStream_tbPNSt15iterator_traitsISI_E10value_typeEPNSO_ISJ_E10value_typeEPSK_NS1_7vsmem_tEENKUlT_SI_SJ_SK_E_clISE_PiSF_SF_EESH_SX_SI_SJ_SK_EUlSX_E1_NS1_11comp_targetILNS1_3genE2ELNS1_11target_archE906ELNS1_3gpuE6ELNS1_3repE0EEENS1_36merge_oddeven_config_static_selectorELNS0_4arch9wavefront6targetE1EEEvSJ_.num_named_barrier, 0
	.set _ZN7rocprim17ROCPRIM_400000_NS6detail17trampoline_kernelINS0_14default_configENS1_38merge_sort_block_merge_config_selectorIiNS0_10empty_typeEEEZZNS1_27merge_sort_block_merge_implIS3_N6thrust23THRUST_200600_302600_NS6detail15normal_iteratorINS9_10device_ptrIiEEEEPS5_m17evens_before_oddsEE10hipError_tT0_T1_T2_jT3_P12ihipStream_tbPNSt15iterator_traitsISI_E10value_typeEPNSO_ISJ_E10value_typeEPSK_NS1_7vsmem_tEENKUlT_SI_SJ_SK_E_clISE_PiSF_SF_EESH_SX_SI_SJ_SK_EUlSX_E1_NS1_11comp_targetILNS1_3genE2ELNS1_11target_archE906ELNS1_3gpuE6ELNS1_3repE0EEENS1_36merge_oddeven_config_static_selectorELNS0_4arch9wavefront6targetE1EEEvSJ_.private_seg_size, 0
	.set _ZN7rocprim17ROCPRIM_400000_NS6detail17trampoline_kernelINS0_14default_configENS1_38merge_sort_block_merge_config_selectorIiNS0_10empty_typeEEEZZNS1_27merge_sort_block_merge_implIS3_N6thrust23THRUST_200600_302600_NS6detail15normal_iteratorINS9_10device_ptrIiEEEEPS5_m17evens_before_oddsEE10hipError_tT0_T1_T2_jT3_P12ihipStream_tbPNSt15iterator_traitsISI_E10value_typeEPNSO_ISJ_E10value_typeEPSK_NS1_7vsmem_tEENKUlT_SI_SJ_SK_E_clISE_PiSF_SF_EESH_SX_SI_SJ_SK_EUlSX_E1_NS1_11comp_targetILNS1_3genE2ELNS1_11target_archE906ELNS1_3gpuE6ELNS1_3repE0EEENS1_36merge_oddeven_config_static_selectorELNS0_4arch9wavefront6targetE1EEEvSJ_.uses_vcc, 0
	.set _ZN7rocprim17ROCPRIM_400000_NS6detail17trampoline_kernelINS0_14default_configENS1_38merge_sort_block_merge_config_selectorIiNS0_10empty_typeEEEZZNS1_27merge_sort_block_merge_implIS3_N6thrust23THRUST_200600_302600_NS6detail15normal_iteratorINS9_10device_ptrIiEEEEPS5_m17evens_before_oddsEE10hipError_tT0_T1_T2_jT3_P12ihipStream_tbPNSt15iterator_traitsISI_E10value_typeEPNSO_ISJ_E10value_typeEPSK_NS1_7vsmem_tEENKUlT_SI_SJ_SK_E_clISE_PiSF_SF_EESH_SX_SI_SJ_SK_EUlSX_E1_NS1_11comp_targetILNS1_3genE2ELNS1_11target_archE906ELNS1_3gpuE6ELNS1_3repE0EEENS1_36merge_oddeven_config_static_selectorELNS0_4arch9wavefront6targetE1EEEvSJ_.uses_flat_scratch, 0
	.set _ZN7rocprim17ROCPRIM_400000_NS6detail17trampoline_kernelINS0_14default_configENS1_38merge_sort_block_merge_config_selectorIiNS0_10empty_typeEEEZZNS1_27merge_sort_block_merge_implIS3_N6thrust23THRUST_200600_302600_NS6detail15normal_iteratorINS9_10device_ptrIiEEEEPS5_m17evens_before_oddsEE10hipError_tT0_T1_T2_jT3_P12ihipStream_tbPNSt15iterator_traitsISI_E10value_typeEPNSO_ISJ_E10value_typeEPSK_NS1_7vsmem_tEENKUlT_SI_SJ_SK_E_clISE_PiSF_SF_EESH_SX_SI_SJ_SK_EUlSX_E1_NS1_11comp_targetILNS1_3genE2ELNS1_11target_archE906ELNS1_3gpuE6ELNS1_3repE0EEENS1_36merge_oddeven_config_static_selectorELNS0_4arch9wavefront6targetE1EEEvSJ_.has_dyn_sized_stack, 0
	.set _ZN7rocprim17ROCPRIM_400000_NS6detail17trampoline_kernelINS0_14default_configENS1_38merge_sort_block_merge_config_selectorIiNS0_10empty_typeEEEZZNS1_27merge_sort_block_merge_implIS3_N6thrust23THRUST_200600_302600_NS6detail15normal_iteratorINS9_10device_ptrIiEEEEPS5_m17evens_before_oddsEE10hipError_tT0_T1_T2_jT3_P12ihipStream_tbPNSt15iterator_traitsISI_E10value_typeEPNSO_ISJ_E10value_typeEPSK_NS1_7vsmem_tEENKUlT_SI_SJ_SK_E_clISE_PiSF_SF_EESH_SX_SI_SJ_SK_EUlSX_E1_NS1_11comp_targetILNS1_3genE2ELNS1_11target_archE906ELNS1_3gpuE6ELNS1_3repE0EEENS1_36merge_oddeven_config_static_selectorELNS0_4arch9wavefront6targetE1EEEvSJ_.has_recursion, 0
	.set _ZN7rocprim17ROCPRIM_400000_NS6detail17trampoline_kernelINS0_14default_configENS1_38merge_sort_block_merge_config_selectorIiNS0_10empty_typeEEEZZNS1_27merge_sort_block_merge_implIS3_N6thrust23THRUST_200600_302600_NS6detail15normal_iteratorINS9_10device_ptrIiEEEEPS5_m17evens_before_oddsEE10hipError_tT0_T1_T2_jT3_P12ihipStream_tbPNSt15iterator_traitsISI_E10value_typeEPNSO_ISJ_E10value_typeEPSK_NS1_7vsmem_tEENKUlT_SI_SJ_SK_E_clISE_PiSF_SF_EESH_SX_SI_SJ_SK_EUlSX_E1_NS1_11comp_targetILNS1_3genE2ELNS1_11target_archE906ELNS1_3gpuE6ELNS1_3repE0EEENS1_36merge_oddeven_config_static_selectorELNS0_4arch9wavefront6targetE1EEEvSJ_.has_indirect_call, 0
	.section	.AMDGPU.csdata,"",@progbits
; Kernel info:
; codeLenInByte = 0
; TotalNumSgprs: 6
; NumVgprs: 0
; NumAgprs: 0
; TotalNumVgprs: 0
; ScratchSize: 0
; MemoryBound: 0
; FloatMode: 240
; IeeeMode: 1
; LDSByteSize: 0 bytes/workgroup (compile time only)
; SGPRBlocks: 0
; VGPRBlocks: 0
; NumSGPRsForWavesPerEU: 6
; NumVGPRsForWavesPerEU: 1
; AccumOffset: 4
; Occupancy: 8
; WaveLimiterHint : 0
; COMPUTE_PGM_RSRC2:SCRATCH_EN: 0
; COMPUTE_PGM_RSRC2:USER_SGPR: 2
; COMPUTE_PGM_RSRC2:TRAP_HANDLER: 0
; COMPUTE_PGM_RSRC2:TGID_X_EN: 1
; COMPUTE_PGM_RSRC2:TGID_Y_EN: 0
; COMPUTE_PGM_RSRC2:TGID_Z_EN: 0
; COMPUTE_PGM_RSRC2:TIDIG_COMP_CNT: 0
; COMPUTE_PGM_RSRC3_GFX90A:ACCUM_OFFSET: 0
; COMPUTE_PGM_RSRC3_GFX90A:TG_SPLIT: 0
	.section	.text._ZN7rocprim17ROCPRIM_400000_NS6detail17trampoline_kernelINS0_14default_configENS1_38merge_sort_block_merge_config_selectorIiNS0_10empty_typeEEEZZNS1_27merge_sort_block_merge_implIS3_N6thrust23THRUST_200600_302600_NS6detail15normal_iteratorINS9_10device_ptrIiEEEEPS5_m17evens_before_oddsEE10hipError_tT0_T1_T2_jT3_P12ihipStream_tbPNSt15iterator_traitsISI_E10value_typeEPNSO_ISJ_E10value_typeEPSK_NS1_7vsmem_tEENKUlT_SI_SJ_SK_E_clISE_PiSF_SF_EESH_SX_SI_SJ_SK_EUlSX_E1_NS1_11comp_targetILNS1_3genE9ELNS1_11target_archE1100ELNS1_3gpuE3ELNS1_3repE0EEENS1_36merge_oddeven_config_static_selectorELNS0_4arch9wavefront6targetE1EEEvSJ_,"axG",@progbits,_ZN7rocprim17ROCPRIM_400000_NS6detail17trampoline_kernelINS0_14default_configENS1_38merge_sort_block_merge_config_selectorIiNS0_10empty_typeEEEZZNS1_27merge_sort_block_merge_implIS3_N6thrust23THRUST_200600_302600_NS6detail15normal_iteratorINS9_10device_ptrIiEEEEPS5_m17evens_before_oddsEE10hipError_tT0_T1_T2_jT3_P12ihipStream_tbPNSt15iterator_traitsISI_E10value_typeEPNSO_ISJ_E10value_typeEPSK_NS1_7vsmem_tEENKUlT_SI_SJ_SK_E_clISE_PiSF_SF_EESH_SX_SI_SJ_SK_EUlSX_E1_NS1_11comp_targetILNS1_3genE9ELNS1_11target_archE1100ELNS1_3gpuE3ELNS1_3repE0EEENS1_36merge_oddeven_config_static_selectorELNS0_4arch9wavefront6targetE1EEEvSJ_,comdat
	.protected	_ZN7rocprim17ROCPRIM_400000_NS6detail17trampoline_kernelINS0_14default_configENS1_38merge_sort_block_merge_config_selectorIiNS0_10empty_typeEEEZZNS1_27merge_sort_block_merge_implIS3_N6thrust23THRUST_200600_302600_NS6detail15normal_iteratorINS9_10device_ptrIiEEEEPS5_m17evens_before_oddsEE10hipError_tT0_T1_T2_jT3_P12ihipStream_tbPNSt15iterator_traitsISI_E10value_typeEPNSO_ISJ_E10value_typeEPSK_NS1_7vsmem_tEENKUlT_SI_SJ_SK_E_clISE_PiSF_SF_EESH_SX_SI_SJ_SK_EUlSX_E1_NS1_11comp_targetILNS1_3genE9ELNS1_11target_archE1100ELNS1_3gpuE3ELNS1_3repE0EEENS1_36merge_oddeven_config_static_selectorELNS0_4arch9wavefront6targetE1EEEvSJ_ ; -- Begin function _ZN7rocprim17ROCPRIM_400000_NS6detail17trampoline_kernelINS0_14default_configENS1_38merge_sort_block_merge_config_selectorIiNS0_10empty_typeEEEZZNS1_27merge_sort_block_merge_implIS3_N6thrust23THRUST_200600_302600_NS6detail15normal_iteratorINS9_10device_ptrIiEEEEPS5_m17evens_before_oddsEE10hipError_tT0_T1_T2_jT3_P12ihipStream_tbPNSt15iterator_traitsISI_E10value_typeEPNSO_ISJ_E10value_typeEPSK_NS1_7vsmem_tEENKUlT_SI_SJ_SK_E_clISE_PiSF_SF_EESH_SX_SI_SJ_SK_EUlSX_E1_NS1_11comp_targetILNS1_3genE9ELNS1_11target_archE1100ELNS1_3gpuE3ELNS1_3repE0EEENS1_36merge_oddeven_config_static_selectorELNS0_4arch9wavefront6targetE1EEEvSJ_
	.globl	_ZN7rocprim17ROCPRIM_400000_NS6detail17trampoline_kernelINS0_14default_configENS1_38merge_sort_block_merge_config_selectorIiNS0_10empty_typeEEEZZNS1_27merge_sort_block_merge_implIS3_N6thrust23THRUST_200600_302600_NS6detail15normal_iteratorINS9_10device_ptrIiEEEEPS5_m17evens_before_oddsEE10hipError_tT0_T1_T2_jT3_P12ihipStream_tbPNSt15iterator_traitsISI_E10value_typeEPNSO_ISJ_E10value_typeEPSK_NS1_7vsmem_tEENKUlT_SI_SJ_SK_E_clISE_PiSF_SF_EESH_SX_SI_SJ_SK_EUlSX_E1_NS1_11comp_targetILNS1_3genE9ELNS1_11target_archE1100ELNS1_3gpuE3ELNS1_3repE0EEENS1_36merge_oddeven_config_static_selectorELNS0_4arch9wavefront6targetE1EEEvSJ_
	.p2align	8
	.type	_ZN7rocprim17ROCPRIM_400000_NS6detail17trampoline_kernelINS0_14default_configENS1_38merge_sort_block_merge_config_selectorIiNS0_10empty_typeEEEZZNS1_27merge_sort_block_merge_implIS3_N6thrust23THRUST_200600_302600_NS6detail15normal_iteratorINS9_10device_ptrIiEEEEPS5_m17evens_before_oddsEE10hipError_tT0_T1_T2_jT3_P12ihipStream_tbPNSt15iterator_traitsISI_E10value_typeEPNSO_ISJ_E10value_typeEPSK_NS1_7vsmem_tEENKUlT_SI_SJ_SK_E_clISE_PiSF_SF_EESH_SX_SI_SJ_SK_EUlSX_E1_NS1_11comp_targetILNS1_3genE9ELNS1_11target_archE1100ELNS1_3gpuE3ELNS1_3repE0EEENS1_36merge_oddeven_config_static_selectorELNS0_4arch9wavefront6targetE1EEEvSJ_,@function
_ZN7rocprim17ROCPRIM_400000_NS6detail17trampoline_kernelINS0_14default_configENS1_38merge_sort_block_merge_config_selectorIiNS0_10empty_typeEEEZZNS1_27merge_sort_block_merge_implIS3_N6thrust23THRUST_200600_302600_NS6detail15normal_iteratorINS9_10device_ptrIiEEEEPS5_m17evens_before_oddsEE10hipError_tT0_T1_T2_jT3_P12ihipStream_tbPNSt15iterator_traitsISI_E10value_typeEPNSO_ISJ_E10value_typeEPSK_NS1_7vsmem_tEENKUlT_SI_SJ_SK_E_clISE_PiSF_SF_EESH_SX_SI_SJ_SK_EUlSX_E1_NS1_11comp_targetILNS1_3genE9ELNS1_11target_archE1100ELNS1_3gpuE3ELNS1_3repE0EEENS1_36merge_oddeven_config_static_selectorELNS0_4arch9wavefront6targetE1EEEvSJ_: ; @_ZN7rocprim17ROCPRIM_400000_NS6detail17trampoline_kernelINS0_14default_configENS1_38merge_sort_block_merge_config_selectorIiNS0_10empty_typeEEEZZNS1_27merge_sort_block_merge_implIS3_N6thrust23THRUST_200600_302600_NS6detail15normal_iteratorINS9_10device_ptrIiEEEEPS5_m17evens_before_oddsEE10hipError_tT0_T1_T2_jT3_P12ihipStream_tbPNSt15iterator_traitsISI_E10value_typeEPNSO_ISJ_E10value_typeEPSK_NS1_7vsmem_tEENKUlT_SI_SJ_SK_E_clISE_PiSF_SF_EESH_SX_SI_SJ_SK_EUlSX_E1_NS1_11comp_targetILNS1_3genE9ELNS1_11target_archE1100ELNS1_3gpuE3ELNS1_3repE0EEENS1_36merge_oddeven_config_static_selectorELNS0_4arch9wavefront6targetE1EEEvSJ_
; %bb.0:
	.section	.rodata,"a",@progbits
	.p2align	6, 0x0
	.amdhsa_kernel _ZN7rocprim17ROCPRIM_400000_NS6detail17trampoline_kernelINS0_14default_configENS1_38merge_sort_block_merge_config_selectorIiNS0_10empty_typeEEEZZNS1_27merge_sort_block_merge_implIS3_N6thrust23THRUST_200600_302600_NS6detail15normal_iteratorINS9_10device_ptrIiEEEEPS5_m17evens_before_oddsEE10hipError_tT0_T1_T2_jT3_P12ihipStream_tbPNSt15iterator_traitsISI_E10value_typeEPNSO_ISJ_E10value_typeEPSK_NS1_7vsmem_tEENKUlT_SI_SJ_SK_E_clISE_PiSF_SF_EESH_SX_SI_SJ_SK_EUlSX_E1_NS1_11comp_targetILNS1_3genE9ELNS1_11target_archE1100ELNS1_3gpuE3ELNS1_3repE0EEENS1_36merge_oddeven_config_static_selectorELNS0_4arch9wavefront6targetE1EEEvSJ_
		.amdhsa_group_segment_fixed_size 0
		.amdhsa_private_segment_fixed_size 0
		.amdhsa_kernarg_size 56
		.amdhsa_user_sgpr_count 2
		.amdhsa_user_sgpr_dispatch_ptr 0
		.amdhsa_user_sgpr_queue_ptr 0
		.amdhsa_user_sgpr_kernarg_segment_ptr 1
		.amdhsa_user_sgpr_dispatch_id 0
		.amdhsa_user_sgpr_kernarg_preload_length 0
		.amdhsa_user_sgpr_kernarg_preload_offset 0
		.amdhsa_user_sgpr_private_segment_size 0
		.amdhsa_uses_dynamic_stack 0
		.amdhsa_enable_private_segment 0
		.amdhsa_system_sgpr_workgroup_id_x 1
		.amdhsa_system_sgpr_workgroup_id_y 0
		.amdhsa_system_sgpr_workgroup_id_z 0
		.amdhsa_system_sgpr_workgroup_info 0
		.amdhsa_system_vgpr_workitem_id 0
		.amdhsa_next_free_vgpr 1
		.amdhsa_next_free_sgpr 0
		.amdhsa_accum_offset 4
		.amdhsa_reserve_vcc 0
		.amdhsa_float_round_mode_32 0
		.amdhsa_float_round_mode_16_64 0
		.amdhsa_float_denorm_mode_32 3
		.amdhsa_float_denorm_mode_16_64 3
		.amdhsa_dx10_clamp 1
		.amdhsa_ieee_mode 1
		.amdhsa_fp16_overflow 0
		.amdhsa_tg_split 0
		.amdhsa_exception_fp_ieee_invalid_op 0
		.amdhsa_exception_fp_denorm_src 0
		.amdhsa_exception_fp_ieee_div_zero 0
		.amdhsa_exception_fp_ieee_overflow 0
		.amdhsa_exception_fp_ieee_underflow 0
		.amdhsa_exception_fp_ieee_inexact 0
		.amdhsa_exception_int_div_zero 0
	.end_amdhsa_kernel
	.section	.text._ZN7rocprim17ROCPRIM_400000_NS6detail17trampoline_kernelINS0_14default_configENS1_38merge_sort_block_merge_config_selectorIiNS0_10empty_typeEEEZZNS1_27merge_sort_block_merge_implIS3_N6thrust23THRUST_200600_302600_NS6detail15normal_iteratorINS9_10device_ptrIiEEEEPS5_m17evens_before_oddsEE10hipError_tT0_T1_T2_jT3_P12ihipStream_tbPNSt15iterator_traitsISI_E10value_typeEPNSO_ISJ_E10value_typeEPSK_NS1_7vsmem_tEENKUlT_SI_SJ_SK_E_clISE_PiSF_SF_EESH_SX_SI_SJ_SK_EUlSX_E1_NS1_11comp_targetILNS1_3genE9ELNS1_11target_archE1100ELNS1_3gpuE3ELNS1_3repE0EEENS1_36merge_oddeven_config_static_selectorELNS0_4arch9wavefront6targetE1EEEvSJ_,"axG",@progbits,_ZN7rocprim17ROCPRIM_400000_NS6detail17trampoline_kernelINS0_14default_configENS1_38merge_sort_block_merge_config_selectorIiNS0_10empty_typeEEEZZNS1_27merge_sort_block_merge_implIS3_N6thrust23THRUST_200600_302600_NS6detail15normal_iteratorINS9_10device_ptrIiEEEEPS5_m17evens_before_oddsEE10hipError_tT0_T1_T2_jT3_P12ihipStream_tbPNSt15iterator_traitsISI_E10value_typeEPNSO_ISJ_E10value_typeEPSK_NS1_7vsmem_tEENKUlT_SI_SJ_SK_E_clISE_PiSF_SF_EESH_SX_SI_SJ_SK_EUlSX_E1_NS1_11comp_targetILNS1_3genE9ELNS1_11target_archE1100ELNS1_3gpuE3ELNS1_3repE0EEENS1_36merge_oddeven_config_static_selectorELNS0_4arch9wavefront6targetE1EEEvSJ_,comdat
.Lfunc_end454:
	.size	_ZN7rocprim17ROCPRIM_400000_NS6detail17trampoline_kernelINS0_14default_configENS1_38merge_sort_block_merge_config_selectorIiNS0_10empty_typeEEEZZNS1_27merge_sort_block_merge_implIS3_N6thrust23THRUST_200600_302600_NS6detail15normal_iteratorINS9_10device_ptrIiEEEEPS5_m17evens_before_oddsEE10hipError_tT0_T1_T2_jT3_P12ihipStream_tbPNSt15iterator_traitsISI_E10value_typeEPNSO_ISJ_E10value_typeEPSK_NS1_7vsmem_tEENKUlT_SI_SJ_SK_E_clISE_PiSF_SF_EESH_SX_SI_SJ_SK_EUlSX_E1_NS1_11comp_targetILNS1_3genE9ELNS1_11target_archE1100ELNS1_3gpuE3ELNS1_3repE0EEENS1_36merge_oddeven_config_static_selectorELNS0_4arch9wavefront6targetE1EEEvSJ_, .Lfunc_end454-_ZN7rocprim17ROCPRIM_400000_NS6detail17trampoline_kernelINS0_14default_configENS1_38merge_sort_block_merge_config_selectorIiNS0_10empty_typeEEEZZNS1_27merge_sort_block_merge_implIS3_N6thrust23THRUST_200600_302600_NS6detail15normal_iteratorINS9_10device_ptrIiEEEEPS5_m17evens_before_oddsEE10hipError_tT0_T1_T2_jT3_P12ihipStream_tbPNSt15iterator_traitsISI_E10value_typeEPNSO_ISJ_E10value_typeEPSK_NS1_7vsmem_tEENKUlT_SI_SJ_SK_E_clISE_PiSF_SF_EESH_SX_SI_SJ_SK_EUlSX_E1_NS1_11comp_targetILNS1_3genE9ELNS1_11target_archE1100ELNS1_3gpuE3ELNS1_3repE0EEENS1_36merge_oddeven_config_static_selectorELNS0_4arch9wavefront6targetE1EEEvSJ_
                                        ; -- End function
	.set _ZN7rocprim17ROCPRIM_400000_NS6detail17trampoline_kernelINS0_14default_configENS1_38merge_sort_block_merge_config_selectorIiNS0_10empty_typeEEEZZNS1_27merge_sort_block_merge_implIS3_N6thrust23THRUST_200600_302600_NS6detail15normal_iteratorINS9_10device_ptrIiEEEEPS5_m17evens_before_oddsEE10hipError_tT0_T1_T2_jT3_P12ihipStream_tbPNSt15iterator_traitsISI_E10value_typeEPNSO_ISJ_E10value_typeEPSK_NS1_7vsmem_tEENKUlT_SI_SJ_SK_E_clISE_PiSF_SF_EESH_SX_SI_SJ_SK_EUlSX_E1_NS1_11comp_targetILNS1_3genE9ELNS1_11target_archE1100ELNS1_3gpuE3ELNS1_3repE0EEENS1_36merge_oddeven_config_static_selectorELNS0_4arch9wavefront6targetE1EEEvSJ_.num_vgpr, 0
	.set _ZN7rocprim17ROCPRIM_400000_NS6detail17trampoline_kernelINS0_14default_configENS1_38merge_sort_block_merge_config_selectorIiNS0_10empty_typeEEEZZNS1_27merge_sort_block_merge_implIS3_N6thrust23THRUST_200600_302600_NS6detail15normal_iteratorINS9_10device_ptrIiEEEEPS5_m17evens_before_oddsEE10hipError_tT0_T1_T2_jT3_P12ihipStream_tbPNSt15iterator_traitsISI_E10value_typeEPNSO_ISJ_E10value_typeEPSK_NS1_7vsmem_tEENKUlT_SI_SJ_SK_E_clISE_PiSF_SF_EESH_SX_SI_SJ_SK_EUlSX_E1_NS1_11comp_targetILNS1_3genE9ELNS1_11target_archE1100ELNS1_3gpuE3ELNS1_3repE0EEENS1_36merge_oddeven_config_static_selectorELNS0_4arch9wavefront6targetE1EEEvSJ_.num_agpr, 0
	.set _ZN7rocprim17ROCPRIM_400000_NS6detail17trampoline_kernelINS0_14default_configENS1_38merge_sort_block_merge_config_selectorIiNS0_10empty_typeEEEZZNS1_27merge_sort_block_merge_implIS3_N6thrust23THRUST_200600_302600_NS6detail15normal_iteratorINS9_10device_ptrIiEEEEPS5_m17evens_before_oddsEE10hipError_tT0_T1_T2_jT3_P12ihipStream_tbPNSt15iterator_traitsISI_E10value_typeEPNSO_ISJ_E10value_typeEPSK_NS1_7vsmem_tEENKUlT_SI_SJ_SK_E_clISE_PiSF_SF_EESH_SX_SI_SJ_SK_EUlSX_E1_NS1_11comp_targetILNS1_3genE9ELNS1_11target_archE1100ELNS1_3gpuE3ELNS1_3repE0EEENS1_36merge_oddeven_config_static_selectorELNS0_4arch9wavefront6targetE1EEEvSJ_.numbered_sgpr, 0
	.set _ZN7rocprim17ROCPRIM_400000_NS6detail17trampoline_kernelINS0_14default_configENS1_38merge_sort_block_merge_config_selectorIiNS0_10empty_typeEEEZZNS1_27merge_sort_block_merge_implIS3_N6thrust23THRUST_200600_302600_NS6detail15normal_iteratorINS9_10device_ptrIiEEEEPS5_m17evens_before_oddsEE10hipError_tT0_T1_T2_jT3_P12ihipStream_tbPNSt15iterator_traitsISI_E10value_typeEPNSO_ISJ_E10value_typeEPSK_NS1_7vsmem_tEENKUlT_SI_SJ_SK_E_clISE_PiSF_SF_EESH_SX_SI_SJ_SK_EUlSX_E1_NS1_11comp_targetILNS1_3genE9ELNS1_11target_archE1100ELNS1_3gpuE3ELNS1_3repE0EEENS1_36merge_oddeven_config_static_selectorELNS0_4arch9wavefront6targetE1EEEvSJ_.num_named_barrier, 0
	.set _ZN7rocprim17ROCPRIM_400000_NS6detail17trampoline_kernelINS0_14default_configENS1_38merge_sort_block_merge_config_selectorIiNS0_10empty_typeEEEZZNS1_27merge_sort_block_merge_implIS3_N6thrust23THRUST_200600_302600_NS6detail15normal_iteratorINS9_10device_ptrIiEEEEPS5_m17evens_before_oddsEE10hipError_tT0_T1_T2_jT3_P12ihipStream_tbPNSt15iterator_traitsISI_E10value_typeEPNSO_ISJ_E10value_typeEPSK_NS1_7vsmem_tEENKUlT_SI_SJ_SK_E_clISE_PiSF_SF_EESH_SX_SI_SJ_SK_EUlSX_E1_NS1_11comp_targetILNS1_3genE9ELNS1_11target_archE1100ELNS1_3gpuE3ELNS1_3repE0EEENS1_36merge_oddeven_config_static_selectorELNS0_4arch9wavefront6targetE1EEEvSJ_.private_seg_size, 0
	.set _ZN7rocprim17ROCPRIM_400000_NS6detail17trampoline_kernelINS0_14default_configENS1_38merge_sort_block_merge_config_selectorIiNS0_10empty_typeEEEZZNS1_27merge_sort_block_merge_implIS3_N6thrust23THRUST_200600_302600_NS6detail15normal_iteratorINS9_10device_ptrIiEEEEPS5_m17evens_before_oddsEE10hipError_tT0_T1_T2_jT3_P12ihipStream_tbPNSt15iterator_traitsISI_E10value_typeEPNSO_ISJ_E10value_typeEPSK_NS1_7vsmem_tEENKUlT_SI_SJ_SK_E_clISE_PiSF_SF_EESH_SX_SI_SJ_SK_EUlSX_E1_NS1_11comp_targetILNS1_3genE9ELNS1_11target_archE1100ELNS1_3gpuE3ELNS1_3repE0EEENS1_36merge_oddeven_config_static_selectorELNS0_4arch9wavefront6targetE1EEEvSJ_.uses_vcc, 0
	.set _ZN7rocprim17ROCPRIM_400000_NS6detail17trampoline_kernelINS0_14default_configENS1_38merge_sort_block_merge_config_selectorIiNS0_10empty_typeEEEZZNS1_27merge_sort_block_merge_implIS3_N6thrust23THRUST_200600_302600_NS6detail15normal_iteratorINS9_10device_ptrIiEEEEPS5_m17evens_before_oddsEE10hipError_tT0_T1_T2_jT3_P12ihipStream_tbPNSt15iterator_traitsISI_E10value_typeEPNSO_ISJ_E10value_typeEPSK_NS1_7vsmem_tEENKUlT_SI_SJ_SK_E_clISE_PiSF_SF_EESH_SX_SI_SJ_SK_EUlSX_E1_NS1_11comp_targetILNS1_3genE9ELNS1_11target_archE1100ELNS1_3gpuE3ELNS1_3repE0EEENS1_36merge_oddeven_config_static_selectorELNS0_4arch9wavefront6targetE1EEEvSJ_.uses_flat_scratch, 0
	.set _ZN7rocprim17ROCPRIM_400000_NS6detail17trampoline_kernelINS0_14default_configENS1_38merge_sort_block_merge_config_selectorIiNS0_10empty_typeEEEZZNS1_27merge_sort_block_merge_implIS3_N6thrust23THRUST_200600_302600_NS6detail15normal_iteratorINS9_10device_ptrIiEEEEPS5_m17evens_before_oddsEE10hipError_tT0_T1_T2_jT3_P12ihipStream_tbPNSt15iterator_traitsISI_E10value_typeEPNSO_ISJ_E10value_typeEPSK_NS1_7vsmem_tEENKUlT_SI_SJ_SK_E_clISE_PiSF_SF_EESH_SX_SI_SJ_SK_EUlSX_E1_NS1_11comp_targetILNS1_3genE9ELNS1_11target_archE1100ELNS1_3gpuE3ELNS1_3repE0EEENS1_36merge_oddeven_config_static_selectorELNS0_4arch9wavefront6targetE1EEEvSJ_.has_dyn_sized_stack, 0
	.set _ZN7rocprim17ROCPRIM_400000_NS6detail17trampoline_kernelINS0_14default_configENS1_38merge_sort_block_merge_config_selectorIiNS0_10empty_typeEEEZZNS1_27merge_sort_block_merge_implIS3_N6thrust23THRUST_200600_302600_NS6detail15normal_iteratorINS9_10device_ptrIiEEEEPS5_m17evens_before_oddsEE10hipError_tT0_T1_T2_jT3_P12ihipStream_tbPNSt15iterator_traitsISI_E10value_typeEPNSO_ISJ_E10value_typeEPSK_NS1_7vsmem_tEENKUlT_SI_SJ_SK_E_clISE_PiSF_SF_EESH_SX_SI_SJ_SK_EUlSX_E1_NS1_11comp_targetILNS1_3genE9ELNS1_11target_archE1100ELNS1_3gpuE3ELNS1_3repE0EEENS1_36merge_oddeven_config_static_selectorELNS0_4arch9wavefront6targetE1EEEvSJ_.has_recursion, 0
	.set _ZN7rocprim17ROCPRIM_400000_NS6detail17trampoline_kernelINS0_14default_configENS1_38merge_sort_block_merge_config_selectorIiNS0_10empty_typeEEEZZNS1_27merge_sort_block_merge_implIS3_N6thrust23THRUST_200600_302600_NS6detail15normal_iteratorINS9_10device_ptrIiEEEEPS5_m17evens_before_oddsEE10hipError_tT0_T1_T2_jT3_P12ihipStream_tbPNSt15iterator_traitsISI_E10value_typeEPNSO_ISJ_E10value_typeEPSK_NS1_7vsmem_tEENKUlT_SI_SJ_SK_E_clISE_PiSF_SF_EESH_SX_SI_SJ_SK_EUlSX_E1_NS1_11comp_targetILNS1_3genE9ELNS1_11target_archE1100ELNS1_3gpuE3ELNS1_3repE0EEENS1_36merge_oddeven_config_static_selectorELNS0_4arch9wavefront6targetE1EEEvSJ_.has_indirect_call, 0
	.section	.AMDGPU.csdata,"",@progbits
; Kernel info:
; codeLenInByte = 0
; TotalNumSgprs: 6
; NumVgprs: 0
; NumAgprs: 0
; TotalNumVgprs: 0
; ScratchSize: 0
; MemoryBound: 0
; FloatMode: 240
; IeeeMode: 1
; LDSByteSize: 0 bytes/workgroup (compile time only)
; SGPRBlocks: 0
; VGPRBlocks: 0
; NumSGPRsForWavesPerEU: 6
; NumVGPRsForWavesPerEU: 1
; AccumOffset: 4
; Occupancy: 8
; WaveLimiterHint : 0
; COMPUTE_PGM_RSRC2:SCRATCH_EN: 0
; COMPUTE_PGM_RSRC2:USER_SGPR: 2
; COMPUTE_PGM_RSRC2:TRAP_HANDLER: 0
; COMPUTE_PGM_RSRC2:TGID_X_EN: 1
; COMPUTE_PGM_RSRC2:TGID_Y_EN: 0
; COMPUTE_PGM_RSRC2:TGID_Z_EN: 0
; COMPUTE_PGM_RSRC2:TIDIG_COMP_CNT: 0
; COMPUTE_PGM_RSRC3_GFX90A:ACCUM_OFFSET: 0
; COMPUTE_PGM_RSRC3_GFX90A:TG_SPLIT: 0
	.section	.text._ZN7rocprim17ROCPRIM_400000_NS6detail17trampoline_kernelINS0_14default_configENS1_38merge_sort_block_merge_config_selectorIiNS0_10empty_typeEEEZZNS1_27merge_sort_block_merge_implIS3_N6thrust23THRUST_200600_302600_NS6detail15normal_iteratorINS9_10device_ptrIiEEEEPS5_m17evens_before_oddsEE10hipError_tT0_T1_T2_jT3_P12ihipStream_tbPNSt15iterator_traitsISI_E10value_typeEPNSO_ISJ_E10value_typeEPSK_NS1_7vsmem_tEENKUlT_SI_SJ_SK_E_clISE_PiSF_SF_EESH_SX_SI_SJ_SK_EUlSX_E1_NS1_11comp_targetILNS1_3genE8ELNS1_11target_archE1030ELNS1_3gpuE2ELNS1_3repE0EEENS1_36merge_oddeven_config_static_selectorELNS0_4arch9wavefront6targetE1EEEvSJ_,"axG",@progbits,_ZN7rocprim17ROCPRIM_400000_NS6detail17trampoline_kernelINS0_14default_configENS1_38merge_sort_block_merge_config_selectorIiNS0_10empty_typeEEEZZNS1_27merge_sort_block_merge_implIS3_N6thrust23THRUST_200600_302600_NS6detail15normal_iteratorINS9_10device_ptrIiEEEEPS5_m17evens_before_oddsEE10hipError_tT0_T1_T2_jT3_P12ihipStream_tbPNSt15iterator_traitsISI_E10value_typeEPNSO_ISJ_E10value_typeEPSK_NS1_7vsmem_tEENKUlT_SI_SJ_SK_E_clISE_PiSF_SF_EESH_SX_SI_SJ_SK_EUlSX_E1_NS1_11comp_targetILNS1_3genE8ELNS1_11target_archE1030ELNS1_3gpuE2ELNS1_3repE0EEENS1_36merge_oddeven_config_static_selectorELNS0_4arch9wavefront6targetE1EEEvSJ_,comdat
	.protected	_ZN7rocprim17ROCPRIM_400000_NS6detail17trampoline_kernelINS0_14default_configENS1_38merge_sort_block_merge_config_selectorIiNS0_10empty_typeEEEZZNS1_27merge_sort_block_merge_implIS3_N6thrust23THRUST_200600_302600_NS6detail15normal_iteratorINS9_10device_ptrIiEEEEPS5_m17evens_before_oddsEE10hipError_tT0_T1_T2_jT3_P12ihipStream_tbPNSt15iterator_traitsISI_E10value_typeEPNSO_ISJ_E10value_typeEPSK_NS1_7vsmem_tEENKUlT_SI_SJ_SK_E_clISE_PiSF_SF_EESH_SX_SI_SJ_SK_EUlSX_E1_NS1_11comp_targetILNS1_3genE8ELNS1_11target_archE1030ELNS1_3gpuE2ELNS1_3repE0EEENS1_36merge_oddeven_config_static_selectorELNS0_4arch9wavefront6targetE1EEEvSJ_ ; -- Begin function _ZN7rocprim17ROCPRIM_400000_NS6detail17trampoline_kernelINS0_14default_configENS1_38merge_sort_block_merge_config_selectorIiNS0_10empty_typeEEEZZNS1_27merge_sort_block_merge_implIS3_N6thrust23THRUST_200600_302600_NS6detail15normal_iteratorINS9_10device_ptrIiEEEEPS5_m17evens_before_oddsEE10hipError_tT0_T1_T2_jT3_P12ihipStream_tbPNSt15iterator_traitsISI_E10value_typeEPNSO_ISJ_E10value_typeEPSK_NS1_7vsmem_tEENKUlT_SI_SJ_SK_E_clISE_PiSF_SF_EESH_SX_SI_SJ_SK_EUlSX_E1_NS1_11comp_targetILNS1_3genE8ELNS1_11target_archE1030ELNS1_3gpuE2ELNS1_3repE0EEENS1_36merge_oddeven_config_static_selectorELNS0_4arch9wavefront6targetE1EEEvSJ_
	.globl	_ZN7rocprim17ROCPRIM_400000_NS6detail17trampoline_kernelINS0_14default_configENS1_38merge_sort_block_merge_config_selectorIiNS0_10empty_typeEEEZZNS1_27merge_sort_block_merge_implIS3_N6thrust23THRUST_200600_302600_NS6detail15normal_iteratorINS9_10device_ptrIiEEEEPS5_m17evens_before_oddsEE10hipError_tT0_T1_T2_jT3_P12ihipStream_tbPNSt15iterator_traitsISI_E10value_typeEPNSO_ISJ_E10value_typeEPSK_NS1_7vsmem_tEENKUlT_SI_SJ_SK_E_clISE_PiSF_SF_EESH_SX_SI_SJ_SK_EUlSX_E1_NS1_11comp_targetILNS1_3genE8ELNS1_11target_archE1030ELNS1_3gpuE2ELNS1_3repE0EEENS1_36merge_oddeven_config_static_selectorELNS0_4arch9wavefront6targetE1EEEvSJ_
	.p2align	8
	.type	_ZN7rocprim17ROCPRIM_400000_NS6detail17trampoline_kernelINS0_14default_configENS1_38merge_sort_block_merge_config_selectorIiNS0_10empty_typeEEEZZNS1_27merge_sort_block_merge_implIS3_N6thrust23THRUST_200600_302600_NS6detail15normal_iteratorINS9_10device_ptrIiEEEEPS5_m17evens_before_oddsEE10hipError_tT0_T1_T2_jT3_P12ihipStream_tbPNSt15iterator_traitsISI_E10value_typeEPNSO_ISJ_E10value_typeEPSK_NS1_7vsmem_tEENKUlT_SI_SJ_SK_E_clISE_PiSF_SF_EESH_SX_SI_SJ_SK_EUlSX_E1_NS1_11comp_targetILNS1_3genE8ELNS1_11target_archE1030ELNS1_3gpuE2ELNS1_3repE0EEENS1_36merge_oddeven_config_static_selectorELNS0_4arch9wavefront6targetE1EEEvSJ_,@function
_ZN7rocprim17ROCPRIM_400000_NS6detail17trampoline_kernelINS0_14default_configENS1_38merge_sort_block_merge_config_selectorIiNS0_10empty_typeEEEZZNS1_27merge_sort_block_merge_implIS3_N6thrust23THRUST_200600_302600_NS6detail15normal_iteratorINS9_10device_ptrIiEEEEPS5_m17evens_before_oddsEE10hipError_tT0_T1_T2_jT3_P12ihipStream_tbPNSt15iterator_traitsISI_E10value_typeEPNSO_ISJ_E10value_typeEPSK_NS1_7vsmem_tEENKUlT_SI_SJ_SK_E_clISE_PiSF_SF_EESH_SX_SI_SJ_SK_EUlSX_E1_NS1_11comp_targetILNS1_3genE8ELNS1_11target_archE1030ELNS1_3gpuE2ELNS1_3repE0EEENS1_36merge_oddeven_config_static_selectorELNS0_4arch9wavefront6targetE1EEEvSJ_: ; @_ZN7rocprim17ROCPRIM_400000_NS6detail17trampoline_kernelINS0_14default_configENS1_38merge_sort_block_merge_config_selectorIiNS0_10empty_typeEEEZZNS1_27merge_sort_block_merge_implIS3_N6thrust23THRUST_200600_302600_NS6detail15normal_iteratorINS9_10device_ptrIiEEEEPS5_m17evens_before_oddsEE10hipError_tT0_T1_T2_jT3_P12ihipStream_tbPNSt15iterator_traitsISI_E10value_typeEPNSO_ISJ_E10value_typeEPSK_NS1_7vsmem_tEENKUlT_SI_SJ_SK_E_clISE_PiSF_SF_EESH_SX_SI_SJ_SK_EUlSX_E1_NS1_11comp_targetILNS1_3genE8ELNS1_11target_archE1030ELNS1_3gpuE2ELNS1_3repE0EEENS1_36merge_oddeven_config_static_selectorELNS0_4arch9wavefront6targetE1EEEvSJ_
; %bb.0:
	.section	.rodata,"a",@progbits
	.p2align	6, 0x0
	.amdhsa_kernel _ZN7rocprim17ROCPRIM_400000_NS6detail17trampoline_kernelINS0_14default_configENS1_38merge_sort_block_merge_config_selectorIiNS0_10empty_typeEEEZZNS1_27merge_sort_block_merge_implIS3_N6thrust23THRUST_200600_302600_NS6detail15normal_iteratorINS9_10device_ptrIiEEEEPS5_m17evens_before_oddsEE10hipError_tT0_T1_T2_jT3_P12ihipStream_tbPNSt15iterator_traitsISI_E10value_typeEPNSO_ISJ_E10value_typeEPSK_NS1_7vsmem_tEENKUlT_SI_SJ_SK_E_clISE_PiSF_SF_EESH_SX_SI_SJ_SK_EUlSX_E1_NS1_11comp_targetILNS1_3genE8ELNS1_11target_archE1030ELNS1_3gpuE2ELNS1_3repE0EEENS1_36merge_oddeven_config_static_selectorELNS0_4arch9wavefront6targetE1EEEvSJ_
		.amdhsa_group_segment_fixed_size 0
		.amdhsa_private_segment_fixed_size 0
		.amdhsa_kernarg_size 56
		.amdhsa_user_sgpr_count 2
		.amdhsa_user_sgpr_dispatch_ptr 0
		.amdhsa_user_sgpr_queue_ptr 0
		.amdhsa_user_sgpr_kernarg_segment_ptr 1
		.amdhsa_user_sgpr_dispatch_id 0
		.amdhsa_user_sgpr_kernarg_preload_length 0
		.amdhsa_user_sgpr_kernarg_preload_offset 0
		.amdhsa_user_sgpr_private_segment_size 0
		.amdhsa_uses_dynamic_stack 0
		.amdhsa_enable_private_segment 0
		.amdhsa_system_sgpr_workgroup_id_x 1
		.amdhsa_system_sgpr_workgroup_id_y 0
		.amdhsa_system_sgpr_workgroup_id_z 0
		.amdhsa_system_sgpr_workgroup_info 0
		.amdhsa_system_vgpr_workitem_id 0
		.amdhsa_next_free_vgpr 1
		.amdhsa_next_free_sgpr 0
		.amdhsa_accum_offset 4
		.amdhsa_reserve_vcc 0
		.amdhsa_float_round_mode_32 0
		.amdhsa_float_round_mode_16_64 0
		.amdhsa_float_denorm_mode_32 3
		.amdhsa_float_denorm_mode_16_64 3
		.amdhsa_dx10_clamp 1
		.amdhsa_ieee_mode 1
		.amdhsa_fp16_overflow 0
		.amdhsa_tg_split 0
		.amdhsa_exception_fp_ieee_invalid_op 0
		.amdhsa_exception_fp_denorm_src 0
		.amdhsa_exception_fp_ieee_div_zero 0
		.amdhsa_exception_fp_ieee_overflow 0
		.amdhsa_exception_fp_ieee_underflow 0
		.amdhsa_exception_fp_ieee_inexact 0
		.amdhsa_exception_int_div_zero 0
	.end_amdhsa_kernel
	.section	.text._ZN7rocprim17ROCPRIM_400000_NS6detail17trampoline_kernelINS0_14default_configENS1_38merge_sort_block_merge_config_selectorIiNS0_10empty_typeEEEZZNS1_27merge_sort_block_merge_implIS3_N6thrust23THRUST_200600_302600_NS6detail15normal_iteratorINS9_10device_ptrIiEEEEPS5_m17evens_before_oddsEE10hipError_tT0_T1_T2_jT3_P12ihipStream_tbPNSt15iterator_traitsISI_E10value_typeEPNSO_ISJ_E10value_typeEPSK_NS1_7vsmem_tEENKUlT_SI_SJ_SK_E_clISE_PiSF_SF_EESH_SX_SI_SJ_SK_EUlSX_E1_NS1_11comp_targetILNS1_3genE8ELNS1_11target_archE1030ELNS1_3gpuE2ELNS1_3repE0EEENS1_36merge_oddeven_config_static_selectorELNS0_4arch9wavefront6targetE1EEEvSJ_,"axG",@progbits,_ZN7rocprim17ROCPRIM_400000_NS6detail17trampoline_kernelINS0_14default_configENS1_38merge_sort_block_merge_config_selectorIiNS0_10empty_typeEEEZZNS1_27merge_sort_block_merge_implIS3_N6thrust23THRUST_200600_302600_NS6detail15normal_iteratorINS9_10device_ptrIiEEEEPS5_m17evens_before_oddsEE10hipError_tT0_T1_T2_jT3_P12ihipStream_tbPNSt15iterator_traitsISI_E10value_typeEPNSO_ISJ_E10value_typeEPSK_NS1_7vsmem_tEENKUlT_SI_SJ_SK_E_clISE_PiSF_SF_EESH_SX_SI_SJ_SK_EUlSX_E1_NS1_11comp_targetILNS1_3genE8ELNS1_11target_archE1030ELNS1_3gpuE2ELNS1_3repE0EEENS1_36merge_oddeven_config_static_selectorELNS0_4arch9wavefront6targetE1EEEvSJ_,comdat
.Lfunc_end455:
	.size	_ZN7rocprim17ROCPRIM_400000_NS6detail17trampoline_kernelINS0_14default_configENS1_38merge_sort_block_merge_config_selectorIiNS0_10empty_typeEEEZZNS1_27merge_sort_block_merge_implIS3_N6thrust23THRUST_200600_302600_NS6detail15normal_iteratorINS9_10device_ptrIiEEEEPS5_m17evens_before_oddsEE10hipError_tT0_T1_T2_jT3_P12ihipStream_tbPNSt15iterator_traitsISI_E10value_typeEPNSO_ISJ_E10value_typeEPSK_NS1_7vsmem_tEENKUlT_SI_SJ_SK_E_clISE_PiSF_SF_EESH_SX_SI_SJ_SK_EUlSX_E1_NS1_11comp_targetILNS1_3genE8ELNS1_11target_archE1030ELNS1_3gpuE2ELNS1_3repE0EEENS1_36merge_oddeven_config_static_selectorELNS0_4arch9wavefront6targetE1EEEvSJ_, .Lfunc_end455-_ZN7rocprim17ROCPRIM_400000_NS6detail17trampoline_kernelINS0_14default_configENS1_38merge_sort_block_merge_config_selectorIiNS0_10empty_typeEEEZZNS1_27merge_sort_block_merge_implIS3_N6thrust23THRUST_200600_302600_NS6detail15normal_iteratorINS9_10device_ptrIiEEEEPS5_m17evens_before_oddsEE10hipError_tT0_T1_T2_jT3_P12ihipStream_tbPNSt15iterator_traitsISI_E10value_typeEPNSO_ISJ_E10value_typeEPSK_NS1_7vsmem_tEENKUlT_SI_SJ_SK_E_clISE_PiSF_SF_EESH_SX_SI_SJ_SK_EUlSX_E1_NS1_11comp_targetILNS1_3genE8ELNS1_11target_archE1030ELNS1_3gpuE2ELNS1_3repE0EEENS1_36merge_oddeven_config_static_selectorELNS0_4arch9wavefront6targetE1EEEvSJ_
                                        ; -- End function
	.set _ZN7rocprim17ROCPRIM_400000_NS6detail17trampoline_kernelINS0_14default_configENS1_38merge_sort_block_merge_config_selectorIiNS0_10empty_typeEEEZZNS1_27merge_sort_block_merge_implIS3_N6thrust23THRUST_200600_302600_NS6detail15normal_iteratorINS9_10device_ptrIiEEEEPS5_m17evens_before_oddsEE10hipError_tT0_T1_T2_jT3_P12ihipStream_tbPNSt15iterator_traitsISI_E10value_typeEPNSO_ISJ_E10value_typeEPSK_NS1_7vsmem_tEENKUlT_SI_SJ_SK_E_clISE_PiSF_SF_EESH_SX_SI_SJ_SK_EUlSX_E1_NS1_11comp_targetILNS1_3genE8ELNS1_11target_archE1030ELNS1_3gpuE2ELNS1_3repE0EEENS1_36merge_oddeven_config_static_selectorELNS0_4arch9wavefront6targetE1EEEvSJ_.num_vgpr, 0
	.set _ZN7rocprim17ROCPRIM_400000_NS6detail17trampoline_kernelINS0_14default_configENS1_38merge_sort_block_merge_config_selectorIiNS0_10empty_typeEEEZZNS1_27merge_sort_block_merge_implIS3_N6thrust23THRUST_200600_302600_NS6detail15normal_iteratorINS9_10device_ptrIiEEEEPS5_m17evens_before_oddsEE10hipError_tT0_T1_T2_jT3_P12ihipStream_tbPNSt15iterator_traitsISI_E10value_typeEPNSO_ISJ_E10value_typeEPSK_NS1_7vsmem_tEENKUlT_SI_SJ_SK_E_clISE_PiSF_SF_EESH_SX_SI_SJ_SK_EUlSX_E1_NS1_11comp_targetILNS1_3genE8ELNS1_11target_archE1030ELNS1_3gpuE2ELNS1_3repE0EEENS1_36merge_oddeven_config_static_selectorELNS0_4arch9wavefront6targetE1EEEvSJ_.num_agpr, 0
	.set _ZN7rocprim17ROCPRIM_400000_NS6detail17trampoline_kernelINS0_14default_configENS1_38merge_sort_block_merge_config_selectorIiNS0_10empty_typeEEEZZNS1_27merge_sort_block_merge_implIS3_N6thrust23THRUST_200600_302600_NS6detail15normal_iteratorINS9_10device_ptrIiEEEEPS5_m17evens_before_oddsEE10hipError_tT0_T1_T2_jT3_P12ihipStream_tbPNSt15iterator_traitsISI_E10value_typeEPNSO_ISJ_E10value_typeEPSK_NS1_7vsmem_tEENKUlT_SI_SJ_SK_E_clISE_PiSF_SF_EESH_SX_SI_SJ_SK_EUlSX_E1_NS1_11comp_targetILNS1_3genE8ELNS1_11target_archE1030ELNS1_3gpuE2ELNS1_3repE0EEENS1_36merge_oddeven_config_static_selectorELNS0_4arch9wavefront6targetE1EEEvSJ_.numbered_sgpr, 0
	.set _ZN7rocprim17ROCPRIM_400000_NS6detail17trampoline_kernelINS0_14default_configENS1_38merge_sort_block_merge_config_selectorIiNS0_10empty_typeEEEZZNS1_27merge_sort_block_merge_implIS3_N6thrust23THRUST_200600_302600_NS6detail15normal_iteratorINS9_10device_ptrIiEEEEPS5_m17evens_before_oddsEE10hipError_tT0_T1_T2_jT3_P12ihipStream_tbPNSt15iterator_traitsISI_E10value_typeEPNSO_ISJ_E10value_typeEPSK_NS1_7vsmem_tEENKUlT_SI_SJ_SK_E_clISE_PiSF_SF_EESH_SX_SI_SJ_SK_EUlSX_E1_NS1_11comp_targetILNS1_3genE8ELNS1_11target_archE1030ELNS1_3gpuE2ELNS1_3repE0EEENS1_36merge_oddeven_config_static_selectorELNS0_4arch9wavefront6targetE1EEEvSJ_.num_named_barrier, 0
	.set _ZN7rocprim17ROCPRIM_400000_NS6detail17trampoline_kernelINS0_14default_configENS1_38merge_sort_block_merge_config_selectorIiNS0_10empty_typeEEEZZNS1_27merge_sort_block_merge_implIS3_N6thrust23THRUST_200600_302600_NS6detail15normal_iteratorINS9_10device_ptrIiEEEEPS5_m17evens_before_oddsEE10hipError_tT0_T1_T2_jT3_P12ihipStream_tbPNSt15iterator_traitsISI_E10value_typeEPNSO_ISJ_E10value_typeEPSK_NS1_7vsmem_tEENKUlT_SI_SJ_SK_E_clISE_PiSF_SF_EESH_SX_SI_SJ_SK_EUlSX_E1_NS1_11comp_targetILNS1_3genE8ELNS1_11target_archE1030ELNS1_3gpuE2ELNS1_3repE0EEENS1_36merge_oddeven_config_static_selectorELNS0_4arch9wavefront6targetE1EEEvSJ_.private_seg_size, 0
	.set _ZN7rocprim17ROCPRIM_400000_NS6detail17trampoline_kernelINS0_14default_configENS1_38merge_sort_block_merge_config_selectorIiNS0_10empty_typeEEEZZNS1_27merge_sort_block_merge_implIS3_N6thrust23THRUST_200600_302600_NS6detail15normal_iteratorINS9_10device_ptrIiEEEEPS5_m17evens_before_oddsEE10hipError_tT0_T1_T2_jT3_P12ihipStream_tbPNSt15iterator_traitsISI_E10value_typeEPNSO_ISJ_E10value_typeEPSK_NS1_7vsmem_tEENKUlT_SI_SJ_SK_E_clISE_PiSF_SF_EESH_SX_SI_SJ_SK_EUlSX_E1_NS1_11comp_targetILNS1_3genE8ELNS1_11target_archE1030ELNS1_3gpuE2ELNS1_3repE0EEENS1_36merge_oddeven_config_static_selectorELNS0_4arch9wavefront6targetE1EEEvSJ_.uses_vcc, 0
	.set _ZN7rocprim17ROCPRIM_400000_NS6detail17trampoline_kernelINS0_14default_configENS1_38merge_sort_block_merge_config_selectorIiNS0_10empty_typeEEEZZNS1_27merge_sort_block_merge_implIS3_N6thrust23THRUST_200600_302600_NS6detail15normal_iteratorINS9_10device_ptrIiEEEEPS5_m17evens_before_oddsEE10hipError_tT0_T1_T2_jT3_P12ihipStream_tbPNSt15iterator_traitsISI_E10value_typeEPNSO_ISJ_E10value_typeEPSK_NS1_7vsmem_tEENKUlT_SI_SJ_SK_E_clISE_PiSF_SF_EESH_SX_SI_SJ_SK_EUlSX_E1_NS1_11comp_targetILNS1_3genE8ELNS1_11target_archE1030ELNS1_3gpuE2ELNS1_3repE0EEENS1_36merge_oddeven_config_static_selectorELNS0_4arch9wavefront6targetE1EEEvSJ_.uses_flat_scratch, 0
	.set _ZN7rocprim17ROCPRIM_400000_NS6detail17trampoline_kernelINS0_14default_configENS1_38merge_sort_block_merge_config_selectorIiNS0_10empty_typeEEEZZNS1_27merge_sort_block_merge_implIS3_N6thrust23THRUST_200600_302600_NS6detail15normal_iteratorINS9_10device_ptrIiEEEEPS5_m17evens_before_oddsEE10hipError_tT0_T1_T2_jT3_P12ihipStream_tbPNSt15iterator_traitsISI_E10value_typeEPNSO_ISJ_E10value_typeEPSK_NS1_7vsmem_tEENKUlT_SI_SJ_SK_E_clISE_PiSF_SF_EESH_SX_SI_SJ_SK_EUlSX_E1_NS1_11comp_targetILNS1_3genE8ELNS1_11target_archE1030ELNS1_3gpuE2ELNS1_3repE0EEENS1_36merge_oddeven_config_static_selectorELNS0_4arch9wavefront6targetE1EEEvSJ_.has_dyn_sized_stack, 0
	.set _ZN7rocprim17ROCPRIM_400000_NS6detail17trampoline_kernelINS0_14default_configENS1_38merge_sort_block_merge_config_selectorIiNS0_10empty_typeEEEZZNS1_27merge_sort_block_merge_implIS3_N6thrust23THRUST_200600_302600_NS6detail15normal_iteratorINS9_10device_ptrIiEEEEPS5_m17evens_before_oddsEE10hipError_tT0_T1_T2_jT3_P12ihipStream_tbPNSt15iterator_traitsISI_E10value_typeEPNSO_ISJ_E10value_typeEPSK_NS1_7vsmem_tEENKUlT_SI_SJ_SK_E_clISE_PiSF_SF_EESH_SX_SI_SJ_SK_EUlSX_E1_NS1_11comp_targetILNS1_3genE8ELNS1_11target_archE1030ELNS1_3gpuE2ELNS1_3repE0EEENS1_36merge_oddeven_config_static_selectorELNS0_4arch9wavefront6targetE1EEEvSJ_.has_recursion, 0
	.set _ZN7rocprim17ROCPRIM_400000_NS6detail17trampoline_kernelINS0_14default_configENS1_38merge_sort_block_merge_config_selectorIiNS0_10empty_typeEEEZZNS1_27merge_sort_block_merge_implIS3_N6thrust23THRUST_200600_302600_NS6detail15normal_iteratorINS9_10device_ptrIiEEEEPS5_m17evens_before_oddsEE10hipError_tT0_T1_T2_jT3_P12ihipStream_tbPNSt15iterator_traitsISI_E10value_typeEPNSO_ISJ_E10value_typeEPSK_NS1_7vsmem_tEENKUlT_SI_SJ_SK_E_clISE_PiSF_SF_EESH_SX_SI_SJ_SK_EUlSX_E1_NS1_11comp_targetILNS1_3genE8ELNS1_11target_archE1030ELNS1_3gpuE2ELNS1_3repE0EEENS1_36merge_oddeven_config_static_selectorELNS0_4arch9wavefront6targetE1EEEvSJ_.has_indirect_call, 0
	.section	.AMDGPU.csdata,"",@progbits
; Kernel info:
; codeLenInByte = 0
; TotalNumSgprs: 6
; NumVgprs: 0
; NumAgprs: 0
; TotalNumVgprs: 0
; ScratchSize: 0
; MemoryBound: 0
; FloatMode: 240
; IeeeMode: 1
; LDSByteSize: 0 bytes/workgroup (compile time only)
; SGPRBlocks: 0
; VGPRBlocks: 0
; NumSGPRsForWavesPerEU: 6
; NumVGPRsForWavesPerEU: 1
; AccumOffset: 4
; Occupancy: 8
; WaveLimiterHint : 0
; COMPUTE_PGM_RSRC2:SCRATCH_EN: 0
; COMPUTE_PGM_RSRC2:USER_SGPR: 2
; COMPUTE_PGM_RSRC2:TRAP_HANDLER: 0
; COMPUTE_PGM_RSRC2:TGID_X_EN: 1
; COMPUTE_PGM_RSRC2:TGID_Y_EN: 0
; COMPUTE_PGM_RSRC2:TGID_Z_EN: 0
; COMPUTE_PGM_RSRC2:TIDIG_COMP_CNT: 0
; COMPUTE_PGM_RSRC3_GFX90A:ACCUM_OFFSET: 0
; COMPUTE_PGM_RSRC3_GFX90A:TG_SPLIT: 0
	.section	.text._ZN6thrust23THRUST_200600_302600_NS11hip_rocprim14__parallel_for6kernelILj256ENS1_20__uninitialized_fill7functorINS0_10device_ptrIfEEfEEmLj1EEEvT0_T1_SA_,"axG",@progbits,_ZN6thrust23THRUST_200600_302600_NS11hip_rocprim14__parallel_for6kernelILj256ENS1_20__uninitialized_fill7functorINS0_10device_ptrIfEEfEEmLj1EEEvT0_T1_SA_,comdat
	.protected	_ZN6thrust23THRUST_200600_302600_NS11hip_rocprim14__parallel_for6kernelILj256ENS1_20__uninitialized_fill7functorINS0_10device_ptrIfEEfEEmLj1EEEvT0_T1_SA_ ; -- Begin function _ZN6thrust23THRUST_200600_302600_NS11hip_rocprim14__parallel_for6kernelILj256ENS1_20__uninitialized_fill7functorINS0_10device_ptrIfEEfEEmLj1EEEvT0_T1_SA_
	.globl	_ZN6thrust23THRUST_200600_302600_NS11hip_rocprim14__parallel_for6kernelILj256ENS1_20__uninitialized_fill7functorINS0_10device_ptrIfEEfEEmLj1EEEvT0_T1_SA_
	.p2align	8
	.type	_ZN6thrust23THRUST_200600_302600_NS11hip_rocprim14__parallel_for6kernelILj256ENS1_20__uninitialized_fill7functorINS0_10device_ptrIfEEfEEmLj1EEEvT0_T1_SA_,@function
_ZN6thrust23THRUST_200600_302600_NS11hip_rocprim14__parallel_for6kernelILj256ENS1_20__uninitialized_fill7functorINS0_10device_ptrIfEEfEEmLj1EEEvT0_T1_SA_: ; @_ZN6thrust23THRUST_200600_302600_NS11hip_rocprim14__parallel_for6kernelILj256ENS1_20__uninitialized_fill7functorINS0_10device_ptrIfEEfEEmLj1EEEvT0_T1_SA_
; %bb.0:
	s_load_dwordx4 s[12:15], s[0:1], 0x10
	s_load_dwordx2 s[4:5], s[0:1], 0x0
	s_load_dword s8, s[0:1], 0x8
	s_lshl_b32 s0, s2, 8
	v_mov_b64_e32 v[2:3], 0xff
	s_waitcnt lgkmcnt(0)
	s_add_u32 s0, s14, s0
	s_addc_u32 s1, s15, 0
	s_sub_u32 s2, s12, s0
	s_subb_u32 s3, s13, s1
	v_cmp_gt_u64_e32 vcc, s[2:3], v[2:3]
	s_mov_b64 s[6:7], -1
	s_cbranch_vccz .LBB456_3
; %bb.1:
	s_andn2_b64 vcc, exec, s[6:7]
	s_cbranch_vccz .LBB456_6
.LBB456_2:
	s_endpgm
.LBB456_3:
	v_cmp_gt_u32_e32 vcc, s2, v0
	s_and_saveexec_b64 s[2:3], vcc
	s_cbranch_execz .LBB456_5
; %bb.4:
	s_lshl_b64 s[6:7], s[0:1], 2
	s_add_u32 s6, s4, s6
	s_addc_u32 s7, s5, s7
	v_lshlrev_b32_e32 v2, 2, v0
	v_mov_b32_e32 v3, 0
	v_lshl_add_u64 v[2:3], s[6:7], 0, v[2:3]
	v_mov_b32_e32 v1, s8
	flat_store_dword v[2:3], v1
.LBB456_5:
	s_or_b64 exec, exec, s[2:3]
	s_cbranch_execnz .LBB456_2
.LBB456_6:
	s_lshl_b64 s[0:1], s[0:1], 2
	s_add_u32 s0, s4, s0
	s_addc_u32 s1, s5, s1
	v_lshlrev_b32_e32 v0, 2, v0
	v_mov_b32_e32 v1, 0
	v_lshl_add_u64 v[0:1], s[0:1], 0, v[0:1]
	v_mov_b32_e32 v2, s8
	flat_store_dword v[0:1], v2
	s_endpgm
	.section	.rodata,"a",@progbits
	.p2align	6, 0x0
	.amdhsa_kernel _ZN6thrust23THRUST_200600_302600_NS11hip_rocprim14__parallel_for6kernelILj256ENS1_20__uninitialized_fill7functorINS0_10device_ptrIfEEfEEmLj1EEEvT0_T1_SA_
		.amdhsa_group_segment_fixed_size 0
		.amdhsa_private_segment_fixed_size 0
		.amdhsa_kernarg_size 32
		.amdhsa_user_sgpr_count 2
		.amdhsa_user_sgpr_dispatch_ptr 0
		.amdhsa_user_sgpr_queue_ptr 0
		.amdhsa_user_sgpr_kernarg_segment_ptr 1
		.amdhsa_user_sgpr_dispatch_id 0
		.amdhsa_user_sgpr_kernarg_preload_length 0
		.amdhsa_user_sgpr_kernarg_preload_offset 0
		.amdhsa_user_sgpr_private_segment_size 0
		.amdhsa_uses_dynamic_stack 0
		.amdhsa_enable_private_segment 0
		.amdhsa_system_sgpr_workgroup_id_x 1
		.amdhsa_system_sgpr_workgroup_id_y 0
		.amdhsa_system_sgpr_workgroup_id_z 0
		.amdhsa_system_sgpr_workgroup_info 0
		.amdhsa_system_vgpr_workitem_id 0
		.amdhsa_next_free_vgpr 4
		.amdhsa_next_free_sgpr 16
		.amdhsa_accum_offset 4
		.amdhsa_reserve_vcc 1
		.amdhsa_float_round_mode_32 0
		.amdhsa_float_round_mode_16_64 0
		.amdhsa_float_denorm_mode_32 3
		.amdhsa_float_denorm_mode_16_64 3
		.amdhsa_dx10_clamp 1
		.amdhsa_ieee_mode 1
		.amdhsa_fp16_overflow 0
		.amdhsa_tg_split 0
		.amdhsa_exception_fp_ieee_invalid_op 0
		.amdhsa_exception_fp_denorm_src 0
		.amdhsa_exception_fp_ieee_div_zero 0
		.amdhsa_exception_fp_ieee_overflow 0
		.amdhsa_exception_fp_ieee_underflow 0
		.amdhsa_exception_fp_ieee_inexact 0
		.amdhsa_exception_int_div_zero 0
	.end_amdhsa_kernel
	.section	.text._ZN6thrust23THRUST_200600_302600_NS11hip_rocprim14__parallel_for6kernelILj256ENS1_20__uninitialized_fill7functorINS0_10device_ptrIfEEfEEmLj1EEEvT0_T1_SA_,"axG",@progbits,_ZN6thrust23THRUST_200600_302600_NS11hip_rocprim14__parallel_for6kernelILj256ENS1_20__uninitialized_fill7functorINS0_10device_ptrIfEEfEEmLj1EEEvT0_T1_SA_,comdat
.Lfunc_end456:
	.size	_ZN6thrust23THRUST_200600_302600_NS11hip_rocprim14__parallel_for6kernelILj256ENS1_20__uninitialized_fill7functorINS0_10device_ptrIfEEfEEmLj1EEEvT0_T1_SA_, .Lfunc_end456-_ZN6thrust23THRUST_200600_302600_NS11hip_rocprim14__parallel_for6kernelILj256ENS1_20__uninitialized_fill7functorINS0_10device_ptrIfEEfEEmLj1EEEvT0_T1_SA_
                                        ; -- End function
	.set _ZN6thrust23THRUST_200600_302600_NS11hip_rocprim14__parallel_for6kernelILj256ENS1_20__uninitialized_fill7functorINS0_10device_ptrIfEEfEEmLj1EEEvT0_T1_SA_.num_vgpr, 4
	.set _ZN6thrust23THRUST_200600_302600_NS11hip_rocprim14__parallel_for6kernelILj256ENS1_20__uninitialized_fill7functorINS0_10device_ptrIfEEfEEmLj1EEEvT0_T1_SA_.num_agpr, 0
	.set _ZN6thrust23THRUST_200600_302600_NS11hip_rocprim14__parallel_for6kernelILj256ENS1_20__uninitialized_fill7functorINS0_10device_ptrIfEEfEEmLj1EEEvT0_T1_SA_.numbered_sgpr, 16
	.set _ZN6thrust23THRUST_200600_302600_NS11hip_rocprim14__parallel_for6kernelILj256ENS1_20__uninitialized_fill7functorINS0_10device_ptrIfEEfEEmLj1EEEvT0_T1_SA_.num_named_barrier, 0
	.set _ZN6thrust23THRUST_200600_302600_NS11hip_rocprim14__parallel_for6kernelILj256ENS1_20__uninitialized_fill7functorINS0_10device_ptrIfEEfEEmLj1EEEvT0_T1_SA_.private_seg_size, 0
	.set _ZN6thrust23THRUST_200600_302600_NS11hip_rocprim14__parallel_for6kernelILj256ENS1_20__uninitialized_fill7functorINS0_10device_ptrIfEEfEEmLj1EEEvT0_T1_SA_.uses_vcc, 1
	.set _ZN6thrust23THRUST_200600_302600_NS11hip_rocprim14__parallel_for6kernelILj256ENS1_20__uninitialized_fill7functorINS0_10device_ptrIfEEfEEmLj1EEEvT0_T1_SA_.uses_flat_scratch, 0
	.set _ZN6thrust23THRUST_200600_302600_NS11hip_rocprim14__parallel_for6kernelILj256ENS1_20__uninitialized_fill7functorINS0_10device_ptrIfEEfEEmLj1EEEvT0_T1_SA_.has_dyn_sized_stack, 0
	.set _ZN6thrust23THRUST_200600_302600_NS11hip_rocprim14__parallel_for6kernelILj256ENS1_20__uninitialized_fill7functorINS0_10device_ptrIfEEfEEmLj1EEEvT0_T1_SA_.has_recursion, 0
	.set _ZN6thrust23THRUST_200600_302600_NS11hip_rocprim14__parallel_for6kernelILj256ENS1_20__uninitialized_fill7functorINS0_10device_ptrIfEEfEEmLj1EEEvT0_T1_SA_.has_indirect_call, 0
	.section	.AMDGPU.csdata,"",@progbits
; Kernel info:
; codeLenInByte = 184
; TotalNumSgprs: 22
; NumVgprs: 4
; NumAgprs: 0
; TotalNumVgprs: 4
; ScratchSize: 0
; MemoryBound: 0
; FloatMode: 240
; IeeeMode: 1
; LDSByteSize: 0 bytes/workgroup (compile time only)
; SGPRBlocks: 2
; VGPRBlocks: 0
; NumSGPRsForWavesPerEU: 22
; NumVGPRsForWavesPerEU: 4
; AccumOffset: 4
; Occupancy: 8
; WaveLimiterHint : 0
; COMPUTE_PGM_RSRC2:SCRATCH_EN: 0
; COMPUTE_PGM_RSRC2:USER_SGPR: 2
; COMPUTE_PGM_RSRC2:TRAP_HANDLER: 0
; COMPUTE_PGM_RSRC2:TGID_X_EN: 1
; COMPUTE_PGM_RSRC2:TGID_Y_EN: 0
; COMPUTE_PGM_RSRC2:TGID_Z_EN: 0
; COMPUTE_PGM_RSRC2:TIDIG_COMP_CNT: 0
; COMPUTE_PGM_RSRC3_GFX90A:ACCUM_OFFSET: 0
; COMPUTE_PGM_RSRC3_GFX90A:TG_SPLIT: 0
	.section	.text._ZN7rocprim17ROCPRIM_400000_NS6detail17trampoline_kernelINS0_13kernel_configILj256ELj4ELj4294967295EEENS1_37radix_sort_block_sort_config_selectorIfNS0_10empty_typeEEEZNS1_21radix_sort_block_sortIS4_Lb0EN6thrust23THRUST_200600_302600_NS6detail15normal_iteratorINSA_10device_ptrIfEEEESF_PS6_SG_NS0_19identity_decomposerEEE10hipError_tT1_T2_T3_T4_jRjT5_jjP12ihipStream_tbEUlT_E_NS1_11comp_targetILNS1_3genE0ELNS1_11target_archE4294967295ELNS1_3gpuE0ELNS1_3repE0EEENS1_44radix_sort_block_sort_config_static_selectorELNS0_4arch9wavefront6targetE1EEEvSJ_,"axG",@progbits,_ZN7rocprim17ROCPRIM_400000_NS6detail17trampoline_kernelINS0_13kernel_configILj256ELj4ELj4294967295EEENS1_37radix_sort_block_sort_config_selectorIfNS0_10empty_typeEEEZNS1_21radix_sort_block_sortIS4_Lb0EN6thrust23THRUST_200600_302600_NS6detail15normal_iteratorINSA_10device_ptrIfEEEESF_PS6_SG_NS0_19identity_decomposerEEE10hipError_tT1_T2_T3_T4_jRjT5_jjP12ihipStream_tbEUlT_E_NS1_11comp_targetILNS1_3genE0ELNS1_11target_archE4294967295ELNS1_3gpuE0ELNS1_3repE0EEENS1_44radix_sort_block_sort_config_static_selectorELNS0_4arch9wavefront6targetE1EEEvSJ_,comdat
	.protected	_ZN7rocprim17ROCPRIM_400000_NS6detail17trampoline_kernelINS0_13kernel_configILj256ELj4ELj4294967295EEENS1_37radix_sort_block_sort_config_selectorIfNS0_10empty_typeEEEZNS1_21radix_sort_block_sortIS4_Lb0EN6thrust23THRUST_200600_302600_NS6detail15normal_iteratorINSA_10device_ptrIfEEEESF_PS6_SG_NS0_19identity_decomposerEEE10hipError_tT1_T2_T3_T4_jRjT5_jjP12ihipStream_tbEUlT_E_NS1_11comp_targetILNS1_3genE0ELNS1_11target_archE4294967295ELNS1_3gpuE0ELNS1_3repE0EEENS1_44radix_sort_block_sort_config_static_selectorELNS0_4arch9wavefront6targetE1EEEvSJ_ ; -- Begin function _ZN7rocprim17ROCPRIM_400000_NS6detail17trampoline_kernelINS0_13kernel_configILj256ELj4ELj4294967295EEENS1_37radix_sort_block_sort_config_selectorIfNS0_10empty_typeEEEZNS1_21radix_sort_block_sortIS4_Lb0EN6thrust23THRUST_200600_302600_NS6detail15normal_iteratorINSA_10device_ptrIfEEEESF_PS6_SG_NS0_19identity_decomposerEEE10hipError_tT1_T2_T3_T4_jRjT5_jjP12ihipStream_tbEUlT_E_NS1_11comp_targetILNS1_3genE0ELNS1_11target_archE4294967295ELNS1_3gpuE0ELNS1_3repE0EEENS1_44radix_sort_block_sort_config_static_selectorELNS0_4arch9wavefront6targetE1EEEvSJ_
	.globl	_ZN7rocprim17ROCPRIM_400000_NS6detail17trampoline_kernelINS0_13kernel_configILj256ELj4ELj4294967295EEENS1_37radix_sort_block_sort_config_selectorIfNS0_10empty_typeEEEZNS1_21radix_sort_block_sortIS4_Lb0EN6thrust23THRUST_200600_302600_NS6detail15normal_iteratorINSA_10device_ptrIfEEEESF_PS6_SG_NS0_19identity_decomposerEEE10hipError_tT1_T2_T3_T4_jRjT5_jjP12ihipStream_tbEUlT_E_NS1_11comp_targetILNS1_3genE0ELNS1_11target_archE4294967295ELNS1_3gpuE0ELNS1_3repE0EEENS1_44radix_sort_block_sort_config_static_selectorELNS0_4arch9wavefront6targetE1EEEvSJ_
	.p2align	8
	.type	_ZN7rocprim17ROCPRIM_400000_NS6detail17trampoline_kernelINS0_13kernel_configILj256ELj4ELj4294967295EEENS1_37radix_sort_block_sort_config_selectorIfNS0_10empty_typeEEEZNS1_21radix_sort_block_sortIS4_Lb0EN6thrust23THRUST_200600_302600_NS6detail15normal_iteratorINSA_10device_ptrIfEEEESF_PS6_SG_NS0_19identity_decomposerEEE10hipError_tT1_T2_T3_T4_jRjT5_jjP12ihipStream_tbEUlT_E_NS1_11comp_targetILNS1_3genE0ELNS1_11target_archE4294967295ELNS1_3gpuE0ELNS1_3repE0EEENS1_44radix_sort_block_sort_config_static_selectorELNS0_4arch9wavefront6targetE1EEEvSJ_,@function
_ZN7rocprim17ROCPRIM_400000_NS6detail17trampoline_kernelINS0_13kernel_configILj256ELj4ELj4294967295EEENS1_37radix_sort_block_sort_config_selectorIfNS0_10empty_typeEEEZNS1_21radix_sort_block_sortIS4_Lb0EN6thrust23THRUST_200600_302600_NS6detail15normal_iteratorINSA_10device_ptrIfEEEESF_PS6_SG_NS0_19identity_decomposerEEE10hipError_tT1_T2_T3_T4_jRjT5_jjP12ihipStream_tbEUlT_E_NS1_11comp_targetILNS1_3genE0ELNS1_11target_archE4294967295ELNS1_3gpuE0ELNS1_3repE0EEENS1_44radix_sort_block_sort_config_static_selectorELNS0_4arch9wavefront6targetE1EEEvSJ_: ; @_ZN7rocprim17ROCPRIM_400000_NS6detail17trampoline_kernelINS0_13kernel_configILj256ELj4ELj4294967295EEENS1_37radix_sort_block_sort_config_selectorIfNS0_10empty_typeEEEZNS1_21radix_sort_block_sortIS4_Lb0EN6thrust23THRUST_200600_302600_NS6detail15normal_iteratorINSA_10device_ptrIfEEEESF_PS6_SG_NS0_19identity_decomposerEEE10hipError_tT1_T2_T3_T4_jRjT5_jjP12ihipStream_tbEUlT_E_NS1_11comp_targetILNS1_3genE0ELNS1_11target_archE4294967295ELNS1_3gpuE0ELNS1_3repE0EEENS1_44radix_sort_block_sort_config_static_selectorELNS0_4arch9wavefront6targetE1EEEvSJ_
; %bb.0:
	s_load_dword s8, s[0:1], 0x20
	s_load_dwordx4 s[28:31], s[0:1], 0x0
	s_lshl_b32 s4, s2, 10
	s_mov_b32 s5, 0
	v_mbcnt_lo_u32_b32 v1, -1, 0
	s_waitcnt lgkmcnt(0)
	s_lshr_b32 s3, s8, 10
	s_cmp_lg_u32 s2, s3
	v_and_b32_e32 v6, 0x3ff, v0
	s_cselect_b64 s[34:35], -1, 0
	s_lshl_b64 s[36:37], s[4:5], 2
	v_mbcnt_hi_u32_b32 v20, -1, v1
	s_add_u32 s6, s28, s36
	v_and_b32_e32 v1, 63, v20
	v_lshlrev_b32_e32 v8, 2, v6
	s_addc_u32 s7, s29, s37
	v_and_b32_e32 v7, 0x300, v8
	v_lshlrev_b32_e32 v10, 2, v1
	v_mov_b32_e32 v11, 0
	v_lshl_add_u64 v[2:3], s[6:7], 0, v[10:11]
	v_lshlrev_b32_e32 v10, 2, v7
	s_cmp_eq_u32 s2, s3
	v_lshl_add_u64 v[12:13], v[2:3], 0, v[10:11]
	s_cbranch_scc1 .LBB457_2
; %bb.1:
	global_load_dword v2, v[12:13], off
	global_load_dword v3, v[12:13], off offset:256
	global_load_dword v4, v[12:13], off offset:512
	s_mov_b64 s[2:3], -1
	s_load_dwordx2 s[28:29], s[0:1], 0x28
	s_sub_i32 s33, s8, s4
	s_cbranch_execz .LBB457_3
	s_branch .LBB457_10
.LBB457_2:
	s_mov_b64 s[2:3], 0
                                        ; implicit-def: $vgpr2_vgpr3_vgpr4_vgpr5
	s_load_dwordx2 s[28:29], s[0:1], 0x28
	s_sub_i32 s33, s8, s4
.LBB457_3:
	v_or_b32_e32 v7, v1, v7
	s_waitcnt vmcnt(2)
	v_bfrev_b32_e32 v2, -2
	v_cmp_gt_u32_e32 vcc, s33, v7
	s_waitcnt vmcnt(1)
	v_mov_b32_e32 v3, v2
	s_waitcnt vmcnt(0)
	v_mov_b32_e32 v4, v2
	v_mov_b32_e32 v5, v2
	s_and_saveexec_b64 s[2:3], vcc
	s_cbranch_execz .LBB457_5
; %bb.4:
	global_load_dword v14, v[12:13], off
	v_mov_b32_e32 v15, v2
	v_mov_b32_e32 v16, v2
	;; [unrolled: 1-line block ×3, first 2 shown]
	s_waitcnt vmcnt(0)
	v_mov_b64_e32 v[2:3], v[14:15]
	v_mov_b64_e32 v[4:5], v[16:17]
.LBB457_5:
	s_or_b64 exec, exec, s[2:3]
	v_or_b32_e32 v9, 64, v7
	v_cmp_gt_u32_e32 vcc, s33, v9
	s_and_saveexec_b64 s[2:3], vcc
	s_cbranch_execz .LBB457_7
; %bb.6:
	global_load_dword v3, v[12:13], off offset:256
.LBB457_7:
	s_or_b64 exec, exec, s[2:3]
	v_or_b32_e32 v9, 0x80, v7
	v_cmp_gt_u32_e32 vcc, s33, v9
	s_and_saveexec_b64 s[2:3], vcc
	s_cbranch_execz .LBB457_9
; %bb.8:
	global_load_dword v4, v[12:13], off offset:512
.LBB457_9:
	s_or_b64 exec, exec, s[2:3]
	v_or_b32_e32 v7, 0xc0, v7
	v_cmp_gt_u32_e64 s[2:3], s33, v7
.LBB457_10:
	s_and_saveexec_b64 s[4:5], s[2:3]
	s_cbranch_execz .LBB457_12
; %bb.11:
	global_load_dword v5, v[12:13], off offset:768
.LBB457_12:
	s_or_b64 exec, exec, s[4:5]
	v_bfrev_b32_e32 v7, 1
	s_waitcnt vmcnt(2)
	v_cmp_lt_i32_e32 vcc, -1, v2
	s_load_dword s2, s[0:1], 0x3c
	s_waitcnt lgkmcnt(0)
	s_add_i32 s38, s29, s28
	v_cndmask_b32_e32 v9, -1, v7, vcc
	s_waitcnt vmcnt(0)
	v_cmp_lt_i32_e32 vcc, -1, v3
	v_xor_b32_e32 v2, v9, v2
	s_getpc_b64 s[0:1]
	s_add_u32 s0, s0, _ZN7rocprim17ROCPRIM_400000_NS16block_radix_sortIfLj256ELj4ENS0_10empty_typeELj1ELj1ELj0ELNS0_26block_radix_rank_algorithmE1ELNS0_18block_padding_hintE2ELNS0_4arch9wavefront6targetE1EE19radix_bits_per_passE@rel32@lo+4
	s_addc_u32 s1, s1, _ZN7rocprim17ROCPRIM_400000_NS16block_radix_sortIfLj256ELj4ENS0_10empty_typeELj1ELj1ELj0ELNS0_26block_radix_rank_algorithmE1ELNS0_18block_padding_hintE2ELNS0_4arch9wavefront6targetE1EE19radix_bits_per_passE@rel32@hi+12
	v_cndmask_b32_e32 v9, -1, v7, vcc
	v_cmp_lt_i32_e32 vcc, -1, v4
	v_xor_b32_e32 v3, v9, v3
	s_load_dword s39, s[0:1], 0x0
	v_cndmask_b32_e32 v9, -1, v7, vcc
	v_cmp_lt_i32_e32 vcc, -1, v5
	v_xor_b32_e32 v14, v9, v4
	s_lshr_b32 s0, s2, 16
	v_cndmask_b32_e32 v4, -1, v7, vcc
	v_xor_b32_e32 v15, v4, v5
	v_bfe_u32 v4, v0, 10, 10
	v_bfe_u32 v0, v0, 20, 10
	s_and_b32 s1, s2, 0xffff
	v_mad_u32_u24 v0, v0, s0, v4
	v_mad_u64_u32 v[4:5], s[0:1], v0, s1, v[6:7]
	v_lshrrev_b32_e32 v0, 4, v4
	v_and_b32_e32 v16, 0xffffffc, v0
	v_and_b32_e32 v0, 15, v20
	v_cmp_eq_u32_e64 s[0:1], 0, v0
	v_cmp_lt_u32_e64 s[2:3], 1, v0
	v_cmp_lt_u32_e64 s[4:5], 3, v0
	;; [unrolled: 1-line block ×3, first 2 shown]
	v_and_b32_e32 v0, 16, v20
	v_cmp_eq_u32_e64 s[8:9], 0, v0
	v_and_b32_e32 v0, 0x3c0, v6
	v_min_u32_e32 v0, 0xc0, v0
	v_or_b32_e32 v0, 63, v0
	v_cmp_eq_u32_e64 s[12:13], v6, v0
	v_subrev_co_u32_e64 v0, s[18:19], 1, v20
	v_and_b32_e32 v4, 64, v20
	v_cmp_lt_i32_e32 vcc, v0, v4
	s_mov_b32 s26, 0
	s_mov_b32 s27, s26
	v_cndmask_b32_e32 v0, v0, v20, vcc
	v_lshlrev_b32_e32 v18, 2, v0
	v_lshrrev_b32_e32 v0, 4, v6
	v_and_b32_e32 v19, 60, v0
	v_and_b32_e32 v0, 3, v20
	s_mov_b32 s40, s26
	s_mov_b32 s41, s26
	v_lshlrev_b32_e32 v9, 4, v6
	v_cmp_lt_u32_e64 s[10:11], 31, v20
	v_cmp_gt_u32_e64 s[14:15], 4, v6
	v_cmp_lt_u32_e64 s[16:17], 63, v6
	v_cmp_eq_u32_e64 s[20:21], 0, v6
	v_mul_i32_i24_e32 v17, -12, v6
	v_cmp_eq_u32_e64 s[22:23], 0, v0
	v_cmp_lt_u32_e64 s[24:25], 1, v0
	v_add_u32_e32 v20, -4, v19
	v_lshl_add_u32 v21, v1, 2, v10
	v_mov_b64_e32 v[4:5], s[26:27]
	v_mov_b64_e32 v[10:11], s[40:41]
	s_brev_b32 s40, -2
	v_mov_b32_e32 v13, 0
	s_branch .LBB457_14
.LBB457_13:                             ;   in Loop: Header=BB457_14 Depth=1
	s_andn2_b64 vcc, exec, s[26:27]
	s_cbranch_vccz .LBB457_30
.LBB457_14:                             ; =>This Inner Loop Header: Depth=1
	v_mov_b32_e32 v25, v2
	v_cmp_ne_u32_e32 vcc, s40, v25
	s_waitcnt lgkmcnt(0)
	s_min_u32 s26, s39, s29
	s_lshl_b32 s41, -1, s26
	v_cndmask_b32_e32 v0, v7, v25, vcc
	v_lshrrev_b32_e32 v0, s28, v0
	v_bitop3_b32 v2, v0, s41, v0 bitop3:0x30
	v_and_b32_e32 v12, 1, v2
	v_lshl_add_u64 v[0:1], v[12:13], 0, -1
	v_cmp_ne_u32_e32 vcc, 0, v12
	v_mov_b32_e32 v23, v14
	v_mov_b32_e32 v24, v3
	v_xor_b32_e32 v1, vcc_hi, v1
	v_xor_b32_e32 v0, vcc_lo, v0
	v_and_b32_e32 v12, exec_hi, v1
	v_and_b32_e32 v14, exec_lo, v0
	v_lshlrev_b32_e32 v1, 30, v2
	v_mov_b32_e32 v0, v13
	v_cmp_gt_i64_e32 vcc, 0, v[0:1]
	v_not_b32_e32 v0, v1
	v_ashrrev_i32_e32 v0, 31, v0
	v_xor_b32_e32 v1, vcc_hi, v0
	v_xor_b32_e32 v0, vcc_lo, v0
	v_and_b32_e32 v12, v12, v1
	v_and_b32_e32 v14, v14, v0
	v_lshlrev_b32_e32 v1, 29, v2
	v_mov_b32_e32 v0, v13
	v_cmp_gt_i64_e32 vcc, 0, v[0:1]
	v_not_b32_e32 v0, v1
	v_ashrrev_i32_e32 v0, 31, v0
	v_xor_b32_e32 v1, vcc_hi, v0
	v_xor_b32_e32 v0, vcc_lo, v0
	v_and_b32_e32 v12, v12, v1
	v_and_b32_e32 v14, v14, v0
	;; [unrolled: 9-line block ×6, first 2 shown]
	v_lshlrev_b32_e32 v1, 24, v2
	v_mov_b32_e32 v0, v13
	v_cmp_gt_i64_e32 vcc, 0, v[0:1]
	v_not_b32_e32 v0, v1
	v_ashrrev_i32_e32 v0, 31, v0
	v_xor_b32_e32 v1, vcc_hi, v0
	v_xor_b32_e32 v0, vcc_lo, v0
	v_and_b32_e32 v0, v14, v0
	v_lshlrev_b32_e32 v3, 4, v2
	v_and_b32_e32 v1, v12, v1
	v_mbcnt_lo_u32_b32 v2, v0, 0
	v_mbcnt_hi_u32_b32 v14, v1, v2
	v_cmp_eq_u32_e32 vcc, 0, v14
	v_cmp_ne_u64_e64 s[26:27], 0, v[0:1]
	v_mov_b32_e32 v22, v15
	s_and_b64 s[42:43], s[26:27], vcc
	v_add_u32_e32 v15, v16, v3
	ds_write2_b64 v9, v[4:5], v[10:11] offset0:2 offset1:3
	s_waitcnt lgkmcnt(0)
	s_barrier
	; wave barrier
	s_and_saveexec_b64 s[26:27], s[42:43]
; %bb.15:                               ;   in Loop: Header=BB457_14 Depth=1
	v_bcnt_u32_b32 v0, v0, 0
	v_bcnt_u32_b32 v0, v1, v0
	ds_write_b32 v15, v0 offset:16
; %bb.16:                               ;   in Loop: Header=BB457_14 Depth=1
	s_or_b64 exec, exec, s[26:27]
	v_cmp_ne_u32_e32 vcc, s40, v24
	s_not_b32 s41, s41
	s_nop 0
	v_cndmask_b32_e32 v0, v7, v24, vcc
	v_lshrrev_b32_e32 v0, s28, v0
	v_and_b32_e32 v2, s41, v0
	v_lshlrev_b32_e32 v0, 4, v2
	v_and_b32_e32 v12, 1, v2
	v_add_u32_e32 v27, v16, v0
	v_lshl_add_u64 v[0:1], v[12:13], 0, -1
	v_cmp_ne_u32_e32 vcc, 0, v12
	; wave barrier
	ds_read_b32 v26, v27 offset:16
	s_nop 0
	v_xor_b32_e32 v1, vcc_hi, v1
	v_xor_b32_e32 v0, vcc_lo, v0
	v_and_b32_e32 v3, exec_hi, v1
	v_and_b32_e32 v12, exec_lo, v0
	v_lshlrev_b32_e32 v1, 30, v2
	v_mov_b32_e32 v0, v13
	v_cmp_gt_i64_e32 vcc, 0, v[0:1]
	v_not_b32_e32 v0, v1
	v_ashrrev_i32_e32 v0, 31, v0
	v_xor_b32_e32 v1, vcc_hi, v0
	v_xor_b32_e32 v0, vcc_lo, v0
	v_and_b32_e32 v3, v3, v1
	v_and_b32_e32 v12, v12, v0
	v_lshlrev_b32_e32 v1, 29, v2
	v_mov_b32_e32 v0, v13
	v_cmp_gt_i64_e32 vcc, 0, v[0:1]
	v_not_b32_e32 v0, v1
	v_ashrrev_i32_e32 v0, 31, v0
	v_xor_b32_e32 v1, vcc_hi, v0
	v_xor_b32_e32 v0, vcc_lo, v0
	v_and_b32_e32 v3, v3, v1
	v_and_b32_e32 v12, v12, v0
	v_lshlrev_b32_e32 v1, 28, v2
	v_mov_b32_e32 v0, v13
	v_cmp_gt_i64_e32 vcc, 0, v[0:1]
	v_not_b32_e32 v0, v1
	v_ashrrev_i32_e32 v0, 31, v0
	v_xor_b32_e32 v1, vcc_hi, v0
	v_xor_b32_e32 v0, vcc_lo, v0
	v_and_b32_e32 v3, v3, v1
	v_and_b32_e32 v12, v12, v0
	v_lshlrev_b32_e32 v1, 27, v2
	v_mov_b32_e32 v0, v13
	v_cmp_gt_i64_e32 vcc, 0, v[0:1]
	v_not_b32_e32 v0, v1
	v_ashrrev_i32_e32 v0, 31, v0
	v_xor_b32_e32 v1, vcc_hi, v0
	v_xor_b32_e32 v0, vcc_lo, v0
	v_and_b32_e32 v3, v3, v1
	v_and_b32_e32 v12, v12, v0
	v_lshlrev_b32_e32 v1, 26, v2
	v_mov_b32_e32 v0, v13
	v_cmp_gt_i64_e32 vcc, 0, v[0:1]
	v_not_b32_e32 v0, v1
	v_ashrrev_i32_e32 v0, 31, v0
	v_xor_b32_e32 v1, vcc_hi, v0
	v_xor_b32_e32 v0, vcc_lo, v0
	v_and_b32_e32 v3, v3, v1
	v_and_b32_e32 v12, v12, v0
	v_lshlrev_b32_e32 v1, 25, v2
	v_mov_b32_e32 v0, v13
	v_cmp_gt_i64_e32 vcc, 0, v[0:1]
	v_not_b32_e32 v0, v1
	v_ashrrev_i32_e32 v0, 31, v0
	v_xor_b32_e32 v1, vcc_hi, v0
	v_xor_b32_e32 v0, vcc_lo, v0
	v_and_b32_e32 v3, v3, v1
	v_and_b32_e32 v12, v12, v0
	v_lshlrev_b32_e32 v1, 24, v2
	v_mov_b32_e32 v0, v13
	v_cmp_gt_i64_e32 vcc, 0, v[0:1]
	v_not_b32_e32 v0, v1
	v_ashrrev_i32_e32 v0, 31, v0
	v_xor_b32_e32 v1, vcc_hi, v0
	v_xor_b32_e32 v0, vcc_lo, v0
	v_and_b32_e32 v0, v12, v0
	v_and_b32_e32 v1, v3, v1
	v_mbcnt_lo_u32_b32 v2, v0, 0
	v_mbcnt_hi_u32_b32 v28, v1, v2
	v_cmp_eq_u32_e32 vcc, 0, v28
	v_cmp_ne_u64_e64 s[26:27], 0, v[0:1]
	s_and_b64 s[42:43], s[26:27], vcc
	; wave barrier
	s_and_saveexec_b64 s[26:27], s[42:43]
	s_cbranch_execz .LBB457_18
; %bb.17:                               ;   in Loop: Header=BB457_14 Depth=1
	v_bcnt_u32_b32 v0, v0, 0
	v_bcnt_u32_b32 v0, v1, v0
	s_waitcnt lgkmcnt(0)
	v_add_u32_e32 v0, v26, v0
	ds_write_b32 v27, v0 offset:16
.LBB457_18:                             ;   in Loop: Header=BB457_14 Depth=1
	s_or_b64 exec, exec, s[26:27]
	v_cmp_ne_u32_e32 vcc, s40, v23
	; wave barrier
	s_nop 1
	v_cndmask_b32_e32 v0, v7, v23, vcc
	v_lshrrev_b32_e32 v0, s28, v0
	v_and_b32_e32 v2, s41, v0
	v_lshlrev_b32_e32 v0, 4, v2
	v_and_b32_e32 v12, 1, v2
	v_add_u32_e32 v30, v16, v0
	v_lshl_add_u64 v[0:1], v[12:13], 0, -1
	v_cmp_ne_u32_e32 vcc, 0, v12
	ds_read_b32 v29, v30 offset:16
	s_nop 0
	v_xor_b32_e32 v1, vcc_hi, v1
	v_xor_b32_e32 v0, vcc_lo, v0
	v_and_b32_e32 v3, exec_hi, v1
	v_and_b32_e32 v12, exec_lo, v0
	v_lshlrev_b32_e32 v1, 30, v2
	v_mov_b32_e32 v0, v13
	v_cmp_gt_i64_e32 vcc, 0, v[0:1]
	v_not_b32_e32 v0, v1
	v_ashrrev_i32_e32 v0, 31, v0
	v_xor_b32_e32 v1, vcc_hi, v0
	v_xor_b32_e32 v0, vcc_lo, v0
	v_and_b32_e32 v3, v3, v1
	v_and_b32_e32 v12, v12, v0
	v_lshlrev_b32_e32 v1, 29, v2
	v_mov_b32_e32 v0, v13
	v_cmp_gt_i64_e32 vcc, 0, v[0:1]
	v_not_b32_e32 v0, v1
	v_ashrrev_i32_e32 v0, 31, v0
	v_xor_b32_e32 v1, vcc_hi, v0
	v_xor_b32_e32 v0, vcc_lo, v0
	v_and_b32_e32 v3, v3, v1
	v_and_b32_e32 v12, v12, v0
	;; [unrolled: 9-line block ×7, first 2 shown]
	v_mbcnt_lo_u32_b32 v2, v0, 0
	v_mbcnt_hi_u32_b32 v31, v1, v2
	v_cmp_eq_u32_e32 vcc, 0, v31
	v_cmp_ne_u64_e64 s[26:27], 0, v[0:1]
	s_and_b64 s[42:43], s[26:27], vcc
	; wave barrier
	s_and_saveexec_b64 s[26:27], s[42:43]
	s_cbranch_execz .LBB457_20
; %bb.19:                               ;   in Loop: Header=BB457_14 Depth=1
	v_bcnt_u32_b32 v0, v0, 0
	v_bcnt_u32_b32 v0, v1, v0
	s_waitcnt lgkmcnt(0)
	v_add_u32_e32 v0, v29, v0
	ds_write_b32 v30, v0 offset:16
.LBB457_20:                             ;   in Loop: Header=BB457_14 Depth=1
	s_or_b64 exec, exec, s[26:27]
	v_cmp_ne_u32_e32 vcc, s40, v22
	; wave barrier
	s_nop 1
	v_cndmask_b32_e32 v0, v7, v22, vcc
	v_lshrrev_b32_e32 v0, s28, v0
	v_and_b32_e32 v2, s41, v0
	v_lshlrev_b32_e32 v0, 4, v2
	v_and_b32_e32 v12, 1, v2
	v_add_u32_e32 v33, v16, v0
	v_lshl_add_u64 v[0:1], v[12:13], 0, -1
	v_cmp_ne_u32_e32 vcc, 0, v12
	ds_read_b32 v32, v33 offset:16
	s_nop 0
	v_xor_b32_e32 v1, vcc_hi, v1
	v_xor_b32_e32 v0, vcc_lo, v0
	v_and_b32_e32 v3, exec_hi, v1
	v_and_b32_e32 v12, exec_lo, v0
	v_lshlrev_b32_e32 v1, 30, v2
	v_mov_b32_e32 v0, v13
	v_cmp_gt_i64_e32 vcc, 0, v[0:1]
	v_not_b32_e32 v0, v1
	v_ashrrev_i32_e32 v0, 31, v0
	v_xor_b32_e32 v1, vcc_hi, v0
	v_xor_b32_e32 v0, vcc_lo, v0
	v_and_b32_e32 v3, v3, v1
	v_and_b32_e32 v12, v12, v0
	v_lshlrev_b32_e32 v1, 29, v2
	v_mov_b32_e32 v0, v13
	v_cmp_gt_i64_e32 vcc, 0, v[0:1]
	v_not_b32_e32 v0, v1
	v_ashrrev_i32_e32 v0, 31, v0
	v_xor_b32_e32 v1, vcc_hi, v0
	v_xor_b32_e32 v0, vcc_lo, v0
	v_and_b32_e32 v3, v3, v1
	v_and_b32_e32 v12, v12, v0
	;; [unrolled: 9-line block ×7, first 2 shown]
	v_mbcnt_lo_u32_b32 v2, v0, 0
	v_mbcnt_hi_u32_b32 v12, v1, v2
	v_cmp_eq_u32_e32 vcc, 0, v12
	v_cmp_ne_u64_e64 s[26:27], 0, v[0:1]
	s_and_b64 s[42:43], s[26:27], vcc
	; wave barrier
	s_and_saveexec_b64 s[26:27], s[42:43]
	s_cbranch_execz .LBB457_22
; %bb.21:                               ;   in Loop: Header=BB457_14 Depth=1
	v_bcnt_u32_b32 v0, v0, 0
	v_bcnt_u32_b32 v0, v1, v0
	s_waitcnt lgkmcnt(0)
	v_add_u32_e32 v0, v32, v0
	ds_write_b32 v33, v0 offset:16
.LBB457_22:                             ;   in Loop: Header=BB457_14 Depth=1
	s_or_b64 exec, exec, s[26:27]
	; wave barrier
	s_waitcnt lgkmcnt(0)
	s_barrier
	ds_read2_b64 v[0:3], v9 offset0:2 offset1:3
	s_waitcnt lgkmcnt(0)
	v_add_u32_e32 v34, v1, v0
	v_add3_u32 v3, v34, v2, v3
	s_nop 1
	v_mov_b32_dpp v34, v3 row_shr:1 row_mask:0xf bank_mask:0xf
	v_cndmask_b32_e64 v34, v34, 0, s[0:1]
	v_add_u32_e32 v3, v34, v3
	s_nop 1
	v_mov_b32_dpp v34, v3 row_shr:2 row_mask:0xf bank_mask:0xf
	v_cndmask_b32_e64 v34, 0, v34, s[2:3]
	v_add_u32_e32 v3, v3, v34
	s_nop 1
	v_mov_b32_dpp v34, v3 row_shr:4 row_mask:0xf bank_mask:0xf
	v_cndmask_b32_e64 v34, 0, v34, s[4:5]
	v_add_u32_e32 v3, v3, v34
	s_nop 1
	v_mov_b32_dpp v34, v3 row_shr:8 row_mask:0xf bank_mask:0xf
	v_cndmask_b32_e64 v34, 0, v34, s[6:7]
	v_add_u32_e32 v3, v3, v34
	s_nop 1
	v_mov_b32_dpp v34, v3 row_bcast:15 row_mask:0xf bank_mask:0xf
	v_cndmask_b32_e64 v34, v34, 0, s[8:9]
	v_add_u32_e32 v3, v3, v34
	s_nop 1
	v_mov_b32_dpp v34, v3 row_bcast:31 row_mask:0xf bank_mask:0xf
	v_cndmask_b32_e64 v34, 0, v34, s[10:11]
	v_add_u32_e32 v3, v3, v34
	s_and_saveexec_b64 s[26:27], s[12:13]
; %bb.23:                               ;   in Loop: Header=BB457_14 Depth=1
	ds_write_b32 v19, v3
; %bb.24:                               ;   in Loop: Header=BB457_14 Depth=1
	s_or_b64 exec, exec, s[26:27]
	s_waitcnt lgkmcnt(0)
	s_barrier
	s_and_saveexec_b64 s[26:27], s[14:15]
	s_cbranch_execz .LBB457_26
; %bb.25:                               ;   in Loop: Header=BB457_14 Depth=1
	v_add_u32_e32 v34, v9, v17
	ds_read_b32 v35, v34
	s_waitcnt lgkmcnt(0)
	s_nop 0
	v_mov_b32_dpp v36, v35 row_shr:1 row_mask:0xf bank_mask:0xf
	v_cndmask_b32_e64 v36, v36, 0, s[22:23]
	v_add_u32_e32 v35, v36, v35
	s_nop 1
	v_mov_b32_dpp v36, v35 row_shr:2 row_mask:0xf bank_mask:0xf
	v_cndmask_b32_e64 v36, 0, v36, s[24:25]
	v_add_u32_e32 v35, v35, v36
	ds_write_b32 v34, v35
.LBB457_26:                             ;   in Loop: Header=BB457_14 Depth=1
	s_or_b64 exec, exec, s[26:27]
	v_mov_b32_e32 v34, 0
	s_waitcnt lgkmcnt(0)
	s_barrier
	s_and_saveexec_b64 s[26:27], s[16:17]
; %bb.27:                               ;   in Loop: Header=BB457_14 Depth=1
	ds_read_b32 v34, v20
; %bb.28:                               ;   in Loop: Header=BB457_14 Depth=1
	s_or_b64 exec, exec, s[26:27]
	s_waitcnt lgkmcnt(0)
	v_add_u32_e32 v3, v34, v3
	ds_bpermute_b32 v3, v18, v3
	v_lshlrev_b32_e32 v14, 2, v14
	s_add_i32 s28, s28, 8
	s_cmp_ge_u32 s28, s38
	s_mov_b64 s[26:27], -1
	s_waitcnt lgkmcnt(0)
	v_cndmask_b32_e64 v3, v3, v34, s[18:19]
	v_cndmask_b32_e64 v34, v3, 0, s[20:21]
	v_add_u32_e32 v35, v34, v0
	v_add_u32_e32 v0, v35, v1
	;; [unrolled: 1-line block ×3, first 2 shown]
	ds_write2_b64 v9, v[34:35], v[0:1] offset0:2 offset1:3
	s_waitcnt lgkmcnt(0)
	s_barrier
	ds_read_b32 v0, v15 offset:16
	ds_read_b32 v1, v27 offset:16
	;; [unrolled: 1-line block ×4, first 2 shown]
	v_lshlrev_b32_e32 v15, 2, v26
	s_waitcnt lgkmcnt(3)
	v_lshl_add_u32 v0, v0, 2, v14
	v_lshlrev_b32_e32 v14, 2, v28
	s_waitcnt lgkmcnt(2)
	v_lshlrev_b32_e32 v1, 2, v1
	v_add3_u32 v1, v14, v15, v1
	v_lshlrev_b32_e32 v14, 2, v31
	v_lshlrev_b32_e32 v15, 2, v29
	s_waitcnt lgkmcnt(1)
	v_lshlrev_b32_e32 v2, 2, v2
	v_add3_u32 v26, v14, v15, v2
	v_lshlrev_b32_e32 v2, 2, v12
	v_lshlrev_b32_e32 v12, 2, v32
	s_waitcnt lgkmcnt(0)
	v_lshlrev_b32_e32 v3, 2, v3
	v_add3_u32 v12, v2, v12, v3
                                        ; implicit-def: $vgpr15
                                        ; implicit-def: $vgpr3
	s_cbranch_scc1 .LBB457_13
; %bb.29:                               ;   in Loop: Header=BB457_14 Depth=1
	s_barrier
	ds_write_b32 v0, v25
	ds_write_b32 v1, v24
	;; [unrolled: 1-line block ×4, first 2 shown]
	s_waitcnt lgkmcnt(0)
	s_barrier
	ds_read2st64_b32 v[2:3], v21 offset1:1
	ds_read2st64_b32 v[14:15], v21 offset0:2 offset1:3
	s_add_i32 s29, s29, -8
	s_mov_b64 s[26:27], 0
	s_waitcnt lgkmcnt(0)
	s_barrier
	s_branch .LBB457_13
.LBB457_30:
	s_barrier
	ds_write_b32 v0, v25
	ds_write_b32 v1, v24
	;; [unrolled: 1-line block ×4, first 2 shown]
	v_add_u32_e32 v0, v9, v17
	s_waitcnt lgkmcnt(0)
	s_barrier
	ds_read2st64_b32 v[2:3], v0 offset1:4
	ds_read2st64_b32 v[0:1], v0 offset0:8 offset1:12
	v_bfrev_b32_e32 v7, 1
	s_add_u32 s0, s30, s36
	s_addc_u32 s1, s31, s37
	s_waitcnt lgkmcnt(1)
	v_cmp_lt_i32_e32 vcc, -1, v2
	v_mov_b32_e32 v9, 0
	s_nop 0
	v_cndmask_b32_e64 v4, v7, -1, vcc
	v_cmp_lt_i32_e32 vcc, -1, v3
	v_xor_b32_e32 v5, v4, v2
	s_nop 0
	v_cndmask_b32_e64 v2, v7, -1, vcc
	s_waitcnt lgkmcnt(0)
	v_cmp_lt_i32_e32 vcc, -1, v0
	v_xor_b32_e32 v4, v2, v3
	s_nop 0
	v_cndmask_b32_e64 v2, v7, -1, vcc
	v_xor_b32_e32 v0, v2, v0
	s_andn2_b64 vcc, exec, s[34:35]
	v_lshl_add_u64 v[2:3], s[0:1], 0, v[8:9]
	s_cbranch_vccnz .LBB457_32
; %bb.31:
	s_mov_b64 s[0:1], -1
	global_store_dword v[2:3], v5, off
	global_store_dword v[2:3], v4, off offset:1024
	global_store_dword v[2:3], v0, off offset:2048
	s_cbranch_execz .LBB457_33
	s_branch .LBB457_40
.LBB457_32:
	s_mov_b64 s[0:1], 0
.LBB457_33:
	v_cmp_gt_u32_e32 vcc, s33, v6
	s_and_saveexec_b64 s[0:1], vcc
	s_cbranch_execz .LBB457_35
; %bb.34:
	global_store_dword v[2:3], v5, off
.LBB457_35:
	s_or_b64 exec, exec, s[0:1]
	v_add_u32_e32 v5, 0x100, v6
	v_cmp_gt_u32_e32 vcc, s33, v5
	s_and_saveexec_b64 s[0:1], vcc
	s_cbranch_execz .LBB457_37
; %bb.36:
	global_store_dword v[2:3], v4, off offset:1024
.LBB457_37:
	s_or_b64 exec, exec, s[0:1]
	v_add_u32_e32 v4, 0x200, v6
	v_cmp_gt_u32_e32 vcc, s33, v4
	s_and_saveexec_b64 s[0:1], vcc
	s_cbranch_execz .LBB457_39
; %bb.38:
	global_store_dword v[2:3], v0, off offset:2048
.LBB457_39:
	s_or_b64 exec, exec, s[0:1]
	v_add_u32_e32 v0, 0x300, v6
	v_cmp_gt_u32_e64 s[0:1], s33, v0
.LBB457_40:
	s_and_saveexec_b64 s[2:3], s[0:1]
	s_cbranch_execnz .LBB457_42
; %bb.41:
	s_endpgm
.LBB457_42:
	v_bfrev_b32_e32 v0, 1
	v_cmp_lt_i32_e32 vcc, -1, v1
	s_nop 1
	v_cndmask_b32_e64 v0, v0, -1, vcc
	v_xor_b32_e32 v0, v0, v1
	global_store_dword v[2:3], v0, off offset:3072
	s_endpgm
	.section	.rodata,"a",@progbits
	.p2align	6, 0x0
	.amdhsa_kernel _ZN7rocprim17ROCPRIM_400000_NS6detail17trampoline_kernelINS0_13kernel_configILj256ELj4ELj4294967295EEENS1_37radix_sort_block_sort_config_selectorIfNS0_10empty_typeEEEZNS1_21radix_sort_block_sortIS4_Lb0EN6thrust23THRUST_200600_302600_NS6detail15normal_iteratorINSA_10device_ptrIfEEEESF_PS6_SG_NS0_19identity_decomposerEEE10hipError_tT1_T2_T3_T4_jRjT5_jjP12ihipStream_tbEUlT_E_NS1_11comp_targetILNS1_3genE0ELNS1_11target_archE4294967295ELNS1_3gpuE0ELNS1_3repE0EEENS1_44radix_sort_block_sort_config_static_selectorELNS0_4arch9wavefront6targetE1EEEvSJ_
		.amdhsa_group_segment_fixed_size 4112
		.amdhsa_private_segment_fixed_size 0
		.amdhsa_kernarg_size 304
		.amdhsa_user_sgpr_count 2
		.amdhsa_user_sgpr_dispatch_ptr 0
		.amdhsa_user_sgpr_queue_ptr 0
		.amdhsa_user_sgpr_kernarg_segment_ptr 1
		.amdhsa_user_sgpr_dispatch_id 0
		.amdhsa_user_sgpr_kernarg_preload_length 0
		.amdhsa_user_sgpr_kernarg_preload_offset 0
		.amdhsa_user_sgpr_private_segment_size 0
		.amdhsa_uses_dynamic_stack 0
		.amdhsa_enable_private_segment 0
		.amdhsa_system_sgpr_workgroup_id_x 1
		.amdhsa_system_sgpr_workgroup_id_y 0
		.amdhsa_system_sgpr_workgroup_id_z 0
		.amdhsa_system_sgpr_workgroup_info 0
		.amdhsa_system_vgpr_workitem_id 2
		.amdhsa_next_free_vgpr 37
		.amdhsa_next_free_sgpr 44
		.amdhsa_accum_offset 40
		.amdhsa_reserve_vcc 1
		.amdhsa_float_round_mode_32 0
		.amdhsa_float_round_mode_16_64 0
		.amdhsa_float_denorm_mode_32 3
		.amdhsa_float_denorm_mode_16_64 3
		.amdhsa_dx10_clamp 1
		.amdhsa_ieee_mode 1
		.amdhsa_fp16_overflow 0
		.amdhsa_tg_split 0
		.amdhsa_exception_fp_ieee_invalid_op 0
		.amdhsa_exception_fp_denorm_src 0
		.amdhsa_exception_fp_ieee_div_zero 0
		.amdhsa_exception_fp_ieee_overflow 0
		.amdhsa_exception_fp_ieee_underflow 0
		.amdhsa_exception_fp_ieee_inexact 0
		.amdhsa_exception_int_div_zero 0
	.end_amdhsa_kernel
	.section	.text._ZN7rocprim17ROCPRIM_400000_NS6detail17trampoline_kernelINS0_13kernel_configILj256ELj4ELj4294967295EEENS1_37radix_sort_block_sort_config_selectorIfNS0_10empty_typeEEEZNS1_21radix_sort_block_sortIS4_Lb0EN6thrust23THRUST_200600_302600_NS6detail15normal_iteratorINSA_10device_ptrIfEEEESF_PS6_SG_NS0_19identity_decomposerEEE10hipError_tT1_T2_T3_T4_jRjT5_jjP12ihipStream_tbEUlT_E_NS1_11comp_targetILNS1_3genE0ELNS1_11target_archE4294967295ELNS1_3gpuE0ELNS1_3repE0EEENS1_44radix_sort_block_sort_config_static_selectorELNS0_4arch9wavefront6targetE1EEEvSJ_,"axG",@progbits,_ZN7rocprim17ROCPRIM_400000_NS6detail17trampoline_kernelINS0_13kernel_configILj256ELj4ELj4294967295EEENS1_37radix_sort_block_sort_config_selectorIfNS0_10empty_typeEEEZNS1_21radix_sort_block_sortIS4_Lb0EN6thrust23THRUST_200600_302600_NS6detail15normal_iteratorINSA_10device_ptrIfEEEESF_PS6_SG_NS0_19identity_decomposerEEE10hipError_tT1_T2_T3_T4_jRjT5_jjP12ihipStream_tbEUlT_E_NS1_11comp_targetILNS1_3genE0ELNS1_11target_archE4294967295ELNS1_3gpuE0ELNS1_3repE0EEENS1_44radix_sort_block_sort_config_static_selectorELNS0_4arch9wavefront6targetE1EEEvSJ_,comdat
.Lfunc_end457:
	.size	_ZN7rocprim17ROCPRIM_400000_NS6detail17trampoline_kernelINS0_13kernel_configILj256ELj4ELj4294967295EEENS1_37radix_sort_block_sort_config_selectorIfNS0_10empty_typeEEEZNS1_21radix_sort_block_sortIS4_Lb0EN6thrust23THRUST_200600_302600_NS6detail15normal_iteratorINSA_10device_ptrIfEEEESF_PS6_SG_NS0_19identity_decomposerEEE10hipError_tT1_T2_T3_T4_jRjT5_jjP12ihipStream_tbEUlT_E_NS1_11comp_targetILNS1_3genE0ELNS1_11target_archE4294967295ELNS1_3gpuE0ELNS1_3repE0EEENS1_44radix_sort_block_sort_config_static_selectorELNS0_4arch9wavefront6targetE1EEEvSJ_, .Lfunc_end457-_ZN7rocprim17ROCPRIM_400000_NS6detail17trampoline_kernelINS0_13kernel_configILj256ELj4ELj4294967295EEENS1_37radix_sort_block_sort_config_selectorIfNS0_10empty_typeEEEZNS1_21radix_sort_block_sortIS4_Lb0EN6thrust23THRUST_200600_302600_NS6detail15normal_iteratorINSA_10device_ptrIfEEEESF_PS6_SG_NS0_19identity_decomposerEEE10hipError_tT1_T2_T3_T4_jRjT5_jjP12ihipStream_tbEUlT_E_NS1_11comp_targetILNS1_3genE0ELNS1_11target_archE4294967295ELNS1_3gpuE0ELNS1_3repE0EEENS1_44radix_sort_block_sort_config_static_selectorELNS0_4arch9wavefront6targetE1EEEvSJ_
                                        ; -- End function
	.set _ZN7rocprim17ROCPRIM_400000_NS6detail17trampoline_kernelINS0_13kernel_configILj256ELj4ELj4294967295EEENS1_37radix_sort_block_sort_config_selectorIfNS0_10empty_typeEEEZNS1_21radix_sort_block_sortIS4_Lb0EN6thrust23THRUST_200600_302600_NS6detail15normal_iteratorINSA_10device_ptrIfEEEESF_PS6_SG_NS0_19identity_decomposerEEE10hipError_tT1_T2_T3_T4_jRjT5_jjP12ihipStream_tbEUlT_E_NS1_11comp_targetILNS1_3genE0ELNS1_11target_archE4294967295ELNS1_3gpuE0ELNS1_3repE0EEENS1_44radix_sort_block_sort_config_static_selectorELNS0_4arch9wavefront6targetE1EEEvSJ_.num_vgpr, 37
	.set _ZN7rocprim17ROCPRIM_400000_NS6detail17trampoline_kernelINS0_13kernel_configILj256ELj4ELj4294967295EEENS1_37radix_sort_block_sort_config_selectorIfNS0_10empty_typeEEEZNS1_21radix_sort_block_sortIS4_Lb0EN6thrust23THRUST_200600_302600_NS6detail15normal_iteratorINSA_10device_ptrIfEEEESF_PS6_SG_NS0_19identity_decomposerEEE10hipError_tT1_T2_T3_T4_jRjT5_jjP12ihipStream_tbEUlT_E_NS1_11comp_targetILNS1_3genE0ELNS1_11target_archE4294967295ELNS1_3gpuE0ELNS1_3repE0EEENS1_44radix_sort_block_sort_config_static_selectorELNS0_4arch9wavefront6targetE1EEEvSJ_.num_agpr, 0
	.set _ZN7rocprim17ROCPRIM_400000_NS6detail17trampoline_kernelINS0_13kernel_configILj256ELj4ELj4294967295EEENS1_37radix_sort_block_sort_config_selectorIfNS0_10empty_typeEEEZNS1_21radix_sort_block_sortIS4_Lb0EN6thrust23THRUST_200600_302600_NS6detail15normal_iteratorINSA_10device_ptrIfEEEESF_PS6_SG_NS0_19identity_decomposerEEE10hipError_tT1_T2_T3_T4_jRjT5_jjP12ihipStream_tbEUlT_E_NS1_11comp_targetILNS1_3genE0ELNS1_11target_archE4294967295ELNS1_3gpuE0ELNS1_3repE0EEENS1_44radix_sort_block_sort_config_static_selectorELNS0_4arch9wavefront6targetE1EEEvSJ_.numbered_sgpr, 44
	.set _ZN7rocprim17ROCPRIM_400000_NS6detail17trampoline_kernelINS0_13kernel_configILj256ELj4ELj4294967295EEENS1_37radix_sort_block_sort_config_selectorIfNS0_10empty_typeEEEZNS1_21radix_sort_block_sortIS4_Lb0EN6thrust23THRUST_200600_302600_NS6detail15normal_iteratorINSA_10device_ptrIfEEEESF_PS6_SG_NS0_19identity_decomposerEEE10hipError_tT1_T2_T3_T4_jRjT5_jjP12ihipStream_tbEUlT_E_NS1_11comp_targetILNS1_3genE0ELNS1_11target_archE4294967295ELNS1_3gpuE0ELNS1_3repE0EEENS1_44radix_sort_block_sort_config_static_selectorELNS0_4arch9wavefront6targetE1EEEvSJ_.num_named_barrier, 0
	.set _ZN7rocprim17ROCPRIM_400000_NS6detail17trampoline_kernelINS0_13kernel_configILj256ELj4ELj4294967295EEENS1_37radix_sort_block_sort_config_selectorIfNS0_10empty_typeEEEZNS1_21radix_sort_block_sortIS4_Lb0EN6thrust23THRUST_200600_302600_NS6detail15normal_iteratorINSA_10device_ptrIfEEEESF_PS6_SG_NS0_19identity_decomposerEEE10hipError_tT1_T2_T3_T4_jRjT5_jjP12ihipStream_tbEUlT_E_NS1_11comp_targetILNS1_3genE0ELNS1_11target_archE4294967295ELNS1_3gpuE0ELNS1_3repE0EEENS1_44radix_sort_block_sort_config_static_selectorELNS0_4arch9wavefront6targetE1EEEvSJ_.private_seg_size, 0
	.set _ZN7rocprim17ROCPRIM_400000_NS6detail17trampoline_kernelINS0_13kernel_configILj256ELj4ELj4294967295EEENS1_37radix_sort_block_sort_config_selectorIfNS0_10empty_typeEEEZNS1_21radix_sort_block_sortIS4_Lb0EN6thrust23THRUST_200600_302600_NS6detail15normal_iteratorINSA_10device_ptrIfEEEESF_PS6_SG_NS0_19identity_decomposerEEE10hipError_tT1_T2_T3_T4_jRjT5_jjP12ihipStream_tbEUlT_E_NS1_11comp_targetILNS1_3genE0ELNS1_11target_archE4294967295ELNS1_3gpuE0ELNS1_3repE0EEENS1_44radix_sort_block_sort_config_static_selectorELNS0_4arch9wavefront6targetE1EEEvSJ_.uses_vcc, 1
	.set _ZN7rocprim17ROCPRIM_400000_NS6detail17trampoline_kernelINS0_13kernel_configILj256ELj4ELj4294967295EEENS1_37radix_sort_block_sort_config_selectorIfNS0_10empty_typeEEEZNS1_21radix_sort_block_sortIS4_Lb0EN6thrust23THRUST_200600_302600_NS6detail15normal_iteratorINSA_10device_ptrIfEEEESF_PS6_SG_NS0_19identity_decomposerEEE10hipError_tT1_T2_T3_T4_jRjT5_jjP12ihipStream_tbEUlT_E_NS1_11comp_targetILNS1_3genE0ELNS1_11target_archE4294967295ELNS1_3gpuE0ELNS1_3repE0EEENS1_44radix_sort_block_sort_config_static_selectorELNS0_4arch9wavefront6targetE1EEEvSJ_.uses_flat_scratch, 0
	.set _ZN7rocprim17ROCPRIM_400000_NS6detail17trampoline_kernelINS0_13kernel_configILj256ELj4ELj4294967295EEENS1_37radix_sort_block_sort_config_selectorIfNS0_10empty_typeEEEZNS1_21radix_sort_block_sortIS4_Lb0EN6thrust23THRUST_200600_302600_NS6detail15normal_iteratorINSA_10device_ptrIfEEEESF_PS6_SG_NS0_19identity_decomposerEEE10hipError_tT1_T2_T3_T4_jRjT5_jjP12ihipStream_tbEUlT_E_NS1_11comp_targetILNS1_3genE0ELNS1_11target_archE4294967295ELNS1_3gpuE0ELNS1_3repE0EEENS1_44radix_sort_block_sort_config_static_selectorELNS0_4arch9wavefront6targetE1EEEvSJ_.has_dyn_sized_stack, 0
	.set _ZN7rocprim17ROCPRIM_400000_NS6detail17trampoline_kernelINS0_13kernel_configILj256ELj4ELj4294967295EEENS1_37radix_sort_block_sort_config_selectorIfNS0_10empty_typeEEEZNS1_21radix_sort_block_sortIS4_Lb0EN6thrust23THRUST_200600_302600_NS6detail15normal_iteratorINSA_10device_ptrIfEEEESF_PS6_SG_NS0_19identity_decomposerEEE10hipError_tT1_T2_T3_T4_jRjT5_jjP12ihipStream_tbEUlT_E_NS1_11comp_targetILNS1_3genE0ELNS1_11target_archE4294967295ELNS1_3gpuE0ELNS1_3repE0EEENS1_44radix_sort_block_sort_config_static_selectorELNS0_4arch9wavefront6targetE1EEEvSJ_.has_recursion, 0
	.set _ZN7rocprim17ROCPRIM_400000_NS6detail17trampoline_kernelINS0_13kernel_configILj256ELj4ELj4294967295EEENS1_37radix_sort_block_sort_config_selectorIfNS0_10empty_typeEEEZNS1_21radix_sort_block_sortIS4_Lb0EN6thrust23THRUST_200600_302600_NS6detail15normal_iteratorINSA_10device_ptrIfEEEESF_PS6_SG_NS0_19identity_decomposerEEE10hipError_tT1_T2_T3_T4_jRjT5_jjP12ihipStream_tbEUlT_E_NS1_11comp_targetILNS1_3genE0ELNS1_11target_archE4294967295ELNS1_3gpuE0ELNS1_3repE0EEENS1_44radix_sort_block_sort_config_static_selectorELNS0_4arch9wavefront6targetE1EEEvSJ_.has_indirect_call, 0
	.section	.AMDGPU.csdata,"",@progbits
; Kernel info:
; codeLenInByte = 3324
; TotalNumSgprs: 50
; NumVgprs: 37
; NumAgprs: 0
; TotalNumVgprs: 37
; ScratchSize: 0
; MemoryBound: 0
; FloatMode: 240
; IeeeMode: 1
; LDSByteSize: 4112 bytes/workgroup (compile time only)
; SGPRBlocks: 6
; VGPRBlocks: 4
; NumSGPRsForWavesPerEU: 50
; NumVGPRsForWavesPerEU: 37
; AccumOffset: 40
; Occupancy: 8
; WaveLimiterHint : 1
; COMPUTE_PGM_RSRC2:SCRATCH_EN: 0
; COMPUTE_PGM_RSRC2:USER_SGPR: 2
; COMPUTE_PGM_RSRC2:TRAP_HANDLER: 0
; COMPUTE_PGM_RSRC2:TGID_X_EN: 1
; COMPUTE_PGM_RSRC2:TGID_Y_EN: 0
; COMPUTE_PGM_RSRC2:TGID_Z_EN: 0
; COMPUTE_PGM_RSRC2:TIDIG_COMP_CNT: 2
; COMPUTE_PGM_RSRC3_GFX90A:ACCUM_OFFSET: 9
; COMPUTE_PGM_RSRC3_GFX90A:TG_SPLIT: 0
	.section	.text._ZN7rocprim17ROCPRIM_400000_NS6detail17trampoline_kernelINS0_13kernel_configILj256ELj4ELj4294967295EEENS1_37radix_sort_block_sort_config_selectorIfNS0_10empty_typeEEEZNS1_21radix_sort_block_sortIS4_Lb0EN6thrust23THRUST_200600_302600_NS6detail15normal_iteratorINSA_10device_ptrIfEEEESF_PS6_SG_NS0_19identity_decomposerEEE10hipError_tT1_T2_T3_T4_jRjT5_jjP12ihipStream_tbEUlT_E_NS1_11comp_targetILNS1_3genE5ELNS1_11target_archE942ELNS1_3gpuE9ELNS1_3repE0EEENS1_44radix_sort_block_sort_config_static_selectorELNS0_4arch9wavefront6targetE1EEEvSJ_,"axG",@progbits,_ZN7rocprim17ROCPRIM_400000_NS6detail17trampoline_kernelINS0_13kernel_configILj256ELj4ELj4294967295EEENS1_37radix_sort_block_sort_config_selectorIfNS0_10empty_typeEEEZNS1_21radix_sort_block_sortIS4_Lb0EN6thrust23THRUST_200600_302600_NS6detail15normal_iteratorINSA_10device_ptrIfEEEESF_PS6_SG_NS0_19identity_decomposerEEE10hipError_tT1_T2_T3_T4_jRjT5_jjP12ihipStream_tbEUlT_E_NS1_11comp_targetILNS1_3genE5ELNS1_11target_archE942ELNS1_3gpuE9ELNS1_3repE0EEENS1_44radix_sort_block_sort_config_static_selectorELNS0_4arch9wavefront6targetE1EEEvSJ_,comdat
	.protected	_ZN7rocprim17ROCPRIM_400000_NS6detail17trampoline_kernelINS0_13kernel_configILj256ELj4ELj4294967295EEENS1_37radix_sort_block_sort_config_selectorIfNS0_10empty_typeEEEZNS1_21radix_sort_block_sortIS4_Lb0EN6thrust23THRUST_200600_302600_NS6detail15normal_iteratorINSA_10device_ptrIfEEEESF_PS6_SG_NS0_19identity_decomposerEEE10hipError_tT1_T2_T3_T4_jRjT5_jjP12ihipStream_tbEUlT_E_NS1_11comp_targetILNS1_3genE5ELNS1_11target_archE942ELNS1_3gpuE9ELNS1_3repE0EEENS1_44radix_sort_block_sort_config_static_selectorELNS0_4arch9wavefront6targetE1EEEvSJ_ ; -- Begin function _ZN7rocprim17ROCPRIM_400000_NS6detail17trampoline_kernelINS0_13kernel_configILj256ELj4ELj4294967295EEENS1_37radix_sort_block_sort_config_selectorIfNS0_10empty_typeEEEZNS1_21radix_sort_block_sortIS4_Lb0EN6thrust23THRUST_200600_302600_NS6detail15normal_iteratorINSA_10device_ptrIfEEEESF_PS6_SG_NS0_19identity_decomposerEEE10hipError_tT1_T2_T3_T4_jRjT5_jjP12ihipStream_tbEUlT_E_NS1_11comp_targetILNS1_3genE5ELNS1_11target_archE942ELNS1_3gpuE9ELNS1_3repE0EEENS1_44radix_sort_block_sort_config_static_selectorELNS0_4arch9wavefront6targetE1EEEvSJ_
	.globl	_ZN7rocprim17ROCPRIM_400000_NS6detail17trampoline_kernelINS0_13kernel_configILj256ELj4ELj4294967295EEENS1_37radix_sort_block_sort_config_selectorIfNS0_10empty_typeEEEZNS1_21radix_sort_block_sortIS4_Lb0EN6thrust23THRUST_200600_302600_NS6detail15normal_iteratorINSA_10device_ptrIfEEEESF_PS6_SG_NS0_19identity_decomposerEEE10hipError_tT1_T2_T3_T4_jRjT5_jjP12ihipStream_tbEUlT_E_NS1_11comp_targetILNS1_3genE5ELNS1_11target_archE942ELNS1_3gpuE9ELNS1_3repE0EEENS1_44radix_sort_block_sort_config_static_selectorELNS0_4arch9wavefront6targetE1EEEvSJ_
	.p2align	8
	.type	_ZN7rocprim17ROCPRIM_400000_NS6detail17trampoline_kernelINS0_13kernel_configILj256ELj4ELj4294967295EEENS1_37radix_sort_block_sort_config_selectorIfNS0_10empty_typeEEEZNS1_21radix_sort_block_sortIS4_Lb0EN6thrust23THRUST_200600_302600_NS6detail15normal_iteratorINSA_10device_ptrIfEEEESF_PS6_SG_NS0_19identity_decomposerEEE10hipError_tT1_T2_T3_T4_jRjT5_jjP12ihipStream_tbEUlT_E_NS1_11comp_targetILNS1_3genE5ELNS1_11target_archE942ELNS1_3gpuE9ELNS1_3repE0EEENS1_44radix_sort_block_sort_config_static_selectorELNS0_4arch9wavefront6targetE1EEEvSJ_,@function
_ZN7rocprim17ROCPRIM_400000_NS6detail17trampoline_kernelINS0_13kernel_configILj256ELj4ELj4294967295EEENS1_37radix_sort_block_sort_config_selectorIfNS0_10empty_typeEEEZNS1_21radix_sort_block_sortIS4_Lb0EN6thrust23THRUST_200600_302600_NS6detail15normal_iteratorINSA_10device_ptrIfEEEESF_PS6_SG_NS0_19identity_decomposerEEE10hipError_tT1_T2_T3_T4_jRjT5_jjP12ihipStream_tbEUlT_E_NS1_11comp_targetILNS1_3genE5ELNS1_11target_archE942ELNS1_3gpuE9ELNS1_3repE0EEENS1_44radix_sort_block_sort_config_static_selectorELNS0_4arch9wavefront6targetE1EEEvSJ_: ; @_ZN7rocprim17ROCPRIM_400000_NS6detail17trampoline_kernelINS0_13kernel_configILj256ELj4ELj4294967295EEENS1_37radix_sort_block_sort_config_selectorIfNS0_10empty_typeEEEZNS1_21radix_sort_block_sortIS4_Lb0EN6thrust23THRUST_200600_302600_NS6detail15normal_iteratorINSA_10device_ptrIfEEEESF_PS6_SG_NS0_19identity_decomposerEEE10hipError_tT1_T2_T3_T4_jRjT5_jjP12ihipStream_tbEUlT_E_NS1_11comp_targetILNS1_3genE5ELNS1_11target_archE942ELNS1_3gpuE9ELNS1_3repE0EEENS1_44radix_sort_block_sort_config_static_selectorELNS0_4arch9wavefront6targetE1EEEvSJ_
; %bb.0:
	.section	.rodata,"a",@progbits
	.p2align	6, 0x0
	.amdhsa_kernel _ZN7rocprim17ROCPRIM_400000_NS6detail17trampoline_kernelINS0_13kernel_configILj256ELj4ELj4294967295EEENS1_37radix_sort_block_sort_config_selectorIfNS0_10empty_typeEEEZNS1_21radix_sort_block_sortIS4_Lb0EN6thrust23THRUST_200600_302600_NS6detail15normal_iteratorINSA_10device_ptrIfEEEESF_PS6_SG_NS0_19identity_decomposerEEE10hipError_tT1_T2_T3_T4_jRjT5_jjP12ihipStream_tbEUlT_E_NS1_11comp_targetILNS1_3genE5ELNS1_11target_archE942ELNS1_3gpuE9ELNS1_3repE0EEENS1_44radix_sort_block_sort_config_static_selectorELNS0_4arch9wavefront6targetE1EEEvSJ_
		.amdhsa_group_segment_fixed_size 0
		.amdhsa_private_segment_fixed_size 0
		.amdhsa_kernarg_size 48
		.amdhsa_user_sgpr_count 2
		.amdhsa_user_sgpr_dispatch_ptr 0
		.amdhsa_user_sgpr_queue_ptr 0
		.amdhsa_user_sgpr_kernarg_segment_ptr 1
		.amdhsa_user_sgpr_dispatch_id 0
		.amdhsa_user_sgpr_kernarg_preload_length 0
		.amdhsa_user_sgpr_kernarg_preload_offset 0
		.amdhsa_user_sgpr_private_segment_size 0
		.amdhsa_uses_dynamic_stack 0
		.amdhsa_enable_private_segment 0
		.amdhsa_system_sgpr_workgroup_id_x 1
		.amdhsa_system_sgpr_workgroup_id_y 0
		.amdhsa_system_sgpr_workgroup_id_z 0
		.amdhsa_system_sgpr_workgroup_info 0
		.amdhsa_system_vgpr_workitem_id 0
		.amdhsa_next_free_vgpr 1
		.amdhsa_next_free_sgpr 0
		.amdhsa_accum_offset 4
		.amdhsa_reserve_vcc 0
		.amdhsa_float_round_mode_32 0
		.amdhsa_float_round_mode_16_64 0
		.amdhsa_float_denorm_mode_32 3
		.amdhsa_float_denorm_mode_16_64 3
		.amdhsa_dx10_clamp 1
		.amdhsa_ieee_mode 1
		.amdhsa_fp16_overflow 0
		.amdhsa_tg_split 0
		.amdhsa_exception_fp_ieee_invalid_op 0
		.amdhsa_exception_fp_denorm_src 0
		.amdhsa_exception_fp_ieee_div_zero 0
		.amdhsa_exception_fp_ieee_overflow 0
		.amdhsa_exception_fp_ieee_underflow 0
		.amdhsa_exception_fp_ieee_inexact 0
		.amdhsa_exception_int_div_zero 0
	.end_amdhsa_kernel
	.section	.text._ZN7rocprim17ROCPRIM_400000_NS6detail17trampoline_kernelINS0_13kernel_configILj256ELj4ELj4294967295EEENS1_37radix_sort_block_sort_config_selectorIfNS0_10empty_typeEEEZNS1_21radix_sort_block_sortIS4_Lb0EN6thrust23THRUST_200600_302600_NS6detail15normal_iteratorINSA_10device_ptrIfEEEESF_PS6_SG_NS0_19identity_decomposerEEE10hipError_tT1_T2_T3_T4_jRjT5_jjP12ihipStream_tbEUlT_E_NS1_11comp_targetILNS1_3genE5ELNS1_11target_archE942ELNS1_3gpuE9ELNS1_3repE0EEENS1_44radix_sort_block_sort_config_static_selectorELNS0_4arch9wavefront6targetE1EEEvSJ_,"axG",@progbits,_ZN7rocprim17ROCPRIM_400000_NS6detail17trampoline_kernelINS0_13kernel_configILj256ELj4ELj4294967295EEENS1_37radix_sort_block_sort_config_selectorIfNS0_10empty_typeEEEZNS1_21radix_sort_block_sortIS4_Lb0EN6thrust23THRUST_200600_302600_NS6detail15normal_iteratorINSA_10device_ptrIfEEEESF_PS6_SG_NS0_19identity_decomposerEEE10hipError_tT1_T2_T3_T4_jRjT5_jjP12ihipStream_tbEUlT_E_NS1_11comp_targetILNS1_3genE5ELNS1_11target_archE942ELNS1_3gpuE9ELNS1_3repE0EEENS1_44radix_sort_block_sort_config_static_selectorELNS0_4arch9wavefront6targetE1EEEvSJ_,comdat
.Lfunc_end458:
	.size	_ZN7rocprim17ROCPRIM_400000_NS6detail17trampoline_kernelINS0_13kernel_configILj256ELj4ELj4294967295EEENS1_37radix_sort_block_sort_config_selectorIfNS0_10empty_typeEEEZNS1_21radix_sort_block_sortIS4_Lb0EN6thrust23THRUST_200600_302600_NS6detail15normal_iteratorINSA_10device_ptrIfEEEESF_PS6_SG_NS0_19identity_decomposerEEE10hipError_tT1_T2_T3_T4_jRjT5_jjP12ihipStream_tbEUlT_E_NS1_11comp_targetILNS1_3genE5ELNS1_11target_archE942ELNS1_3gpuE9ELNS1_3repE0EEENS1_44radix_sort_block_sort_config_static_selectorELNS0_4arch9wavefront6targetE1EEEvSJ_, .Lfunc_end458-_ZN7rocprim17ROCPRIM_400000_NS6detail17trampoline_kernelINS0_13kernel_configILj256ELj4ELj4294967295EEENS1_37radix_sort_block_sort_config_selectorIfNS0_10empty_typeEEEZNS1_21radix_sort_block_sortIS4_Lb0EN6thrust23THRUST_200600_302600_NS6detail15normal_iteratorINSA_10device_ptrIfEEEESF_PS6_SG_NS0_19identity_decomposerEEE10hipError_tT1_T2_T3_T4_jRjT5_jjP12ihipStream_tbEUlT_E_NS1_11comp_targetILNS1_3genE5ELNS1_11target_archE942ELNS1_3gpuE9ELNS1_3repE0EEENS1_44radix_sort_block_sort_config_static_selectorELNS0_4arch9wavefront6targetE1EEEvSJ_
                                        ; -- End function
	.set _ZN7rocprim17ROCPRIM_400000_NS6detail17trampoline_kernelINS0_13kernel_configILj256ELj4ELj4294967295EEENS1_37radix_sort_block_sort_config_selectorIfNS0_10empty_typeEEEZNS1_21radix_sort_block_sortIS4_Lb0EN6thrust23THRUST_200600_302600_NS6detail15normal_iteratorINSA_10device_ptrIfEEEESF_PS6_SG_NS0_19identity_decomposerEEE10hipError_tT1_T2_T3_T4_jRjT5_jjP12ihipStream_tbEUlT_E_NS1_11comp_targetILNS1_3genE5ELNS1_11target_archE942ELNS1_3gpuE9ELNS1_3repE0EEENS1_44radix_sort_block_sort_config_static_selectorELNS0_4arch9wavefront6targetE1EEEvSJ_.num_vgpr, 0
	.set _ZN7rocprim17ROCPRIM_400000_NS6detail17trampoline_kernelINS0_13kernel_configILj256ELj4ELj4294967295EEENS1_37radix_sort_block_sort_config_selectorIfNS0_10empty_typeEEEZNS1_21radix_sort_block_sortIS4_Lb0EN6thrust23THRUST_200600_302600_NS6detail15normal_iteratorINSA_10device_ptrIfEEEESF_PS6_SG_NS0_19identity_decomposerEEE10hipError_tT1_T2_T3_T4_jRjT5_jjP12ihipStream_tbEUlT_E_NS1_11comp_targetILNS1_3genE5ELNS1_11target_archE942ELNS1_3gpuE9ELNS1_3repE0EEENS1_44radix_sort_block_sort_config_static_selectorELNS0_4arch9wavefront6targetE1EEEvSJ_.num_agpr, 0
	.set _ZN7rocprim17ROCPRIM_400000_NS6detail17trampoline_kernelINS0_13kernel_configILj256ELj4ELj4294967295EEENS1_37radix_sort_block_sort_config_selectorIfNS0_10empty_typeEEEZNS1_21radix_sort_block_sortIS4_Lb0EN6thrust23THRUST_200600_302600_NS6detail15normal_iteratorINSA_10device_ptrIfEEEESF_PS6_SG_NS0_19identity_decomposerEEE10hipError_tT1_T2_T3_T4_jRjT5_jjP12ihipStream_tbEUlT_E_NS1_11comp_targetILNS1_3genE5ELNS1_11target_archE942ELNS1_3gpuE9ELNS1_3repE0EEENS1_44radix_sort_block_sort_config_static_selectorELNS0_4arch9wavefront6targetE1EEEvSJ_.numbered_sgpr, 0
	.set _ZN7rocprim17ROCPRIM_400000_NS6detail17trampoline_kernelINS0_13kernel_configILj256ELj4ELj4294967295EEENS1_37radix_sort_block_sort_config_selectorIfNS0_10empty_typeEEEZNS1_21radix_sort_block_sortIS4_Lb0EN6thrust23THRUST_200600_302600_NS6detail15normal_iteratorINSA_10device_ptrIfEEEESF_PS6_SG_NS0_19identity_decomposerEEE10hipError_tT1_T2_T3_T4_jRjT5_jjP12ihipStream_tbEUlT_E_NS1_11comp_targetILNS1_3genE5ELNS1_11target_archE942ELNS1_3gpuE9ELNS1_3repE0EEENS1_44radix_sort_block_sort_config_static_selectorELNS0_4arch9wavefront6targetE1EEEvSJ_.num_named_barrier, 0
	.set _ZN7rocprim17ROCPRIM_400000_NS6detail17trampoline_kernelINS0_13kernel_configILj256ELj4ELj4294967295EEENS1_37radix_sort_block_sort_config_selectorIfNS0_10empty_typeEEEZNS1_21radix_sort_block_sortIS4_Lb0EN6thrust23THRUST_200600_302600_NS6detail15normal_iteratorINSA_10device_ptrIfEEEESF_PS6_SG_NS0_19identity_decomposerEEE10hipError_tT1_T2_T3_T4_jRjT5_jjP12ihipStream_tbEUlT_E_NS1_11comp_targetILNS1_3genE5ELNS1_11target_archE942ELNS1_3gpuE9ELNS1_3repE0EEENS1_44radix_sort_block_sort_config_static_selectorELNS0_4arch9wavefront6targetE1EEEvSJ_.private_seg_size, 0
	.set _ZN7rocprim17ROCPRIM_400000_NS6detail17trampoline_kernelINS0_13kernel_configILj256ELj4ELj4294967295EEENS1_37radix_sort_block_sort_config_selectorIfNS0_10empty_typeEEEZNS1_21radix_sort_block_sortIS4_Lb0EN6thrust23THRUST_200600_302600_NS6detail15normal_iteratorINSA_10device_ptrIfEEEESF_PS6_SG_NS0_19identity_decomposerEEE10hipError_tT1_T2_T3_T4_jRjT5_jjP12ihipStream_tbEUlT_E_NS1_11comp_targetILNS1_3genE5ELNS1_11target_archE942ELNS1_3gpuE9ELNS1_3repE0EEENS1_44radix_sort_block_sort_config_static_selectorELNS0_4arch9wavefront6targetE1EEEvSJ_.uses_vcc, 0
	.set _ZN7rocprim17ROCPRIM_400000_NS6detail17trampoline_kernelINS0_13kernel_configILj256ELj4ELj4294967295EEENS1_37radix_sort_block_sort_config_selectorIfNS0_10empty_typeEEEZNS1_21radix_sort_block_sortIS4_Lb0EN6thrust23THRUST_200600_302600_NS6detail15normal_iteratorINSA_10device_ptrIfEEEESF_PS6_SG_NS0_19identity_decomposerEEE10hipError_tT1_T2_T3_T4_jRjT5_jjP12ihipStream_tbEUlT_E_NS1_11comp_targetILNS1_3genE5ELNS1_11target_archE942ELNS1_3gpuE9ELNS1_3repE0EEENS1_44radix_sort_block_sort_config_static_selectorELNS0_4arch9wavefront6targetE1EEEvSJ_.uses_flat_scratch, 0
	.set _ZN7rocprim17ROCPRIM_400000_NS6detail17trampoline_kernelINS0_13kernel_configILj256ELj4ELj4294967295EEENS1_37radix_sort_block_sort_config_selectorIfNS0_10empty_typeEEEZNS1_21radix_sort_block_sortIS4_Lb0EN6thrust23THRUST_200600_302600_NS6detail15normal_iteratorINSA_10device_ptrIfEEEESF_PS6_SG_NS0_19identity_decomposerEEE10hipError_tT1_T2_T3_T4_jRjT5_jjP12ihipStream_tbEUlT_E_NS1_11comp_targetILNS1_3genE5ELNS1_11target_archE942ELNS1_3gpuE9ELNS1_3repE0EEENS1_44radix_sort_block_sort_config_static_selectorELNS0_4arch9wavefront6targetE1EEEvSJ_.has_dyn_sized_stack, 0
	.set _ZN7rocprim17ROCPRIM_400000_NS6detail17trampoline_kernelINS0_13kernel_configILj256ELj4ELj4294967295EEENS1_37radix_sort_block_sort_config_selectorIfNS0_10empty_typeEEEZNS1_21radix_sort_block_sortIS4_Lb0EN6thrust23THRUST_200600_302600_NS6detail15normal_iteratorINSA_10device_ptrIfEEEESF_PS6_SG_NS0_19identity_decomposerEEE10hipError_tT1_T2_T3_T4_jRjT5_jjP12ihipStream_tbEUlT_E_NS1_11comp_targetILNS1_3genE5ELNS1_11target_archE942ELNS1_3gpuE9ELNS1_3repE0EEENS1_44radix_sort_block_sort_config_static_selectorELNS0_4arch9wavefront6targetE1EEEvSJ_.has_recursion, 0
	.set _ZN7rocprim17ROCPRIM_400000_NS6detail17trampoline_kernelINS0_13kernel_configILj256ELj4ELj4294967295EEENS1_37radix_sort_block_sort_config_selectorIfNS0_10empty_typeEEEZNS1_21radix_sort_block_sortIS4_Lb0EN6thrust23THRUST_200600_302600_NS6detail15normal_iteratorINSA_10device_ptrIfEEEESF_PS6_SG_NS0_19identity_decomposerEEE10hipError_tT1_T2_T3_T4_jRjT5_jjP12ihipStream_tbEUlT_E_NS1_11comp_targetILNS1_3genE5ELNS1_11target_archE942ELNS1_3gpuE9ELNS1_3repE0EEENS1_44radix_sort_block_sort_config_static_selectorELNS0_4arch9wavefront6targetE1EEEvSJ_.has_indirect_call, 0
	.section	.AMDGPU.csdata,"",@progbits
; Kernel info:
; codeLenInByte = 0
; TotalNumSgprs: 6
; NumVgprs: 0
; NumAgprs: 0
; TotalNumVgprs: 0
; ScratchSize: 0
; MemoryBound: 0
; FloatMode: 240
; IeeeMode: 1
; LDSByteSize: 0 bytes/workgroup (compile time only)
; SGPRBlocks: 0
; VGPRBlocks: 0
; NumSGPRsForWavesPerEU: 6
; NumVGPRsForWavesPerEU: 1
; AccumOffset: 4
; Occupancy: 8
; WaveLimiterHint : 0
; COMPUTE_PGM_RSRC2:SCRATCH_EN: 0
; COMPUTE_PGM_RSRC2:USER_SGPR: 2
; COMPUTE_PGM_RSRC2:TRAP_HANDLER: 0
; COMPUTE_PGM_RSRC2:TGID_X_EN: 1
; COMPUTE_PGM_RSRC2:TGID_Y_EN: 0
; COMPUTE_PGM_RSRC2:TGID_Z_EN: 0
; COMPUTE_PGM_RSRC2:TIDIG_COMP_CNT: 0
; COMPUTE_PGM_RSRC3_GFX90A:ACCUM_OFFSET: 0
; COMPUTE_PGM_RSRC3_GFX90A:TG_SPLIT: 0
	.section	.text._ZN7rocprim17ROCPRIM_400000_NS6detail17trampoline_kernelINS0_13kernel_configILj256ELj4ELj4294967295EEENS1_37radix_sort_block_sort_config_selectorIfNS0_10empty_typeEEEZNS1_21radix_sort_block_sortIS4_Lb0EN6thrust23THRUST_200600_302600_NS6detail15normal_iteratorINSA_10device_ptrIfEEEESF_PS6_SG_NS0_19identity_decomposerEEE10hipError_tT1_T2_T3_T4_jRjT5_jjP12ihipStream_tbEUlT_E_NS1_11comp_targetILNS1_3genE4ELNS1_11target_archE910ELNS1_3gpuE8ELNS1_3repE0EEENS1_44radix_sort_block_sort_config_static_selectorELNS0_4arch9wavefront6targetE1EEEvSJ_,"axG",@progbits,_ZN7rocprim17ROCPRIM_400000_NS6detail17trampoline_kernelINS0_13kernel_configILj256ELj4ELj4294967295EEENS1_37radix_sort_block_sort_config_selectorIfNS0_10empty_typeEEEZNS1_21radix_sort_block_sortIS4_Lb0EN6thrust23THRUST_200600_302600_NS6detail15normal_iteratorINSA_10device_ptrIfEEEESF_PS6_SG_NS0_19identity_decomposerEEE10hipError_tT1_T2_T3_T4_jRjT5_jjP12ihipStream_tbEUlT_E_NS1_11comp_targetILNS1_3genE4ELNS1_11target_archE910ELNS1_3gpuE8ELNS1_3repE0EEENS1_44radix_sort_block_sort_config_static_selectorELNS0_4arch9wavefront6targetE1EEEvSJ_,comdat
	.protected	_ZN7rocprim17ROCPRIM_400000_NS6detail17trampoline_kernelINS0_13kernel_configILj256ELj4ELj4294967295EEENS1_37radix_sort_block_sort_config_selectorIfNS0_10empty_typeEEEZNS1_21radix_sort_block_sortIS4_Lb0EN6thrust23THRUST_200600_302600_NS6detail15normal_iteratorINSA_10device_ptrIfEEEESF_PS6_SG_NS0_19identity_decomposerEEE10hipError_tT1_T2_T3_T4_jRjT5_jjP12ihipStream_tbEUlT_E_NS1_11comp_targetILNS1_3genE4ELNS1_11target_archE910ELNS1_3gpuE8ELNS1_3repE0EEENS1_44radix_sort_block_sort_config_static_selectorELNS0_4arch9wavefront6targetE1EEEvSJ_ ; -- Begin function _ZN7rocprim17ROCPRIM_400000_NS6detail17trampoline_kernelINS0_13kernel_configILj256ELj4ELj4294967295EEENS1_37radix_sort_block_sort_config_selectorIfNS0_10empty_typeEEEZNS1_21radix_sort_block_sortIS4_Lb0EN6thrust23THRUST_200600_302600_NS6detail15normal_iteratorINSA_10device_ptrIfEEEESF_PS6_SG_NS0_19identity_decomposerEEE10hipError_tT1_T2_T3_T4_jRjT5_jjP12ihipStream_tbEUlT_E_NS1_11comp_targetILNS1_3genE4ELNS1_11target_archE910ELNS1_3gpuE8ELNS1_3repE0EEENS1_44radix_sort_block_sort_config_static_selectorELNS0_4arch9wavefront6targetE1EEEvSJ_
	.globl	_ZN7rocprim17ROCPRIM_400000_NS6detail17trampoline_kernelINS0_13kernel_configILj256ELj4ELj4294967295EEENS1_37radix_sort_block_sort_config_selectorIfNS0_10empty_typeEEEZNS1_21radix_sort_block_sortIS4_Lb0EN6thrust23THRUST_200600_302600_NS6detail15normal_iteratorINSA_10device_ptrIfEEEESF_PS6_SG_NS0_19identity_decomposerEEE10hipError_tT1_T2_T3_T4_jRjT5_jjP12ihipStream_tbEUlT_E_NS1_11comp_targetILNS1_3genE4ELNS1_11target_archE910ELNS1_3gpuE8ELNS1_3repE0EEENS1_44radix_sort_block_sort_config_static_selectorELNS0_4arch9wavefront6targetE1EEEvSJ_
	.p2align	8
	.type	_ZN7rocprim17ROCPRIM_400000_NS6detail17trampoline_kernelINS0_13kernel_configILj256ELj4ELj4294967295EEENS1_37radix_sort_block_sort_config_selectorIfNS0_10empty_typeEEEZNS1_21radix_sort_block_sortIS4_Lb0EN6thrust23THRUST_200600_302600_NS6detail15normal_iteratorINSA_10device_ptrIfEEEESF_PS6_SG_NS0_19identity_decomposerEEE10hipError_tT1_T2_T3_T4_jRjT5_jjP12ihipStream_tbEUlT_E_NS1_11comp_targetILNS1_3genE4ELNS1_11target_archE910ELNS1_3gpuE8ELNS1_3repE0EEENS1_44radix_sort_block_sort_config_static_selectorELNS0_4arch9wavefront6targetE1EEEvSJ_,@function
_ZN7rocprim17ROCPRIM_400000_NS6detail17trampoline_kernelINS0_13kernel_configILj256ELj4ELj4294967295EEENS1_37radix_sort_block_sort_config_selectorIfNS0_10empty_typeEEEZNS1_21radix_sort_block_sortIS4_Lb0EN6thrust23THRUST_200600_302600_NS6detail15normal_iteratorINSA_10device_ptrIfEEEESF_PS6_SG_NS0_19identity_decomposerEEE10hipError_tT1_T2_T3_T4_jRjT5_jjP12ihipStream_tbEUlT_E_NS1_11comp_targetILNS1_3genE4ELNS1_11target_archE910ELNS1_3gpuE8ELNS1_3repE0EEENS1_44radix_sort_block_sort_config_static_selectorELNS0_4arch9wavefront6targetE1EEEvSJ_: ; @_ZN7rocprim17ROCPRIM_400000_NS6detail17trampoline_kernelINS0_13kernel_configILj256ELj4ELj4294967295EEENS1_37radix_sort_block_sort_config_selectorIfNS0_10empty_typeEEEZNS1_21radix_sort_block_sortIS4_Lb0EN6thrust23THRUST_200600_302600_NS6detail15normal_iteratorINSA_10device_ptrIfEEEESF_PS6_SG_NS0_19identity_decomposerEEE10hipError_tT1_T2_T3_T4_jRjT5_jjP12ihipStream_tbEUlT_E_NS1_11comp_targetILNS1_3genE4ELNS1_11target_archE910ELNS1_3gpuE8ELNS1_3repE0EEENS1_44radix_sort_block_sort_config_static_selectorELNS0_4arch9wavefront6targetE1EEEvSJ_
; %bb.0:
	.section	.rodata,"a",@progbits
	.p2align	6, 0x0
	.amdhsa_kernel _ZN7rocprim17ROCPRIM_400000_NS6detail17trampoline_kernelINS0_13kernel_configILj256ELj4ELj4294967295EEENS1_37radix_sort_block_sort_config_selectorIfNS0_10empty_typeEEEZNS1_21radix_sort_block_sortIS4_Lb0EN6thrust23THRUST_200600_302600_NS6detail15normal_iteratorINSA_10device_ptrIfEEEESF_PS6_SG_NS0_19identity_decomposerEEE10hipError_tT1_T2_T3_T4_jRjT5_jjP12ihipStream_tbEUlT_E_NS1_11comp_targetILNS1_3genE4ELNS1_11target_archE910ELNS1_3gpuE8ELNS1_3repE0EEENS1_44radix_sort_block_sort_config_static_selectorELNS0_4arch9wavefront6targetE1EEEvSJ_
		.amdhsa_group_segment_fixed_size 0
		.amdhsa_private_segment_fixed_size 0
		.amdhsa_kernarg_size 48
		.amdhsa_user_sgpr_count 2
		.amdhsa_user_sgpr_dispatch_ptr 0
		.amdhsa_user_sgpr_queue_ptr 0
		.amdhsa_user_sgpr_kernarg_segment_ptr 1
		.amdhsa_user_sgpr_dispatch_id 0
		.amdhsa_user_sgpr_kernarg_preload_length 0
		.amdhsa_user_sgpr_kernarg_preload_offset 0
		.amdhsa_user_sgpr_private_segment_size 0
		.amdhsa_uses_dynamic_stack 0
		.amdhsa_enable_private_segment 0
		.amdhsa_system_sgpr_workgroup_id_x 1
		.amdhsa_system_sgpr_workgroup_id_y 0
		.amdhsa_system_sgpr_workgroup_id_z 0
		.amdhsa_system_sgpr_workgroup_info 0
		.amdhsa_system_vgpr_workitem_id 0
		.amdhsa_next_free_vgpr 1
		.amdhsa_next_free_sgpr 0
		.amdhsa_accum_offset 4
		.amdhsa_reserve_vcc 0
		.amdhsa_float_round_mode_32 0
		.amdhsa_float_round_mode_16_64 0
		.amdhsa_float_denorm_mode_32 3
		.amdhsa_float_denorm_mode_16_64 3
		.amdhsa_dx10_clamp 1
		.amdhsa_ieee_mode 1
		.amdhsa_fp16_overflow 0
		.amdhsa_tg_split 0
		.amdhsa_exception_fp_ieee_invalid_op 0
		.amdhsa_exception_fp_denorm_src 0
		.amdhsa_exception_fp_ieee_div_zero 0
		.amdhsa_exception_fp_ieee_overflow 0
		.amdhsa_exception_fp_ieee_underflow 0
		.amdhsa_exception_fp_ieee_inexact 0
		.amdhsa_exception_int_div_zero 0
	.end_amdhsa_kernel
	.section	.text._ZN7rocprim17ROCPRIM_400000_NS6detail17trampoline_kernelINS0_13kernel_configILj256ELj4ELj4294967295EEENS1_37radix_sort_block_sort_config_selectorIfNS0_10empty_typeEEEZNS1_21radix_sort_block_sortIS4_Lb0EN6thrust23THRUST_200600_302600_NS6detail15normal_iteratorINSA_10device_ptrIfEEEESF_PS6_SG_NS0_19identity_decomposerEEE10hipError_tT1_T2_T3_T4_jRjT5_jjP12ihipStream_tbEUlT_E_NS1_11comp_targetILNS1_3genE4ELNS1_11target_archE910ELNS1_3gpuE8ELNS1_3repE0EEENS1_44radix_sort_block_sort_config_static_selectorELNS0_4arch9wavefront6targetE1EEEvSJ_,"axG",@progbits,_ZN7rocprim17ROCPRIM_400000_NS6detail17trampoline_kernelINS0_13kernel_configILj256ELj4ELj4294967295EEENS1_37radix_sort_block_sort_config_selectorIfNS0_10empty_typeEEEZNS1_21radix_sort_block_sortIS4_Lb0EN6thrust23THRUST_200600_302600_NS6detail15normal_iteratorINSA_10device_ptrIfEEEESF_PS6_SG_NS0_19identity_decomposerEEE10hipError_tT1_T2_T3_T4_jRjT5_jjP12ihipStream_tbEUlT_E_NS1_11comp_targetILNS1_3genE4ELNS1_11target_archE910ELNS1_3gpuE8ELNS1_3repE0EEENS1_44radix_sort_block_sort_config_static_selectorELNS0_4arch9wavefront6targetE1EEEvSJ_,comdat
.Lfunc_end459:
	.size	_ZN7rocprim17ROCPRIM_400000_NS6detail17trampoline_kernelINS0_13kernel_configILj256ELj4ELj4294967295EEENS1_37radix_sort_block_sort_config_selectorIfNS0_10empty_typeEEEZNS1_21radix_sort_block_sortIS4_Lb0EN6thrust23THRUST_200600_302600_NS6detail15normal_iteratorINSA_10device_ptrIfEEEESF_PS6_SG_NS0_19identity_decomposerEEE10hipError_tT1_T2_T3_T4_jRjT5_jjP12ihipStream_tbEUlT_E_NS1_11comp_targetILNS1_3genE4ELNS1_11target_archE910ELNS1_3gpuE8ELNS1_3repE0EEENS1_44radix_sort_block_sort_config_static_selectorELNS0_4arch9wavefront6targetE1EEEvSJ_, .Lfunc_end459-_ZN7rocprim17ROCPRIM_400000_NS6detail17trampoline_kernelINS0_13kernel_configILj256ELj4ELj4294967295EEENS1_37radix_sort_block_sort_config_selectorIfNS0_10empty_typeEEEZNS1_21radix_sort_block_sortIS4_Lb0EN6thrust23THRUST_200600_302600_NS6detail15normal_iteratorINSA_10device_ptrIfEEEESF_PS6_SG_NS0_19identity_decomposerEEE10hipError_tT1_T2_T3_T4_jRjT5_jjP12ihipStream_tbEUlT_E_NS1_11comp_targetILNS1_3genE4ELNS1_11target_archE910ELNS1_3gpuE8ELNS1_3repE0EEENS1_44radix_sort_block_sort_config_static_selectorELNS0_4arch9wavefront6targetE1EEEvSJ_
                                        ; -- End function
	.set _ZN7rocprim17ROCPRIM_400000_NS6detail17trampoline_kernelINS0_13kernel_configILj256ELj4ELj4294967295EEENS1_37radix_sort_block_sort_config_selectorIfNS0_10empty_typeEEEZNS1_21radix_sort_block_sortIS4_Lb0EN6thrust23THRUST_200600_302600_NS6detail15normal_iteratorINSA_10device_ptrIfEEEESF_PS6_SG_NS0_19identity_decomposerEEE10hipError_tT1_T2_T3_T4_jRjT5_jjP12ihipStream_tbEUlT_E_NS1_11comp_targetILNS1_3genE4ELNS1_11target_archE910ELNS1_3gpuE8ELNS1_3repE0EEENS1_44radix_sort_block_sort_config_static_selectorELNS0_4arch9wavefront6targetE1EEEvSJ_.num_vgpr, 0
	.set _ZN7rocprim17ROCPRIM_400000_NS6detail17trampoline_kernelINS0_13kernel_configILj256ELj4ELj4294967295EEENS1_37radix_sort_block_sort_config_selectorIfNS0_10empty_typeEEEZNS1_21radix_sort_block_sortIS4_Lb0EN6thrust23THRUST_200600_302600_NS6detail15normal_iteratorINSA_10device_ptrIfEEEESF_PS6_SG_NS0_19identity_decomposerEEE10hipError_tT1_T2_T3_T4_jRjT5_jjP12ihipStream_tbEUlT_E_NS1_11comp_targetILNS1_3genE4ELNS1_11target_archE910ELNS1_3gpuE8ELNS1_3repE0EEENS1_44radix_sort_block_sort_config_static_selectorELNS0_4arch9wavefront6targetE1EEEvSJ_.num_agpr, 0
	.set _ZN7rocprim17ROCPRIM_400000_NS6detail17trampoline_kernelINS0_13kernel_configILj256ELj4ELj4294967295EEENS1_37radix_sort_block_sort_config_selectorIfNS0_10empty_typeEEEZNS1_21radix_sort_block_sortIS4_Lb0EN6thrust23THRUST_200600_302600_NS6detail15normal_iteratorINSA_10device_ptrIfEEEESF_PS6_SG_NS0_19identity_decomposerEEE10hipError_tT1_T2_T3_T4_jRjT5_jjP12ihipStream_tbEUlT_E_NS1_11comp_targetILNS1_3genE4ELNS1_11target_archE910ELNS1_3gpuE8ELNS1_3repE0EEENS1_44radix_sort_block_sort_config_static_selectorELNS0_4arch9wavefront6targetE1EEEvSJ_.numbered_sgpr, 0
	.set _ZN7rocprim17ROCPRIM_400000_NS6detail17trampoline_kernelINS0_13kernel_configILj256ELj4ELj4294967295EEENS1_37radix_sort_block_sort_config_selectorIfNS0_10empty_typeEEEZNS1_21radix_sort_block_sortIS4_Lb0EN6thrust23THRUST_200600_302600_NS6detail15normal_iteratorINSA_10device_ptrIfEEEESF_PS6_SG_NS0_19identity_decomposerEEE10hipError_tT1_T2_T3_T4_jRjT5_jjP12ihipStream_tbEUlT_E_NS1_11comp_targetILNS1_3genE4ELNS1_11target_archE910ELNS1_3gpuE8ELNS1_3repE0EEENS1_44radix_sort_block_sort_config_static_selectorELNS0_4arch9wavefront6targetE1EEEvSJ_.num_named_barrier, 0
	.set _ZN7rocprim17ROCPRIM_400000_NS6detail17trampoline_kernelINS0_13kernel_configILj256ELj4ELj4294967295EEENS1_37radix_sort_block_sort_config_selectorIfNS0_10empty_typeEEEZNS1_21radix_sort_block_sortIS4_Lb0EN6thrust23THRUST_200600_302600_NS6detail15normal_iteratorINSA_10device_ptrIfEEEESF_PS6_SG_NS0_19identity_decomposerEEE10hipError_tT1_T2_T3_T4_jRjT5_jjP12ihipStream_tbEUlT_E_NS1_11comp_targetILNS1_3genE4ELNS1_11target_archE910ELNS1_3gpuE8ELNS1_3repE0EEENS1_44radix_sort_block_sort_config_static_selectorELNS0_4arch9wavefront6targetE1EEEvSJ_.private_seg_size, 0
	.set _ZN7rocprim17ROCPRIM_400000_NS6detail17trampoline_kernelINS0_13kernel_configILj256ELj4ELj4294967295EEENS1_37radix_sort_block_sort_config_selectorIfNS0_10empty_typeEEEZNS1_21radix_sort_block_sortIS4_Lb0EN6thrust23THRUST_200600_302600_NS6detail15normal_iteratorINSA_10device_ptrIfEEEESF_PS6_SG_NS0_19identity_decomposerEEE10hipError_tT1_T2_T3_T4_jRjT5_jjP12ihipStream_tbEUlT_E_NS1_11comp_targetILNS1_3genE4ELNS1_11target_archE910ELNS1_3gpuE8ELNS1_3repE0EEENS1_44radix_sort_block_sort_config_static_selectorELNS0_4arch9wavefront6targetE1EEEvSJ_.uses_vcc, 0
	.set _ZN7rocprim17ROCPRIM_400000_NS6detail17trampoline_kernelINS0_13kernel_configILj256ELj4ELj4294967295EEENS1_37radix_sort_block_sort_config_selectorIfNS0_10empty_typeEEEZNS1_21radix_sort_block_sortIS4_Lb0EN6thrust23THRUST_200600_302600_NS6detail15normal_iteratorINSA_10device_ptrIfEEEESF_PS6_SG_NS0_19identity_decomposerEEE10hipError_tT1_T2_T3_T4_jRjT5_jjP12ihipStream_tbEUlT_E_NS1_11comp_targetILNS1_3genE4ELNS1_11target_archE910ELNS1_3gpuE8ELNS1_3repE0EEENS1_44radix_sort_block_sort_config_static_selectorELNS0_4arch9wavefront6targetE1EEEvSJ_.uses_flat_scratch, 0
	.set _ZN7rocprim17ROCPRIM_400000_NS6detail17trampoline_kernelINS0_13kernel_configILj256ELj4ELj4294967295EEENS1_37radix_sort_block_sort_config_selectorIfNS0_10empty_typeEEEZNS1_21radix_sort_block_sortIS4_Lb0EN6thrust23THRUST_200600_302600_NS6detail15normal_iteratorINSA_10device_ptrIfEEEESF_PS6_SG_NS0_19identity_decomposerEEE10hipError_tT1_T2_T3_T4_jRjT5_jjP12ihipStream_tbEUlT_E_NS1_11comp_targetILNS1_3genE4ELNS1_11target_archE910ELNS1_3gpuE8ELNS1_3repE0EEENS1_44radix_sort_block_sort_config_static_selectorELNS0_4arch9wavefront6targetE1EEEvSJ_.has_dyn_sized_stack, 0
	.set _ZN7rocprim17ROCPRIM_400000_NS6detail17trampoline_kernelINS0_13kernel_configILj256ELj4ELj4294967295EEENS1_37radix_sort_block_sort_config_selectorIfNS0_10empty_typeEEEZNS1_21radix_sort_block_sortIS4_Lb0EN6thrust23THRUST_200600_302600_NS6detail15normal_iteratorINSA_10device_ptrIfEEEESF_PS6_SG_NS0_19identity_decomposerEEE10hipError_tT1_T2_T3_T4_jRjT5_jjP12ihipStream_tbEUlT_E_NS1_11comp_targetILNS1_3genE4ELNS1_11target_archE910ELNS1_3gpuE8ELNS1_3repE0EEENS1_44radix_sort_block_sort_config_static_selectorELNS0_4arch9wavefront6targetE1EEEvSJ_.has_recursion, 0
	.set _ZN7rocprim17ROCPRIM_400000_NS6detail17trampoline_kernelINS0_13kernel_configILj256ELj4ELj4294967295EEENS1_37radix_sort_block_sort_config_selectorIfNS0_10empty_typeEEEZNS1_21radix_sort_block_sortIS4_Lb0EN6thrust23THRUST_200600_302600_NS6detail15normal_iteratorINSA_10device_ptrIfEEEESF_PS6_SG_NS0_19identity_decomposerEEE10hipError_tT1_T2_T3_T4_jRjT5_jjP12ihipStream_tbEUlT_E_NS1_11comp_targetILNS1_3genE4ELNS1_11target_archE910ELNS1_3gpuE8ELNS1_3repE0EEENS1_44radix_sort_block_sort_config_static_selectorELNS0_4arch9wavefront6targetE1EEEvSJ_.has_indirect_call, 0
	.section	.AMDGPU.csdata,"",@progbits
; Kernel info:
; codeLenInByte = 0
; TotalNumSgprs: 6
; NumVgprs: 0
; NumAgprs: 0
; TotalNumVgprs: 0
; ScratchSize: 0
; MemoryBound: 0
; FloatMode: 240
; IeeeMode: 1
; LDSByteSize: 0 bytes/workgroup (compile time only)
; SGPRBlocks: 0
; VGPRBlocks: 0
; NumSGPRsForWavesPerEU: 6
; NumVGPRsForWavesPerEU: 1
; AccumOffset: 4
; Occupancy: 8
; WaveLimiterHint : 0
; COMPUTE_PGM_RSRC2:SCRATCH_EN: 0
; COMPUTE_PGM_RSRC2:USER_SGPR: 2
; COMPUTE_PGM_RSRC2:TRAP_HANDLER: 0
; COMPUTE_PGM_RSRC2:TGID_X_EN: 1
; COMPUTE_PGM_RSRC2:TGID_Y_EN: 0
; COMPUTE_PGM_RSRC2:TGID_Z_EN: 0
; COMPUTE_PGM_RSRC2:TIDIG_COMP_CNT: 0
; COMPUTE_PGM_RSRC3_GFX90A:ACCUM_OFFSET: 0
; COMPUTE_PGM_RSRC3_GFX90A:TG_SPLIT: 0
	.section	.text._ZN7rocprim17ROCPRIM_400000_NS6detail17trampoline_kernelINS0_13kernel_configILj256ELj4ELj4294967295EEENS1_37radix_sort_block_sort_config_selectorIfNS0_10empty_typeEEEZNS1_21radix_sort_block_sortIS4_Lb0EN6thrust23THRUST_200600_302600_NS6detail15normal_iteratorINSA_10device_ptrIfEEEESF_PS6_SG_NS0_19identity_decomposerEEE10hipError_tT1_T2_T3_T4_jRjT5_jjP12ihipStream_tbEUlT_E_NS1_11comp_targetILNS1_3genE3ELNS1_11target_archE908ELNS1_3gpuE7ELNS1_3repE0EEENS1_44radix_sort_block_sort_config_static_selectorELNS0_4arch9wavefront6targetE1EEEvSJ_,"axG",@progbits,_ZN7rocprim17ROCPRIM_400000_NS6detail17trampoline_kernelINS0_13kernel_configILj256ELj4ELj4294967295EEENS1_37radix_sort_block_sort_config_selectorIfNS0_10empty_typeEEEZNS1_21radix_sort_block_sortIS4_Lb0EN6thrust23THRUST_200600_302600_NS6detail15normal_iteratorINSA_10device_ptrIfEEEESF_PS6_SG_NS0_19identity_decomposerEEE10hipError_tT1_T2_T3_T4_jRjT5_jjP12ihipStream_tbEUlT_E_NS1_11comp_targetILNS1_3genE3ELNS1_11target_archE908ELNS1_3gpuE7ELNS1_3repE0EEENS1_44radix_sort_block_sort_config_static_selectorELNS0_4arch9wavefront6targetE1EEEvSJ_,comdat
	.protected	_ZN7rocprim17ROCPRIM_400000_NS6detail17trampoline_kernelINS0_13kernel_configILj256ELj4ELj4294967295EEENS1_37radix_sort_block_sort_config_selectorIfNS0_10empty_typeEEEZNS1_21radix_sort_block_sortIS4_Lb0EN6thrust23THRUST_200600_302600_NS6detail15normal_iteratorINSA_10device_ptrIfEEEESF_PS6_SG_NS0_19identity_decomposerEEE10hipError_tT1_T2_T3_T4_jRjT5_jjP12ihipStream_tbEUlT_E_NS1_11comp_targetILNS1_3genE3ELNS1_11target_archE908ELNS1_3gpuE7ELNS1_3repE0EEENS1_44radix_sort_block_sort_config_static_selectorELNS0_4arch9wavefront6targetE1EEEvSJ_ ; -- Begin function _ZN7rocprim17ROCPRIM_400000_NS6detail17trampoline_kernelINS0_13kernel_configILj256ELj4ELj4294967295EEENS1_37radix_sort_block_sort_config_selectorIfNS0_10empty_typeEEEZNS1_21radix_sort_block_sortIS4_Lb0EN6thrust23THRUST_200600_302600_NS6detail15normal_iteratorINSA_10device_ptrIfEEEESF_PS6_SG_NS0_19identity_decomposerEEE10hipError_tT1_T2_T3_T4_jRjT5_jjP12ihipStream_tbEUlT_E_NS1_11comp_targetILNS1_3genE3ELNS1_11target_archE908ELNS1_3gpuE7ELNS1_3repE0EEENS1_44radix_sort_block_sort_config_static_selectorELNS0_4arch9wavefront6targetE1EEEvSJ_
	.globl	_ZN7rocprim17ROCPRIM_400000_NS6detail17trampoline_kernelINS0_13kernel_configILj256ELj4ELj4294967295EEENS1_37radix_sort_block_sort_config_selectorIfNS0_10empty_typeEEEZNS1_21radix_sort_block_sortIS4_Lb0EN6thrust23THRUST_200600_302600_NS6detail15normal_iteratorINSA_10device_ptrIfEEEESF_PS6_SG_NS0_19identity_decomposerEEE10hipError_tT1_T2_T3_T4_jRjT5_jjP12ihipStream_tbEUlT_E_NS1_11comp_targetILNS1_3genE3ELNS1_11target_archE908ELNS1_3gpuE7ELNS1_3repE0EEENS1_44radix_sort_block_sort_config_static_selectorELNS0_4arch9wavefront6targetE1EEEvSJ_
	.p2align	8
	.type	_ZN7rocprim17ROCPRIM_400000_NS6detail17trampoline_kernelINS0_13kernel_configILj256ELj4ELj4294967295EEENS1_37radix_sort_block_sort_config_selectorIfNS0_10empty_typeEEEZNS1_21radix_sort_block_sortIS4_Lb0EN6thrust23THRUST_200600_302600_NS6detail15normal_iteratorINSA_10device_ptrIfEEEESF_PS6_SG_NS0_19identity_decomposerEEE10hipError_tT1_T2_T3_T4_jRjT5_jjP12ihipStream_tbEUlT_E_NS1_11comp_targetILNS1_3genE3ELNS1_11target_archE908ELNS1_3gpuE7ELNS1_3repE0EEENS1_44radix_sort_block_sort_config_static_selectorELNS0_4arch9wavefront6targetE1EEEvSJ_,@function
_ZN7rocprim17ROCPRIM_400000_NS6detail17trampoline_kernelINS0_13kernel_configILj256ELj4ELj4294967295EEENS1_37radix_sort_block_sort_config_selectorIfNS0_10empty_typeEEEZNS1_21radix_sort_block_sortIS4_Lb0EN6thrust23THRUST_200600_302600_NS6detail15normal_iteratorINSA_10device_ptrIfEEEESF_PS6_SG_NS0_19identity_decomposerEEE10hipError_tT1_T2_T3_T4_jRjT5_jjP12ihipStream_tbEUlT_E_NS1_11comp_targetILNS1_3genE3ELNS1_11target_archE908ELNS1_3gpuE7ELNS1_3repE0EEENS1_44radix_sort_block_sort_config_static_selectorELNS0_4arch9wavefront6targetE1EEEvSJ_: ; @_ZN7rocprim17ROCPRIM_400000_NS6detail17trampoline_kernelINS0_13kernel_configILj256ELj4ELj4294967295EEENS1_37radix_sort_block_sort_config_selectorIfNS0_10empty_typeEEEZNS1_21radix_sort_block_sortIS4_Lb0EN6thrust23THRUST_200600_302600_NS6detail15normal_iteratorINSA_10device_ptrIfEEEESF_PS6_SG_NS0_19identity_decomposerEEE10hipError_tT1_T2_T3_T4_jRjT5_jjP12ihipStream_tbEUlT_E_NS1_11comp_targetILNS1_3genE3ELNS1_11target_archE908ELNS1_3gpuE7ELNS1_3repE0EEENS1_44radix_sort_block_sort_config_static_selectorELNS0_4arch9wavefront6targetE1EEEvSJ_
; %bb.0:
	.section	.rodata,"a",@progbits
	.p2align	6, 0x0
	.amdhsa_kernel _ZN7rocprim17ROCPRIM_400000_NS6detail17trampoline_kernelINS0_13kernel_configILj256ELj4ELj4294967295EEENS1_37radix_sort_block_sort_config_selectorIfNS0_10empty_typeEEEZNS1_21radix_sort_block_sortIS4_Lb0EN6thrust23THRUST_200600_302600_NS6detail15normal_iteratorINSA_10device_ptrIfEEEESF_PS6_SG_NS0_19identity_decomposerEEE10hipError_tT1_T2_T3_T4_jRjT5_jjP12ihipStream_tbEUlT_E_NS1_11comp_targetILNS1_3genE3ELNS1_11target_archE908ELNS1_3gpuE7ELNS1_3repE0EEENS1_44radix_sort_block_sort_config_static_selectorELNS0_4arch9wavefront6targetE1EEEvSJ_
		.amdhsa_group_segment_fixed_size 0
		.amdhsa_private_segment_fixed_size 0
		.amdhsa_kernarg_size 48
		.amdhsa_user_sgpr_count 2
		.amdhsa_user_sgpr_dispatch_ptr 0
		.amdhsa_user_sgpr_queue_ptr 0
		.amdhsa_user_sgpr_kernarg_segment_ptr 1
		.amdhsa_user_sgpr_dispatch_id 0
		.amdhsa_user_sgpr_kernarg_preload_length 0
		.amdhsa_user_sgpr_kernarg_preload_offset 0
		.amdhsa_user_sgpr_private_segment_size 0
		.amdhsa_uses_dynamic_stack 0
		.amdhsa_enable_private_segment 0
		.amdhsa_system_sgpr_workgroup_id_x 1
		.amdhsa_system_sgpr_workgroup_id_y 0
		.amdhsa_system_sgpr_workgroup_id_z 0
		.amdhsa_system_sgpr_workgroup_info 0
		.amdhsa_system_vgpr_workitem_id 0
		.amdhsa_next_free_vgpr 1
		.amdhsa_next_free_sgpr 0
		.amdhsa_accum_offset 4
		.amdhsa_reserve_vcc 0
		.amdhsa_float_round_mode_32 0
		.amdhsa_float_round_mode_16_64 0
		.amdhsa_float_denorm_mode_32 3
		.amdhsa_float_denorm_mode_16_64 3
		.amdhsa_dx10_clamp 1
		.amdhsa_ieee_mode 1
		.amdhsa_fp16_overflow 0
		.amdhsa_tg_split 0
		.amdhsa_exception_fp_ieee_invalid_op 0
		.amdhsa_exception_fp_denorm_src 0
		.amdhsa_exception_fp_ieee_div_zero 0
		.amdhsa_exception_fp_ieee_overflow 0
		.amdhsa_exception_fp_ieee_underflow 0
		.amdhsa_exception_fp_ieee_inexact 0
		.amdhsa_exception_int_div_zero 0
	.end_amdhsa_kernel
	.section	.text._ZN7rocprim17ROCPRIM_400000_NS6detail17trampoline_kernelINS0_13kernel_configILj256ELj4ELj4294967295EEENS1_37radix_sort_block_sort_config_selectorIfNS0_10empty_typeEEEZNS1_21radix_sort_block_sortIS4_Lb0EN6thrust23THRUST_200600_302600_NS6detail15normal_iteratorINSA_10device_ptrIfEEEESF_PS6_SG_NS0_19identity_decomposerEEE10hipError_tT1_T2_T3_T4_jRjT5_jjP12ihipStream_tbEUlT_E_NS1_11comp_targetILNS1_3genE3ELNS1_11target_archE908ELNS1_3gpuE7ELNS1_3repE0EEENS1_44radix_sort_block_sort_config_static_selectorELNS0_4arch9wavefront6targetE1EEEvSJ_,"axG",@progbits,_ZN7rocprim17ROCPRIM_400000_NS6detail17trampoline_kernelINS0_13kernel_configILj256ELj4ELj4294967295EEENS1_37radix_sort_block_sort_config_selectorIfNS0_10empty_typeEEEZNS1_21radix_sort_block_sortIS4_Lb0EN6thrust23THRUST_200600_302600_NS6detail15normal_iteratorINSA_10device_ptrIfEEEESF_PS6_SG_NS0_19identity_decomposerEEE10hipError_tT1_T2_T3_T4_jRjT5_jjP12ihipStream_tbEUlT_E_NS1_11comp_targetILNS1_3genE3ELNS1_11target_archE908ELNS1_3gpuE7ELNS1_3repE0EEENS1_44radix_sort_block_sort_config_static_selectorELNS0_4arch9wavefront6targetE1EEEvSJ_,comdat
.Lfunc_end460:
	.size	_ZN7rocprim17ROCPRIM_400000_NS6detail17trampoline_kernelINS0_13kernel_configILj256ELj4ELj4294967295EEENS1_37radix_sort_block_sort_config_selectorIfNS0_10empty_typeEEEZNS1_21radix_sort_block_sortIS4_Lb0EN6thrust23THRUST_200600_302600_NS6detail15normal_iteratorINSA_10device_ptrIfEEEESF_PS6_SG_NS0_19identity_decomposerEEE10hipError_tT1_T2_T3_T4_jRjT5_jjP12ihipStream_tbEUlT_E_NS1_11comp_targetILNS1_3genE3ELNS1_11target_archE908ELNS1_3gpuE7ELNS1_3repE0EEENS1_44radix_sort_block_sort_config_static_selectorELNS0_4arch9wavefront6targetE1EEEvSJ_, .Lfunc_end460-_ZN7rocprim17ROCPRIM_400000_NS6detail17trampoline_kernelINS0_13kernel_configILj256ELj4ELj4294967295EEENS1_37radix_sort_block_sort_config_selectorIfNS0_10empty_typeEEEZNS1_21radix_sort_block_sortIS4_Lb0EN6thrust23THRUST_200600_302600_NS6detail15normal_iteratorINSA_10device_ptrIfEEEESF_PS6_SG_NS0_19identity_decomposerEEE10hipError_tT1_T2_T3_T4_jRjT5_jjP12ihipStream_tbEUlT_E_NS1_11comp_targetILNS1_3genE3ELNS1_11target_archE908ELNS1_3gpuE7ELNS1_3repE0EEENS1_44radix_sort_block_sort_config_static_selectorELNS0_4arch9wavefront6targetE1EEEvSJ_
                                        ; -- End function
	.set _ZN7rocprim17ROCPRIM_400000_NS6detail17trampoline_kernelINS0_13kernel_configILj256ELj4ELj4294967295EEENS1_37radix_sort_block_sort_config_selectorIfNS0_10empty_typeEEEZNS1_21radix_sort_block_sortIS4_Lb0EN6thrust23THRUST_200600_302600_NS6detail15normal_iteratorINSA_10device_ptrIfEEEESF_PS6_SG_NS0_19identity_decomposerEEE10hipError_tT1_T2_T3_T4_jRjT5_jjP12ihipStream_tbEUlT_E_NS1_11comp_targetILNS1_3genE3ELNS1_11target_archE908ELNS1_3gpuE7ELNS1_3repE0EEENS1_44radix_sort_block_sort_config_static_selectorELNS0_4arch9wavefront6targetE1EEEvSJ_.num_vgpr, 0
	.set _ZN7rocprim17ROCPRIM_400000_NS6detail17trampoline_kernelINS0_13kernel_configILj256ELj4ELj4294967295EEENS1_37radix_sort_block_sort_config_selectorIfNS0_10empty_typeEEEZNS1_21radix_sort_block_sortIS4_Lb0EN6thrust23THRUST_200600_302600_NS6detail15normal_iteratorINSA_10device_ptrIfEEEESF_PS6_SG_NS0_19identity_decomposerEEE10hipError_tT1_T2_T3_T4_jRjT5_jjP12ihipStream_tbEUlT_E_NS1_11comp_targetILNS1_3genE3ELNS1_11target_archE908ELNS1_3gpuE7ELNS1_3repE0EEENS1_44radix_sort_block_sort_config_static_selectorELNS0_4arch9wavefront6targetE1EEEvSJ_.num_agpr, 0
	.set _ZN7rocprim17ROCPRIM_400000_NS6detail17trampoline_kernelINS0_13kernel_configILj256ELj4ELj4294967295EEENS1_37radix_sort_block_sort_config_selectorIfNS0_10empty_typeEEEZNS1_21radix_sort_block_sortIS4_Lb0EN6thrust23THRUST_200600_302600_NS6detail15normal_iteratorINSA_10device_ptrIfEEEESF_PS6_SG_NS0_19identity_decomposerEEE10hipError_tT1_T2_T3_T4_jRjT5_jjP12ihipStream_tbEUlT_E_NS1_11comp_targetILNS1_3genE3ELNS1_11target_archE908ELNS1_3gpuE7ELNS1_3repE0EEENS1_44radix_sort_block_sort_config_static_selectorELNS0_4arch9wavefront6targetE1EEEvSJ_.numbered_sgpr, 0
	.set _ZN7rocprim17ROCPRIM_400000_NS6detail17trampoline_kernelINS0_13kernel_configILj256ELj4ELj4294967295EEENS1_37radix_sort_block_sort_config_selectorIfNS0_10empty_typeEEEZNS1_21radix_sort_block_sortIS4_Lb0EN6thrust23THRUST_200600_302600_NS6detail15normal_iteratorINSA_10device_ptrIfEEEESF_PS6_SG_NS0_19identity_decomposerEEE10hipError_tT1_T2_T3_T4_jRjT5_jjP12ihipStream_tbEUlT_E_NS1_11comp_targetILNS1_3genE3ELNS1_11target_archE908ELNS1_3gpuE7ELNS1_3repE0EEENS1_44radix_sort_block_sort_config_static_selectorELNS0_4arch9wavefront6targetE1EEEvSJ_.num_named_barrier, 0
	.set _ZN7rocprim17ROCPRIM_400000_NS6detail17trampoline_kernelINS0_13kernel_configILj256ELj4ELj4294967295EEENS1_37radix_sort_block_sort_config_selectorIfNS0_10empty_typeEEEZNS1_21radix_sort_block_sortIS4_Lb0EN6thrust23THRUST_200600_302600_NS6detail15normal_iteratorINSA_10device_ptrIfEEEESF_PS6_SG_NS0_19identity_decomposerEEE10hipError_tT1_T2_T3_T4_jRjT5_jjP12ihipStream_tbEUlT_E_NS1_11comp_targetILNS1_3genE3ELNS1_11target_archE908ELNS1_3gpuE7ELNS1_3repE0EEENS1_44radix_sort_block_sort_config_static_selectorELNS0_4arch9wavefront6targetE1EEEvSJ_.private_seg_size, 0
	.set _ZN7rocprim17ROCPRIM_400000_NS6detail17trampoline_kernelINS0_13kernel_configILj256ELj4ELj4294967295EEENS1_37radix_sort_block_sort_config_selectorIfNS0_10empty_typeEEEZNS1_21radix_sort_block_sortIS4_Lb0EN6thrust23THRUST_200600_302600_NS6detail15normal_iteratorINSA_10device_ptrIfEEEESF_PS6_SG_NS0_19identity_decomposerEEE10hipError_tT1_T2_T3_T4_jRjT5_jjP12ihipStream_tbEUlT_E_NS1_11comp_targetILNS1_3genE3ELNS1_11target_archE908ELNS1_3gpuE7ELNS1_3repE0EEENS1_44radix_sort_block_sort_config_static_selectorELNS0_4arch9wavefront6targetE1EEEvSJ_.uses_vcc, 0
	.set _ZN7rocprim17ROCPRIM_400000_NS6detail17trampoline_kernelINS0_13kernel_configILj256ELj4ELj4294967295EEENS1_37radix_sort_block_sort_config_selectorIfNS0_10empty_typeEEEZNS1_21radix_sort_block_sortIS4_Lb0EN6thrust23THRUST_200600_302600_NS6detail15normal_iteratorINSA_10device_ptrIfEEEESF_PS6_SG_NS0_19identity_decomposerEEE10hipError_tT1_T2_T3_T4_jRjT5_jjP12ihipStream_tbEUlT_E_NS1_11comp_targetILNS1_3genE3ELNS1_11target_archE908ELNS1_3gpuE7ELNS1_3repE0EEENS1_44radix_sort_block_sort_config_static_selectorELNS0_4arch9wavefront6targetE1EEEvSJ_.uses_flat_scratch, 0
	.set _ZN7rocprim17ROCPRIM_400000_NS6detail17trampoline_kernelINS0_13kernel_configILj256ELj4ELj4294967295EEENS1_37radix_sort_block_sort_config_selectorIfNS0_10empty_typeEEEZNS1_21radix_sort_block_sortIS4_Lb0EN6thrust23THRUST_200600_302600_NS6detail15normal_iteratorINSA_10device_ptrIfEEEESF_PS6_SG_NS0_19identity_decomposerEEE10hipError_tT1_T2_T3_T4_jRjT5_jjP12ihipStream_tbEUlT_E_NS1_11comp_targetILNS1_3genE3ELNS1_11target_archE908ELNS1_3gpuE7ELNS1_3repE0EEENS1_44radix_sort_block_sort_config_static_selectorELNS0_4arch9wavefront6targetE1EEEvSJ_.has_dyn_sized_stack, 0
	.set _ZN7rocprim17ROCPRIM_400000_NS6detail17trampoline_kernelINS0_13kernel_configILj256ELj4ELj4294967295EEENS1_37radix_sort_block_sort_config_selectorIfNS0_10empty_typeEEEZNS1_21radix_sort_block_sortIS4_Lb0EN6thrust23THRUST_200600_302600_NS6detail15normal_iteratorINSA_10device_ptrIfEEEESF_PS6_SG_NS0_19identity_decomposerEEE10hipError_tT1_T2_T3_T4_jRjT5_jjP12ihipStream_tbEUlT_E_NS1_11comp_targetILNS1_3genE3ELNS1_11target_archE908ELNS1_3gpuE7ELNS1_3repE0EEENS1_44radix_sort_block_sort_config_static_selectorELNS0_4arch9wavefront6targetE1EEEvSJ_.has_recursion, 0
	.set _ZN7rocprim17ROCPRIM_400000_NS6detail17trampoline_kernelINS0_13kernel_configILj256ELj4ELj4294967295EEENS1_37radix_sort_block_sort_config_selectorIfNS0_10empty_typeEEEZNS1_21radix_sort_block_sortIS4_Lb0EN6thrust23THRUST_200600_302600_NS6detail15normal_iteratorINSA_10device_ptrIfEEEESF_PS6_SG_NS0_19identity_decomposerEEE10hipError_tT1_T2_T3_T4_jRjT5_jjP12ihipStream_tbEUlT_E_NS1_11comp_targetILNS1_3genE3ELNS1_11target_archE908ELNS1_3gpuE7ELNS1_3repE0EEENS1_44radix_sort_block_sort_config_static_selectorELNS0_4arch9wavefront6targetE1EEEvSJ_.has_indirect_call, 0
	.section	.AMDGPU.csdata,"",@progbits
; Kernel info:
; codeLenInByte = 0
; TotalNumSgprs: 6
; NumVgprs: 0
; NumAgprs: 0
; TotalNumVgprs: 0
; ScratchSize: 0
; MemoryBound: 0
; FloatMode: 240
; IeeeMode: 1
; LDSByteSize: 0 bytes/workgroup (compile time only)
; SGPRBlocks: 0
; VGPRBlocks: 0
; NumSGPRsForWavesPerEU: 6
; NumVGPRsForWavesPerEU: 1
; AccumOffset: 4
; Occupancy: 8
; WaveLimiterHint : 0
; COMPUTE_PGM_RSRC2:SCRATCH_EN: 0
; COMPUTE_PGM_RSRC2:USER_SGPR: 2
; COMPUTE_PGM_RSRC2:TRAP_HANDLER: 0
; COMPUTE_PGM_RSRC2:TGID_X_EN: 1
; COMPUTE_PGM_RSRC2:TGID_Y_EN: 0
; COMPUTE_PGM_RSRC2:TGID_Z_EN: 0
; COMPUTE_PGM_RSRC2:TIDIG_COMP_CNT: 0
; COMPUTE_PGM_RSRC3_GFX90A:ACCUM_OFFSET: 0
; COMPUTE_PGM_RSRC3_GFX90A:TG_SPLIT: 0
	.section	.text._ZN7rocprim17ROCPRIM_400000_NS6detail17trampoline_kernelINS0_13kernel_configILj256ELj4ELj4294967295EEENS1_37radix_sort_block_sort_config_selectorIfNS0_10empty_typeEEEZNS1_21radix_sort_block_sortIS4_Lb0EN6thrust23THRUST_200600_302600_NS6detail15normal_iteratorINSA_10device_ptrIfEEEESF_PS6_SG_NS0_19identity_decomposerEEE10hipError_tT1_T2_T3_T4_jRjT5_jjP12ihipStream_tbEUlT_E_NS1_11comp_targetILNS1_3genE2ELNS1_11target_archE906ELNS1_3gpuE6ELNS1_3repE0EEENS1_44radix_sort_block_sort_config_static_selectorELNS0_4arch9wavefront6targetE1EEEvSJ_,"axG",@progbits,_ZN7rocprim17ROCPRIM_400000_NS6detail17trampoline_kernelINS0_13kernel_configILj256ELj4ELj4294967295EEENS1_37radix_sort_block_sort_config_selectorIfNS0_10empty_typeEEEZNS1_21radix_sort_block_sortIS4_Lb0EN6thrust23THRUST_200600_302600_NS6detail15normal_iteratorINSA_10device_ptrIfEEEESF_PS6_SG_NS0_19identity_decomposerEEE10hipError_tT1_T2_T3_T4_jRjT5_jjP12ihipStream_tbEUlT_E_NS1_11comp_targetILNS1_3genE2ELNS1_11target_archE906ELNS1_3gpuE6ELNS1_3repE0EEENS1_44radix_sort_block_sort_config_static_selectorELNS0_4arch9wavefront6targetE1EEEvSJ_,comdat
	.protected	_ZN7rocprim17ROCPRIM_400000_NS6detail17trampoline_kernelINS0_13kernel_configILj256ELj4ELj4294967295EEENS1_37radix_sort_block_sort_config_selectorIfNS0_10empty_typeEEEZNS1_21radix_sort_block_sortIS4_Lb0EN6thrust23THRUST_200600_302600_NS6detail15normal_iteratorINSA_10device_ptrIfEEEESF_PS6_SG_NS0_19identity_decomposerEEE10hipError_tT1_T2_T3_T4_jRjT5_jjP12ihipStream_tbEUlT_E_NS1_11comp_targetILNS1_3genE2ELNS1_11target_archE906ELNS1_3gpuE6ELNS1_3repE0EEENS1_44radix_sort_block_sort_config_static_selectorELNS0_4arch9wavefront6targetE1EEEvSJ_ ; -- Begin function _ZN7rocprim17ROCPRIM_400000_NS6detail17trampoline_kernelINS0_13kernel_configILj256ELj4ELj4294967295EEENS1_37radix_sort_block_sort_config_selectorIfNS0_10empty_typeEEEZNS1_21radix_sort_block_sortIS4_Lb0EN6thrust23THRUST_200600_302600_NS6detail15normal_iteratorINSA_10device_ptrIfEEEESF_PS6_SG_NS0_19identity_decomposerEEE10hipError_tT1_T2_T3_T4_jRjT5_jjP12ihipStream_tbEUlT_E_NS1_11comp_targetILNS1_3genE2ELNS1_11target_archE906ELNS1_3gpuE6ELNS1_3repE0EEENS1_44radix_sort_block_sort_config_static_selectorELNS0_4arch9wavefront6targetE1EEEvSJ_
	.globl	_ZN7rocprim17ROCPRIM_400000_NS6detail17trampoline_kernelINS0_13kernel_configILj256ELj4ELj4294967295EEENS1_37radix_sort_block_sort_config_selectorIfNS0_10empty_typeEEEZNS1_21radix_sort_block_sortIS4_Lb0EN6thrust23THRUST_200600_302600_NS6detail15normal_iteratorINSA_10device_ptrIfEEEESF_PS6_SG_NS0_19identity_decomposerEEE10hipError_tT1_T2_T3_T4_jRjT5_jjP12ihipStream_tbEUlT_E_NS1_11comp_targetILNS1_3genE2ELNS1_11target_archE906ELNS1_3gpuE6ELNS1_3repE0EEENS1_44radix_sort_block_sort_config_static_selectorELNS0_4arch9wavefront6targetE1EEEvSJ_
	.p2align	8
	.type	_ZN7rocprim17ROCPRIM_400000_NS6detail17trampoline_kernelINS0_13kernel_configILj256ELj4ELj4294967295EEENS1_37radix_sort_block_sort_config_selectorIfNS0_10empty_typeEEEZNS1_21radix_sort_block_sortIS4_Lb0EN6thrust23THRUST_200600_302600_NS6detail15normal_iteratorINSA_10device_ptrIfEEEESF_PS6_SG_NS0_19identity_decomposerEEE10hipError_tT1_T2_T3_T4_jRjT5_jjP12ihipStream_tbEUlT_E_NS1_11comp_targetILNS1_3genE2ELNS1_11target_archE906ELNS1_3gpuE6ELNS1_3repE0EEENS1_44radix_sort_block_sort_config_static_selectorELNS0_4arch9wavefront6targetE1EEEvSJ_,@function
_ZN7rocprim17ROCPRIM_400000_NS6detail17trampoline_kernelINS0_13kernel_configILj256ELj4ELj4294967295EEENS1_37radix_sort_block_sort_config_selectorIfNS0_10empty_typeEEEZNS1_21radix_sort_block_sortIS4_Lb0EN6thrust23THRUST_200600_302600_NS6detail15normal_iteratorINSA_10device_ptrIfEEEESF_PS6_SG_NS0_19identity_decomposerEEE10hipError_tT1_T2_T3_T4_jRjT5_jjP12ihipStream_tbEUlT_E_NS1_11comp_targetILNS1_3genE2ELNS1_11target_archE906ELNS1_3gpuE6ELNS1_3repE0EEENS1_44radix_sort_block_sort_config_static_selectorELNS0_4arch9wavefront6targetE1EEEvSJ_: ; @_ZN7rocprim17ROCPRIM_400000_NS6detail17trampoline_kernelINS0_13kernel_configILj256ELj4ELj4294967295EEENS1_37radix_sort_block_sort_config_selectorIfNS0_10empty_typeEEEZNS1_21radix_sort_block_sortIS4_Lb0EN6thrust23THRUST_200600_302600_NS6detail15normal_iteratorINSA_10device_ptrIfEEEESF_PS6_SG_NS0_19identity_decomposerEEE10hipError_tT1_T2_T3_T4_jRjT5_jjP12ihipStream_tbEUlT_E_NS1_11comp_targetILNS1_3genE2ELNS1_11target_archE906ELNS1_3gpuE6ELNS1_3repE0EEENS1_44radix_sort_block_sort_config_static_selectorELNS0_4arch9wavefront6targetE1EEEvSJ_
; %bb.0:
	.section	.rodata,"a",@progbits
	.p2align	6, 0x0
	.amdhsa_kernel _ZN7rocprim17ROCPRIM_400000_NS6detail17trampoline_kernelINS0_13kernel_configILj256ELj4ELj4294967295EEENS1_37radix_sort_block_sort_config_selectorIfNS0_10empty_typeEEEZNS1_21radix_sort_block_sortIS4_Lb0EN6thrust23THRUST_200600_302600_NS6detail15normal_iteratorINSA_10device_ptrIfEEEESF_PS6_SG_NS0_19identity_decomposerEEE10hipError_tT1_T2_T3_T4_jRjT5_jjP12ihipStream_tbEUlT_E_NS1_11comp_targetILNS1_3genE2ELNS1_11target_archE906ELNS1_3gpuE6ELNS1_3repE0EEENS1_44radix_sort_block_sort_config_static_selectorELNS0_4arch9wavefront6targetE1EEEvSJ_
		.amdhsa_group_segment_fixed_size 0
		.amdhsa_private_segment_fixed_size 0
		.amdhsa_kernarg_size 48
		.amdhsa_user_sgpr_count 2
		.amdhsa_user_sgpr_dispatch_ptr 0
		.amdhsa_user_sgpr_queue_ptr 0
		.amdhsa_user_sgpr_kernarg_segment_ptr 1
		.amdhsa_user_sgpr_dispatch_id 0
		.amdhsa_user_sgpr_kernarg_preload_length 0
		.amdhsa_user_sgpr_kernarg_preload_offset 0
		.amdhsa_user_sgpr_private_segment_size 0
		.amdhsa_uses_dynamic_stack 0
		.amdhsa_enable_private_segment 0
		.amdhsa_system_sgpr_workgroup_id_x 1
		.amdhsa_system_sgpr_workgroup_id_y 0
		.amdhsa_system_sgpr_workgroup_id_z 0
		.amdhsa_system_sgpr_workgroup_info 0
		.amdhsa_system_vgpr_workitem_id 0
		.amdhsa_next_free_vgpr 1
		.amdhsa_next_free_sgpr 0
		.amdhsa_accum_offset 4
		.amdhsa_reserve_vcc 0
		.amdhsa_float_round_mode_32 0
		.amdhsa_float_round_mode_16_64 0
		.amdhsa_float_denorm_mode_32 3
		.amdhsa_float_denorm_mode_16_64 3
		.amdhsa_dx10_clamp 1
		.amdhsa_ieee_mode 1
		.amdhsa_fp16_overflow 0
		.amdhsa_tg_split 0
		.amdhsa_exception_fp_ieee_invalid_op 0
		.amdhsa_exception_fp_denorm_src 0
		.amdhsa_exception_fp_ieee_div_zero 0
		.amdhsa_exception_fp_ieee_overflow 0
		.amdhsa_exception_fp_ieee_underflow 0
		.amdhsa_exception_fp_ieee_inexact 0
		.amdhsa_exception_int_div_zero 0
	.end_amdhsa_kernel
	.section	.text._ZN7rocprim17ROCPRIM_400000_NS6detail17trampoline_kernelINS0_13kernel_configILj256ELj4ELj4294967295EEENS1_37radix_sort_block_sort_config_selectorIfNS0_10empty_typeEEEZNS1_21radix_sort_block_sortIS4_Lb0EN6thrust23THRUST_200600_302600_NS6detail15normal_iteratorINSA_10device_ptrIfEEEESF_PS6_SG_NS0_19identity_decomposerEEE10hipError_tT1_T2_T3_T4_jRjT5_jjP12ihipStream_tbEUlT_E_NS1_11comp_targetILNS1_3genE2ELNS1_11target_archE906ELNS1_3gpuE6ELNS1_3repE0EEENS1_44radix_sort_block_sort_config_static_selectorELNS0_4arch9wavefront6targetE1EEEvSJ_,"axG",@progbits,_ZN7rocprim17ROCPRIM_400000_NS6detail17trampoline_kernelINS0_13kernel_configILj256ELj4ELj4294967295EEENS1_37radix_sort_block_sort_config_selectorIfNS0_10empty_typeEEEZNS1_21radix_sort_block_sortIS4_Lb0EN6thrust23THRUST_200600_302600_NS6detail15normal_iteratorINSA_10device_ptrIfEEEESF_PS6_SG_NS0_19identity_decomposerEEE10hipError_tT1_T2_T3_T4_jRjT5_jjP12ihipStream_tbEUlT_E_NS1_11comp_targetILNS1_3genE2ELNS1_11target_archE906ELNS1_3gpuE6ELNS1_3repE0EEENS1_44radix_sort_block_sort_config_static_selectorELNS0_4arch9wavefront6targetE1EEEvSJ_,comdat
.Lfunc_end461:
	.size	_ZN7rocprim17ROCPRIM_400000_NS6detail17trampoline_kernelINS0_13kernel_configILj256ELj4ELj4294967295EEENS1_37radix_sort_block_sort_config_selectorIfNS0_10empty_typeEEEZNS1_21radix_sort_block_sortIS4_Lb0EN6thrust23THRUST_200600_302600_NS6detail15normal_iteratorINSA_10device_ptrIfEEEESF_PS6_SG_NS0_19identity_decomposerEEE10hipError_tT1_T2_T3_T4_jRjT5_jjP12ihipStream_tbEUlT_E_NS1_11comp_targetILNS1_3genE2ELNS1_11target_archE906ELNS1_3gpuE6ELNS1_3repE0EEENS1_44radix_sort_block_sort_config_static_selectorELNS0_4arch9wavefront6targetE1EEEvSJ_, .Lfunc_end461-_ZN7rocprim17ROCPRIM_400000_NS6detail17trampoline_kernelINS0_13kernel_configILj256ELj4ELj4294967295EEENS1_37radix_sort_block_sort_config_selectorIfNS0_10empty_typeEEEZNS1_21radix_sort_block_sortIS4_Lb0EN6thrust23THRUST_200600_302600_NS6detail15normal_iteratorINSA_10device_ptrIfEEEESF_PS6_SG_NS0_19identity_decomposerEEE10hipError_tT1_T2_T3_T4_jRjT5_jjP12ihipStream_tbEUlT_E_NS1_11comp_targetILNS1_3genE2ELNS1_11target_archE906ELNS1_3gpuE6ELNS1_3repE0EEENS1_44radix_sort_block_sort_config_static_selectorELNS0_4arch9wavefront6targetE1EEEvSJ_
                                        ; -- End function
	.set _ZN7rocprim17ROCPRIM_400000_NS6detail17trampoline_kernelINS0_13kernel_configILj256ELj4ELj4294967295EEENS1_37radix_sort_block_sort_config_selectorIfNS0_10empty_typeEEEZNS1_21radix_sort_block_sortIS4_Lb0EN6thrust23THRUST_200600_302600_NS6detail15normal_iteratorINSA_10device_ptrIfEEEESF_PS6_SG_NS0_19identity_decomposerEEE10hipError_tT1_T2_T3_T4_jRjT5_jjP12ihipStream_tbEUlT_E_NS1_11comp_targetILNS1_3genE2ELNS1_11target_archE906ELNS1_3gpuE6ELNS1_3repE0EEENS1_44radix_sort_block_sort_config_static_selectorELNS0_4arch9wavefront6targetE1EEEvSJ_.num_vgpr, 0
	.set _ZN7rocprim17ROCPRIM_400000_NS6detail17trampoline_kernelINS0_13kernel_configILj256ELj4ELj4294967295EEENS1_37radix_sort_block_sort_config_selectorIfNS0_10empty_typeEEEZNS1_21radix_sort_block_sortIS4_Lb0EN6thrust23THRUST_200600_302600_NS6detail15normal_iteratorINSA_10device_ptrIfEEEESF_PS6_SG_NS0_19identity_decomposerEEE10hipError_tT1_T2_T3_T4_jRjT5_jjP12ihipStream_tbEUlT_E_NS1_11comp_targetILNS1_3genE2ELNS1_11target_archE906ELNS1_3gpuE6ELNS1_3repE0EEENS1_44radix_sort_block_sort_config_static_selectorELNS0_4arch9wavefront6targetE1EEEvSJ_.num_agpr, 0
	.set _ZN7rocprim17ROCPRIM_400000_NS6detail17trampoline_kernelINS0_13kernel_configILj256ELj4ELj4294967295EEENS1_37radix_sort_block_sort_config_selectorIfNS0_10empty_typeEEEZNS1_21radix_sort_block_sortIS4_Lb0EN6thrust23THRUST_200600_302600_NS6detail15normal_iteratorINSA_10device_ptrIfEEEESF_PS6_SG_NS0_19identity_decomposerEEE10hipError_tT1_T2_T3_T4_jRjT5_jjP12ihipStream_tbEUlT_E_NS1_11comp_targetILNS1_3genE2ELNS1_11target_archE906ELNS1_3gpuE6ELNS1_3repE0EEENS1_44radix_sort_block_sort_config_static_selectorELNS0_4arch9wavefront6targetE1EEEvSJ_.numbered_sgpr, 0
	.set _ZN7rocprim17ROCPRIM_400000_NS6detail17trampoline_kernelINS0_13kernel_configILj256ELj4ELj4294967295EEENS1_37radix_sort_block_sort_config_selectorIfNS0_10empty_typeEEEZNS1_21radix_sort_block_sortIS4_Lb0EN6thrust23THRUST_200600_302600_NS6detail15normal_iteratorINSA_10device_ptrIfEEEESF_PS6_SG_NS0_19identity_decomposerEEE10hipError_tT1_T2_T3_T4_jRjT5_jjP12ihipStream_tbEUlT_E_NS1_11comp_targetILNS1_3genE2ELNS1_11target_archE906ELNS1_3gpuE6ELNS1_3repE0EEENS1_44radix_sort_block_sort_config_static_selectorELNS0_4arch9wavefront6targetE1EEEvSJ_.num_named_barrier, 0
	.set _ZN7rocprim17ROCPRIM_400000_NS6detail17trampoline_kernelINS0_13kernel_configILj256ELj4ELj4294967295EEENS1_37radix_sort_block_sort_config_selectorIfNS0_10empty_typeEEEZNS1_21radix_sort_block_sortIS4_Lb0EN6thrust23THRUST_200600_302600_NS6detail15normal_iteratorINSA_10device_ptrIfEEEESF_PS6_SG_NS0_19identity_decomposerEEE10hipError_tT1_T2_T3_T4_jRjT5_jjP12ihipStream_tbEUlT_E_NS1_11comp_targetILNS1_3genE2ELNS1_11target_archE906ELNS1_3gpuE6ELNS1_3repE0EEENS1_44radix_sort_block_sort_config_static_selectorELNS0_4arch9wavefront6targetE1EEEvSJ_.private_seg_size, 0
	.set _ZN7rocprim17ROCPRIM_400000_NS6detail17trampoline_kernelINS0_13kernel_configILj256ELj4ELj4294967295EEENS1_37radix_sort_block_sort_config_selectorIfNS0_10empty_typeEEEZNS1_21radix_sort_block_sortIS4_Lb0EN6thrust23THRUST_200600_302600_NS6detail15normal_iteratorINSA_10device_ptrIfEEEESF_PS6_SG_NS0_19identity_decomposerEEE10hipError_tT1_T2_T3_T4_jRjT5_jjP12ihipStream_tbEUlT_E_NS1_11comp_targetILNS1_3genE2ELNS1_11target_archE906ELNS1_3gpuE6ELNS1_3repE0EEENS1_44radix_sort_block_sort_config_static_selectorELNS0_4arch9wavefront6targetE1EEEvSJ_.uses_vcc, 0
	.set _ZN7rocprim17ROCPRIM_400000_NS6detail17trampoline_kernelINS0_13kernel_configILj256ELj4ELj4294967295EEENS1_37radix_sort_block_sort_config_selectorIfNS0_10empty_typeEEEZNS1_21radix_sort_block_sortIS4_Lb0EN6thrust23THRUST_200600_302600_NS6detail15normal_iteratorINSA_10device_ptrIfEEEESF_PS6_SG_NS0_19identity_decomposerEEE10hipError_tT1_T2_T3_T4_jRjT5_jjP12ihipStream_tbEUlT_E_NS1_11comp_targetILNS1_3genE2ELNS1_11target_archE906ELNS1_3gpuE6ELNS1_3repE0EEENS1_44radix_sort_block_sort_config_static_selectorELNS0_4arch9wavefront6targetE1EEEvSJ_.uses_flat_scratch, 0
	.set _ZN7rocprim17ROCPRIM_400000_NS6detail17trampoline_kernelINS0_13kernel_configILj256ELj4ELj4294967295EEENS1_37radix_sort_block_sort_config_selectorIfNS0_10empty_typeEEEZNS1_21radix_sort_block_sortIS4_Lb0EN6thrust23THRUST_200600_302600_NS6detail15normal_iteratorINSA_10device_ptrIfEEEESF_PS6_SG_NS0_19identity_decomposerEEE10hipError_tT1_T2_T3_T4_jRjT5_jjP12ihipStream_tbEUlT_E_NS1_11comp_targetILNS1_3genE2ELNS1_11target_archE906ELNS1_3gpuE6ELNS1_3repE0EEENS1_44radix_sort_block_sort_config_static_selectorELNS0_4arch9wavefront6targetE1EEEvSJ_.has_dyn_sized_stack, 0
	.set _ZN7rocprim17ROCPRIM_400000_NS6detail17trampoline_kernelINS0_13kernel_configILj256ELj4ELj4294967295EEENS1_37radix_sort_block_sort_config_selectorIfNS0_10empty_typeEEEZNS1_21radix_sort_block_sortIS4_Lb0EN6thrust23THRUST_200600_302600_NS6detail15normal_iteratorINSA_10device_ptrIfEEEESF_PS6_SG_NS0_19identity_decomposerEEE10hipError_tT1_T2_T3_T4_jRjT5_jjP12ihipStream_tbEUlT_E_NS1_11comp_targetILNS1_3genE2ELNS1_11target_archE906ELNS1_3gpuE6ELNS1_3repE0EEENS1_44radix_sort_block_sort_config_static_selectorELNS0_4arch9wavefront6targetE1EEEvSJ_.has_recursion, 0
	.set _ZN7rocprim17ROCPRIM_400000_NS6detail17trampoline_kernelINS0_13kernel_configILj256ELj4ELj4294967295EEENS1_37radix_sort_block_sort_config_selectorIfNS0_10empty_typeEEEZNS1_21radix_sort_block_sortIS4_Lb0EN6thrust23THRUST_200600_302600_NS6detail15normal_iteratorINSA_10device_ptrIfEEEESF_PS6_SG_NS0_19identity_decomposerEEE10hipError_tT1_T2_T3_T4_jRjT5_jjP12ihipStream_tbEUlT_E_NS1_11comp_targetILNS1_3genE2ELNS1_11target_archE906ELNS1_3gpuE6ELNS1_3repE0EEENS1_44radix_sort_block_sort_config_static_selectorELNS0_4arch9wavefront6targetE1EEEvSJ_.has_indirect_call, 0
	.section	.AMDGPU.csdata,"",@progbits
; Kernel info:
; codeLenInByte = 0
; TotalNumSgprs: 6
; NumVgprs: 0
; NumAgprs: 0
; TotalNumVgprs: 0
; ScratchSize: 0
; MemoryBound: 0
; FloatMode: 240
; IeeeMode: 1
; LDSByteSize: 0 bytes/workgroup (compile time only)
; SGPRBlocks: 0
; VGPRBlocks: 0
; NumSGPRsForWavesPerEU: 6
; NumVGPRsForWavesPerEU: 1
; AccumOffset: 4
; Occupancy: 8
; WaveLimiterHint : 0
; COMPUTE_PGM_RSRC2:SCRATCH_EN: 0
; COMPUTE_PGM_RSRC2:USER_SGPR: 2
; COMPUTE_PGM_RSRC2:TRAP_HANDLER: 0
; COMPUTE_PGM_RSRC2:TGID_X_EN: 1
; COMPUTE_PGM_RSRC2:TGID_Y_EN: 0
; COMPUTE_PGM_RSRC2:TGID_Z_EN: 0
; COMPUTE_PGM_RSRC2:TIDIG_COMP_CNT: 0
; COMPUTE_PGM_RSRC3_GFX90A:ACCUM_OFFSET: 0
; COMPUTE_PGM_RSRC3_GFX90A:TG_SPLIT: 0
	.section	.text._ZN7rocprim17ROCPRIM_400000_NS6detail17trampoline_kernelINS0_13kernel_configILj256ELj4ELj4294967295EEENS1_37radix_sort_block_sort_config_selectorIfNS0_10empty_typeEEEZNS1_21radix_sort_block_sortIS4_Lb0EN6thrust23THRUST_200600_302600_NS6detail15normal_iteratorINSA_10device_ptrIfEEEESF_PS6_SG_NS0_19identity_decomposerEEE10hipError_tT1_T2_T3_T4_jRjT5_jjP12ihipStream_tbEUlT_E_NS1_11comp_targetILNS1_3genE10ELNS1_11target_archE1201ELNS1_3gpuE5ELNS1_3repE0EEENS1_44radix_sort_block_sort_config_static_selectorELNS0_4arch9wavefront6targetE1EEEvSJ_,"axG",@progbits,_ZN7rocprim17ROCPRIM_400000_NS6detail17trampoline_kernelINS0_13kernel_configILj256ELj4ELj4294967295EEENS1_37radix_sort_block_sort_config_selectorIfNS0_10empty_typeEEEZNS1_21radix_sort_block_sortIS4_Lb0EN6thrust23THRUST_200600_302600_NS6detail15normal_iteratorINSA_10device_ptrIfEEEESF_PS6_SG_NS0_19identity_decomposerEEE10hipError_tT1_T2_T3_T4_jRjT5_jjP12ihipStream_tbEUlT_E_NS1_11comp_targetILNS1_3genE10ELNS1_11target_archE1201ELNS1_3gpuE5ELNS1_3repE0EEENS1_44radix_sort_block_sort_config_static_selectorELNS0_4arch9wavefront6targetE1EEEvSJ_,comdat
	.protected	_ZN7rocprim17ROCPRIM_400000_NS6detail17trampoline_kernelINS0_13kernel_configILj256ELj4ELj4294967295EEENS1_37radix_sort_block_sort_config_selectorIfNS0_10empty_typeEEEZNS1_21radix_sort_block_sortIS4_Lb0EN6thrust23THRUST_200600_302600_NS6detail15normal_iteratorINSA_10device_ptrIfEEEESF_PS6_SG_NS0_19identity_decomposerEEE10hipError_tT1_T2_T3_T4_jRjT5_jjP12ihipStream_tbEUlT_E_NS1_11comp_targetILNS1_3genE10ELNS1_11target_archE1201ELNS1_3gpuE5ELNS1_3repE0EEENS1_44radix_sort_block_sort_config_static_selectorELNS0_4arch9wavefront6targetE1EEEvSJ_ ; -- Begin function _ZN7rocprim17ROCPRIM_400000_NS6detail17trampoline_kernelINS0_13kernel_configILj256ELj4ELj4294967295EEENS1_37radix_sort_block_sort_config_selectorIfNS0_10empty_typeEEEZNS1_21radix_sort_block_sortIS4_Lb0EN6thrust23THRUST_200600_302600_NS6detail15normal_iteratorINSA_10device_ptrIfEEEESF_PS6_SG_NS0_19identity_decomposerEEE10hipError_tT1_T2_T3_T4_jRjT5_jjP12ihipStream_tbEUlT_E_NS1_11comp_targetILNS1_3genE10ELNS1_11target_archE1201ELNS1_3gpuE5ELNS1_3repE0EEENS1_44radix_sort_block_sort_config_static_selectorELNS0_4arch9wavefront6targetE1EEEvSJ_
	.globl	_ZN7rocprim17ROCPRIM_400000_NS6detail17trampoline_kernelINS0_13kernel_configILj256ELj4ELj4294967295EEENS1_37radix_sort_block_sort_config_selectorIfNS0_10empty_typeEEEZNS1_21radix_sort_block_sortIS4_Lb0EN6thrust23THRUST_200600_302600_NS6detail15normal_iteratorINSA_10device_ptrIfEEEESF_PS6_SG_NS0_19identity_decomposerEEE10hipError_tT1_T2_T3_T4_jRjT5_jjP12ihipStream_tbEUlT_E_NS1_11comp_targetILNS1_3genE10ELNS1_11target_archE1201ELNS1_3gpuE5ELNS1_3repE0EEENS1_44radix_sort_block_sort_config_static_selectorELNS0_4arch9wavefront6targetE1EEEvSJ_
	.p2align	8
	.type	_ZN7rocprim17ROCPRIM_400000_NS6detail17trampoline_kernelINS0_13kernel_configILj256ELj4ELj4294967295EEENS1_37radix_sort_block_sort_config_selectorIfNS0_10empty_typeEEEZNS1_21radix_sort_block_sortIS4_Lb0EN6thrust23THRUST_200600_302600_NS6detail15normal_iteratorINSA_10device_ptrIfEEEESF_PS6_SG_NS0_19identity_decomposerEEE10hipError_tT1_T2_T3_T4_jRjT5_jjP12ihipStream_tbEUlT_E_NS1_11comp_targetILNS1_3genE10ELNS1_11target_archE1201ELNS1_3gpuE5ELNS1_3repE0EEENS1_44radix_sort_block_sort_config_static_selectorELNS0_4arch9wavefront6targetE1EEEvSJ_,@function
_ZN7rocprim17ROCPRIM_400000_NS6detail17trampoline_kernelINS0_13kernel_configILj256ELj4ELj4294967295EEENS1_37radix_sort_block_sort_config_selectorIfNS0_10empty_typeEEEZNS1_21radix_sort_block_sortIS4_Lb0EN6thrust23THRUST_200600_302600_NS6detail15normal_iteratorINSA_10device_ptrIfEEEESF_PS6_SG_NS0_19identity_decomposerEEE10hipError_tT1_T2_T3_T4_jRjT5_jjP12ihipStream_tbEUlT_E_NS1_11comp_targetILNS1_3genE10ELNS1_11target_archE1201ELNS1_3gpuE5ELNS1_3repE0EEENS1_44radix_sort_block_sort_config_static_selectorELNS0_4arch9wavefront6targetE1EEEvSJ_: ; @_ZN7rocprim17ROCPRIM_400000_NS6detail17trampoline_kernelINS0_13kernel_configILj256ELj4ELj4294967295EEENS1_37radix_sort_block_sort_config_selectorIfNS0_10empty_typeEEEZNS1_21radix_sort_block_sortIS4_Lb0EN6thrust23THRUST_200600_302600_NS6detail15normal_iteratorINSA_10device_ptrIfEEEESF_PS6_SG_NS0_19identity_decomposerEEE10hipError_tT1_T2_T3_T4_jRjT5_jjP12ihipStream_tbEUlT_E_NS1_11comp_targetILNS1_3genE10ELNS1_11target_archE1201ELNS1_3gpuE5ELNS1_3repE0EEENS1_44radix_sort_block_sort_config_static_selectorELNS0_4arch9wavefront6targetE1EEEvSJ_
; %bb.0:
	.section	.rodata,"a",@progbits
	.p2align	6, 0x0
	.amdhsa_kernel _ZN7rocprim17ROCPRIM_400000_NS6detail17trampoline_kernelINS0_13kernel_configILj256ELj4ELj4294967295EEENS1_37radix_sort_block_sort_config_selectorIfNS0_10empty_typeEEEZNS1_21radix_sort_block_sortIS4_Lb0EN6thrust23THRUST_200600_302600_NS6detail15normal_iteratorINSA_10device_ptrIfEEEESF_PS6_SG_NS0_19identity_decomposerEEE10hipError_tT1_T2_T3_T4_jRjT5_jjP12ihipStream_tbEUlT_E_NS1_11comp_targetILNS1_3genE10ELNS1_11target_archE1201ELNS1_3gpuE5ELNS1_3repE0EEENS1_44radix_sort_block_sort_config_static_selectorELNS0_4arch9wavefront6targetE1EEEvSJ_
		.amdhsa_group_segment_fixed_size 0
		.amdhsa_private_segment_fixed_size 0
		.amdhsa_kernarg_size 48
		.amdhsa_user_sgpr_count 2
		.amdhsa_user_sgpr_dispatch_ptr 0
		.amdhsa_user_sgpr_queue_ptr 0
		.amdhsa_user_sgpr_kernarg_segment_ptr 1
		.amdhsa_user_sgpr_dispatch_id 0
		.amdhsa_user_sgpr_kernarg_preload_length 0
		.amdhsa_user_sgpr_kernarg_preload_offset 0
		.amdhsa_user_sgpr_private_segment_size 0
		.amdhsa_uses_dynamic_stack 0
		.amdhsa_enable_private_segment 0
		.amdhsa_system_sgpr_workgroup_id_x 1
		.amdhsa_system_sgpr_workgroup_id_y 0
		.amdhsa_system_sgpr_workgroup_id_z 0
		.amdhsa_system_sgpr_workgroup_info 0
		.amdhsa_system_vgpr_workitem_id 0
		.amdhsa_next_free_vgpr 1
		.amdhsa_next_free_sgpr 0
		.amdhsa_accum_offset 4
		.amdhsa_reserve_vcc 0
		.amdhsa_float_round_mode_32 0
		.amdhsa_float_round_mode_16_64 0
		.amdhsa_float_denorm_mode_32 3
		.amdhsa_float_denorm_mode_16_64 3
		.amdhsa_dx10_clamp 1
		.amdhsa_ieee_mode 1
		.amdhsa_fp16_overflow 0
		.amdhsa_tg_split 0
		.amdhsa_exception_fp_ieee_invalid_op 0
		.amdhsa_exception_fp_denorm_src 0
		.amdhsa_exception_fp_ieee_div_zero 0
		.amdhsa_exception_fp_ieee_overflow 0
		.amdhsa_exception_fp_ieee_underflow 0
		.amdhsa_exception_fp_ieee_inexact 0
		.amdhsa_exception_int_div_zero 0
	.end_amdhsa_kernel
	.section	.text._ZN7rocprim17ROCPRIM_400000_NS6detail17trampoline_kernelINS0_13kernel_configILj256ELj4ELj4294967295EEENS1_37radix_sort_block_sort_config_selectorIfNS0_10empty_typeEEEZNS1_21radix_sort_block_sortIS4_Lb0EN6thrust23THRUST_200600_302600_NS6detail15normal_iteratorINSA_10device_ptrIfEEEESF_PS6_SG_NS0_19identity_decomposerEEE10hipError_tT1_T2_T3_T4_jRjT5_jjP12ihipStream_tbEUlT_E_NS1_11comp_targetILNS1_3genE10ELNS1_11target_archE1201ELNS1_3gpuE5ELNS1_3repE0EEENS1_44radix_sort_block_sort_config_static_selectorELNS0_4arch9wavefront6targetE1EEEvSJ_,"axG",@progbits,_ZN7rocprim17ROCPRIM_400000_NS6detail17trampoline_kernelINS0_13kernel_configILj256ELj4ELj4294967295EEENS1_37radix_sort_block_sort_config_selectorIfNS0_10empty_typeEEEZNS1_21radix_sort_block_sortIS4_Lb0EN6thrust23THRUST_200600_302600_NS6detail15normal_iteratorINSA_10device_ptrIfEEEESF_PS6_SG_NS0_19identity_decomposerEEE10hipError_tT1_T2_T3_T4_jRjT5_jjP12ihipStream_tbEUlT_E_NS1_11comp_targetILNS1_3genE10ELNS1_11target_archE1201ELNS1_3gpuE5ELNS1_3repE0EEENS1_44radix_sort_block_sort_config_static_selectorELNS0_4arch9wavefront6targetE1EEEvSJ_,comdat
.Lfunc_end462:
	.size	_ZN7rocprim17ROCPRIM_400000_NS6detail17trampoline_kernelINS0_13kernel_configILj256ELj4ELj4294967295EEENS1_37radix_sort_block_sort_config_selectorIfNS0_10empty_typeEEEZNS1_21radix_sort_block_sortIS4_Lb0EN6thrust23THRUST_200600_302600_NS6detail15normal_iteratorINSA_10device_ptrIfEEEESF_PS6_SG_NS0_19identity_decomposerEEE10hipError_tT1_T2_T3_T4_jRjT5_jjP12ihipStream_tbEUlT_E_NS1_11comp_targetILNS1_3genE10ELNS1_11target_archE1201ELNS1_3gpuE5ELNS1_3repE0EEENS1_44radix_sort_block_sort_config_static_selectorELNS0_4arch9wavefront6targetE1EEEvSJ_, .Lfunc_end462-_ZN7rocprim17ROCPRIM_400000_NS6detail17trampoline_kernelINS0_13kernel_configILj256ELj4ELj4294967295EEENS1_37radix_sort_block_sort_config_selectorIfNS0_10empty_typeEEEZNS1_21radix_sort_block_sortIS4_Lb0EN6thrust23THRUST_200600_302600_NS6detail15normal_iteratorINSA_10device_ptrIfEEEESF_PS6_SG_NS0_19identity_decomposerEEE10hipError_tT1_T2_T3_T4_jRjT5_jjP12ihipStream_tbEUlT_E_NS1_11comp_targetILNS1_3genE10ELNS1_11target_archE1201ELNS1_3gpuE5ELNS1_3repE0EEENS1_44radix_sort_block_sort_config_static_selectorELNS0_4arch9wavefront6targetE1EEEvSJ_
                                        ; -- End function
	.set _ZN7rocprim17ROCPRIM_400000_NS6detail17trampoline_kernelINS0_13kernel_configILj256ELj4ELj4294967295EEENS1_37radix_sort_block_sort_config_selectorIfNS0_10empty_typeEEEZNS1_21radix_sort_block_sortIS4_Lb0EN6thrust23THRUST_200600_302600_NS6detail15normal_iteratorINSA_10device_ptrIfEEEESF_PS6_SG_NS0_19identity_decomposerEEE10hipError_tT1_T2_T3_T4_jRjT5_jjP12ihipStream_tbEUlT_E_NS1_11comp_targetILNS1_3genE10ELNS1_11target_archE1201ELNS1_3gpuE5ELNS1_3repE0EEENS1_44radix_sort_block_sort_config_static_selectorELNS0_4arch9wavefront6targetE1EEEvSJ_.num_vgpr, 0
	.set _ZN7rocprim17ROCPRIM_400000_NS6detail17trampoline_kernelINS0_13kernel_configILj256ELj4ELj4294967295EEENS1_37radix_sort_block_sort_config_selectorIfNS0_10empty_typeEEEZNS1_21radix_sort_block_sortIS4_Lb0EN6thrust23THRUST_200600_302600_NS6detail15normal_iteratorINSA_10device_ptrIfEEEESF_PS6_SG_NS0_19identity_decomposerEEE10hipError_tT1_T2_T3_T4_jRjT5_jjP12ihipStream_tbEUlT_E_NS1_11comp_targetILNS1_3genE10ELNS1_11target_archE1201ELNS1_3gpuE5ELNS1_3repE0EEENS1_44radix_sort_block_sort_config_static_selectorELNS0_4arch9wavefront6targetE1EEEvSJ_.num_agpr, 0
	.set _ZN7rocprim17ROCPRIM_400000_NS6detail17trampoline_kernelINS0_13kernel_configILj256ELj4ELj4294967295EEENS1_37radix_sort_block_sort_config_selectorIfNS0_10empty_typeEEEZNS1_21radix_sort_block_sortIS4_Lb0EN6thrust23THRUST_200600_302600_NS6detail15normal_iteratorINSA_10device_ptrIfEEEESF_PS6_SG_NS0_19identity_decomposerEEE10hipError_tT1_T2_T3_T4_jRjT5_jjP12ihipStream_tbEUlT_E_NS1_11comp_targetILNS1_3genE10ELNS1_11target_archE1201ELNS1_3gpuE5ELNS1_3repE0EEENS1_44radix_sort_block_sort_config_static_selectorELNS0_4arch9wavefront6targetE1EEEvSJ_.numbered_sgpr, 0
	.set _ZN7rocprim17ROCPRIM_400000_NS6detail17trampoline_kernelINS0_13kernel_configILj256ELj4ELj4294967295EEENS1_37radix_sort_block_sort_config_selectorIfNS0_10empty_typeEEEZNS1_21radix_sort_block_sortIS4_Lb0EN6thrust23THRUST_200600_302600_NS6detail15normal_iteratorINSA_10device_ptrIfEEEESF_PS6_SG_NS0_19identity_decomposerEEE10hipError_tT1_T2_T3_T4_jRjT5_jjP12ihipStream_tbEUlT_E_NS1_11comp_targetILNS1_3genE10ELNS1_11target_archE1201ELNS1_3gpuE5ELNS1_3repE0EEENS1_44radix_sort_block_sort_config_static_selectorELNS0_4arch9wavefront6targetE1EEEvSJ_.num_named_barrier, 0
	.set _ZN7rocprim17ROCPRIM_400000_NS6detail17trampoline_kernelINS0_13kernel_configILj256ELj4ELj4294967295EEENS1_37radix_sort_block_sort_config_selectorIfNS0_10empty_typeEEEZNS1_21radix_sort_block_sortIS4_Lb0EN6thrust23THRUST_200600_302600_NS6detail15normal_iteratorINSA_10device_ptrIfEEEESF_PS6_SG_NS0_19identity_decomposerEEE10hipError_tT1_T2_T3_T4_jRjT5_jjP12ihipStream_tbEUlT_E_NS1_11comp_targetILNS1_3genE10ELNS1_11target_archE1201ELNS1_3gpuE5ELNS1_3repE0EEENS1_44radix_sort_block_sort_config_static_selectorELNS0_4arch9wavefront6targetE1EEEvSJ_.private_seg_size, 0
	.set _ZN7rocprim17ROCPRIM_400000_NS6detail17trampoline_kernelINS0_13kernel_configILj256ELj4ELj4294967295EEENS1_37radix_sort_block_sort_config_selectorIfNS0_10empty_typeEEEZNS1_21radix_sort_block_sortIS4_Lb0EN6thrust23THRUST_200600_302600_NS6detail15normal_iteratorINSA_10device_ptrIfEEEESF_PS6_SG_NS0_19identity_decomposerEEE10hipError_tT1_T2_T3_T4_jRjT5_jjP12ihipStream_tbEUlT_E_NS1_11comp_targetILNS1_3genE10ELNS1_11target_archE1201ELNS1_3gpuE5ELNS1_3repE0EEENS1_44radix_sort_block_sort_config_static_selectorELNS0_4arch9wavefront6targetE1EEEvSJ_.uses_vcc, 0
	.set _ZN7rocprim17ROCPRIM_400000_NS6detail17trampoline_kernelINS0_13kernel_configILj256ELj4ELj4294967295EEENS1_37radix_sort_block_sort_config_selectorIfNS0_10empty_typeEEEZNS1_21radix_sort_block_sortIS4_Lb0EN6thrust23THRUST_200600_302600_NS6detail15normal_iteratorINSA_10device_ptrIfEEEESF_PS6_SG_NS0_19identity_decomposerEEE10hipError_tT1_T2_T3_T4_jRjT5_jjP12ihipStream_tbEUlT_E_NS1_11comp_targetILNS1_3genE10ELNS1_11target_archE1201ELNS1_3gpuE5ELNS1_3repE0EEENS1_44radix_sort_block_sort_config_static_selectorELNS0_4arch9wavefront6targetE1EEEvSJ_.uses_flat_scratch, 0
	.set _ZN7rocprim17ROCPRIM_400000_NS6detail17trampoline_kernelINS0_13kernel_configILj256ELj4ELj4294967295EEENS1_37radix_sort_block_sort_config_selectorIfNS0_10empty_typeEEEZNS1_21radix_sort_block_sortIS4_Lb0EN6thrust23THRUST_200600_302600_NS6detail15normal_iteratorINSA_10device_ptrIfEEEESF_PS6_SG_NS0_19identity_decomposerEEE10hipError_tT1_T2_T3_T4_jRjT5_jjP12ihipStream_tbEUlT_E_NS1_11comp_targetILNS1_3genE10ELNS1_11target_archE1201ELNS1_3gpuE5ELNS1_3repE0EEENS1_44radix_sort_block_sort_config_static_selectorELNS0_4arch9wavefront6targetE1EEEvSJ_.has_dyn_sized_stack, 0
	.set _ZN7rocprim17ROCPRIM_400000_NS6detail17trampoline_kernelINS0_13kernel_configILj256ELj4ELj4294967295EEENS1_37radix_sort_block_sort_config_selectorIfNS0_10empty_typeEEEZNS1_21radix_sort_block_sortIS4_Lb0EN6thrust23THRUST_200600_302600_NS6detail15normal_iteratorINSA_10device_ptrIfEEEESF_PS6_SG_NS0_19identity_decomposerEEE10hipError_tT1_T2_T3_T4_jRjT5_jjP12ihipStream_tbEUlT_E_NS1_11comp_targetILNS1_3genE10ELNS1_11target_archE1201ELNS1_3gpuE5ELNS1_3repE0EEENS1_44radix_sort_block_sort_config_static_selectorELNS0_4arch9wavefront6targetE1EEEvSJ_.has_recursion, 0
	.set _ZN7rocprim17ROCPRIM_400000_NS6detail17trampoline_kernelINS0_13kernel_configILj256ELj4ELj4294967295EEENS1_37radix_sort_block_sort_config_selectorIfNS0_10empty_typeEEEZNS1_21radix_sort_block_sortIS4_Lb0EN6thrust23THRUST_200600_302600_NS6detail15normal_iteratorINSA_10device_ptrIfEEEESF_PS6_SG_NS0_19identity_decomposerEEE10hipError_tT1_T2_T3_T4_jRjT5_jjP12ihipStream_tbEUlT_E_NS1_11comp_targetILNS1_3genE10ELNS1_11target_archE1201ELNS1_3gpuE5ELNS1_3repE0EEENS1_44radix_sort_block_sort_config_static_selectorELNS0_4arch9wavefront6targetE1EEEvSJ_.has_indirect_call, 0
	.section	.AMDGPU.csdata,"",@progbits
; Kernel info:
; codeLenInByte = 0
; TotalNumSgprs: 6
; NumVgprs: 0
; NumAgprs: 0
; TotalNumVgprs: 0
; ScratchSize: 0
; MemoryBound: 0
; FloatMode: 240
; IeeeMode: 1
; LDSByteSize: 0 bytes/workgroup (compile time only)
; SGPRBlocks: 0
; VGPRBlocks: 0
; NumSGPRsForWavesPerEU: 6
; NumVGPRsForWavesPerEU: 1
; AccumOffset: 4
; Occupancy: 8
; WaveLimiterHint : 0
; COMPUTE_PGM_RSRC2:SCRATCH_EN: 0
; COMPUTE_PGM_RSRC2:USER_SGPR: 2
; COMPUTE_PGM_RSRC2:TRAP_HANDLER: 0
; COMPUTE_PGM_RSRC2:TGID_X_EN: 1
; COMPUTE_PGM_RSRC2:TGID_Y_EN: 0
; COMPUTE_PGM_RSRC2:TGID_Z_EN: 0
; COMPUTE_PGM_RSRC2:TIDIG_COMP_CNT: 0
; COMPUTE_PGM_RSRC3_GFX90A:ACCUM_OFFSET: 0
; COMPUTE_PGM_RSRC3_GFX90A:TG_SPLIT: 0
	.section	.text._ZN7rocprim17ROCPRIM_400000_NS6detail17trampoline_kernelINS0_13kernel_configILj256ELj4ELj4294967295EEENS1_37radix_sort_block_sort_config_selectorIfNS0_10empty_typeEEEZNS1_21radix_sort_block_sortIS4_Lb0EN6thrust23THRUST_200600_302600_NS6detail15normal_iteratorINSA_10device_ptrIfEEEESF_PS6_SG_NS0_19identity_decomposerEEE10hipError_tT1_T2_T3_T4_jRjT5_jjP12ihipStream_tbEUlT_E_NS1_11comp_targetILNS1_3genE10ELNS1_11target_archE1200ELNS1_3gpuE4ELNS1_3repE0EEENS1_44radix_sort_block_sort_config_static_selectorELNS0_4arch9wavefront6targetE1EEEvSJ_,"axG",@progbits,_ZN7rocprim17ROCPRIM_400000_NS6detail17trampoline_kernelINS0_13kernel_configILj256ELj4ELj4294967295EEENS1_37radix_sort_block_sort_config_selectorIfNS0_10empty_typeEEEZNS1_21radix_sort_block_sortIS4_Lb0EN6thrust23THRUST_200600_302600_NS6detail15normal_iteratorINSA_10device_ptrIfEEEESF_PS6_SG_NS0_19identity_decomposerEEE10hipError_tT1_T2_T3_T4_jRjT5_jjP12ihipStream_tbEUlT_E_NS1_11comp_targetILNS1_3genE10ELNS1_11target_archE1200ELNS1_3gpuE4ELNS1_3repE0EEENS1_44radix_sort_block_sort_config_static_selectorELNS0_4arch9wavefront6targetE1EEEvSJ_,comdat
	.protected	_ZN7rocprim17ROCPRIM_400000_NS6detail17trampoline_kernelINS0_13kernel_configILj256ELj4ELj4294967295EEENS1_37radix_sort_block_sort_config_selectorIfNS0_10empty_typeEEEZNS1_21radix_sort_block_sortIS4_Lb0EN6thrust23THRUST_200600_302600_NS6detail15normal_iteratorINSA_10device_ptrIfEEEESF_PS6_SG_NS0_19identity_decomposerEEE10hipError_tT1_T2_T3_T4_jRjT5_jjP12ihipStream_tbEUlT_E_NS1_11comp_targetILNS1_3genE10ELNS1_11target_archE1200ELNS1_3gpuE4ELNS1_3repE0EEENS1_44radix_sort_block_sort_config_static_selectorELNS0_4arch9wavefront6targetE1EEEvSJ_ ; -- Begin function _ZN7rocprim17ROCPRIM_400000_NS6detail17trampoline_kernelINS0_13kernel_configILj256ELj4ELj4294967295EEENS1_37radix_sort_block_sort_config_selectorIfNS0_10empty_typeEEEZNS1_21radix_sort_block_sortIS4_Lb0EN6thrust23THRUST_200600_302600_NS6detail15normal_iteratorINSA_10device_ptrIfEEEESF_PS6_SG_NS0_19identity_decomposerEEE10hipError_tT1_T2_T3_T4_jRjT5_jjP12ihipStream_tbEUlT_E_NS1_11comp_targetILNS1_3genE10ELNS1_11target_archE1200ELNS1_3gpuE4ELNS1_3repE0EEENS1_44radix_sort_block_sort_config_static_selectorELNS0_4arch9wavefront6targetE1EEEvSJ_
	.globl	_ZN7rocprim17ROCPRIM_400000_NS6detail17trampoline_kernelINS0_13kernel_configILj256ELj4ELj4294967295EEENS1_37radix_sort_block_sort_config_selectorIfNS0_10empty_typeEEEZNS1_21radix_sort_block_sortIS4_Lb0EN6thrust23THRUST_200600_302600_NS6detail15normal_iteratorINSA_10device_ptrIfEEEESF_PS6_SG_NS0_19identity_decomposerEEE10hipError_tT1_T2_T3_T4_jRjT5_jjP12ihipStream_tbEUlT_E_NS1_11comp_targetILNS1_3genE10ELNS1_11target_archE1200ELNS1_3gpuE4ELNS1_3repE0EEENS1_44radix_sort_block_sort_config_static_selectorELNS0_4arch9wavefront6targetE1EEEvSJ_
	.p2align	8
	.type	_ZN7rocprim17ROCPRIM_400000_NS6detail17trampoline_kernelINS0_13kernel_configILj256ELj4ELj4294967295EEENS1_37radix_sort_block_sort_config_selectorIfNS0_10empty_typeEEEZNS1_21radix_sort_block_sortIS4_Lb0EN6thrust23THRUST_200600_302600_NS6detail15normal_iteratorINSA_10device_ptrIfEEEESF_PS6_SG_NS0_19identity_decomposerEEE10hipError_tT1_T2_T3_T4_jRjT5_jjP12ihipStream_tbEUlT_E_NS1_11comp_targetILNS1_3genE10ELNS1_11target_archE1200ELNS1_3gpuE4ELNS1_3repE0EEENS1_44radix_sort_block_sort_config_static_selectorELNS0_4arch9wavefront6targetE1EEEvSJ_,@function
_ZN7rocprim17ROCPRIM_400000_NS6detail17trampoline_kernelINS0_13kernel_configILj256ELj4ELj4294967295EEENS1_37radix_sort_block_sort_config_selectorIfNS0_10empty_typeEEEZNS1_21radix_sort_block_sortIS4_Lb0EN6thrust23THRUST_200600_302600_NS6detail15normal_iteratorINSA_10device_ptrIfEEEESF_PS6_SG_NS0_19identity_decomposerEEE10hipError_tT1_T2_T3_T4_jRjT5_jjP12ihipStream_tbEUlT_E_NS1_11comp_targetILNS1_3genE10ELNS1_11target_archE1200ELNS1_3gpuE4ELNS1_3repE0EEENS1_44radix_sort_block_sort_config_static_selectorELNS0_4arch9wavefront6targetE1EEEvSJ_: ; @_ZN7rocprim17ROCPRIM_400000_NS6detail17trampoline_kernelINS0_13kernel_configILj256ELj4ELj4294967295EEENS1_37radix_sort_block_sort_config_selectorIfNS0_10empty_typeEEEZNS1_21radix_sort_block_sortIS4_Lb0EN6thrust23THRUST_200600_302600_NS6detail15normal_iteratorINSA_10device_ptrIfEEEESF_PS6_SG_NS0_19identity_decomposerEEE10hipError_tT1_T2_T3_T4_jRjT5_jjP12ihipStream_tbEUlT_E_NS1_11comp_targetILNS1_3genE10ELNS1_11target_archE1200ELNS1_3gpuE4ELNS1_3repE0EEENS1_44radix_sort_block_sort_config_static_selectorELNS0_4arch9wavefront6targetE1EEEvSJ_
; %bb.0:
	.section	.rodata,"a",@progbits
	.p2align	6, 0x0
	.amdhsa_kernel _ZN7rocprim17ROCPRIM_400000_NS6detail17trampoline_kernelINS0_13kernel_configILj256ELj4ELj4294967295EEENS1_37radix_sort_block_sort_config_selectorIfNS0_10empty_typeEEEZNS1_21radix_sort_block_sortIS4_Lb0EN6thrust23THRUST_200600_302600_NS6detail15normal_iteratorINSA_10device_ptrIfEEEESF_PS6_SG_NS0_19identity_decomposerEEE10hipError_tT1_T2_T3_T4_jRjT5_jjP12ihipStream_tbEUlT_E_NS1_11comp_targetILNS1_3genE10ELNS1_11target_archE1200ELNS1_3gpuE4ELNS1_3repE0EEENS1_44radix_sort_block_sort_config_static_selectorELNS0_4arch9wavefront6targetE1EEEvSJ_
		.amdhsa_group_segment_fixed_size 0
		.amdhsa_private_segment_fixed_size 0
		.amdhsa_kernarg_size 48
		.amdhsa_user_sgpr_count 2
		.amdhsa_user_sgpr_dispatch_ptr 0
		.amdhsa_user_sgpr_queue_ptr 0
		.amdhsa_user_sgpr_kernarg_segment_ptr 1
		.amdhsa_user_sgpr_dispatch_id 0
		.amdhsa_user_sgpr_kernarg_preload_length 0
		.amdhsa_user_sgpr_kernarg_preload_offset 0
		.amdhsa_user_sgpr_private_segment_size 0
		.amdhsa_uses_dynamic_stack 0
		.amdhsa_enable_private_segment 0
		.amdhsa_system_sgpr_workgroup_id_x 1
		.amdhsa_system_sgpr_workgroup_id_y 0
		.amdhsa_system_sgpr_workgroup_id_z 0
		.amdhsa_system_sgpr_workgroup_info 0
		.amdhsa_system_vgpr_workitem_id 0
		.amdhsa_next_free_vgpr 1
		.amdhsa_next_free_sgpr 0
		.amdhsa_accum_offset 4
		.amdhsa_reserve_vcc 0
		.amdhsa_float_round_mode_32 0
		.amdhsa_float_round_mode_16_64 0
		.amdhsa_float_denorm_mode_32 3
		.amdhsa_float_denorm_mode_16_64 3
		.amdhsa_dx10_clamp 1
		.amdhsa_ieee_mode 1
		.amdhsa_fp16_overflow 0
		.amdhsa_tg_split 0
		.amdhsa_exception_fp_ieee_invalid_op 0
		.amdhsa_exception_fp_denorm_src 0
		.amdhsa_exception_fp_ieee_div_zero 0
		.amdhsa_exception_fp_ieee_overflow 0
		.amdhsa_exception_fp_ieee_underflow 0
		.amdhsa_exception_fp_ieee_inexact 0
		.amdhsa_exception_int_div_zero 0
	.end_amdhsa_kernel
	.section	.text._ZN7rocprim17ROCPRIM_400000_NS6detail17trampoline_kernelINS0_13kernel_configILj256ELj4ELj4294967295EEENS1_37radix_sort_block_sort_config_selectorIfNS0_10empty_typeEEEZNS1_21radix_sort_block_sortIS4_Lb0EN6thrust23THRUST_200600_302600_NS6detail15normal_iteratorINSA_10device_ptrIfEEEESF_PS6_SG_NS0_19identity_decomposerEEE10hipError_tT1_T2_T3_T4_jRjT5_jjP12ihipStream_tbEUlT_E_NS1_11comp_targetILNS1_3genE10ELNS1_11target_archE1200ELNS1_3gpuE4ELNS1_3repE0EEENS1_44radix_sort_block_sort_config_static_selectorELNS0_4arch9wavefront6targetE1EEEvSJ_,"axG",@progbits,_ZN7rocprim17ROCPRIM_400000_NS6detail17trampoline_kernelINS0_13kernel_configILj256ELj4ELj4294967295EEENS1_37radix_sort_block_sort_config_selectorIfNS0_10empty_typeEEEZNS1_21radix_sort_block_sortIS4_Lb0EN6thrust23THRUST_200600_302600_NS6detail15normal_iteratorINSA_10device_ptrIfEEEESF_PS6_SG_NS0_19identity_decomposerEEE10hipError_tT1_T2_T3_T4_jRjT5_jjP12ihipStream_tbEUlT_E_NS1_11comp_targetILNS1_3genE10ELNS1_11target_archE1200ELNS1_3gpuE4ELNS1_3repE0EEENS1_44radix_sort_block_sort_config_static_selectorELNS0_4arch9wavefront6targetE1EEEvSJ_,comdat
.Lfunc_end463:
	.size	_ZN7rocprim17ROCPRIM_400000_NS6detail17trampoline_kernelINS0_13kernel_configILj256ELj4ELj4294967295EEENS1_37radix_sort_block_sort_config_selectorIfNS0_10empty_typeEEEZNS1_21radix_sort_block_sortIS4_Lb0EN6thrust23THRUST_200600_302600_NS6detail15normal_iteratorINSA_10device_ptrIfEEEESF_PS6_SG_NS0_19identity_decomposerEEE10hipError_tT1_T2_T3_T4_jRjT5_jjP12ihipStream_tbEUlT_E_NS1_11comp_targetILNS1_3genE10ELNS1_11target_archE1200ELNS1_3gpuE4ELNS1_3repE0EEENS1_44radix_sort_block_sort_config_static_selectorELNS0_4arch9wavefront6targetE1EEEvSJ_, .Lfunc_end463-_ZN7rocprim17ROCPRIM_400000_NS6detail17trampoline_kernelINS0_13kernel_configILj256ELj4ELj4294967295EEENS1_37radix_sort_block_sort_config_selectorIfNS0_10empty_typeEEEZNS1_21radix_sort_block_sortIS4_Lb0EN6thrust23THRUST_200600_302600_NS6detail15normal_iteratorINSA_10device_ptrIfEEEESF_PS6_SG_NS0_19identity_decomposerEEE10hipError_tT1_T2_T3_T4_jRjT5_jjP12ihipStream_tbEUlT_E_NS1_11comp_targetILNS1_3genE10ELNS1_11target_archE1200ELNS1_3gpuE4ELNS1_3repE0EEENS1_44radix_sort_block_sort_config_static_selectorELNS0_4arch9wavefront6targetE1EEEvSJ_
                                        ; -- End function
	.set _ZN7rocprim17ROCPRIM_400000_NS6detail17trampoline_kernelINS0_13kernel_configILj256ELj4ELj4294967295EEENS1_37radix_sort_block_sort_config_selectorIfNS0_10empty_typeEEEZNS1_21radix_sort_block_sortIS4_Lb0EN6thrust23THRUST_200600_302600_NS6detail15normal_iteratorINSA_10device_ptrIfEEEESF_PS6_SG_NS0_19identity_decomposerEEE10hipError_tT1_T2_T3_T4_jRjT5_jjP12ihipStream_tbEUlT_E_NS1_11comp_targetILNS1_3genE10ELNS1_11target_archE1200ELNS1_3gpuE4ELNS1_3repE0EEENS1_44radix_sort_block_sort_config_static_selectorELNS0_4arch9wavefront6targetE1EEEvSJ_.num_vgpr, 0
	.set _ZN7rocprim17ROCPRIM_400000_NS6detail17trampoline_kernelINS0_13kernel_configILj256ELj4ELj4294967295EEENS1_37radix_sort_block_sort_config_selectorIfNS0_10empty_typeEEEZNS1_21radix_sort_block_sortIS4_Lb0EN6thrust23THRUST_200600_302600_NS6detail15normal_iteratorINSA_10device_ptrIfEEEESF_PS6_SG_NS0_19identity_decomposerEEE10hipError_tT1_T2_T3_T4_jRjT5_jjP12ihipStream_tbEUlT_E_NS1_11comp_targetILNS1_3genE10ELNS1_11target_archE1200ELNS1_3gpuE4ELNS1_3repE0EEENS1_44radix_sort_block_sort_config_static_selectorELNS0_4arch9wavefront6targetE1EEEvSJ_.num_agpr, 0
	.set _ZN7rocprim17ROCPRIM_400000_NS6detail17trampoline_kernelINS0_13kernel_configILj256ELj4ELj4294967295EEENS1_37radix_sort_block_sort_config_selectorIfNS0_10empty_typeEEEZNS1_21radix_sort_block_sortIS4_Lb0EN6thrust23THRUST_200600_302600_NS6detail15normal_iteratorINSA_10device_ptrIfEEEESF_PS6_SG_NS0_19identity_decomposerEEE10hipError_tT1_T2_T3_T4_jRjT5_jjP12ihipStream_tbEUlT_E_NS1_11comp_targetILNS1_3genE10ELNS1_11target_archE1200ELNS1_3gpuE4ELNS1_3repE0EEENS1_44radix_sort_block_sort_config_static_selectorELNS0_4arch9wavefront6targetE1EEEvSJ_.numbered_sgpr, 0
	.set _ZN7rocprim17ROCPRIM_400000_NS6detail17trampoline_kernelINS0_13kernel_configILj256ELj4ELj4294967295EEENS1_37radix_sort_block_sort_config_selectorIfNS0_10empty_typeEEEZNS1_21radix_sort_block_sortIS4_Lb0EN6thrust23THRUST_200600_302600_NS6detail15normal_iteratorINSA_10device_ptrIfEEEESF_PS6_SG_NS0_19identity_decomposerEEE10hipError_tT1_T2_T3_T4_jRjT5_jjP12ihipStream_tbEUlT_E_NS1_11comp_targetILNS1_3genE10ELNS1_11target_archE1200ELNS1_3gpuE4ELNS1_3repE0EEENS1_44radix_sort_block_sort_config_static_selectorELNS0_4arch9wavefront6targetE1EEEvSJ_.num_named_barrier, 0
	.set _ZN7rocprim17ROCPRIM_400000_NS6detail17trampoline_kernelINS0_13kernel_configILj256ELj4ELj4294967295EEENS1_37radix_sort_block_sort_config_selectorIfNS0_10empty_typeEEEZNS1_21radix_sort_block_sortIS4_Lb0EN6thrust23THRUST_200600_302600_NS6detail15normal_iteratorINSA_10device_ptrIfEEEESF_PS6_SG_NS0_19identity_decomposerEEE10hipError_tT1_T2_T3_T4_jRjT5_jjP12ihipStream_tbEUlT_E_NS1_11comp_targetILNS1_3genE10ELNS1_11target_archE1200ELNS1_3gpuE4ELNS1_3repE0EEENS1_44radix_sort_block_sort_config_static_selectorELNS0_4arch9wavefront6targetE1EEEvSJ_.private_seg_size, 0
	.set _ZN7rocprim17ROCPRIM_400000_NS6detail17trampoline_kernelINS0_13kernel_configILj256ELj4ELj4294967295EEENS1_37radix_sort_block_sort_config_selectorIfNS0_10empty_typeEEEZNS1_21radix_sort_block_sortIS4_Lb0EN6thrust23THRUST_200600_302600_NS6detail15normal_iteratorINSA_10device_ptrIfEEEESF_PS6_SG_NS0_19identity_decomposerEEE10hipError_tT1_T2_T3_T4_jRjT5_jjP12ihipStream_tbEUlT_E_NS1_11comp_targetILNS1_3genE10ELNS1_11target_archE1200ELNS1_3gpuE4ELNS1_3repE0EEENS1_44radix_sort_block_sort_config_static_selectorELNS0_4arch9wavefront6targetE1EEEvSJ_.uses_vcc, 0
	.set _ZN7rocprim17ROCPRIM_400000_NS6detail17trampoline_kernelINS0_13kernel_configILj256ELj4ELj4294967295EEENS1_37radix_sort_block_sort_config_selectorIfNS0_10empty_typeEEEZNS1_21radix_sort_block_sortIS4_Lb0EN6thrust23THRUST_200600_302600_NS6detail15normal_iteratorINSA_10device_ptrIfEEEESF_PS6_SG_NS0_19identity_decomposerEEE10hipError_tT1_T2_T3_T4_jRjT5_jjP12ihipStream_tbEUlT_E_NS1_11comp_targetILNS1_3genE10ELNS1_11target_archE1200ELNS1_3gpuE4ELNS1_3repE0EEENS1_44radix_sort_block_sort_config_static_selectorELNS0_4arch9wavefront6targetE1EEEvSJ_.uses_flat_scratch, 0
	.set _ZN7rocprim17ROCPRIM_400000_NS6detail17trampoline_kernelINS0_13kernel_configILj256ELj4ELj4294967295EEENS1_37radix_sort_block_sort_config_selectorIfNS0_10empty_typeEEEZNS1_21radix_sort_block_sortIS4_Lb0EN6thrust23THRUST_200600_302600_NS6detail15normal_iteratorINSA_10device_ptrIfEEEESF_PS6_SG_NS0_19identity_decomposerEEE10hipError_tT1_T2_T3_T4_jRjT5_jjP12ihipStream_tbEUlT_E_NS1_11comp_targetILNS1_3genE10ELNS1_11target_archE1200ELNS1_3gpuE4ELNS1_3repE0EEENS1_44radix_sort_block_sort_config_static_selectorELNS0_4arch9wavefront6targetE1EEEvSJ_.has_dyn_sized_stack, 0
	.set _ZN7rocprim17ROCPRIM_400000_NS6detail17trampoline_kernelINS0_13kernel_configILj256ELj4ELj4294967295EEENS1_37radix_sort_block_sort_config_selectorIfNS0_10empty_typeEEEZNS1_21radix_sort_block_sortIS4_Lb0EN6thrust23THRUST_200600_302600_NS6detail15normal_iteratorINSA_10device_ptrIfEEEESF_PS6_SG_NS0_19identity_decomposerEEE10hipError_tT1_T2_T3_T4_jRjT5_jjP12ihipStream_tbEUlT_E_NS1_11comp_targetILNS1_3genE10ELNS1_11target_archE1200ELNS1_3gpuE4ELNS1_3repE0EEENS1_44radix_sort_block_sort_config_static_selectorELNS0_4arch9wavefront6targetE1EEEvSJ_.has_recursion, 0
	.set _ZN7rocprim17ROCPRIM_400000_NS6detail17trampoline_kernelINS0_13kernel_configILj256ELj4ELj4294967295EEENS1_37radix_sort_block_sort_config_selectorIfNS0_10empty_typeEEEZNS1_21radix_sort_block_sortIS4_Lb0EN6thrust23THRUST_200600_302600_NS6detail15normal_iteratorINSA_10device_ptrIfEEEESF_PS6_SG_NS0_19identity_decomposerEEE10hipError_tT1_T2_T3_T4_jRjT5_jjP12ihipStream_tbEUlT_E_NS1_11comp_targetILNS1_3genE10ELNS1_11target_archE1200ELNS1_3gpuE4ELNS1_3repE0EEENS1_44radix_sort_block_sort_config_static_selectorELNS0_4arch9wavefront6targetE1EEEvSJ_.has_indirect_call, 0
	.section	.AMDGPU.csdata,"",@progbits
; Kernel info:
; codeLenInByte = 0
; TotalNumSgprs: 6
; NumVgprs: 0
; NumAgprs: 0
; TotalNumVgprs: 0
; ScratchSize: 0
; MemoryBound: 0
; FloatMode: 240
; IeeeMode: 1
; LDSByteSize: 0 bytes/workgroup (compile time only)
; SGPRBlocks: 0
; VGPRBlocks: 0
; NumSGPRsForWavesPerEU: 6
; NumVGPRsForWavesPerEU: 1
; AccumOffset: 4
; Occupancy: 8
; WaveLimiterHint : 0
; COMPUTE_PGM_RSRC2:SCRATCH_EN: 0
; COMPUTE_PGM_RSRC2:USER_SGPR: 2
; COMPUTE_PGM_RSRC2:TRAP_HANDLER: 0
; COMPUTE_PGM_RSRC2:TGID_X_EN: 1
; COMPUTE_PGM_RSRC2:TGID_Y_EN: 0
; COMPUTE_PGM_RSRC2:TGID_Z_EN: 0
; COMPUTE_PGM_RSRC2:TIDIG_COMP_CNT: 0
; COMPUTE_PGM_RSRC3_GFX90A:ACCUM_OFFSET: 0
; COMPUTE_PGM_RSRC3_GFX90A:TG_SPLIT: 0
	.section	.text._ZN7rocprim17ROCPRIM_400000_NS6detail17trampoline_kernelINS0_13kernel_configILj256ELj4ELj4294967295EEENS1_37radix_sort_block_sort_config_selectorIfNS0_10empty_typeEEEZNS1_21radix_sort_block_sortIS4_Lb0EN6thrust23THRUST_200600_302600_NS6detail15normal_iteratorINSA_10device_ptrIfEEEESF_PS6_SG_NS0_19identity_decomposerEEE10hipError_tT1_T2_T3_T4_jRjT5_jjP12ihipStream_tbEUlT_E_NS1_11comp_targetILNS1_3genE9ELNS1_11target_archE1100ELNS1_3gpuE3ELNS1_3repE0EEENS1_44radix_sort_block_sort_config_static_selectorELNS0_4arch9wavefront6targetE1EEEvSJ_,"axG",@progbits,_ZN7rocprim17ROCPRIM_400000_NS6detail17trampoline_kernelINS0_13kernel_configILj256ELj4ELj4294967295EEENS1_37radix_sort_block_sort_config_selectorIfNS0_10empty_typeEEEZNS1_21radix_sort_block_sortIS4_Lb0EN6thrust23THRUST_200600_302600_NS6detail15normal_iteratorINSA_10device_ptrIfEEEESF_PS6_SG_NS0_19identity_decomposerEEE10hipError_tT1_T2_T3_T4_jRjT5_jjP12ihipStream_tbEUlT_E_NS1_11comp_targetILNS1_3genE9ELNS1_11target_archE1100ELNS1_3gpuE3ELNS1_3repE0EEENS1_44radix_sort_block_sort_config_static_selectorELNS0_4arch9wavefront6targetE1EEEvSJ_,comdat
	.protected	_ZN7rocprim17ROCPRIM_400000_NS6detail17trampoline_kernelINS0_13kernel_configILj256ELj4ELj4294967295EEENS1_37radix_sort_block_sort_config_selectorIfNS0_10empty_typeEEEZNS1_21radix_sort_block_sortIS4_Lb0EN6thrust23THRUST_200600_302600_NS6detail15normal_iteratorINSA_10device_ptrIfEEEESF_PS6_SG_NS0_19identity_decomposerEEE10hipError_tT1_T2_T3_T4_jRjT5_jjP12ihipStream_tbEUlT_E_NS1_11comp_targetILNS1_3genE9ELNS1_11target_archE1100ELNS1_3gpuE3ELNS1_3repE0EEENS1_44radix_sort_block_sort_config_static_selectorELNS0_4arch9wavefront6targetE1EEEvSJ_ ; -- Begin function _ZN7rocprim17ROCPRIM_400000_NS6detail17trampoline_kernelINS0_13kernel_configILj256ELj4ELj4294967295EEENS1_37radix_sort_block_sort_config_selectorIfNS0_10empty_typeEEEZNS1_21radix_sort_block_sortIS4_Lb0EN6thrust23THRUST_200600_302600_NS6detail15normal_iteratorINSA_10device_ptrIfEEEESF_PS6_SG_NS0_19identity_decomposerEEE10hipError_tT1_T2_T3_T4_jRjT5_jjP12ihipStream_tbEUlT_E_NS1_11comp_targetILNS1_3genE9ELNS1_11target_archE1100ELNS1_3gpuE3ELNS1_3repE0EEENS1_44radix_sort_block_sort_config_static_selectorELNS0_4arch9wavefront6targetE1EEEvSJ_
	.globl	_ZN7rocprim17ROCPRIM_400000_NS6detail17trampoline_kernelINS0_13kernel_configILj256ELj4ELj4294967295EEENS1_37radix_sort_block_sort_config_selectorIfNS0_10empty_typeEEEZNS1_21radix_sort_block_sortIS4_Lb0EN6thrust23THRUST_200600_302600_NS6detail15normal_iteratorINSA_10device_ptrIfEEEESF_PS6_SG_NS0_19identity_decomposerEEE10hipError_tT1_T2_T3_T4_jRjT5_jjP12ihipStream_tbEUlT_E_NS1_11comp_targetILNS1_3genE9ELNS1_11target_archE1100ELNS1_3gpuE3ELNS1_3repE0EEENS1_44radix_sort_block_sort_config_static_selectorELNS0_4arch9wavefront6targetE1EEEvSJ_
	.p2align	8
	.type	_ZN7rocprim17ROCPRIM_400000_NS6detail17trampoline_kernelINS0_13kernel_configILj256ELj4ELj4294967295EEENS1_37radix_sort_block_sort_config_selectorIfNS0_10empty_typeEEEZNS1_21radix_sort_block_sortIS4_Lb0EN6thrust23THRUST_200600_302600_NS6detail15normal_iteratorINSA_10device_ptrIfEEEESF_PS6_SG_NS0_19identity_decomposerEEE10hipError_tT1_T2_T3_T4_jRjT5_jjP12ihipStream_tbEUlT_E_NS1_11comp_targetILNS1_3genE9ELNS1_11target_archE1100ELNS1_3gpuE3ELNS1_3repE0EEENS1_44radix_sort_block_sort_config_static_selectorELNS0_4arch9wavefront6targetE1EEEvSJ_,@function
_ZN7rocprim17ROCPRIM_400000_NS6detail17trampoline_kernelINS0_13kernel_configILj256ELj4ELj4294967295EEENS1_37radix_sort_block_sort_config_selectorIfNS0_10empty_typeEEEZNS1_21radix_sort_block_sortIS4_Lb0EN6thrust23THRUST_200600_302600_NS6detail15normal_iteratorINSA_10device_ptrIfEEEESF_PS6_SG_NS0_19identity_decomposerEEE10hipError_tT1_T2_T3_T4_jRjT5_jjP12ihipStream_tbEUlT_E_NS1_11comp_targetILNS1_3genE9ELNS1_11target_archE1100ELNS1_3gpuE3ELNS1_3repE0EEENS1_44radix_sort_block_sort_config_static_selectorELNS0_4arch9wavefront6targetE1EEEvSJ_: ; @_ZN7rocprim17ROCPRIM_400000_NS6detail17trampoline_kernelINS0_13kernel_configILj256ELj4ELj4294967295EEENS1_37radix_sort_block_sort_config_selectorIfNS0_10empty_typeEEEZNS1_21radix_sort_block_sortIS4_Lb0EN6thrust23THRUST_200600_302600_NS6detail15normal_iteratorINSA_10device_ptrIfEEEESF_PS6_SG_NS0_19identity_decomposerEEE10hipError_tT1_T2_T3_T4_jRjT5_jjP12ihipStream_tbEUlT_E_NS1_11comp_targetILNS1_3genE9ELNS1_11target_archE1100ELNS1_3gpuE3ELNS1_3repE0EEENS1_44radix_sort_block_sort_config_static_selectorELNS0_4arch9wavefront6targetE1EEEvSJ_
; %bb.0:
	.section	.rodata,"a",@progbits
	.p2align	6, 0x0
	.amdhsa_kernel _ZN7rocprim17ROCPRIM_400000_NS6detail17trampoline_kernelINS0_13kernel_configILj256ELj4ELj4294967295EEENS1_37radix_sort_block_sort_config_selectorIfNS0_10empty_typeEEEZNS1_21radix_sort_block_sortIS4_Lb0EN6thrust23THRUST_200600_302600_NS6detail15normal_iteratorINSA_10device_ptrIfEEEESF_PS6_SG_NS0_19identity_decomposerEEE10hipError_tT1_T2_T3_T4_jRjT5_jjP12ihipStream_tbEUlT_E_NS1_11comp_targetILNS1_3genE9ELNS1_11target_archE1100ELNS1_3gpuE3ELNS1_3repE0EEENS1_44radix_sort_block_sort_config_static_selectorELNS0_4arch9wavefront6targetE1EEEvSJ_
		.amdhsa_group_segment_fixed_size 0
		.amdhsa_private_segment_fixed_size 0
		.amdhsa_kernarg_size 48
		.amdhsa_user_sgpr_count 2
		.amdhsa_user_sgpr_dispatch_ptr 0
		.amdhsa_user_sgpr_queue_ptr 0
		.amdhsa_user_sgpr_kernarg_segment_ptr 1
		.amdhsa_user_sgpr_dispatch_id 0
		.amdhsa_user_sgpr_kernarg_preload_length 0
		.amdhsa_user_sgpr_kernarg_preload_offset 0
		.amdhsa_user_sgpr_private_segment_size 0
		.amdhsa_uses_dynamic_stack 0
		.amdhsa_enable_private_segment 0
		.amdhsa_system_sgpr_workgroup_id_x 1
		.amdhsa_system_sgpr_workgroup_id_y 0
		.amdhsa_system_sgpr_workgroup_id_z 0
		.amdhsa_system_sgpr_workgroup_info 0
		.amdhsa_system_vgpr_workitem_id 0
		.amdhsa_next_free_vgpr 1
		.amdhsa_next_free_sgpr 0
		.amdhsa_accum_offset 4
		.amdhsa_reserve_vcc 0
		.amdhsa_float_round_mode_32 0
		.amdhsa_float_round_mode_16_64 0
		.amdhsa_float_denorm_mode_32 3
		.amdhsa_float_denorm_mode_16_64 3
		.amdhsa_dx10_clamp 1
		.amdhsa_ieee_mode 1
		.amdhsa_fp16_overflow 0
		.amdhsa_tg_split 0
		.amdhsa_exception_fp_ieee_invalid_op 0
		.amdhsa_exception_fp_denorm_src 0
		.amdhsa_exception_fp_ieee_div_zero 0
		.amdhsa_exception_fp_ieee_overflow 0
		.amdhsa_exception_fp_ieee_underflow 0
		.amdhsa_exception_fp_ieee_inexact 0
		.amdhsa_exception_int_div_zero 0
	.end_amdhsa_kernel
	.section	.text._ZN7rocprim17ROCPRIM_400000_NS6detail17trampoline_kernelINS0_13kernel_configILj256ELj4ELj4294967295EEENS1_37radix_sort_block_sort_config_selectorIfNS0_10empty_typeEEEZNS1_21radix_sort_block_sortIS4_Lb0EN6thrust23THRUST_200600_302600_NS6detail15normal_iteratorINSA_10device_ptrIfEEEESF_PS6_SG_NS0_19identity_decomposerEEE10hipError_tT1_T2_T3_T4_jRjT5_jjP12ihipStream_tbEUlT_E_NS1_11comp_targetILNS1_3genE9ELNS1_11target_archE1100ELNS1_3gpuE3ELNS1_3repE0EEENS1_44radix_sort_block_sort_config_static_selectorELNS0_4arch9wavefront6targetE1EEEvSJ_,"axG",@progbits,_ZN7rocprim17ROCPRIM_400000_NS6detail17trampoline_kernelINS0_13kernel_configILj256ELj4ELj4294967295EEENS1_37radix_sort_block_sort_config_selectorIfNS0_10empty_typeEEEZNS1_21radix_sort_block_sortIS4_Lb0EN6thrust23THRUST_200600_302600_NS6detail15normal_iteratorINSA_10device_ptrIfEEEESF_PS6_SG_NS0_19identity_decomposerEEE10hipError_tT1_T2_T3_T4_jRjT5_jjP12ihipStream_tbEUlT_E_NS1_11comp_targetILNS1_3genE9ELNS1_11target_archE1100ELNS1_3gpuE3ELNS1_3repE0EEENS1_44radix_sort_block_sort_config_static_selectorELNS0_4arch9wavefront6targetE1EEEvSJ_,comdat
.Lfunc_end464:
	.size	_ZN7rocprim17ROCPRIM_400000_NS6detail17trampoline_kernelINS0_13kernel_configILj256ELj4ELj4294967295EEENS1_37radix_sort_block_sort_config_selectorIfNS0_10empty_typeEEEZNS1_21radix_sort_block_sortIS4_Lb0EN6thrust23THRUST_200600_302600_NS6detail15normal_iteratorINSA_10device_ptrIfEEEESF_PS6_SG_NS0_19identity_decomposerEEE10hipError_tT1_T2_T3_T4_jRjT5_jjP12ihipStream_tbEUlT_E_NS1_11comp_targetILNS1_3genE9ELNS1_11target_archE1100ELNS1_3gpuE3ELNS1_3repE0EEENS1_44radix_sort_block_sort_config_static_selectorELNS0_4arch9wavefront6targetE1EEEvSJ_, .Lfunc_end464-_ZN7rocprim17ROCPRIM_400000_NS6detail17trampoline_kernelINS0_13kernel_configILj256ELj4ELj4294967295EEENS1_37radix_sort_block_sort_config_selectorIfNS0_10empty_typeEEEZNS1_21radix_sort_block_sortIS4_Lb0EN6thrust23THRUST_200600_302600_NS6detail15normal_iteratorINSA_10device_ptrIfEEEESF_PS6_SG_NS0_19identity_decomposerEEE10hipError_tT1_T2_T3_T4_jRjT5_jjP12ihipStream_tbEUlT_E_NS1_11comp_targetILNS1_3genE9ELNS1_11target_archE1100ELNS1_3gpuE3ELNS1_3repE0EEENS1_44radix_sort_block_sort_config_static_selectorELNS0_4arch9wavefront6targetE1EEEvSJ_
                                        ; -- End function
	.set _ZN7rocprim17ROCPRIM_400000_NS6detail17trampoline_kernelINS0_13kernel_configILj256ELj4ELj4294967295EEENS1_37radix_sort_block_sort_config_selectorIfNS0_10empty_typeEEEZNS1_21radix_sort_block_sortIS4_Lb0EN6thrust23THRUST_200600_302600_NS6detail15normal_iteratorINSA_10device_ptrIfEEEESF_PS6_SG_NS0_19identity_decomposerEEE10hipError_tT1_T2_T3_T4_jRjT5_jjP12ihipStream_tbEUlT_E_NS1_11comp_targetILNS1_3genE9ELNS1_11target_archE1100ELNS1_3gpuE3ELNS1_3repE0EEENS1_44radix_sort_block_sort_config_static_selectorELNS0_4arch9wavefront6targetE1EEEvSJ_.num_vgpr, 0
	.set _ZN7rocprim17ROCPRIM_400000_NS6detail17trampoline_kernelINS0_13kernel_configILj256ELj4ELj4294967295EEENS1_37radix_sort_block_sort_config_selectorIfNS0_10empty_typeEEEZNS1_21radix_sort_block_sortIS4_Lb0EN6thrust23THRUST_200600_302600_NS6detail15normal_iteratorINSA_10device_ptrIfEEEESF_PS6_SG_NS0_19identity_decomposerEEE10hipError_tT1_T2_T3_T4_jRjT5_jjP12ihipStream_tbEUlT_E_NS1_11comp_targetILNS1_3genE9ELNS1_11target_archE1100ELNS1_3gpuE3ELNS1_3repE0EEENS1_44radix_sort_block_sort_config_static_selectorELNS0_4arch9wavefront6targetE1EEEvSJ_.num_agpr, 0
	.set _ZN7rocprim17ROCPRIM_400000_NS6detail17trampoline_kernelINS0_13kernel_configILj256ELj4ELj4294967295EEENS1_37radix_sort_block_sort_config_selectorIfNS0_10empty_typeEEEZNS1_21radix_sort_block_sortIS4_Lb0EN6thrust23THRUST_200600_302600_NS6detail15normal_iteratorINSA_10device_ptrIfEEEESF_PS6_SG_NS0_19identity_decomposerEEE10hipError_tT1_T2_T3_T4_jRjT5_jjP12ihipStream_tbEUlT_E_NS1_11comp_targetILNS1_3genE9ELNS1_11target_archE1100ELNS1_3gpuE3ELNS1_3repE0EEENS1_44radix_sort_block_sort_config_static_selectorELNS0_4arch9wavefront6targetE1EEEvSJ_.numbered_sgpr, 0
	.set _ZN7rocprim17ROCPRIM_400000_NS6detail17trampoline_kernelINS0_13kernel_configILj256ELj4ELj4294967295EEENS1_37radix_sort_block_sort_config_selectorIfNS0_10empty_typeEEEZNS1_21radix_sort_block_sortIS4_Lb0EN6thrust23THRUST_200600_302600_NS6detail15normal_iteratorINSA_10device_ptrIfEEEESF_PS6_SG_NS0_19identity_decomposerEEE10hipError_tT1_T2_T3_T4_jRjT5_jjP12ihipStream_tbEUlT_E_NS1_11comp_targetILNS1_3genE9ELNS1_11target_archE1100ELNS1_3gpuE3ELNS1_3repE0EEENS1_44radix_sort_block_sort_config_static_selectorELNS0_4arch9wavefront6targetE1EEEvSJ_.num_named_barrier, 0
	.set _ZN7rocprim17ROCPRIM_400000_NS6detail17trampoline_kernelINS0_13kernel_configILj256ELj4ELj4294967295EEENS1_37radix_sort_block_sort_config_selectorIfNS0_10empty_typeEEEZNS1_21radix_sort_block_sortIS4_Lb0EN6thrust23THRUST_200600_302600_NS6detail15normal_iteratorINSA_10device_ptrIfEEEESF_PS6_SG_NS0_19identity_decomposerEEE10hipError_tT1_T2_T3_T4_jRjT5_jjP12ihipStream_tbEUlT_E_NS1_11comp_targetILNS1_3genE9ELNS1_11target_archE1100ELNS1_3gpuE3ELNS1_3repE0EEENS1_44radix_sort_block_sort_config_static_selectorELNS0_4arch9wavefront6targetE1EEEvSJ_.private_seg_size, 0
	.set _ZN7rocprim17ROCPRIM_400000_NS6detail17trampoline_kernelINS0_13kernel_configILj256ELj4ELj4294967295EEENS1_37radix_sort_block_sort_config_selectorIfNS0_10empty_typeEEEZNS1_21radix_sort_block_sortIS4_Lb0EN6thrust23THRUST_200600_302600_NS6detail15normal_iteratorINSA_10device_ptrIfEEEESF_PS6_SG_NS0_19identity_decomposerEEE10hipError_tT1_T2_T3_T4_jRjT5_jjP12ihipStream_tbEUlT_E_NS1_11comp_targetILNS1_3genE9ELNS1_11target_archE1100ELNS1_3gpuE3ELNS1_3repE0EEENS1_44radix_sort_block_sort_config_static_selectorELNS0_4arch9wavefront6targetE1EEEvSJ_.uses_vcc, 0
	.set _ZN7rocprim17ROCPRIM_400000_NS6detail17trampoline_kernelINS0_13kernel_configILj256ELj4ELj4294967295EEENS1_37radix_sort_block_sort_config_selectorIfNS0_10empty_typeEEEZNS1_21radix_sort_block_sortIS4_Lb0EN6thrust23THRUST_200600_302600_NS6detail15normal_iteratorINSA_10device_ptrIfEEEESF_PS6_SG_NS0_19identity_decomposerEEE10hipError_tT1_T2_T3_T4_jRjT5_jjP12ihipStream_tbEUlT_E_NS1_11comp_targetILNS1_3genE9ELNS1_11target_archE1100ELNS1_3gpuE3ELNS1_3repE0EEENS1_44radix_sort_block_sort_config_static_selectorELNS0_4arch9wavefront6targetE1EEEvSJ_.uses_flat_scratch, 0
	.set _ZN7rocprim17ROCPRIM_400000_NS6detail17trampoline_kernelINS0_13kernel_configILj256ELj4ELj4294967295EEENS1_37radix_sort_block_sort_config_selectorIfNS0_10empty_typeEEEZNS1_21radix_sort_block_sortIS4_Lb0EN6thrust23THRUST_200600_302600_NS6detail15normal_iteratorINSA_10device_ptrIfEEEESF_PS6_SG_NS0_19identity_decomposerEEE10hipError_tT1_T2_T3_T4_jRjT5_jjP12ihipStream_tbEUlT_E_NS1_11comp_targetILNS1_3genE9ELNS1_11target_archE1100ELNS1_3gpuE3ELNS1_3repE0EEENS1_44radix_sort_block_sort_config_static_selectorELNS0_4arch9wavefront6targetE1EEEvSJ_.has_dyn_sized_stack, 0
	.set _ZN7rocprim17ROCPRIM_400000_NS6detail17trampoline_kernelINS0_13kernel_configILj256ELj4ELj4294967295EEENS1_37radix_sort_block_sort_config_selectorIfNS0_10empty_typeEEEZNS1_21radix_sort_block_sortIS4_Lb0EN6thrust23THRUST_200600_302600_NS6detail15normal_iteratorINSA_10device_ptrIfEEEESF_PS6_SG_NS0_19identity_decomposerEEE10hipError_tT1_T2_T3_T4_jRjT5_jjP12ihipStream_tbEUlT_E_NS1_11comp_targetILNS1_3genE9ELNS1_11target_archE1100ELNS1_3gpuE3ELNS1_3repE0EEENS1_44radix_sort_block_sort_config_static_selectorELNS0_4arch9wavefront6targetE1EEEvSJ_.has_recursion, 0
	.set _ZN7rocprim17ROCPRIM_400000_NS6detail17trampoline_kernelINS0_13kernel_configILj256ELj4ELj4294967295EEENS1_37radix_sort_block_sort_config_selectorIfNS0_10empty_typeEEEZNS1_21radix_sort_block_sortIS4_Lb0EN6thrust23THRUST_200600_302600_NS6detail15normal_iteratorINSA_10device_ptrIfEEEESF_PS6_SG_NS0_19identity_decomposerEEE10hipError_tT1_T2_T3_T4_jRjT5_jjP12ihipStream_tbEUlT_E_NS1_11comp_targetILNS1_3genE9ELNS1_11target_archE1100ELNS1_3gpuE3ELNS1_3repE0EEENS1_44radix_sort_block_sort_config_static_selectorELNS0_4arch9wavefront6targetE1EEEvSJ_.has_indirect_call, 0
	.section	.AMDGPU.csdata,"",@progbits
; Kernel info:
; codeLenInByte = 0
; TotalNumSgprs: 6
; NumVgprs: 0
; NumAgprs: 0
; TotalNumVgprs: 0
; ScratchSize: 0
; MemoryBound: 0
; FloatMode: 240
; IeeeMode: 1
; LDSByteSize: 0 bytes/workgroup (compile time only)
; SGPRBlocks: 0
; VGPRBlocks: 0
; NumSGPRsForWavesPerEU: 6
; NumVGPRsForWavesPerEU: 1
; AccumOffset: 4
; Occupancy: 8
; WaveLimiterHint : 0
; COMPUTE_PGM_RSRC2:SCRATCH_EN: 0
; COMPUTE_PGM_RSRC2:USER_SGPR: 2
; COMPUTE_PGM_RSRC2:TRAP_HANDLER: 0
; COMPUTE_PGM_RSRC2:TGID_X_EN: 1
; COMPUTE_PGM_RSRC2:TGID_Y_EN: 0
; COMPUTE_PGM_RSRC2:TGID_Z_EN: 0
; COMPUTE_PGM_RSRC2:TIDIG_COMP_CNT: 0
; COMPUTE_PGM_RSRC3_GFX90A:ACCUM_OFFSET: 0
; COMPUTE_PGM_RSRC3_GFX90A:TG_SPLIT: 0
	.section	.text._ZN7rocprim17ROCPRIM_400000_NS6detail17trampoline_kernelINS0_13kernel_configILj256ELj4ELj4294967295EEENS1_37radix_sort_block_sort_config_selectorIfNS0_10empty_typeEEEZNS1_21radix_sort_block_sortIS4_Lb0EN6thrust23THRUST_200600_302600_NS6detail15normal_iteratorINSA_10device_ptrIfEEEESF_PS6_SG_NS0_19identity_decomposerEEE10hipError_tT1_T2_T3_T4_jRjT5_jjP12ihipStream_tbEUlT_E_NS1_11comp_targetILNS1_3genE8ELNS1_11target_archE1030ELNS1_3gpuE2ELNS1_3repE0EEENS1_44radix_sort_block_sort_config_static_selectorELNS0_4arch9wavefront6targetE1EEEvSJ_,"axG",@progbits,_ZN7rocprim17ROCPRIM_400000_NS6detail17trampoline_kernelINS0_13kernel_configILj256ELj4ELj4294967295EEENS1_37radix_sort_block_sort_config_selectorIfNS0_10empty_typeEEEZNS1_21radix_sort_block_sortIS4_Lb0EN6thrust23THRUST_200600_302600_NS6detail15normal_iteratorINSA_10device_ptrIfEEEESF_PS6_SG_NS0_19identity_decomposerEEE10hipError_tT1_T2_T3_T4_jRjT5_jjP12ihipStream_tbEUlT_E_NS1_11comp_targetILNS1_3genE8ELNS1_11target_archE1030ELNS1_3gpuE2ELNS1_3repE0EEENS1_44radix_sort_block_sort_config_static_selectorELNS0_4arch9wavefront6targetE1EEEvSJ_,comdat
	.protected	_ZN7rocprim17ROCPRIM_400000_NS6detail17trampoline_kernelINS0_13kernel_configILj256ELj4ELj4294967295EEENS1_37radix_sort_block_sort_config_selectorIfNS0_10empty_typeEEEZNS1_21radix_sort_block_sortIS4_Lb0EN6thrust23THRUST_200600_302600_NS6detail15normal_iteratorINSA_10device_ptrIfEEEESF_PS6_SG_NS0_19identity_decomposerEEE10hipError_tT1_T2_T3_T4_jRjT5_jjP12ihipStream_tbEUlT_E_NS1_11comp_targetILNS1_3genE8ELNS1_11target_archE1030ELNS1_3gpuE2ELNS1_3repE0EEENS1_44radix_sort_block_sort_config_static_selectorELNS0_4arch9wavefront6targetE1EEEvSJ_ ; -- Begin function _ZN7rocprim17ROCPRIM_400000_NS6detail17trampoline_kernelINS0_13kernel_configILj256ELj4ELj4294967295EEENS1_37radix_sort_block_sort_config_selectorIfNS0_10empty_typeEEEZNS1_21radix_sort_block_sortIS4_Lb0EN6thrust23THRUST_200600_302600_NS6detail15normal_iteratorINSA_10device_ptrIfEEEESF_PS6_SG_NS0_19identity_decomposerEEE10hipError_tT1_T2_T3_T4_jRjT5_jjP12ihipStream_tbEUlT_E_NS1_11comp_targetILNS1_3genE8ELNS1_11target_archE1030ELNS1_3gpuE2ELNS1_3repE0EEENS1_44radix_sort_block_sort_config_static_selectorELNS0_4arch9wavefront6targetE1EEEvSJ_
	.globl	_ZN7rocprim17ROCPRIM_400000_NS6detail17trampoline_kernelINS0_13kernel_configILj256ELj4ELj4294967295EEENS1_37radix_sort_block_sort_config_selectorIfNS0_10empty_typeEEEZNS1_21radix_sort_block_sortIS4_Lb0EN6thrust23THRUST_200600_302600_NS6detail15normal_iteratorINSA_10device_ptrIfEEEESF_PS6_SG_NS0_19identity_decomposerEEE10hipError_tT1_T2_T3_T4_jRjT5_jjP12ihipStream_tbEUlT_E_NS1_11comp_targetILNS1_3genE8ELNS1_11target_archE1030ELNS1_3gpuE2ELNS1_3repE0EEENS1_44radix_sort_block_sort_config_static_selectorELNS0_4arch9wavefront6targetE1EEEvSJ_
	.p2align	8
	.type	_ZN7rocprim17ROCPRIM_400000_NS6detail17trampoline_kernelINS0_13kernel_configILj256ELj4ELj4294967295EEENS1_37radix_sort_block_sort_config_selectorIfNS0_10empty_typeEEEZNS1_21radix_sort_block_sortIS4_Lb0EN6thrust23THRUST_200600_302600_NS6detail15normal_iteratorINSA_10device_ptrIfEEEESF_PS6_SG_NS0_19identity_decomposerEEE10hipError_tT1_T2_T3_T4_jRjT5_jjP12ihipStream_tbEUlT_E_NS1_11comp_targetILNS1_3genE8ELNS1_11target_archE1030ELNS1_3gpuE2ELNS1_3repE0EEENS1_44radix_sort_block_sort_config_static_selectorELNS0_4arch9wavefront6targetE1EEEvSJ_,@function
_ZN7rocprim17ROCPRIM_400000_NS6detail17trampoline_kernelINS0_13kernel_configILj256ELj4ELj4294967295EEENS1_37radix_sort_block_sort_config_selectorIfNS0_10empty_typeEEEZNS1_21radix_sort_block_sortIS4_Lb0EN6thrust23THRUST_200600_302600_NS6detail15normal_iteratorINSA_10device_ptrIfEEEESF_PS6_SG_NS0_19identity_decomposerEEE10hipError_tT1_T2_T3_T4_jRjT5_jjP12ihipStream_tbEUlT_E_NS1_11comp_targetILNS1_3genE8ELNS1_11target_archE1030ELNS1_3gpuE2ELNS1_3repE0EEENS1_44radix_sort_block_sort_config_static_selectorELNS0_4arch9wavefront6targetE1EEEvSJ_: ; @_ZN7rocprim17ROCPRIM_400000_NS6detail17trampoline_kernelINS0_13kernel_configILj256ELj4ELj4294967295EEENS1_37radix_sort_block_sort_config_selectorIfNS0_10empty_typeEEEZNS1_21radix_sort_block_sortIS4_Lb0EN6thrust23THRUST_200600_302600_NS6detail15normal_iteratorINSA_10device_ptrIfEEEESF_PS6_SG_NS0_19identity_decomposerEEE10hipError_tT1_T2_T3_T4_jRjT5_jjP12ihipStream_tbEUlT_E_NS1_11comp_targetILNS1_3genE8ELNS1_11target_archE1030ELNS1_3gpuE2ELNS1_3repE0EEENS1_44radix_sort_block_sort_config_static_selectorELNS0_4arch9wavefront6targetE1EEEvSJ_
; %bb.0:
	.section	.rodata,"a",@progbits
	.p2align	6, 0x0
	.amdhsa_kernel _ZN7rocprim17ROCPRIM_400000_NS6detail17trampoline_kernelINS0_13kernel_configILj256ELj4ELj4294967295EEENS1_37radix_sort_block_sort_config_selectorIfNS0_10empty_typeEEEZNS1_21radix_sort_block_sortIS4_Lb0EN6thrust23THRUST_200600_302600_NS6detail15normal_iteratorINSA_10device_ptrIfEEEESF_PS6_SG_NS0_19identity_decomposerEEE10hipError_tT1_T2_T3_T4_jRjT5_jjP12ihipStream_tbEUlT_E_NS1_11comp_targetILNS1_3genE8ELNS1_11target_archE1030ELNS1_3gpuE2ELNS1_3repE0EEENS1_44radix_sort_block_sort_config_static_selectorELNS0_4arch9wavefront6targetE1EEEvSJ_
		.amdhsa_group_segment_fixed_size 0
		.amdhsa_private_segment_fixed_size 0
		.amdhsa_kernarg_size 48
		.amdhsa_user_sgpr_count 2
		.amdhsa_user_sgpr_dispatch_ptr 0
		.amdhsa_user_sgpr_queue_ptr 0
		.amdhsa_user_sgpr_kernarg_segment_ptr 1
		.amdhsa_user_sgpr_dispatch_id 0
		.amdhsa_user_sgpr_kernarg_preload_length 0
		.amdhsa_user_sgpr_kernarg_preload_offset 0
		.amdhsa_user_sgpr_private_segment_size 0
		.amdhsa_uses_dynamic_stack 0
		.amdhsa_enable_private_segment 0
		.amdhsa_system_sgpr_workgroup_id_x 1
		.amdhsa_system_sgpr_workgroup_id_y 0
		.amdhsa_system_sgpr_workgroup_id_z 0
		.amdhsa_system_sgpr_workgroup_info 0
		.amdhsa_system_vgpr_workitem_id 0
		.amdhsa_next_free_vgpr 1
		.amdhsa_next_free_sgpr 0
		.amdhsa_accum_offset 4
		.amdhsa_reserve_vcc 0
		.amdhsa_float_round_mode_32 0
		.amdhsa_float_round_mode_16_64 0
		.amdhsa_float_denorm_mode_32 3
		.amdhsa_float_denorm_mode_16_64 3
		.amdhsa_dx10_clamp 1
		.amdhsa_ieee_mode 1
		.amdhsa_fp16_overflow 0
		.amdhsa_tg_split 0
		.amdhsa_exception_fp_ieee_invalid_op 0
		.amdhsa_exception_fp_denorm_src 0
		.amdhsa_exception_fp_ieee_div_zero 0
		.amdhsa_exception_fp_ieee_overflow 0
		.amdhsa_exception_fp_ieee_underflow 0
		.amdhsa_exception_fp_ieee_inexact 0
		.amdhsa_exception_int_div_zero 0
	.end_amdhsa_kernel
	.section	.text._ZN7rocprim17ROCPRIM_400000_NS6detail17trampoline_kernelINS0_13kernel_configILj256ELj4ELj4294967295EEENS1_37radix_sort_block_sort_config_selectorIfNS0_10empty_typeEEEZNS1_21radix_sort_block_sortIS4_Lb0EN6thrust23THRUST_200600_302600_NS6detail15normal_iteratorINSA_10device_ptrIfEEEESF_PS6_SG_NS0_19identity_decomposerEEE10hipError_tT1_T2_T3_T4_jRjT5_jjP12ihipStream_tbEUlT_E_NS1_11comp_targetILNS1_3genE8ELNS1_11target_archE1030ELNS1_3gpuE2ELNS1_3repE0EEENS1_44radix_sort_block_sort_config_static_selectorELNS0_4arch9wavefront6targetE1EEEvSJ_,"axG",@progbits,_ZN7rocprim17ROCPRIM_400000_NS6detail17trampoline_kernelINS0_13kernel_configILj256ELj4ELj4294967295EEENS1_37radix_sort_block_sort_config_selectorIfNS0_10empty_typeEEEZNS1_21radix_sort_block_sortIS4_Lb0EN6thrust23THRUST_200600_302600_NS6detail15normal_iteratorINSA_10device_ptrIfEEEESF_PS6_SG_NS0_19identity_decomposerEEE10hipError_tT1_T2_T3_T4_jRjT5_jjP12ihipStream_tbEUlT_E_NS1_11comp_targetILNS1_3genE8ELNS1_11target_archE1030ELNS1_3gpuE2ELNS1_3repE0EEENS1_44radix_sort_block_sort_config_static_selectorELNS0_4arch9wavefront6targetE1EEEvSJ_,comdat
.Lfunc_end465:
	.size	_ZN7rocprim17ROCPRIM_400000_NS6detail17trampoline_kernelINS0_13kernel_configILj256ELj4ELj4294967295EEENS1_37radix_sort_block_sort_config_selectorIfNS0_10empty_typeEEEZNS1_21radix_sort_block_sortIS4_Lb0EN6thrust23THRUST_200600_302600_NS6detail15normal_iteratorINSA_10device_ptrIfEEEESF_PS6_SG_NS0_19identity_decomposerEEE10hipError_tT1_T2_T3_T4_jRjT5_jjP12ihipStream_tbEUlT_E_NS1_11comp_targetILNS1_3genE8ELNS1_11target_archE1030ELNS1_3gpuE2ELNS1_3repE0EEENS1_44radix_sort_block_sort_config_static_selectorELNS0_4arch9wavefront6targetE1EEEvSJ_, .Lfunc_end465-_ZN7rocprim17ROCPRIM_400000_NS6detail17trampoline_kernelINS0_13kernel_configILj256ELj4ELj4294967295EEENS1_37radix_sort_block_sort_config_selectorIfNS0_10empty_typeEEEZNS1_21radix_sort_block_sortIS4_Lb0EN6thrust23THRUST_200600_302600_NS6detail15normal_iteratorINSA_10device_ptrIfEEEESF_PS6_SG_NS0_19identity_decomposerEEE10hipError_tT1_T2_T3_T4_jRjT5_jjP12ihipStream_tbEUlT_E_NS1_11comp_targetILNS1_3genE8ELNS1_11target_archE1030ELNS1_3gpuE2ELNS1_3repE0EEENS1_44radix_sort_block_sort_config_static_selectorELNS0_4arch9wavefront6targetE1EEEvSJ_
                                        ; -- End function
	.set _ZN7rocprim17ROCPRIM_400000_NS6detail17trampoline_kernelINS0_13kernel_configILj256ELj4ELj4294967295EEENS1_37radix_sort_block_sort_config_selectorIfNS0_10empty_typeEEEZNS1_21radix_sort_block_sortIS4_Lb0EN6thrust23THRUST_200600_302600_NS6detail15normal_iteratorINSA_10device_ptrIfEEEESF_PS6_SG_NS0_19identity_decomposerEEE10hipError_tT1_T2_T3_T4_jRjT5_jjP12ihipStream_tbEUlT_E_NS1_11comp_targetILNS1_3genE8ELNS1_11target_archE1030ELNS1_3gpuE2ELNS1_3repE0EEENS1_44radix_sort_block_sort_config_static_selectorELNS0_4arch9wavefront6targetE1EEEvSJ_.num_vgpr, 0
	.set _ZN7rocprim17ROCPRIM_400000_NS6detail17trampoline_kernelINS0_13kernel_configILj256ELj4ELj4294967295EEENS1_37radix_sort_block_sort_config_selectorIfNS0_10empty_typeEEEZNS1_21radix_sort_block_sortIS4_Lb0EN6thrust23THRUST_200600_302600_NS6detail15normal_iteratorINSA_10device_ptrIfEEEESF_PS6_SG_NS0_19identity_decomposerEEE10hipError_tT1_T2_T3_T4_jRjT5_jjP12ihipStream_tbEUlT_E_NS1_11comp_targetILNS1_3genE8ELNS1_11target_archE1030ELNS1_3gpuE2ELNS1_3repE0EEENS1_44radix_sort_block_sort_config_static_selectorELNS0_4arch9wavefront6targetE1EEEvSJ_.num_agpr, 0
	.set _ZN7rocprim17ROCPRIM_400000_NS6detail17trampoline_kernelINS0_13kernel_configILj256ELj4ELj4294967295EEENS1_37radix_sort_block_sort_config_selectorIfNS0_10empty_typeEEEZNS1_21radix_sort_block_sortIS4_Lb0EN6thrust23THRUST_200600_302600_NS6detail15normal_iteratorINSA_10device_ptrIfEEEESF_PS6_SG_NS0_19identity_decomposerEEE10hipError_tT1_T2_T3_T4_jRjT5_jjP12ihipStream_tbEUlT_E_NS1_11comp_targetILNS1_3genE8ELNS1_11target_archE1030ELNS1_3gpuE2ELNS1_3repE0EEENS1_44radix_sort_block_sort_config_static_selectorELNS0_4arch9wavefront6targetE1EEEvSJ_.numbered_sgpr, 0
	.set _ZN7rocprim17ROCPRIM_400000_NS6detail17trampoline_kernelINS0_13kernel_configILj256ELj4ELj4294967295EEENS1_37radix_sort_block_sort_config_selectorIfNS0_10empty_typeEEEZNS1_21radix_sort_block_sortIS4_Lb0EN6thrust23THRUST_200600_302600_NS6detail15normal_iteratorINSA_10device_ptrIfEEEESF_PS6_SG_NS0_19identity_decomposerEEE10hipError_tT1_T2_T3_T4_jRjT5_jjP12ihipStream_tbEUlT_E_NS1_11comp_targetILNS1_3genE8ELNS1_11target_archE1030ELNS1_3gpuE2ELNS1_3repE0EEENS1_44radix_sort_block_sort_config_static_selectorELNS0_4arch9wavefront6targetE1EEEvSJ_.num_named_barrier, 0
	.set _ZN7rocprim17ROCPRIM_400000_NS6detail17trampoline_kernelINS0_13kernel_configILj256ELj4ELj4294967295EEENS1_37radix_sort_block_sort_config_selectorIfNS0_10empty_typeEEEZNS1_21radix_sort_block_sortIS4_Lb0EN6thrust23THRUST_200600_302600_NS6detail15normal_iteratorINSA_10device_ptrIfEEEESF_PS6_SG_NS0_19identity_decomposerEEE10hipError_tT1_T2_T3_T4_jRjT5_jjP12ihipStream_tbEUlT_E_NS1_11comp_targetILNS1_3genE8ELNS1_11target_archE1030ELNS1_3gpuE2ELNS1_3repE0EEENS1_44radix_sort_block_sort_config_static_selectorELNS0_4arch9wavefront6targetE1EEEvSJ_.private_seg_size, 0
	.set _ZN7rocprim17ROCPRIM_400000_NS6detail17trampoline_kernelINS0_13kernel_configILj256ELj4ELj4294967295EEENS1_37radix_sort_block_sort_config_selectorIfNS0_10empty_typeEEEZNS1_21radix_sort_block_sortIS4_Lb0EN6thrust23THRUST_200600_302600_NS6detail15normal_iteratorINSA_10device_ptrIfEEEESF_PS6_SG_NS0_19identity_decomposerEEE10hipError_tT1_T2_T3_T4_jRjT5_jjP12ihipStream_tbEUlT_E_NS1_11comp_targetILNS1_3genE8ELNS1_11target_archE1030ELNS1_3gpuE2ELNS1_3repE0EEENS1_44radix_sort_block_sort_config_static_selectorELNS0_4arch9wavefront6targetE1EEEvSJ_.uses_vcc, 0
	.set _ZN7rocprim17ROCPRIM_400000_NS6detail17trampoline_kernelINS0_13kernel_configILj256ELj4ELj4294967295EEENS1_37radix_sort_block_sort_config_selectorIfNS0_10empty_typeEEEZNS1_21radix_sort_block_sortIS4_Lb0EN6thrust23THRUST_200600_302600_NS6detail15normal_iteratorINSA_10device_ptrIfEEEESF_PS6_SG_NS0_19identity_decomposerEEE10hipError_tT1_T2_T3_T4_jRjT5_jjP12ihipStream_tbEUlT_E_NS1_11comp_targetILNS1_3genE8ELNS1_11target_archE1030ELNS1_3gpuE2ELNS1_3repE0EEENS1_44radix_sort_block_sort_config_static_selectorELNS0_4arch9wavefront6targetE1EEEvSJ_.uses_flat_scratch, 0
	.set _ZN7rocprim17ROCPRIM_400000_NS6detail17trampoline_kernelINS0_13kernel_configILj256ELj4ELj4294967295EEENS1_37radix_sort_block_sort_config_selectorIfNS0_10empty_typeEEEZNS1_21radix_sort_block_sortIS4_Lb0EN6thrust23THRUST_200600_302600_NS6detail15normal_iteratorINSA_10device_ptrIfEEEESF_PS6_SG_NS0_19identity_decomposerEEE10hipError_tT1_T2_T3_T4_jRjT5_jjP12ihipStream_tbEUlT_E_NS1_11comp_targetILNS1_3genE8ELNS1_11target_archE1030ELNS1_3gpuE2ELNS1_3repE0EEENS1_44radix_sort_block_sort_config_static_selectorELNS0_4arch9wavefront6targetE1EEEvSJ_.has_dyn_sized_stack, 0
	.set _ZN7rocprim17ROCPRIM_400000_NS6detail17trampoline_kernelINS0_13kernel_configILj256ELj4ELj4294967295EEENS1_37radix_sort_block_sort_config_selectorIfNS0_10empty_typeEEEZNS1_21radix_sort_block_sortIS4_Lb0EN6thrust23THRUST_200600_302600_NS6detail15normal_iteratorINSA_10device_ptrIfEEEESF_PS6_SG_NS0_19identity_decomposerEEE10hipError_tT1_T2_T3_T4_jRjT5_jjP12ihipStream_tbEUlT_E_NS1_11comp_targetILNS1_3genE8ELNS1_11target_archE1030ELNS1_3gpuE2ELNS1_3repE0EEENS1_44radix_sort_block_sort_config_static_selectorELNS0_4arch9wavefront6targetE1EEEvSJ_.has_recursion, 0
	.set _ZN7rocprim17ROCPRIM_400000_NS6detail17trampoline_kernelINS0_13kernel_configILj256ELj4ELj4294967295EEENS1_37radix_sort_block_sort_config_selectorIfNS0_10empty_typeEEEZNS1_21radix_sort_block_sortIS4_Lb0EN6thrust23THRUST_200600_302600_NS6detail15normal_iteratorINSA_10device_ptrIfEEEESF_PS6_SG_NS0_19identity_decomposerEEE10hipError_tT1_T2_T3_T4_jRjT5_jjP12ihipStream_tbEUlT_E_NS1_11comp_targetILNS1_3genE8ELNS1_11target_archE1030ELNS1_3gpuE2ELNS1_3repE0EEENS1_44radix_sort_block_sort_config_static_selectorELNS0_4arch9wavefront6targetE1EEEvSJ_.has_indirect_call, 0
	.section	.AMDGPU.csdata,"",@progbits
; Kernel info:
; codeLenInByte = 0
; TotalNumSgprs: 6
; NumVgprs: 0
; NumAgprs: 0
; TotalNumVgprs: 0
; ScratchSize: 0
; MemoryBound: 0
; FloatMode: 240
; IeeeMode: 1
; LDSByteSize: 0 bytes/workgroup (compile time only)
; SGPRBlocks: 0
; VGPRBlocks: 0
; NumSGPRsForWavesPerEU: 6
; NumVGPRsForWavesPerEU: 1
; AccumOffset: 4
; Occupancy: 8
; WaveLimiterHint : 0
; COMPUTE_PGM_RSRC2:SCRATCH_EN: 0
; COMPUTE_PGM_RSRC2:USER_SGPR: 2
; COMPUTE_PGM_RSRC2:TRAP_HANDLER: 0
; COMPUTE_PGM_RSRC2:TGID_X_EN: 1
; COMPUTE_PGM_RSRC2:TGID_Y_EN: 0
; COMPUTE_PGM_RSRC2:TGID_Z_EN: 0
; COMPUTE_PGM_RSRC2:TIDIG_COMP_CNT: 0
; COMPUTE_PGM_RSRC3_GFX90A:ACCUM_OFFSET: 0
; COMPUTE_PGM_RSRC3_GFX90A:TG_SPLIT: 0
	.section	.text._ZN7rocprim17ROCPRIM_400000_NS6detail44device_merge_sort_compile_time_verifier_archINS1_11comp_targetILNS1_3genE0ELNS1_11target_archE4294967295ELNS1_3gpuE0ELNS1_3repE0EEES8_NS1_28merge_sort_block_sort_configILj256ELj4ELNS0_20block_sort_algorithmE0EEENS0_14default_configENS1_37merge_sort_block_sort_config_selectorIfNS0_10empty_typeEEENS1_38merge_sort_block_merge_config_selectorIfSE_EEEEvv,"axG",@progbits,_ZN7rocprim17ROCPRIM_400000_NS6detail44device_merge_sort_compile_time_verifier_archINS1_11comp_targetILNS1_3genE0ELNS1_11target_archE4294967295ELNS1_3gpuE0ELNS1_3repE0EEES8_NS1_28merge_sort_block_sort_configILj256ELj4ELNS0_20block_sort_algorithmE0EEENS0_14default_configENS1_37merge_sort_block_sort_config_selectorIfNS0_10empty_typeEEENS1_38merge_sort_block_merge_config_selectorIfSE_EEEEvv,comdat
	.protected	_ZN7rocprim17ROCPRIM_400000_NS6detail44device_merge_sort_compile_time_verifier_archINS1_11comp_targetILNS1_3genE0ELNS1_11target_archE4294967295ELNS1_3gpuE0ELNS1_3repE0EEES8_NS1_28merge_sort_block_sort_configILj256ELj4ELNS0_20block_sort_algorithmE0EEENS0_14default_configENS1_37merge_sort_block_sort_config_selectorIfNS0_10empty_typeEEENS1_38merge_sort_block_merge_config_selectorIfSE_EEEEvv ; -- Begin function _ZN7rocprim17ROCPRIM_400000_NS6detail44device_merge_sort_compile_time_verifier_archINS1_11comp_targetILNS1_3genE0ELNS1_11target_archE4294967295ELNS1_3gpuE0ELNS1_3repE0EEES8_NS1_28merge_sort_block_sort_configILj256ELj4ELNS0_20block_sort_algorithmE0EEENS0_14default_configENS1_37merge_sort_block_sort_config_selectorIfNS0_10empty_typeEEENS1_38merge_sort_block_merge_config_selectorIfSE_EEEEvv
	.globl	_ZN7rocprim17ROCPRIM_400000_NS6detail44device_merge_sort_compile_time_verifier_archINS1_11comp_targetILNS1_3genE0ELNS1_11target_archE4294967295ELNS1_3gpuE0ELNS1_3repE0EEES8_NS1_28merge_sort_block_sort_configILj256ELj4ELNS0_20block_sort_algorithmE0EEENS0_14default_configENS1_37merge_sort_block_sort_config_selectorIfNS0_10empty_typeEEENS1_38merge_sort_block_merge_config_selectorIfSE_EEEEvv
	.p2align	8
	.type	_ZN7rocprim17ROCPRIM_400000_NS6detail44device_merge_sort_compile_time_verifier_archINS1_11comp_targetILNS1_3genE0ELNS1_11target_archE4294967295ELNS1_3gpuE0ELNS1_3repE0EEES8_NS1_28merge_sort_block_sort_configILj256ELj4ELNS0_20block_sort_algorithmE0EEENS0_14default_configENS1_37merge_sort_block_sort_config_selectorIfNS0_10empty_typeEEENS1_38merge_sort_block_merge_config_selectorIfSE_EEEEvv,@function
_ZN7rocprim17ROCPRIM_400000_NS6detail44device_merge_sort_compile_time_verifier_archINS1_11comp_targetILNS1_3genE0ELNS1_11target_archE4294967295ELNS1_3gpuE0ELNS1_3repE0EEES8_NS1_28merge_sort_block_sort_configILj256ELj4ELNS0_20block_sort_algorithmE0EEENS0_14default_configENS1_37merge_sort_block_sort_config_selectorIfNS0_10empty_typeEEENS1_38merge_sort_block_merge_config_selectorIfSE_EEEEvv: ; @_ZN7rocprim17ROCPRIM_400000_NS6detail44device_merge_sort_compile_time_verifier_archINS1_11comp_targetILNS1_3genE0ELNS1_11target_archE4294967295ELNS1_3gpuE0ELNS1_3repE0EEES8_NS1_28merge_sort_block_sort_configILj256ELj4ELNS0_20block_sort_algorithmE0EEENS0_14default_configENS1_37merge_sort_block_sort_config_selectorIfNS0_10empty_typeEEENS1_38merge_sort_block_merge_config_selectorIfSE_EEEEvv
; %bb.0:
	s_endpgm
	.section	.rodata,"a",@progbits
	.p2align	6, 0x0
	.amdhsa_kernel _ZN7rocprim17ROCPRIM_400000_NS6detail44device_merge_sort_compile_time_verifier_archINS1_11comp_targetILNS1_3genE0ELNS1_11target_archE4294967295ELNS1_3gpuE0ELNS1_3repE0EEES8_NS1_28merge_sort_block_sort_configILj256ELj4ELNS0_20block_sort_algorithmE0EEENS0_14default_configENS1_37merge_sort_block_sort_config_selectorIfNS0_10empty_typeEEENS1_38merge_sort_block_merge_config_selectorIfSE_EEEEvv
		.amdhsa_group_segment_fixed_size 0
		.amdhsa_private_segment_fixed_size 0
		.amdhsa_kernarg_size 0
		.amdhsa_user_sgpr_count 0
		.amdhsa_user_sgpr_dispatch_ptr 0
		.amdhsa_user_sgpr_queue_ptr 0
		.amdhsa_user_sgpr_kernarg_segment_ptr 0
		.amdhsa_user_sgpr_dispatch_id 0
		.amdhsa_user_sgpr_kernarg_preload_length 0
		.amdhsa_user_sgpr_kernarg_preload_offset 0
		.amdhsa_user_sgpr_private_segment_size 0
		.amdhsa_uses_dynamic_stack 0
		.amdhsa_enable_private_segment 0
		.amdhsa_system_sgpr_workgroup_id_x 1
		.amdhsa_system_sgpr_workgroup_id_y 0
		.amdhsa_system_sgpr_workgroup_id_z 0
		.amdhsa_system_sgpr_workgroup_info 0
		.amdhsa_system_vgpr_workitem_id 0
		.amdhsa_next_free_vgpr 1
		.amdhsa_next_free_sgpr 0
		.amdhsa_accum_offset 4
		.amdhsa_reserve_vcc 0
		.amdhsa_float_round_mode_32 0
		.amdhsa_float_round_mode_16_64 0
		.amdhsa_float_denorm_mode_32 3
		.amdhsa_float_denorm_mode_16_64 3
		.amdhsa_dx10_clamp 1
		.amdhsa_ieee_mode 1
		.amdhsa_fp16_overflow 0
		.amdhsa_tg_split 0
		.amdhsa_exception_fp_ieee_invalid_op 0
		.amdhsa_exception_fp_denorm_src 0
		.amdhsa_exception_fp_ieee_div_zero 0
		.amdhsa_exception_fp_ieee_overflow 0
		.amdhsa_exception_fp_ieee_underflow 0
		.amdhsa_exception_fp_ieee_inexact 0
		.amdhsa_exception_int_div_zero 0
	.end_amdhsa_kernel
	.section	.text._ZN7rocprim17ROCPRIM_400000_NS6detail44device_merge_sort_compile_time_verifier_archINS1_11comp_targetILNS1_3genE0ELNS1_11target_archE4294967295ELNS1_3gpuE0ELNS1_3repE0EEES8_NS1_28merge_sort_block_sort_configILj256ELj4ELNS0_20block_sort_algorithmE0EEENS0_14default_configENS1_37merge_sort_block_sort_config_selectorIfNS0_10empty_typeEEENS1_38merge_sort_block_merge_config_selectorIfSE_EEEEvv,"axG",@progbits,_ZN7rocprim17ROCPRIM_400000_NS6detail44device_merge_sort_compile_time_verifier_archINS1_11comp_targetILNS1_3genE0ELNS1_11target_archE4294967295ELNS1_3gpuE0ELNS1_3repE0EEES8_NS1_28merge_sort_block_sort_configILj256ELj4ELNS0_20block_sort_algorithmE0EEENS0_14default_configENS1_37merge_sort_block_sort_config_selectorIfNS0_10empty_typeEEENS1_38merge_sort_block_merge_config_selectorIfSE_EEEEvv,comdat
.Lfunc_end466:
	.size	_ZN7rocprim17ROCPRIM_400000_NS6detail44device_merge_sort_compile_time_verifier_archINS1_11comp_targetILNS1_3genE0ELNS1_11target_archE4294967295ELNS1_3gpuE0ELNS1_3repE0EEES8_NS1_28merge_sort_block_sort_configILj256ELj4ELNS0_20block_sort_algorithmE0EEENS0_14default_configENS1_37merge_sort_block_sort_config_selectorIfNS0_10empty_typeEEENS1_38merge_sort_block_merge_config_selectorIfSE_EEEEvv, .Lfunc_end466-_ZN7rocprim17ROCPRIM_400000_NS6detail44device_merge_sort_compile_time_verifier_archINS1_11comp_targetILNS1_3genE0ELNS1_11target_archE4294967295ELNS1_3gpuE0ELNS1_3repE0EEES8_NS1_28merge_sort_block_sort_configILj256ELj4ELNS0_20block_sort_algorithmE0EEENS0_14default_configENS1_37merge_sort_block_sort_config_selectorIfNS0_10empty_typeEEENS1_38merge_sort_block_merge_config_selectorIfSE_EEEEvv
                                        ; -- End function
	.set _ZN7rocprim17ROCPRIM_400000_NS6detail44device_merge_sort_compile_time_verifier_archINS1_11comp_targetILNS1_3genE0ELNS1_11target_archE4294967295ELNS1_3gpuE0ELNS1_3repE0EEES8_NS1_28merge_sort_block_sort_configILj256ELj4ELNS0_20block_sort_algorithmE0EEENS0_14default_configENS1_37merge_sort_block_sort_config_selectorIfNS0_10empty_typeEEENS1_38merge_sort_block_merge_config_selectorIfSE_EEEEvv.num_vgpr, 0
	.set _ZN7rocprim17ROCPRIM_400000_NS6detail44device_merge_sort_compile_time_verifier_archINS1_11comp_targetILNS1_3genE0ELNS1_11target_archE4294967295ELNS1_3gpuE0ELNS1_3repE0EEES8_NS1_28merge_sort_block_sort_configILj256ELj4ELNS0_20block_sort_algorithmE0EEENS0_14default_configENS1_37merge_sort_block_sort_config_selectorIfNS0_10empty_typeEEENS1_38merge_sort_block_merge_config_selectorIfSE_EEEEvv.num_agpr, 0
	.set _ZN7rocprim17ROCPRIM_400000_NS6detail44device_merge_sort_compile_time_verifier_archINS1_11comp_targetILNS1_3genE0ELNS1_11target_archE4294967295ELNS1_3gpuE0ELNS1_3repE0EEES8_NS1_28merge_sort_block_sort_configILj256ELj4ELNS0_20block_sort_algorithmE0EEENS0_14default_configENS1_37merge_sort_block_sort_config_selectorIfNS0_10empty_typeEEENS1_38merge_sort_block_merge_config_selectorIfSE_EEEEvv.numbered_sgpr, 0
	.set _ZN7rocprim17ROCPRIM_400000_NS6detail44device_merge_sort_compile_time_verifier_archINS1_11comp_targetILNS1_3genE0ELNS1_11target_archE4294967295ELNS1_3gpuE0ELNS1_3repE0EEES8_NS1_28merge_sort_block_sort_configILj256ELj4ELNS0_20block_sort_algorithmE0EEENS0_14default_configENS1_37merge_sort_block_sort_config_selectorIfNS0_10empty_typeEEENS1_38merge_sort_block_merge_config_selectorIfSE_EEEEvv.num_named_barrier, 0
	.set _ZN7rocprim17ROCPRIM_400000_NS6detail44device_merge_sort_compile_time_verifier_archINS1_11comp_targetILNS1_3genE0ELNS1_11target_archE4294967295ELNS1_3gpuE0ELNS1_3repE0EEES8_NS1_28merge_sort_block_sort_configILj256ELj4ELNS0_20block_sort_algorithmE0EEENS0_14default_configENS1_37merge_sort_block_sort_config_selectorIfNS0_10empty_typeEEENS1_38merge_sort_block_merge_config_selectorIfSE_EEEEvv.private_seg_size, 0
	.set _ZN7rocprim17ROCPRIM_400000_NS6detail44device_merge_sort_compile_time_verifier_archINS1_11comp_targetILNS1_3genE0ELNS1_11target_archE4294967295ELNS1_3gpuE0ELNS1_3repE0EEES8_NS1_28merge_sort_block_sort_configILj256ELj4ELNS0_20block_sort_algorithmE0EEENS0_14default_configENS1_37merge_sort_block_sort_config_selectorIfNS0_10empty_typeEEENS1_38merge_sort_block_merge_config_selectorIfSE_EEEEvv.uses_vcc, 0
	.set _ZN7rocprim17ROCPRIM_400000_NS6detail44device_merge_sort_compile_time_verifier_archINS1_11comp_targetILNS1_3genE0ELNS1_11target_archE4294967295ELNS1_3gpuE0ELNS1_3repE0EEES8_NS1_28merge_sort_block_sort_configILj256ELj4ELNS0_20block_sort_algorithmE0EEENS0_14default_configENS1_37merge_sort_block_sort_config_selectorIfNS0_10empty_typeEEENS1_38merge_sort_block_merge_config_selectorIfSE_EEEEvv.uses_flat_scratch, 0
	.set _ZN7rocprim17ROCPRIM_400000_NS6detail44device_merge_sort_compile_time_verifier_archINS1_11comp_targetILNS1_3genE0ELNS1_11target_archE4294967295ELNS1_3gpuE0ELNS1_3repE0EEES8_NS1_28merge_sort_block_sort_configILj256ELj4ELNS0_20block_sort_algorithmE0EEENS0_14default_configENS1_37merge_sort_block_sort_config_selectorIfNS0_10empty_typeEEENS1_38merge_sort_block_merge_config_selectorIfSE_EEEEvv.has_dyn_sized_stack, 0
	.set _ZN7rocprim17ROCPRIM_400000_NS6detail44device_merge_sort_compile_time_verifier_archINS1_11comp_targetILNS1_3genE0ELNS1_11target_archE4294967295ELNS1_3gpuE0ELNS1_3repE0EEES8_NS1_28merge_sort_block_sort_configILj256ELj4ELNS0_20block_sort_algorithmE0EEENS0_14default_configENS1_37merge_sort_block_sort_config_selectorIfNS0_10empty_typeEEENS1_38merge_sort_block_merge_config_selectorIfSE_EEEEvv.has_recursion, 0
	.set _ZN7rocprim17ROCPRIM_400000_NS6detail44device_merge_sort_compile_time_verifier_archINS1_11comp_targetILNS1_3genE0ELNS1_11target_archE4294967295ELNS1_3gpuE0ELNS1_3repE0EEES8_NS1_28merge_sort_block_sort_configILj256ELj4ELNS0_20block_sort_algorithmE0EEENS0_14default_configENS1_37merge_sort_block_sort_config_selectorIfNS0_10empty_typeEEENS1_38merge_sort_block_merge_config_selectorIfSE_EEEEvv.has_indirect_call, 0
	.section	.AMDGPU.csdata,"",@progbits
; Kernel info:
; codeLenInByte = 4
; TotalNumSgprs: 6
; NumVgprs: 0
; NumAgprs: 0
; TotalNumVgprs: 0
; ScratchSize: 0
; MemoryBound: 0
; FloatMode: 240
; IeeeMode: 1
; LDSByteSize: 0 bytes/workgroup (compile time only)
; SGPRBlocks: 0
; VGPRBlocks: 0
; NumSGPRsForWavesPerEU: 6
; NumVGPRsForWavesPerEU: 1
; AccumOffset: 4
; Occupancy: 8
; WaveLimiterHint : 0
; COMPUTE_PGM_RSRC2:SCRATCH_EN: 0
; COMPUTE_PGM_RSRC2:USER_SGPR: 0
; COMPUTE_PGM_RSRC2:TRAP_HANDLER: 0
; COMPUTE_PGM_RSRC2:TGID_X_EN: 1
; COMPUTE_PGM_RSRC2:TGID_Y_EN: 0
; COMPUTE_PGM_RSRC2:TGID_Z_EN: 0
; COMPUTE_PGM_RSRC2:TIDIG_COMP_CNT: 0
; COMPUTE_PGM_RSRC3_GFX90A:ACCUM_OFFSET: 0
; COMPUTE_PGM_RSRC3_GFX90A:TG_SPLIT: 0
	.section	.text._ZN7rocprim17ROCPRIM_400000_NS6detail44device_merge_sort_compile_time_verifier_archINS1_11comp_targetILNS1_3genE5ELNS1_11target_archE942ELNS1_3gpuE9ELNS1_3repE0EEES8_NS1_28merge_sort_block_sort_configILj256ELj4ELNS0_20block_sort_algorithmE0EEENS0_14default_configENS1_37merge_sort_block_sort_config_selectorIfNS0_10empty_typeEEENS1_38merge_sort_block_merge_config_selectorIfSE_EEEEvv,"axG",@progbits,_ZN7rocprim17ROCPRIM_400000_NS6detail44device_merge_sort_compile_time_verifier_archINS1_11comp_targetILNS1_3genE5ELNS1_11target_archE942ELNS1_3gpuE9ELNS1_3repE0EEES8_NS1_28merge_sort_block_sort_configILj256ELj4ELNS0_20block_sort_algorithmE0EEENS0_14default_configENS1_37merge_sort_block_sort_config_selectorIfNS0_10empty_typeEEENS1_38merge_sort_block_merge_config_selectorIfSE_EEEEvv,comdat
	.protected	_ZN7rocprim17ROCPRIM_400000_NS6detail44device_merge_sort_compile_time_verifier_archINS1_11comp_targetILNS1_3genE5ELNS1_11target_archE942ELNS1_3gpuE9ELNS1_3repE0EEES8_NS1_28merge_sort_block_sort_configILj256ELj4ELNS0_20block_sort_algorithmE0EEENS0_14default_configENS1_37merge_sort_block_sort_config_selectorIfNS0_10empty_typeEEENS1_38merge_sort_block_merge_config_selectorIfSE_EEEEvv ; -- Begin function _ZN7rocprim17ROCPRIM_400000_NS6detail44device_merge_sort_compile_time_verifier_archINS1_11comp_targetILNS1_3genE5ELNS1_11target_archE942ELNS1_3gpuE9ELNS1_3repE0EEES8_NS1_28merge_sort_block_sort_configILj256ELj4ELNS0_20block_sort_algorithmE0EEENS0_14default_configENS1_37merge_sort_block_sort_config_selectorIfNS0_10empty_typeEEENS1_38merge_sort_block_merge_config_selectorIfSE_EEEEvv
	.globl	_ZN7rocprim17ROCPRIM_400000_NS6detail44device_merge_sort_compile_time_verifier_archINS1_11comp_targetILNS1_3genE5ELNS1_11target_archE942ELNS1_3gpuE9ELNS1_3repE0EEES8_NS1_28merge_sort_block_sort_configILj256ELj4ELNS0_20block_sort_algorithmE0EEENS0_14default_configENS1_37merge_sort_block_sort_config_selectorIfNS0_10empty_typeEEENS1_38merge_sort_block_merge_config_selectorIfSE_EEEEvv
	.p2align	8
	.type	_ZN7rocprim17ROCPRIM_400000_NS6detail44device_merge_sort_compile_time_verifier_archINS1_11comp_targetILNS1_3genE5ELNS1_11target_archE942ELNS1_3gpuE9ELNS1_3repE0EEES8_NS1_28merge_sort_block_sort_configILj256ELj4ELNS0_20block_sort_algorithmE0EEENS0_14default_configENS1_37merge_sort_block_sort_config_selectorIfNS0_10empty_typeEEENS1_38merge_sort_block_merge_config_selectorIfSE_EEEEvv,@function
_ZN7rocprim17ROCPRIM_400000_NS6detail44device_merge_sort_compile_time_verifier_archINS1_11comp_targetILNS1_3genE5ELNS1_11target_archE942ELNS1_3gpuE9ELNS1_3repE0EEES8_NS1_28merge_sort_block_sort_configILj256ELj4ELNS0_20block_sort_algorithmE0EEENS0_14default_configENS1_37merge_sort_block_sort_config_selectorIfNS0_10empty_typeEEENS1_38merge_sort_block_merge_config_selectorIfSE_EEEEvv: ; @_ZN7rocprim17ROCPRIM_400000_NS6detail44device_merge_sort_compile_time_verifier_archINS1_11comp_targetILNS1_3genE5ELNS1_11target_archE942ELNS1_3gpuE9ELNS1_3repE0EEES8_NS1_28merge_sort_block_sort_configILj256ELj4ELNS0_20block_sort_algorithmE0EEENS0_14default_configENS1_37merge_sort_block_sort_config_selectorIfNS0_10empty_typeEEENS1_38merge_sort_block_merge_config_selectorIfSE_EEEEvv
; %bb.0:
	s_endpgm
	.section	.rodata,"a",@progbits
	.p2align	6, 0x0
	.amdhsa_kernel _ZN7rocprim17ROCPRIM_400000_NS6detail44device_merge_sort_compile_time_verifier_archINS1_11comp_targetILNS1_3genE5ELNS1_11target_archE942ELNS1_3gpuE9ELNS1_3repE0EEES8_NS1_28merge_sort_block_sort_configILj256ELj4ELNS0_20block_sort_algorithmE0EEENS0_14default_configENS1_37merge_sort_block_sort_config_selectorIfNS0_10empty_typeEEENS1_38merge_sort_block_merge_config_selectorIfSE_EEEEvv
		.amdhsa_group_segment_fixed_size 0
		.amdhsa_private_segment_fixed_size 0
		.amdhsa_kernarg_size 0
		.amdhsa_user_sgpr_count 0
		.amdhsa_user_sgpr_dispatch_ptr 0
		.amdhsa_user_sgpr_queue_ptr 0
		.amdhsa_user_sgpr_kernarg_segment_ptr 0
		.amdhsa_user_sgpr_dispatch_id 0
		.amdhsa_user_sgpr_kernarg_preload_length 0
		.amdhsa_user_sgpr_kernarg_preload_offset 0
		.amdhsa_user_sgpr_private_segment_size 0
		.amdhsa_uses_dynamic_stack 0
		.amdhsa_enable_private_segment 0
		.amdhsa_system_sgpr_workgroup_id_x 1
		.amdhsa_system_sgpr_workgroup_id_y 0
		.amdhsa_system_sgpr_workgroup_id_z 0
		.amdhsa_system_sgpr_workgroup_info 0
		.amdhsa_system_vgpr_workitem_id 0
		.amdhsa_next_free_vgpr 1
		.amdhsa_next_free_sgpr 0
		.amdhsa_accum_offset 4
		.amdhsa_reserve_vcc 0
		.amdhsa_float_round_mode_32 0
		.amdhsa_float_round_mode_16_64 0
		.amdhsa_float_denorm_mode_32 3
		.amdhsa_float_denorm_mode_16_64 3
		.amdhsa_dx10_clamp 1
		.amdhsa_ieee_mode 1
		.amdhsa_fp16_overflow 0
		.amdhsa_tg_split 0
		.amdhsa_exception_fp_ieee_invalid_op 0
		.amdhsa_exception_fp_denorm_src 0
		.amdhsa_exception_fp_ieee_div_zero 0
		.amdhsa_exception_fp_ieee_overflow 0
		.amdhsa_exception_fp_ieee_underflow 0
		.amdhsa_exception_fp_ieee_inexact 0
		.amdhsa_exception_int_div_zero 0
	.end_amdhsa_kernel
	.section	.text._ZN7rocprim17ROCPRIM_400000_NS6detail44device_merge_sort_compile_time_verifier_archINS1_11comp_targetILNS1_3genE5ELNS1_11target_archE942ELNS1_3gpuE9ELNS1_3repE0EEES8_NS1_28merge_sort_block_sort_configILj256ELj4ELNS0_20block_sort_algorithmE0EEENS0_14default_configENS1_37merge_sort_block_sort_config_selectorIfNS0_10empty_typeEEENS1_38merge_sort_block_merge_config_selectorIfSE_EEEEvv,"axG",@progbits,_ZN7rocprim17ROCPRIM_400000_NS6detail44device_merge_sort_compile_time_verifier_archINS1_11comp_targetILNS1_3genE5ELNS1_11target_archE942ELNS1_3gpuE9ELNS1_3repE0EEES8_NS1_28merge_sort_block_sort_configILj256ELj4ELNS0_20block_sort_algorithmE0EEENS0_14default_configENS1_37merge_sort_block_sort_config_selectorIfNS0_10empty_typeEEENS1_38merge_sort_block_merge_config_selectorIfSE_EEEEvv,comdat
.Lfunc_end467:
	.size	_ZN7rocprim17ROCPRIM_400000_NS6detail44device_merge_sort_compile_time_verifier_archINS1_11comp_targetILNS1_3genE5ELNS1_11target_archE942ELNS1_3gpuE9ELNS1_3repE0EEES8_NS1_28merge_sort_block_sort_configILj256ELj4ELNS0_20block_sort_algorithmE0EEENS0_14default_configENS1_37merge_sort_block_sort_config_selectorIfNS0_10empty_typeEEENS1_38merge_sort_block_merge_config_selectorIfSE_EEEEvv, .Lfunc_end467-_ZN7rocprim17ROCPRIM_400000_NS6detail44device_merge_sort_compile_time_verifier_archINS1_11comp_targetILNS1_3genE5ELNS1_11target_archE942ELNS1_3gpuE9ELNS1_3repE0EEES8_NS1_28merge_sort_block_sort_configILj256ELj4ELNS0_20block_sort_algorithmE0EEENS0_14default_configENS1_37merge_sort_block_sort_config_selectorIfNS0_10empty_typeEEENS1_38merge_sort_block_merge_config_selectorIfSE_EEEEvv
                                        ; -- End function
	.set _ZN7rocprim17ROCPRIM_400000_NS6detail44device_merge_sort_compile_time_verifier_archINS1_11comp_targetILNS1_3genE5ELNS1_11target_archE942ELNS1_3gpuE9ELNS1_3repE0EEES8_NS1_28merge_sort_block_sort_configILj256ELj4ELNS0_20block_sort_algorithmE0EEENS0_14default_configENS1_37merge_sort_block_sort_config_selectorIfNS0_10empty_typeEEENS1_38merge_sort_block_merge_config_selectorIfSE_EEEEvv.num_vgpr, 0
	.set _ZN7rocprim17ROCPRIM_400000_NS6detail44device_merge_sort_compile_time_verifier_archINS1_11comp_targetILNS1_3genE5ELNS1_11target_archE942ELNS1_3gpuE9ELNS1_3repE0EEES8_NS1_28merge_sort_block_sort_configILj256ELj4ELNS0_20block_sort_algorithmE0EEENS0_14default_configENS1_37merge_sort_block_sort_config_selectorIfNS0_10empty_typeEEENS1_38merge_sort_block_merge_config_selectorIfSE_EEEEvv.num_agpr, 0
	.set _ZN7rocprim17ROCPRIM_400000_NS6detail44device_merge_sort_compile_time_verifier_archINS1_11comp_targetILNS1_3genE5ELNS1_11target_archE942ELNS1_3gpuE9ELNS1_3repE0EEES8_NS1_28merge_sort_block_sort_configILj256ELj4ELNS0_20block_sort_algorithmE0EEENS0_14default_configENS1_37merge_sort_block_sort_config_selectorIfNS0_10empty_typeEEENS1_38merge_sort_block_merge_config_selectorIfSE_EEEEvv.numbered_sgpr, 0
	.set _ZN7rocprim17ROCPRIM_400000_NS6detail44device_merge_sort_compile_time_verifier_archINS1_11comp_targetILNS1_3genE5ELNS1_11target_archE942ELNS1_3gpuE9ELNS1_3repE0EEES8_NS1_28merge_sort_block_sort_configILj256ELj4ELNS0_20block_sort_algorithmE0EEENS0_14default_configENS1_37merge_sort_block_sort_config_selectorIfNS0_10empty_typeEEENS1_38merge_sort_block_merge_config_selectorIfSE_EEEEvv.num_named_barrier, 0
	.set _ZN7rocprim17ROCPRIM_400000_NS6detail44device_merge_sort_compile_time_verifier_archINS1_11comp_targetILNS1_3genE5ELNS1_11target_archE942ELNS1_3gpuE9ELNS1_3repE0EEES8_NS1_28merge_sort_block_sort_configILj256ELj4ELNS0_20block_sort_algorithmE0EEENS0_14default_configENS1_37merge_sort_block_sort_config_selectorIfNS0_10empty_typeEEENS1_38merge_sort_block_merge_config_selectorIfSE_EEEEvv.private_seg_size, 0
	.set _ZN7rocprim17ROCPRIM_400000_NS6detail44device_merge_sort_compile_time_verifier_archINS1_11comp_targetILNS1_3genE5ELNS1_11target_archE942ELNS1_3gpuE9ELNS1_3repE0EEES8_NS1_28merge_sort_block_sort_configILj256ELj4ELNS0_20block_sort_algorithmE0EEENS0_14default_configENS1_37merge_sort_block_sort_config_selectorIfNS0_10empty_typeEEENS1_38merge_sort_block_merge_config_selectorIfSE_EEEEvv.uses_vcc, 0
	.set _ZN7rocprim17ROCPRIM_400000_NS6detail44device_merge_sort_compile_time_verifier_archINS1_11comp_targetILNS1_3genE5ELNS1_11target_archE942ELNS1_3gpuE9ELNS1_3repE0EEES8_NS1_28merge_sort_block_sort_configILj256ELj4ELNS0_20block_sort_algorithmE0EEENS0_14default_configENS1_37merge_sort_block_sort_config_selectorIfNS0_10empty_typeEEENS1_38merge_sort_block_merge_config_selectorIfSE_EEEEvv.uses_flat_scratch, 0
	.set _ZN7rocprim17ROCPRIM_400000_NS6detail44device_merge_sort_compile_time_verifier_archINS1_11comp_targetILNS1_3genE5ELNS1_11target_archE942ELNS1_3gpuE9ELNS1_3repE0EEES8_NS1_28merge_sort_block_sort_configILj256ELj4ELNS0_20block_sort_algorithmE0EEENS0_14default_configENS1_37merge_sort_block_sort_config_selectorIfNS0_10empty_typeEEENS1_38merge_sort_block_merge_config_selectorIfSE_EEEEvv.has_dyn_sized_stack, 0
	.set _ZN7rocprim17ROCPRIM_400000_NS6detail44device_merge_sort_compile_time_verifier_archINS1_11comp_targetILNS1_3genE5ELNS1_11target_archE942ELNS1_3gpuE9ELNS1_3repE0EEES8_NS1_28merge_sort_block_sort_configILj256ELj4ELNS0_20block_sort_algorithmE0EEENS0_14default_configENS1_37merge_sort_block_sort_config_selectorIfNS0_10empty_typeEEENS1_38merge_sort_block_merge_config_selectorIfSE_EEEEvv.has_recursion, 0
	.set _ZN7rocprim17ROCPRIM_400000_NS6detail44device_merge_sort_compile_time_verifier_archINS1_11comp_targetILNS1_3genE5ELNS1_11target_archE942ELNS1_3gpuE9ELNS1_3repE0EEES8_NS1_28merge_sort_block_sort_configILj256ELj4ELNS0_20block_sort_algorithmE0EEENS0_14default_configENS1_37merge_sort_block_sort_config_selectorIfNS0_10empty_typeEEENS1_38merge_sort_block_merge_config_selectorIfSE_EEEEvv.has_indirect_call, 0
	.section	.AMDGPU.csdata,"",@progbits
; Kernel info:
; codeLenInByte = 4
; TotalNumSgprs: 6
; NumVgprs: 0
; NumAgprs: 0
; TotalNumVgprs: 0
; ScratchSize: 0
; MemoryBound: 0
; FloatMode: 240
; IeeeMode: 1
; LDSByteSize: 0 bytes/workgroup (compile time only)
; SGPRBlocks: 0
; VGPRBlocks: 0
; NumSGPRsForWavesPerEU: 6
; NumVGPRsForWavesPerEU: 1
; AccumOffset: 4
; Occupancy: 8
; WaveLimiterHint : 0
; COMPUTE_PGM_RSRC2:SCRATCH_EN: 0
; COMPUTE_PGM_RSRC2:USER_SGPR: 0
; COMPUTE_PGM_RSRC2:TRAP_HANDLER: 0
; COMPUTE_PGM_RSRC2:TGID_X_EN: 1
; COMPUTE_PGM_RSRC2:TGID_Y_EN: 0
; COMPUTE_PGM_RSRC2:TGID_Z_EN: 0
; COMPUTE_PGM_RSRC2:TIDIG_COMP_CNT: 0
; COMPUTE_PGM_RSRC3_GFX90A:ACCUM_OFFSET: 0
; COMPUTE_PGM_RSRC3_GFX90A:TG_SPLIT: 0
	.section	.text._ZN7rocprim17ROCPRIM_400000_NS6detail44device_merge_sort_compile_time_verifier_archINS1_11comp_targetILNS1_3genE4ELNS1_11target_archE910ELNS1_3gpuE8ELNS1_3repE0EEES8_NS1_28merge_sort_block_sort_configILj256ELj4ELNS0_20block_sort_algorithmE0EEENS0_14default_configENS1_37merge_sort_block_sort_config_selectorIfNS0_10empty_typeEEENS1_38merge_sort_block_merge_config_selectorIfSE_EEEEvv,"axG",@progbits,_ZN7rocprim17ROCPRIM_400000_NS6detail44device_merge_sort_compile_time_verifier_archINS1_11comp_targetILNS1_3genE4ELNS1_11target_archE910ELNS1_3gpuE8ELNS1_3repE0EEES8_NS1_28merge_sort_block_sort_configILj256ELj4ELNS0_20block_sort_algorithmE0EEENS0_14default_configENS1_37merge_sort_block_sort_config_selectorIfNS0_10empty_typeEEENS1_38merge_sort_block_merge_config_selectorIfSE_EEEEvv,comdat
	.protected	_ZN7rocprim17ROCPRIM_400000_NS6detail44device_merge_sort_compile_time_verifier_archINS1_11comp_targetILNS1_3genE4ELNS1_11target_archE910ELNS1_3gpuE8ELNS1_3repE0EEES8_NS1_28merge_sort_block_sort_configILj256ELj4ELNS0_20block_sort_algorithmE0EEENS0_14default_configENS1_37merge_sort_block_sort_config_selectorIfNS0_10empty_typeEEENS1_38merge_sort_block_merge_config_selectorIfSE_EEEEvv ; -- Begin function _ZN7rocprim17ROCPRIM_400000_NS6detail44device_merge_sort_compile_time_verifier_archINS1_11comp_targetILNS1_3genE4ELNS1_11target_archE910ELNS1_3gpuE8ELNS1_3repE0EEES8_NS1_28merge_sort_block_sort_configILj256ELj4ELNS0_20block_sort_algorithmE0EEENS0_14default_configENS1_37merge_sort_block_sort_config_selectorIfNS0_10empty_typeEEENS1_38merge_sort_block_merge_config_selectorIfSE_EEEEvv
	.globl	_ZN7rocprim17ROCPRIM_400000_NS6detail44device_merge_sort_compile_time_verifier_archINS1_11comp_targetILNS1_3genE4ELNS1_11target_archE910ELNS1_3gpuE8ELNS1_3repE0EEES8_NS1_28merge_sort_block_sort_configILj256ELj4ELNS0_20block_sort_algorithmE0EEENS0_14default_configENS1_37merge_sort_block_sort_config_selectorIfNS0_10empty_typeEEENS1_38merge_sort_block_merge_config_selectorIfSE_EEEEvv
	.p2align	8
	.type	_ZN7rocprim17ROCPRIM_400000_NS6detail44device_merge_sort_compile_time_verifier_archINS1_11comp_targetILNS1_3genE4ELNS1_11target_archE910ELNS1_3gpuE8ELNS1_3repE0EEES8_NS1_28merge_sort_block_sort_configILj256ELj4ELNS0_20block_sort_algorithmE0EEENS0_14default_configENS1_37merge_sort_block_sort_config_selectorIfNS0_10empty_typeEEENS1_38merge_sort_block_merge_config_selectorIfSE_EEEEvv,@function
_ZN7rocprim17ROCPRIM_400000_NS6detail44device_merge_sort_compile_time_verifier_archINS1_11comp_targetILNS1_3genE4ELNS1_11target_archE910ELNS1_3gpuE8ELNS1_3repE0EEES8_NS1_28merge_sort_block_sort_configILj256ELj4ELNS0_20block_sort_algorithmE0EEENS0_14default_configENS1_37merge_sort_block_sort_config_selectorIfNS0_10empty_typeEEENS1_38merge_sort_block_merge_config_selectorIfSE_EEEEvv: ; @_ZN7rocprim17ROCPRIM_400000_NS6detail44device_merge_sort_compile_time_verifier_archINS1_11comp_targetILNS1_3genE4ELNS1_11target_archE910ELNS1_3gpuE8ELNS1_3repE0EEES8_NS1_28merge_sort_block_sort_configILj256ELj4ELNS0_20block_sort_algorithmE0EEENS0_14default_configENS1_37merge_sort_block_sort_config_selectorIfNS0_10empty_typeEEENS1_38merge_sort_block_merge_config_selectorIfSE_EEEEvv
; %bb.0:
	s_endpgm
	.section	.rodata,"a",@progbits
	.p2align	6, 0x0
	.amdhsa_kernel _ZN7rocprim17ROCPRIM_400000_NS6detail44device_merge_sort_compile_time_verifier_archINS1_11comp_targetILNS1_3genE4ELNS1_11target_archE910ELNS1_3gpuE8ELNS1_3repE0EEES8_NS1_28merge_sort_block_sort_configILj256ELj4ELNS0_20block_sort_algorithmE0EEENS0_14default_configENS1_37merge_sort_block_sort_config_selectorIfNS0_10empty_typeEEENS1_38merge_sort_block_merge_config_selectorIfSE_EEEEvv
		.amdhsa_group_segment_fixed_size 0
		.amdhsa_private_segment_fixed_size 0
		.amdhsa_kernarg_size 0
		.amdhsa_user_sgpr_count 0
		.amdhsa_user_sgpr_dispatch_ptr 0
		.amdhsa_user_sgpr_queue_ptr 0
		.amdhsa_user_sgpr_kernarg_segment_ptr 0
		.amdhsa_user_sgpr_dispatch_id 0
		.amdhsa_user_sgpr_kernarg_preload_length 0
		.amdhsa_user_sgpr_kernarg_preload_offset 0
		.amdhsa_user_sgpr_private_segment_size 0
		.amdhsa_uses_dynamic_stack 0
		.amdhsa_enable_private_segment 0
		.amdhsa_system_sgpr_workgroup_id_x 1
		.amdhsa_system_sgpr_workgroup_id_y 0
		.amdhsa_system_sgpr_workgroup_id_z 0
		.amdhsa_system_sgpr_workgroup_info 0
		.amdhsa_system_vgpr_workitem_id 0
		.amdhsa_next_free_vgpr 1
		.amdhsa_next_free_sgpr 0
		.amdhsa_accum_offset 4
		.amdhsa_reserve_vcc 0
		.amdhsa_float_round_mode_32 0
		.amdhsa_float_round_mode_16_64 0
		.amdhsa_float_denorm_mode_32 3
		.amdhsa_float_denorm_mode_16_64 3
		.amdhsa_dx10_clamp 1
		.amdhsa_ieee_mode 1
		.amdhsa_fp16_overflow 0
		.amdhsa_tg_split 0
		.amdhsa_exception_fp_ieee_invalid_op 0
		.amdhsa_exception_fp_denorm_src 0
		.amdhsa_exception_fp_ieee_div_zero 0
		.amdhsa_exception_fp_ieee_overflow 0
		.amdhsa_exception_fp_ieee_underflow 0
		.amdhsa_exception_fp_ieee_inexact 0
		.amdhsa_exception_int_div_zero 0
	.end_amdhsa_kernel
	.section	.text._ZN7rocprim17ROCPRIM_400000_NS6detail44device_merge_sort_compile_time_verifier_archINS1_11comp_targetILNS1_3genE4ELNS1_11target_archE910ELNS1_3gpuE8ELNS1_3repE0EEES8_NS1_28merge_sort_block_sort_configILj256ELj4ELNS0_20block_sort_algorithmE0EEENS0_14default_configENS1_37merge_sort_block_sort_config_selectorIfNS0_10empty_typeEEENS1_38merge_sort_block_merge_config_selectorIfSE_EEEEvv,"axG",@progbits,_ZN7rocprim17ROCPRIM_400000_NS6detail44device_merge_sort_compile_time_verifier_archINS1_11comp_targetILNS1_3genE4ELNS1_11target_archE910ELNS1_3gpuE8ELNS1_3repE0EEES8_NS1_28merge_sort_block_sort_configILj256ELj4ELNS0_20block_sort_algorithmE0EEENS0_14default_configENS1_37merge_sort_block_sort_config_selectorIfNS0_10empty_typeEEENS1_38merge_sort_block_merge_config_selectorIfSE_EEEEvv,comdat
.Lfunc_end468:
	.size	_ZN7rocprim17ROCPRIM_400000_NS6detail44device_merge_sort_compile_time_verifier_archINS1_11comp_targetILNS1_3genE4ELNS1_11target_archE910ELNS1_3gpuE8ELNS1_3repE0EEES8_NS1_28merge_sort_block_sort_configILj256ELj4ELNS0_20block_sort_algorithmE0EEENS0_14default_configENS1_37merge_sort_block_sort_config_selectorIfNS0_10empty_typeEEENS1_38merge_sort_block_merge_config_selectorIfSE_EEEEvv, .Lfunc_end468-_ZN7rocprim17ROCPRIM_400000_NS6detail44device_merge_sort_compile_time_verifier_archINS1_11comp_targetILNS1_3genE4ELNS1_11target_archE910ELNS1_3gpuE8ELNS1_3repE0EEES8_NS1_28merge_sort_block_sort_configILj256ELj4ELNS0_20block_sort_algorithmE0EEENS0_14default_configENS1_37merge_sort_block_sort_config_selectorIfNS0_10empty_typeEEENS1_38merge_sort_block_merge_config_selectorIfSE_EEEEvv
                                        ; -- End function
	.set _ZN7rocprim17ROCPRIM_400000_NS6detail44device_merge_sort_compile_time_verifier_archINS1_11comp_targetILNS1_3genE4ELNS1_11target_archE910ELNS1_3gpuE8ELNS1_3repE0EEES8_NS1_28merge_sort_block_sort_configILj256ELj4ELNS0_20block_sort_algorithmE0EEENS0_14default_configENS1_37merge_sort_block_sort_config_selectorIfNS0_10empty_typeEEENS1_38merge_sort_block_merge_config_selectorIfSE_EEEEvv.num_vgpr, 0
	.set _ZN7rocprim17ROCPRIM_400000_NS6detail44device_merge_sort_compile_time_verifier_archINS1_11comp_targetILNS1_3genE4ELNS1_11target_archE910ELNS1_3gpuE8ELNS1_3repE0EEES8_NS1_28merge_sort_block_sort_configILj256ELj4ELNS0_20block_sort_algorithmE0EEENS0_14default_configENS1_37merge_sort_block_sort_config_selectorIfNS0_10empty_typeEEENS1_38merge_sort_block_merge_config_selectorIfSE_EEEEvv.num_agpr, 0
	.set _ZN7rocprim17ROCPRIM_400000_NS6detail44device_merge_sort_compile_time_verifier_archINS1_11comp_targetILNS1_3genE4ELNS1_11target_archE910ELNS1_3gpuE8ELNS1_3repE0EEES8_NS1_28merge_sort_block_sort_configILj256ELj4ELNS0_20block_sort_algorithmE0EEENS0_14default_configENS1_37merge_sort_block_sort_config_selectorIfNS0_10empty_typeEEENS1_38merge_sort_block_merge_config_selectorIfSE_EEEEvv.numbered_sgpr, 0
	.set _ZN7rocprim17ROCPRIM_400000_NS6detail44device_merge_sort_compile_time_verifier_archINS1_11comp_targetILNS1_3genE4ELNS1_11target_archE910ELNS1_3gpuE8ELNS1_3repE0EEES8_NS1_28merge_sort_block_sort_configILj256ELj4ELNS0_20block_sort_algorithmE0EEENS0_14default_configENS1_37merge_sort_block_sort_config_selectorIfNS0_10empty_typeEEENS1_38merge_sort_block_merge_config_selectorIfSE_EEEEvv.num_named_barrier, 0
	.set _ZN7rocprim17ROCPRIM_400000_NS6detail44device_merge_sort_compile_time_verifier_archINS1_11comp_targetILNS1_3genE4ELNS1_11target_archE910ELNS1_3gpuE8ELNS1_3repE0EEES8_NS1_28merge_sort_block_sort_configILj256ELj4ELNS0_20block_sort_algorithmE0EEENS0_14default_configENS1_37merge_sort_block_sort_config_selectorIfNS0_10empty_typeEEENS1_38merge_sort_block_merge_config_selectorIfSE_EEEEvv.private_seg_size, 0
	.set _ZN7rocprim17ROCPRIM_400000_NS6detail44device_merge_sort_compile_time_verifier_archINS1_11comp_targetILNS1_3genE4ELNS1_11target_archE910ELNS1_3gpuE8ELNS1_3repE0EEES8_NS1_28merge_sort_block_sort_configILj256ELj4ELNS0_20block_sort_algorithmE0EEENS0_14default_configENS1_37merge_sort_block_sort_config_selectorIfNS0_10empty_typeEEENS1_38merge_sort_block_merge_config_selectorIfSE_EEEEvv.uses_vcc, 0
	.set _ZN7rocprim17ROCPRIM_400000_NS6detail44device_merge_sort_compile_time_verifier_archINS1_11comp_targetILNS1_3genE4ELNS1_11target_archE910ELNS1_3gpuE8ELNS1_3repE0EEES8_NS1_28merge_sort_block_sort_configILj256ELj4ELNS0_20block_sort_algorithmE0EEENS0_14default_configENS1_37merge_sort_block_sort_config_selectorIfNS0_10empty_typeEEENS1_38merge_sort_block_merge_config_selectorIfSE_EEEEvv.uses_flat_scratch, 0
	.set _ZN7rocprim17ROCPRIM_400000_NS6detail44device_merge_sort_compile_time_verifier_archINS1_11comp_targetILNS1_3genE4ELNS1_11target_archE910ELNS1_3gpuE8ELNS1_3repE0EEES8_NS1_28merge_sort_block_sort_configILj256ELj4ELNS0_20block_sort_algorithmE0EEENS0_14default_configENS1_37merge_sort_block_sort_config_selectorIfNS0_10empty_typeEEENS1_38merge_sort_block_merge_config_selectorIfSE_EEEEvv.has_dyn_sized_stack, 0
	.set _ZN7rocprim17ROCPRIM_400000_NS6detail44device_merge_sort_compile_time_verifier_archINS1_11comp_targetILNS1_3genE4ELNS1_11target_archE910ELNS1_3gpuE8ELNS1_3repE0EEES8_NS1_28merge_sort_block_sort_configILj256ELj4ELNS0_20block_sort_algorithmE0EEENS0_14default_configENS1_37merge_sort_block_sort_config_selectorIfNS0_10empty_typeEEENS1_38merge_sort_block_merge_config_selectorIfSE_EEEEvv.has_recursion, 0
	.set _ZN7rocprim17ROCPRIM_400000_NS6detail44device_merge_sort_compile_time_verifier_archINS1_11comp_targetILNS1_3genE4ELNS1_11target_archE910ELNS1_3gpuE8ELNS1_3repE0EEES8_NS1_28merge_sort_block_sort_configILj256ELj4ELNS0_20block_sort_algorithmE0EEENS0_14default_configENS1_37merge_sort_block_sort_config_selectorIfNS0_10empty_typeEEENS1_38merge_sort_block_merge_config_selectorIfSE_EEEEvv.has_indirect_call, 0
	.section	.AMDGPU.csdata,"",@progbits
; Kernel info:
; codeLenInByte = 4
; TotalNumSgprs: 6
; NumVgprs: 0
; NumAgprs: 0
; TotalNumVgprs: 0
; ScratchSize: 0
; MemoryBound: 0
; FloatMode: 240
; IeeeMode: 1
; LDSByteSize: 0 bytes/workgroup (compile time only)
; SGPRBlocks: 0
; VGPRBlocks: 0
; NumSGPRsForWavesPerEU: 6
; NumVGPRsForWavesPerEU: 1
; AccumOffset: 4
; Occupancy: 8
; WaveLimiterHint : 0
; COMPUTE_PGM_RSRC2:SCRATCH_EN: 0
; COMPUTE_PGM_RSRC2:USER_SGPR: 0
; COMPUTE_PGM_RSRC2:TRAP_HANDLER: 0
; COMPUTE_PGM_RSRC2:TGID_X_EN: 1
; COMPUTE_PGM_RSRC2:TGID_Y_EN: 0
; COMPUTE_PGM_RSRC2:TGID_Z_EN: 0
; COMPUTE_PGM_RSRC2:TIDIG_COMP_CNT: 0
; COMPUTE_PGM_RSRC3_GFX90A:ACCUM_OFFSET: 0
; COMPUTE_PGM_RSRC3_GFX90A:TG_SPLIT: 0
	.section	.text._ZN7rocprim17ROCPRIM_400000_NS6detail44device_merge_sort_compile_time_verifier_archINS1_11comp_targetILNS1_3genE3ELNS1_11target_archE908ELNS1_3gpuE7ELNS1_3repE0EEES8_NS1_28merge_sort_block_sort_configILj256ELj4ELNS0_20block_sort_algorithmE0EEENS0_14default_configENS1_37merge_sort_block_sort_config_selectorIfNS0_10empty_typeEEENS1_38merge_sort_block_merge_config_selectorIfSE_EEEEvv,"axG",@progbits,_ZN7rocprim17ROCPRIM_400000_NS6detail44device_merge_sort_compile_time_verifier_archINS1_11comp_targetILNS1_3genE3ELNS1_11target_archE908ELNS1_3gpuE7ELNS1_3repE0EEES8_NS1_28merge_sort_block_sort_configILj256ELj4ELNS0_20block_sort_algorithmE0EEENS0_14default_configENS1_37merge_sort_block_sort_config_selectorIfNS0_10empty_typeEEENS1_38merge_sort_block_merge_config_selectorIfSE_EEEEvv,comdat
	.protected	_ZN7rocprim17ROCPRIM_400000_NS6detail44device_merge_sort_compile_time_verifier_archINS1_11comp_targetILNS1_3genE3ELNS1_11target_archE908ELNS1_3gpuE7ELNS1_3repE0EEES8_NS1_28merge_sort_block_sort_configILj256ELj4ELNS0_20block_sort_algorithmE0EEENS0_14default_configENS1_37merge_sort_block_sort_config_selectorIfNS0_10empty_typeEEENS1_38merge_sort_block_merge_config_selectorIfSE_EEEEvv ; -- Begin function _ZN7rocprim17ROCPRIM_400000_NS6detail44device_merge_sort_compile_time_verifier_archINS1_11comp_targetILNS1_3genE3ELNS1_11target_archE908ELNS1_3gpuE7ELNS1_3repE0EEES8_NS1_28merge_sort_block_sort_configILj256ELj4ELNS0_20block_sort_algorithmE0EEENS0_14default_configENS1_37merge_sort_block_sort_config_selectorIfNS0_10empty_typeEEENS1_38merge_sort_block_merge_config_selectorIfSE_EEEEvv
	.globl	_ZN7rocprim17ROCPRIM_400000_NS6detail44device_merge_sort_compile_time_verifier_archINS1_11comp_targetILNS1_3genE3ELNS1_11target_archE908ELNS1_3gpuE7ELNS1_3repE0EEES8_NS1_28merge_sort_block_sort_configILj256ELj4ELNS0_20block_sort_algorithmE0EEENS0_14default_configENS1_37merge_sort_block_sort_config_selectorIfNS0_10empty_typeEEENS1_38merge_sort_block_merge_config_selectorIfSE_EEEEvv
	.p2align	8
	.type	_ZN7rocprim17ROCPRIM_400000_NS6detail44device_merge_sort_compile_time_verifier_archINS1_11comp_targetILNS1_3genE3ELNS1_11target_archE908ELNS1_3gpuE7ELNS1_3repE0EEES8_NS1_28merge_sort_block_sort_configILj256ELj4ELNS0_20block_sort_algorithmE0EEENS0_14default_configENS1_37merge_sort_block_sort_config_selectorIfNS0_10empty_typeEEENS1_38merge_sort_block_merge_config_selectorIfSE_EEEEvv,@function
_ZN7rocprim17ROCPRIM_400000_NS6detail44device_merge_sort_compile_time_verifier_archINS1_11comp_targetILNS1_3genE3ELNS1_11target_archE908ELNS1_3gpuE7ELNS1_3repE0EEES8_NS1_28merge_sort_block_sort_configILj256ELj4ELNS0_20block_sort_algorithmE0EEENS0_14default_configENS1_37merge_sort_block_sort_config_selectorIfNS0_10empty_typeEEENS1_38merge_sort_block_merge_config_selectorIfSE_EEEEvv: ; @_ZN7rocprim17ROCPRIM_400000_NS6detail44device_merge_sort_compile_time_verifier_archINS1_11comp_targetILNS1_3genE3ELNS1_11target_archE908ELNS1_3gpuE7ELNS1_3repE0EEES8_NS1_28merge_sort_block_sort_configILj256ELj4ELNS0_20block_sort_algorithmE0EEENS0_14default_configENS1_37merge_sort_block_sort_config_selectorIfNS0_10empty_typeEEENS1_38merge_sort_block_merge_config_selectorIfSE_EEEEvv
; %bb.0:
	s_endpgm
	.section	.rodata,"a",@progbits
	.p2align	6, 0x0
	.amdhsa_kernel _ZN7rocprim17ROCPRIM_400000_NS6detail44device_merge_sort_compile_time_verifier_archINS1_11comp_targetILNS1_3genE3ELNS1_11target_archE908ELNS1_3gpuE7ELNS1_3repE0EEES8_NS1_28merge_sort_block_sort_configILj256ELj4ELNS0_20block_sort_algorithmE0EEENS0_14default_configENS1_37merge_sort_block_sort_config_selectorIfNS0_10empty_typeEEENS1_38merge_sort_block_merge_config_selectorIfSE_EEEEvv
		.amdhsa_group_segment_fixed_size 0
		.amdhsa_private_segment_fixed_size 0
		.amdhsa_kernarg_size 0
		.amdhsa_user_sgpr_count 0
		.amdhsa_user_sgpr_dispatch_ptr 0
		.amdhsa_user_sgpr_queue_ptr 0
		.amdhsa_user_sgpr_kernarg_segment_ptr 0
		.amdhsa_user_sgpr_dispatch_id 0
		.amdhsa_user_sgpr_kernarg_preload_length 0
		.amdhsa_user_sgpr_kernarg_preload_offset 0
		.amdhsa_user_sgpr_private_segment_size 0
		.amdhsa_uses_dynamic_stack 0
		.amdhsa_enable_private_segment 0
		.amdhsa_system_sgpr_workgroup_id_x 1
		.amdhsa_system_sgpr_workgroup_id_y 0
		.amdhsa_system_sgpr_workgroup_id_z 0
		.amdhsa_system_sgpr_workgroup_info 0
		.amdhsa_system_vgpr_workitem_id 0
		.amdhsa_next_free_vgpr 1
		.amdhsa_next_free_sgpr 0
		.amdhsa_accum_offset 4
		.amdhsa_reserve_vcc 0
		.amdhsa_float_round_mode_32 0
		.amdhsa_float_round_mode_16_64 0
		.amdhsa_float_denorm_mode_32 3
		.amdhsa_float_denorm_mode_16_64 3
		.amdhsa_dx10_clamp 1
		.amdhsa_ieee_mode 1
		.amdhsa_fp16_overflow 0
		.amdhsa_tg_split 0
		.amdhsa_exception_fp_ieee_invalid_op 0
		.amdhsa_exception_fp_denorm_src 0
		.amdhsa_exception_fp_ieee_div_zero 0
		.amdhsa_exception_fp_ieee_overflow 0
		.amdhsa_exception_fp_ieee_underflow 0
		.amdhsa_exception_fp_ieee_inexact 0
		.amdhsa_exception_int_div_zero 0
	.end_amdhsa_kernel
	.section	.text._ZN7rocprim17ROCPRIM_400000_NS6detail44device_merge_sort_compile_time_verifier_archINS1_11comp_targetILNS1_3genE3ELNS1_11target_archE908ELNS1_3gpuE7ELNS1_3repE0EEES8_NS1_28merge_sort_block_sort_configILj256ELj4ELNS0_20block_sort_algorithmE0EEENS0_14default_configENS1_37merge_sort_block_sort_config_selectorIfNS0_10empty_typeEEENS1_38merge_sort_block_merge_config_selectorIfSE_EEEEvv,"axG",@progbits,_ZN7rocprim17ROCPRIM_400000_NS6detail44device_merge_sort_compile_time_verifier_archINS1_11comp_targetILNS1_3genE3ELNS1_11target_archE908ELNS1_3gpuE7ELNS1_3repE0EEES8_NS1_28merge_sort_block_sort_configILj256ELj4ELNS0_20block_sort_algorithmE0EEENS0_14default_configENS1_37merge_sort_block_sort_config_selectorIfNS0_10empty_typeEEENS1_38merge_sort_block_merge_config_selectorIfSE_EEEEvv,comdat
.Lfunc_end469:
	.size	_ZN7rocprim17ROCPRIM_400000_NS6detail44device_merge_sort_compile_time_verifier_archINS1_11comp_targetILNS1_3genE3ELNS1_11target_archE908ELNS1_3gpuE7ELNS1_3repE0EEES8_NS1_28merge_sort_block_sort_configILj256ELj4ELNS0_20block_sort_algorithmE0EEENS0_14default_configENS1_37merge_sort_block_sort_config_selectorIfNS0_10empty_typeEEENS1_38merge_sort_block_merge_config_selectorIfSE_EEEEvv, .Lfunc_end469-_ZN7rocprim17ROCPRIM_400000_NS6detail44device_merge_sort_compile_time_verifier_archINS1_11comp_targetILNS1_3genE3ELNS1_11target_archE908ELNS1_3gpuE7ELNS1_3repE0EEES8_NS1_28merge_sort_block_sort_configILj256ELj4ELNS0_20block_sort_algorithmE0EEENS0_14default_configENS1_37merge_sort_block_sort_config_selectorIfNS0_10empty_typeEEENS1_38merge_sort_block_merge_config_selectorIfSE_EEEEvv
                                        ; -- End function
	.set _ZN7rocprim17ROCPRIM_400000_NS6detail44device_merge_sort_compile_time_verifier_archINS1_11comp_targetILNS1_3genE3ELNS1_11target_archE908ELNS1_3gpuE7ELNS1_3repE0EEES8_NS1_28merge_sort_block_sort_configILj256ELj4ELNS0_20block_sort_algorithmE0EEENS0_14default_configENS1_37merge_sort_block_sort_config_selectorIfNS0_10empty_typeEEENS1_38merge_sort_block_merge_config_selectorIfSE_EEEEvv.num_vgpr, 0
	.set _ZN7rocprim17ROCPRIM_400000_NS6detail44device_merge_sort_compile_time_verifier_archINS1_11comp_targetILNS1_3genE3ELNS1_11target_archE908ELNS1_3gpuE7ELNS1_3repE0EEES8_NS1_28merge_sort_block_sort_configILj256ELj4ELNS0_20block_sort_algorithmE0EEENS0_14default_configENS1_37merge_sort_block_sort_config_selectorIfNS0_10empty_typeEEENS1_38merge_sort_block_merge_config_selectorIfSE_EEEEvv.num_agpr, 0
	.set _ZN7rocprim17ROCPRIM_400000_NS6detail44device_merge_sort_compile_time_verifier_archINS1_11comp_targetILNS1_3genE3ELNS1_11target_archE908ELNS1_3gpuE7ELNS1_3repE0EEES8_NS1_28merge_sort_block_sort_configILj256ELj4ELNS0_20block_sort_algorithmE0EEENS0_14default_configENS1_37merge_sort_block_sort_config_selectorIfNS0_10empty_typeEEENS1_38merge_sort_block_merge_config_selectorIfSE_EEEEvv.numbered_sgpr, 0
	.set _ZN7rocprim17ROCPRIM_400000_NS6detail44device_merge_sort_compile_time_verifier_archINS1_11comp_targetILNS1_3genE3ELNS1_11target_archE908ELNS1_3gpuE7ELNS1_3repE0EEES8_NS1_28merge_sort_block_sort_configILj256ELj4ELNS0_20block_sort_algorithmE0EEENS0_14default_configENS1_37merge_sort_block_sort_config_selectorIfNS0_10empty_typeEEENS1_38merge_sort_block_merge_config_selectorIfSE_EEEEvv.num_named_barrier, 0
	.set _ZN7rocprim17ROCPRIM_400000_NS6detail44device_merge_sort_compile_time_verifier_archINS1_11comp_targetILNS1_3genE3ELNS1_11target_archE908ELNS1_3gpuE7ELNS1_3repE0EEES8_NS1_28merge_sort_block_sort_configILj256ELj4ELNS0_20block_sort_algorithmE0EEENS0_14default_configENS1_37merge_sort_block_sort_config_selectorIfNS0_10empty_typeEEENS1_38merge_sort_block_merge_config_selectorIfSE_EEEEvv.private_seg_size, 0
	.set _ZN7rocprim17ROCPRIM_400000_NS6detail44device_merge_sort_compile_time_verifier_archINS1_11comp_targetILNS1_3genE3ELNS1_11target_archE908ELNS1_3gpuE7ELNS1_3repE0EEES8_NS1_28merge_sort_block_sort_configILj256ELj4ELNS0_20block_sort_algorithmE0EEENS0_14default_configENS1_37merge_sort_block_sort_config_selectorIfNS0_10empty_typeEEENS1_38merge_sort_block_merge_config_selectorIfSE_EEEEvv.uses_vcc, 0
	.set _ZN7rocprim17ROCPRIM_400000_NS6detail44device_merge_sort_compile_time_verifier_archINS1_11comp_targetILNS1_3genE3ELNS1_11target_archE908ELNS1_3gpuE7ELNS1_3repE0EEES8_NS1_28merge_sort_block_sort_configILj256ELj4ELNS0_20block_sort_algorithmE0EEENS0_14default_configENS1_37merge_sort_block_sort_config_selectorIfNS0_10empty_typeEEENS1_38merge_sort_block_merge_config_selectorIfSE_EEEEvv.uses_flat_scratch, 0
	.set _ZN7rocprim17ROCPRIM_400000_NS6detail44device_merge_sort_compile_time_verifier_archINS1_11comp_targetILNS1_3genE3ELNS1_11target_archE908ELNS1_3gpuE7ELNS1_3repE0EEES8_NS1_28merge_sort_block_sort_configILj256ELj4ELNS0_20block_sort_algorithmE0EEENS0_14default_configENS1_37merge_sort_block_sort_config_selectorIfNS0_10empty_typeEEENS1_38merge_sort_block_merge_config_selectorIfSE_EEEEvv.has_dyn_sized_stack, 0
	.set _ZN7rocprim17ROCPRIM_400000_NS6detail44device_merge_sort_compile_time_verifier_archINS1_11comp_targetILNS1_3genE3ELNS1_11target_archE908ELNS1_3gpuE7ELNS1_3repE0EEES8_NS1_28merge_sort_block_sort_configILj256ELj4ELNS0_20block_sort_algorithmE0EEENS0_14default_configENS1_37merge_sort_block_sort_config_selectorIfNS0_10empty_typeEEENS1_38merge_sort_block_merge_config_selectorIfSE_EEEEvv.has_recursion, 0
	.set _ZN7rocprim17ROCPRIM_400000_NS6detail44device_merge_sort_compile_time_verifier_archINS1_11comp_targetILNS1_3genE3ELNS1_11target_archE908ELNS1_3gpuE7ELNS1_3repE0EEES8_NS1_28merge_sort_block_sort_configILj256ELj4ELNS0_20block_sort_algorithmE0EEENS0_14default_configENS1_37merge_sort_block_sort_config_selectorIfNS0_10empty_typeEEENS1_38merge_sort_block_merge_config_selectorIfSE_EEEEvv.has_indirect_call, 0
	.section	.AMDGPU.csdata,"",@progbits
; Kernel info:
; codeLenInByte = 4
; TotalNumSgprs: 6
; NumVgprs: 0
; NumAgprs: 0
; TotalNumVgprs: 0
; ScratchSize: 0
; MemoryBound: 0
; FloatMode: 240
; IeeeMode: 1
; LDSByteSize: 0 bytes/workgroup (compile time only)
; SGPRBlocks: 0
; VGPRBlocks: 0
; NumSGPRsForWavesPerEU: 6
; NumVGPRsForWavesPerEU: 1
; AccumOffset: 4
; Occupancy: 8
; WaveLimiterHint : 0
; COMPUTE_PGM_RSRC2:SCRATCH_EN: 0
; COMPUTE_PGM_RSRC2:USER_SGPR: 0
; COMPUTE_PGM_RSRC2:TRAP_HANDLER: 0
; COMPUTE_PGM_RSRC2:TGID_X_EN: 1
; COMPUTE_PGM_RSRC2:TGID_Y_EN: 0
; COMPUTE_PGM_RSRC2:TGID_Z_EN: 0
; COMPUTE_PGM_RSRC2:TIDIG_COMP_CNT: 0
; COMPUTE_PGM_RSRC3_GFX90A:ACCUM_OFFSET: 0
; COMPUTE_PGM_RSRC3_GFX90A:TG_SPLIT: 0
	.section	.text._ZN7rocprim17ROCPRIM_400000_NS6detail44device_merge_sort_compile_time_verifier_archINS1_11comp_targetILNS1_3genE2ELNS1_11target_archE906ELNS1_3gpuE6ELNS1_3repE0EEES8_NS1_28merge_sort_block_sort_configILj256ELj4ELNS0_20block_sort_algorithmE0EEENS0_14default_configENS1_37merge_sort_block_sort_config_selectorIfNS0_10empty_typeEEENS1_38merge_sort_block_merge_config_selectorIfSE_EEEEvv,"axG",@progbits,_ZN7rocprim17ROCPRIM_400000_NS6detail44device_merge_sort_compile_time_verifier_archINS1_11comp_targetILNS1_3genE2ELNS1_11target_archE906ELNS1_3gpuE6ELNS1_3repE0EEES8_NS1_28merge_sort_block_sort_configILj256ELj4ELNS0_20block_sort_algorithmE0EEENS0_14default_configENS1_37merge_sort_block_sort_config_selectorIfNS0_10empty_typeEEENS1_38merge_sort_block_merge_config_selectorIfSE_EEEEvv,comdat
	.protected	_ZN7rocprim17ROCPRIM_400000_NS6detail44device_merge_sort_compile_time_verifier_archINS1_11comp_targetILNS1_3genE2ELNS1_11target_archE906ELNS1_3gpuE6ELNS1_3repE0EEES8_NS1_28merge_sort_block_sort_configILj256ELj4ELNS0_20block_sort_algorithmE0EEENS0_14default_configENS1_37merge_sort_block_sort_config_selectorIfNS0_10empty_typeEEENS1_38merge_sort_block_merge_config_selectorIfSE_EEEEvv ; -- Begin function _ZN7rocprim17ROCPRIM_400000_NS6detail44device_merge_sort_compile_time_verifier_archINS1_11comp_targetILNS1_3genE2ELNS1_11target_archE906ELNS1_3gpuE6ELNS1_3repE0EEES8_NS1_28merge_sort_block_sort_configILj256ELj4ELNS0_20block_sort_algorithmE0EEENS0_14default_configENS1_37merge_sort_block_sort_config_selectorIfNS0_10empty_typeEEENS1_38merge_sort_block_merge_config_selectorIfSE_EEEEvv
	.globl	_ZN7rocprim17ROCPRIM_400000_NS6detail44device_merge_sort_compile_time_verifier_archINS1_11comp_targetILNS1_3genE2ELNS1_11target_archE906ELNS1_3gpuE6ELNS1_3repE0EEES8_NS1_28merge_sort_block_sort_configILj256ELj4ELNS0_20block_sort_algorithmE0EEENS0_14default_configENS1_37merge_sort_block_sort_config_selectorIfNS0_10empty_typeEEENS1_38merge_sort_block_merge_config_selectorIfSE_EEEEvv
	.p2align	8
	.type	_ZN7rocprim17ROCPRIM_400000_NS6detail44device_merge_sort_compile_time_verifier_archINS1_11comp_targetILNS1_3genE2ELNS1_11target_archE906ELNS1_3gpuE6ELNS1_3repE0EEES8_NS1_28merge_sort_block_sort_configILj256ELj4ELNS0_20block_sort_algorithmE0EEENS0_14default_configENS1_37merge_sort_block_sort_config_selectorIfNS0_10empty_typeEEENS1_38merge_sort_block_merge_config_selectorIfSE_EEEEvv,@function
_ZN7rocprim17ROCPRIM_400000_NS6detail44device_merge_sort_compile_time_verifier_archINS1_11comp_targetILNS1_3genE2ELNS1_11target_archE906ELNS1_3gpuE6ELNS1_3repE0EEES8_NS1_28merge_sort_block_sort_configILj256ELj4ELNS0_20block_sort_algorithmE0EEENS0_14default_configENS1_37merge_sort_block_sort_config_selectorIfNS0_10empty_typeEEENS1_38merge_sort_block_merge_config_selectorIfSE_EEEEvv: ; @_ZN7rocprim17ROCPRIM_400000_NS6detail44device_merge_sort_compile_time_verifier_archINS1_11comp_targetILNS1_3genE2ELNS1_11target_archE906ELNS1_3gpuE6ELNS1_3repE0EEES8_NS1_28merge_sort_block_sort_configILj256ELj4ELNS0_20block_sort_algorithmE0EEENS0_14default_configENS1_37merge_sort_block_sort_config_selectorIfNS0_10empty_typeEEENS1_38merge_sort_block_merge_config_selectorIfSE_EEEEvv
; %bb.0:
	s_endpgm
	.section	.rodata,"a",@progbits
	.p2align	6, 0x0
	.amdhsa_kernel _ZN7rocprim17ROCPRIM_400000_NS6detail44device_merge_sort_compile_time_verifier_archINS1_11comp_targetILNS1_3genE2ELNS1_11target_archE906ELNS1_3gpuE6ELNS1_3repE0EEES8_NS1_28merge_sort_block_sort_configILj256ELj4ELNS0_20block_sort_algorithmE0EEENS0_14default_configENS1_37merge_sort_block_sort_config_selectorIfNS0_10empty_typeEEENS1_38merge_sort_block_merge_config_selectorIfSE_EEEEvv
		.amdhsa_group_segment_fixed_size 0
		.amdhsa_private_segment_fixed_size 0
		.amdhsa_kernarg_size 0
		.amdhsa_user_sgpr_count 0
		.amdhsa_user_sgpr_dispatch_ptr 0
		.amdhsa_user_sgpr_queue_ptr 0
		.amdhsa_user_sgpr_kernarg_segment_ptr 0
		.amdhsa_user_sgpr_dispatch_id 0
		.amdhsa_user_sgpr_kernarg_preload_length 0
		.amdhsa_user_sgpr_kernarg_preload_offset 0
		.amdhsa_user_sgpr_private_segment_size 0
		.amdhsa_uses_dynamic_stack 0
		.amdhsa_enable_private_segment 0
		.amdhsa_system_sgpr_workgroup_id_x 1
		.amdhsa_system_sgpr_workgroup_id_y 0
		.amdhsa_system_sgpr_workgroup_id_z 0
		.amdhsa_system_sgpr_workgroup_info 0
		.amdhsa_system_vgpr_workitem_id 0
		.amdhsa_next_free_vgpr 1
		.amdhsa_next_free_sgpr 0
		.amdhsa_accum_offset 4
		.amdhsa_reserve_vcc 0
		.amdhsa_float_round_mode_32 0
		.amdhsa_float_round_mode_16_64 0
		.amdhsa_float_denorm_mode_32 3
		.amdhsa_float_denorm_mode_16_64 3
		.amdhsa_dx10_clamp 1
		.amdhsa_ieee_mode 1
		.amdhsa_fp16_overflow 0
		.amdhsa_tg_split 0
		.amdhsa_exception_fp_ieee_invalid_op 0
		.amdhsa_exception_fp_denorm_src 0
		.amdhsa_exception_fp_ieee_div_zero 0
		.amdhsa_exception_fp_ieee_overflow 0
		.amdhsa_exception_fp_ieee_underflow 0
		.amdhsa_exception_fp_ieee_inexact 0
		.amdhsa_exception_int_div_zero 0
	.end_amdhsa_kernel
	.section	.text._ZN7rocprim17ROCPRIM_400000_NS6detail44device_merge_sort_compile_time_verifier_archINS1_11comp_targetILNS1_3genE2ELNS1_11target_archE906ELNS1_3gpuE6ELNS1_3repE0EEES8_NS1_28merge_sort_block_sort_configILj256ELj4ELNS0_20block_sort_algorithmE0EEENS0_14default_configENS1_37merge_sort_block_sort_config_selectorIfNS0_10empty_typeEEENS1_38merge_sort_block_merge_config_selectorIfSE_EEEEvv,"axG",@progbits,_ZN7rocprim17ROCPRIM_400000_NS6detail44device_merge_sort_compile_time_verifier_archINS1_11comp_targetILNS1_3genE2ELNS1_11target_archE906ELNS1_3gpuE6ELNS1_3repE0EEES8_NS1_28merge_sort_block_sort_configILj256ELj4ELNS0_20block_sort_algorithmE0EEENS0_14default_configENS1_37merge_sort_block_sort_config_selectorIfNS0_10empty_typeEEENS1_38merge_sort_block_merge_config_selectorIfSE_EEEEvv,comdat
.Lfunc_end470:
	.size	_ZN7rocprim17ROCPRIM_400000_NS6detail44device_merge_sort_compile_time_verifier_archINS1_11comp_targetILNS1_3genE2ELNS1_11target_archE906ELNS1_3gpuE6ELNS1_3repE0EEES8_NS1_28merge_sort_block_sort_configILj256ELj4ELNS0_20block_sort_algorithmE0EEENS0_14default_configENS1_37merge_sort_block_sort_config_selectorIfNS0_10empty_typeEEENS1_38merge_sort_block_merge_config_selectorIfSE_EEEEvv, .Lfunc_end470-_ZN7rocprim17ROCPRIM_400000_NS6detail44device_merge_sort_compile_time_verifier_archINS1_11comp_targetILNS1_3genE2ELNS1_11target_archE906ELNS1_3gpuE6ELNS1_3repE0EEES8_NS1_28merge_sort_block_sort_configILj256ELj4ELNS0_20block_sort_algorithmE0EEENS0_14default_configENS1_37merge_sort_block_sort_config_selectorIfNS0_10empty_typeEEENS1_38merge_sort_block_merge_config_selectorIfSE_EEEEvv
                                        ; -- End function
	.set _ZN7rocprim17ROCPRIM_400000_NS6detail44device_merge_sort_compile_time_verifier_archINS1_11comp_targetILNS1_3genE2ELNS1_11target_archE906ELNS1_3gpuE6ELNS1_3repE0EEES8_NS1_28merge_sort_block_sort_configILj256ELj4ELNS0_20block_sort_algorithmE0EEENS0_14default_configENS1_37merge_sort_block_sort_config_selectorIfNS0_10empty_typeEEENS1_38merge_sort_block_merge_config_selectorIfSE_EEEEvv.num_vgpr, 0
	.set _ZN7rocprim17ROCPRIM_400000_NS6detail44device_merge_sort_compile_time_verifier_archINS1_11comp_targetILNS1_3genE2ELNS1_11target_archE906ELNS1_3gpuE6ELNS1_3repE0EEES8_NS1_28merge_sort_block_sort_configILj256ELj4ELNS0_20block_sort_algorithmE0EEENS0_14default_configENS1_37merge_sort_block_sort_config_selectorIfNS0_10empty_typeEEENS1_38merge_sort_block_merge_config_selectorIfSE_EEEEvv.num_agpr, 0
	.set _ZN7rocprim17ROCPRIM_400000_NS6detail44device_merge_sort_compile_time_verifier_archINS1_11comp_targetILNS1_3genE2ELNS1_11target_archE906ELNS1_3gpuE6ELNS1_3repE0EEES8_NS1_28merge_sort_block_sort_configILj256ELj4ELNS0_20block_sort_algorithmE0EEENS0_14default_configENS1_37merge_sort_block_sort_config_selectorIfNS0_10empty_typeEEENS1_38merge_sort_block_merge_config_selectorIfSE_EEEEvv.numbered_sgpr, 0
	.set _ZN7rocprim17ROCPRIM_400000_NS6detail44device_merge_sort_compile_time_verifier_archINS1_11comp_targetILNS1_3genE2ELNS1_11target_archE906ELNS1_3gpuE6ELNS1_3repE0EEES8_NS1_28merge_sort_block_sort_configILj256ELj4ELNS0_20block_sort_algorithmE0EEENS0_14default_configENS1_37merge_sort_block_sort_config_selectorIfNS0_10empty_typeEEENS1_38merge_sort_block_merge_config_selectorIfSE_EEEEvv.num_named_barrier, 0
	.set _ZN7rocprim17ROCPRIM_400000_NS6detail44device_merge_sort_compile_time_verifier_archINS1_11comp_targetILNS1_3genE2ELNS1_11target_archE906ELNS1_3gpuE6ELNS1_3repE0EEES8_NS1_28merge_sort_block_sort_configILj256ELj4ELNS0_20block_sort_algorithmE0EEENS0_14default_configENS1_37merge_sort_block_sort_config_selectorIfNS0_10empty_typeEEENS1_38merge_sort_block_merge_config_selectorIfSE_EEEEvv.private_seg_size, 0
	.set _ZN7rocprim17ROCPRIM_400000_NS6detail44device_merge_sort_compile_time_verifier_archINS1_11comp_targetILNS1_3genE2ELNS1_11target_archE906ELNS1_3gpuE6ELNS1_3repE0EEES8_NS1_28merge_sort_block_sort_configILj256ELj4ELNS0_20block_sort_algorithmE0EEENS0_14default_configENS1_37merge_sort_block_sort_config_selectorIfNS0_10empty_typeEEENS1_38merge_sort_block_merge_config_selectorIfSE_EEEEvv.uses_vcc, 0
	.set _ZN7rocprim17ROCPRIM_400000_NS6detail44device_merge_sort_compile_time_verifier_archINS1_11comp_targetILNS1_3genE2ELNS1_11target_archE906ELNS1_3gpuE6ELNS1_3repE0EEES8_NS1_28merge_sort_block_sort_configILj256ELj4ELNS0_20block_sort_algorithmE0EEENS0_14default_configENS1_37merge_sort_block_sort_config_selectorIfNS0_10empty_typeEEENS1_38merge_sort_block_merge_config_selectorIfSE_EEEEvv.uses_flat_scratch, 0
	.set _ZN7rocprim17ROCPRIM_400000_NS6detail44device_merge_sort_compile_time_verifier_archINS1_11comp_targetILNS1_3genE2ELNS1_11target_archE906ELNS1_3gpuE6ELNS1_3repE0EEES8_NS1_28merge_sort_block_sort_configILj256ELj4ELNS0_20block_sort_algorithmE0EEENS0_14default_configENS1_37merge_sort_block_sort_config_selectorIfNS0_10empty_typeEEENS1_38merge_sort_block_merge_config_selectorIfSE_EEEEvv.has_dyn_sized_stack, 0
	.set _ZN7rocprim17ROCPRIM_400000_NS6detail44device_merge_sort_compile_time_verifier_archINS1_11comp_targetILNS1_3genE2ELNS1_11target_archE906ELNS1_3gpuE6ELNS1_3repE0EEES8_NS1_28merge_sort_block_sort_configILj256ELj4ELNS0_20block_sort_algorithmE0EEENS0_14default_configENS1_37merge_sort_block_sort_config_selectorIfNS0_10empty_typeEEENS1_38merge_sort_block_merge_config_selectorIfSE_EEEEvv.has_recursion, 0
	.set _ZN7rocprim17ROCPRIM_400000_NS6detail44device_merge_sort_compile_time_verifier_archINS1_11comp_targetILNS1_3genE2ELNS1_11target_archE906ELNS1_3gpuE6ELNS1_3repE0EEES8_NS1_28merge_sort_block_sort_configILj256ELj4ELNS0_20block_sort_algorithmE0EEENS0_14default_configENS1_37merge_sort_block_sort_config_selectorIfNS0_10empty_typeEEENS1_38merge_sort_block_merge_config_selectorIfSE_EEEEvv.has_indirect_call, 0
	.section	.AMDGPU.csdata,"",@progbits
; Kernel info:
; codeLenInByte = 4
; TotalNumSgprs: 6
; NumVgprs: 0
; NumAgprs: 0
; TotalNumVgprs: 0
; ScratchSize: 0
; MemoryBound: 0
; FloatMode: 240
; IeeeMode: 1
; LDSByteSize: 0 bytes/workgroup (compile time only)
; SGPRBlocks: 0
; VGPRBlocks: 0
; NumSGPRsForWavesPerEU: 6
; NumVGPRsForWavesPerEU: 1
; AccumOffset: 4
; Occupancy: 8
; WaveLimiterHint : 0
; COMPUTE_PGM_RSRC2:SCRATCH_EN: 0
; COMPUTE_PGM_RSRC2:USER_SGPR: 0
; COMPUTE_PGM_RSRC2:TRAP_HANDLER: 0
; COMPUTE_PGM_RSRC2:TGID_X_EN: 1
; COMPUTE_PGM_RSRC2:TGID_Y_EN: 0
; COMPUTE_PGM_RSRC2:TGID_Z_EN: 0
; COMPUTE_PGM_RSRC2:TIDIG_COMP_CNT: 0
; COMPUTE_PGM_RSRC3_GFX90A:ACCUM_OFFSET: 0
; COMPUTE_PGM_RSRC3_GFX90A:TG_SPLIT: 0
	.section	.text._ZN7rocprim17ROCPRIM_400000_NS6detail44device_merge_sort_compile_time_verifier_archINS1_11comp_targetILNS1_3genE10ELNS1_11target_archE1201ELNS1_3gpuE5ELNS1_3repE0EEES8_NS1_28merge_sort_block_sort_configILj256ELj4ELNS0_20block_sort_algorithmE0EEENS0_14default_configENS1_37merge_sort_block_sort_config_selectorIfNS0_10empty_typeEEENS1_38merge_sort_block_merge_config_selectorIfSE_EEEEvv,"axG",@progbits,_ZN7rocprim17ROCPRIM_400000_NS6detail44device_merge_sort_compile_time_verifier_archINS1_11comp_targetILNS1_3genE10ELNS1_11target_archE1201ELNS1_3gpuE5ELNS1_3repE0EEES8_NS1_28merge_sort_block_sort_configILj256ELj4ELNS0_20block_sort_algorithmE0EEENS0_14default_configENS1_37merge_sort_block_sort_config_selectorIfNS0_10empty_typeEEENS1_38merge_sort_block_merge_config_selectorIfSE_EEEEvv,comdat
	.protected	_ZN7rocprim17ROCPRIM_400000_NS6detail44device_merge_sort_compile_time_verifier_archINS1_11comp_targetILNS1_3genE10ELNS1_11target_archE1201ELNS1_3gpuE5ELNS1_3repE0EEES8_NS1_28merge_sort_block_sort_configILj256ELj4ELNS0_20block_sort_algorithmE0EEENS0_14default_configENS1_37merge_sort_block_sort_config_selectorIfNS0_10empty_typeEEENS1_38merge_sort_block_merge_config_selectorIfSE_EEEEvv ; -- Begin function _ZN7rocprim17ROCPRIM_400000_NS6detail44device_merge_sort_compile_time_verifier_archINS1_11comp_targetILNS1_3genE10ELNS1_11target_archE1201ELNS1_3gpuE5ELNS1_3repE0EEES8_NS1_28merge_sort_block_sort_configILj256ELj4ELNS0_20block_sort_algorithmE0EEENS0_14default_configENS1_37merge_sort_block_sort_config_selectorIfNS0_10empty_typeEEENS1_38merge_sort_block_merge_config_selectorIfSE_EEEEvv
	.globl	_ZN7rocprim17ROCPRIM_400000_NS6detail44device_merge_sort_compile_time_verifier_archINS1_11comp_targetILNS1_3genE10ELNS1_11target_archE1201ELNS1_3gpuE5ELNS1_3repE0EEES8_NS1_28merge_sort_block_sort_configILj256ELj4ELNS0_20block_sort_algorithmE0EEENS0_14default_configENS1_37merge_sort_block_sort_config_selectorIfNS0_10empty_typeEEENS1_38merge_sort_block_merge_config_selectorIfSE_EEEEvv
	.p2align	8
	.type	_ZN7rocprim17ROCPRIM_400000_NS6detail44device_merge_sort_compile_time_verifier_archINS1_11comp_targetILNS1_3genE10ELNS1_11target_archE1201ELNS1_3gpuE5ELNS1_3repE0EEES8_NS1_28merge_sort_block_sort_configILj256ELj4ELNS0_20block_sort_algorithmE0EEENS0_14default_configENS1_37merge_sort_block_sort_config_selectorIfNS0_10empty_typeEEENS1_38merge_sort_block_merge_config_selectorIfSE_EEEEvv,@function
_ZN7rocprim17ROCPRIM_400000_NS6detail44device_merge_sort_compile_time_verifier_archINS1_11comp_targetILNS1_3genE10ELNS1_11target_archE1201ELNS1_3gpuE5ELNS1_3repE0EEES8_NS1_28merge_sort_block_sort_configILj256ELj4ELNS0_20block_sort_algorithmE0EEENS0_14default_configENS1_37merge_sort_block_sort_config_selectorIfNS0_10empty_typeEEENS1_38merge_sort_block_merge_config_selectorIfSE_EEEEvv: ; @_ZN7rocprim17ROCPRIM_400000_NS6detail44device_merge_sort_compile_time_verifier_archINS1_11comp_targetILNS1_3genE10ELNS1_11target_archE1201ELNS1_3gpuE5ELNS1_3repE0EEES8_NS1_28merge_sort_block_sort_configILj256ELj4ELNS0_20block_sort_algorithmE0EEENS0_14default_configENS1_37merge_sort_block_sort_config_selectorIfNS0_10empty_typeEEENS1_38merge_sort_block_merge_config_selectorIfSE_EEEEvv
; %bb.0:
	s_endpgm
	.section	.rodata,"a",@progbits
	.p2align	6, 0x0
	.amdhsa_kernel _ZN7rocprim17ROCPRIM_400000_NS6detail44device_merge_sort_compile_time_verifier_archINS1_11comp_targetILNS1_3genE10ELNS1_11target_archE1201ELNS1_3gpuE5ELNS1_3repE0EEES8_NS1_28merge_sort_block_sort_configILj256ELj4ELNS0_20block_sort_algorithmE0EEENS0_14default_configENS1_37merge_sort_block_sort_config_selectorIfNS0_10empty_typeEEENS1_38merge_sort_block_merge_config_selectorIfSE_EEEEvv
		.amdhsa_group_segment_fixed_size 0
		.amdhsa_private_segment_fixed_size 0
		.amdhsa_kernarg_size 0
		.amdhsa_user_sgpr_count 0
		.amdhsa_user_sgpr_dispatch_ptr 0
		.amdhsa_user_sgpr_queue_ptr 0
		.amdhsa_user_sgpr_kernarg_segment_ptr 0
		.amdhsa_user_sgpr_dispatch_id 0
		.amdhsa_user_sgpr_kernarg_preload_length 0
		.amdhsa_user_sgpr_kernarg_preload_offset 0
		.amdhsa_user_sgpr_private_segment_size 0
		.amdhsa_uses_dynamic_stack 0
		.amdhsa_enable_private_segment 0
		.amdhsa_system_sgpr_workgroup_id_x 1
		.amdhsa_system_sgpr_workgroup_id_y 0
		.amdhsa_system_sgpr_workgroup_id_z 0
		.amdhsa_system_sgpr_workgroup_info 0
		.amdhsa_system_vgpr_workitem_id 0
		.amdhsa_next_free_vgpr 1
		.amdhsa_next_free_sgpr 0
		.amdhsa_accum_offset 4
		.amdhsa_reserve_vcc 0
		.amdhsa_float_round_mode_32 0
		.amdhsa_float_round_mode_16_64 0
		.amdhsa_float_denorm_mode_32 3
		.amdhsa_float_denorm_mode_16_64 3
		.amdhsa_dx10_clamp 1
		.amdhsa_ieee_mode 1
		.amdhsa_fp16_overflow 0
		.amdhsa_tg_split 0
		.amdhsa_exception_fp_ieee_invalid_op 0
		.amdhsa_exception_fp_denorm_src 0
		.amdhsa_exception_fp_ieee_div_zero 0
		.amdhsa_exception_fp_ieee_overflow 0
		.amdhsa_exception_fp_ieee_underflow 0
		.amdhsa_exception_fp_ieee_inexact 0
		.amdhsa_exception_int_div_zero 0
	.end_amdhsa_kernel
	.section	.text._ZN7rocprim17ROCPRIM_400000_NS6detail44device_merge_sort_compile_time_verifier_archINS1_11comp_targetILNS1_3genE10ELNS1_11target_archE1201ELNS1_3gpuE5ELNS1_3repE0EEES8_NS1_28merge_sort_block_sort_configILj256ELj4ELNS0_20block_sort_algorithmE0EEENS0_14default_configENS1_37merge_sort_block_sort_config_selectorIfNS0_10empty_typeEEENS1_38merge_sort_block_merge_config_selectorIfSE_EEEEvv,"axG",@progbits,_ZN7rocprim17ROCPRIM_400000_NS6detail44device_merge_sort_compile_time_verifier_archINS1_11comp_targetILNS1_3genE10ELNS1_11target_archE1201ELNS1_3gpuE5ELNS1_3repE0EEES8_NS1_28merge_sort_block_sort_configILj256ELj4ELNS0_20block_sort_algorithmE0EEENS0_14default_configENS1_37merge_sort_block_sort_config_selectorIfNS0_10empty_typeEEENS1_38merge_sort_block_merge_config_selectorIfSE_EEEEvv,comdat
.Lfunc_end471:
	.size	_ZN7rocprim17ROCPRIM_400000_NS6detail44device_merge_sort_compile_time_verifier_archINS1_11comp_targetILNS1_3genE10ELNS1_11target_archE1201ELNS1_3gpuE5ELNS1_3repE0EEES8_NS1_28merge_sort_block_sort_configILj256ELj4ELNS0_20block_sort_algorithmE0EEENS0_14default_configENS1_37merge_sort_block_sort_config_selectorIfNS0_10empty_typeEEENS1_38merge_sort_block_merge_config_selectorIfSE_EEEEvv, .Lfunc_end471-_ZN7rocprim17ROCPRIM_400000_NS6detail44device_merge_sort_compile_time_verifier_archINS1_11comp_targetILNS1_3genE10ELNS1_11target_archE1201ELNS1_3gpuE5ELNS1_3repE0EEES8_NS1_28merge_sort_block_sort_configILj256ELj4ELNS0_20block_sort_algorithmE0EEENS0_14default_configENS1_37merge_sort_block_sort_config_selectorIfNS0_10empty_typeEEENS1_38merge_sort_block_merge_config_selectorIfSE_EEEEvv
                                        ; -- End function
	.set _ZN7rocprim17ROCPRIM_400000_NS6detail44device_merge_sort_compile_time_verifier_archINS1_11comp_targetILNS1_3genE10ELNS1_11target_archE1201ELNS1_3gpuE5ELNS1_3repE0EEES8_NS1_28merge_sort_block_sort_configILj256ELj4ELNS0_20block_sort_algorithmE0EEENS0_14default_configENS1_37merge_sort_block_sort_config_selectorIfNS0_10empty_typeEEENS1_38merge_sort_block_merge_config_selectorIfSE_EEEEvv.num_vgpr, 0
	.set _ZN7rocprim17ROCPRIM_400000_NS6detail44device_merge_sort_compile_time_verifier_archINS1_11comp_targetILNS1_3genE10ELNS1_11target_archE1201ELNS1_3gpuE5ELNS1_3repE0EEES8_NS1_28merge_sort_block_sort_configILj256ELj4ELNS0_20block_sort_algorithmE0EEENS0_14default_configENS1_37merge_sort_block_sort_config_selectorIfNS0_10empty_typeEEENS1_38merge_sort_block_merge_config_selectorIfSE_EEEEvv.num_agpr, 0
	.set _ZN7rocprim17ROCPRIM_400000_NS6detail44device_merge_sort_compile_time_verifier_archINS1_11comp_targetILNS1_3genE10ELNS1_11target_archE1201ELNS1_3gpuE5ELNS1_3repE0EEES8_NS1_28merge_sort_block_sort_configILj256ELj4ELNS0_20block_sort_algorithmE0EEENS0_14default_configENS1_37merge_sort_block_sort_config_selectorIfNS0_10empty_typeEEENS1_38merge_sort_block_merge_config_selectorIfSE_EEEEvv.numbered_sgpr, 0
	.set _ZN7rocprim17ROCPRIM_400000_NS6detail44device_merge_sort_compile_time_verifier_archINS1_11comp_targetILNS1_3genE10ELNS1_11target_archE1201ELNS1_3gpuE5ELNS1_3repE0EEES8_NS1_28merge_sort_block_sort_configILj256ELj4ELNS0_20block_sort_algorithmE0EEENS0_14default_configENS1_37merge_sort_block_sort_config_selectorIfNS0_10empty_typeEEENS1_38merge_sort_block_merge_config_selectorIfSE_EEEEvv.num_named_barrier, 0
	.set _ZN7rocprim17ROCPRIM_400000_NS6detail44device_merge_sort_compile_time_verifier_archINS1_11comp_targetILNS1_3genE10ELNS1_11target_archE1201ELNS1_3gpuE5ELNS1_3repE0EEES8_NS1_28merge_sort_block_sort_configILj256ELj4ELNS0_20block_sort_algorithmE0EEENS0_14default_configENS1_37merge_sort_block_sort_config_selectorIfNS0_10empty_typeEEENS1_38merge_sort_block_merge_config_selectorIfSE_EEEEvv.private_seg_size, 0
	.set _ZN7rocprim17ROCPRIM_400000_NS6detail44device_merge_sort_compile_time_verifier_archINS1_11comp_targetILNS1_3genE10ELNS1_11target_archE1201ELNS1_3gpuE5ELNS1_3repE0EEES8_NS1_28merge_sort_block_sort_configILj256ELj4ELNS0_20block_sort_algorithmE0EEENS0_14default_configENS1_37merge_sort_block_sort_config_selectorIfNS0_10empty_typeEEENS1_38merge_sort_block_merge_config_selectorIfSE_EEEEvv.uses_vcc, 0
	.set _ZN7rocprim17ROCPRIM_400000_NS6detail44device_merge_sort_compile_time_verifier_archINS1_11comp_targetILNS1_3genE10ELNS1_11target_archE1201ELNS1_3gpuE5ELNS1_3repE0EEES8_NS1_28merge_sort_block_sort_configILj256ELj4ELNS0_20block_sort_algorithmE0EEENS0_14default_configENS1_37merge_sort_block_sort_config_selectorIfNS0_10empty_typeEEENS1_38merge_sort_block_merge_config_selectorIfSE_EEEEvv.uses_flat_scratch, 0
	.set _ZN7rocprim17ROCPRIM_400000_NS6detail44device_merge_sort_compile_time_verifier_archINS1_11comp_targetILNS1_3genE10ELNS1_11target_archE1201ELNS1_3gpuE5ELNS1_3repE0EEES8_NS1_28merge_sort_block_sort_configILj256ELj4ELNS0_20block_sort_algorithmE0EEENS0_14default_configENS1_37merge_sort_block_sort_config_selectorIfNS0_10empty_typeEEENS1_38merge_sort_block_merge_config_selectorIfSE_EEEEvv.has_dyn_sized_stack, 0
	.set _ZN7rocprim17ROCPRIM_400000_NS6detail44device_merge_sort_compile_time_verifier_archINS1_11comp_targetILNS1_3genE10ELNS1_11target_archE1201ELNS1_3gpuE5ELNS1_3repE0EEES8_NS1_28merge_sort_block_sort_configILj256ELj4ELNS0_20block_sort_algorithmE0EEENS0_14default_configENS1_37merge_sort_block_sort_config_selectorIfNS0_10empty_typeEEENS1_38merge_sort_block_merge_config_selectorIfSE_EEEEvv.has_recursion, 0
	.set _ZN7rocprim17ROCPRIM_400000_NS6detail44device_merge_sort_compile_time_verifier_archINS1_11comp_targetILNS1_3genE10ELNS1_11target_archE1201ELNS1_3gpuE5ELNS1_3repE0EEES8_NS1_28merge_sort_block_sort_configILj256ELj4ELNS0_20block_sort_algorithmE0EEENS0_14default_configENS1_37merge_sort_block_sort_config_selectorIfNS0_10empty_typeEEENS1_38merge_sort_block_merge_config_selectorIfSE_EEEEvv.has_indirect_call, 0
	.section	.AMDGPU.csdata,"",@progbits
; Kernel info:
; codeLenInByte = 4
; TotalNumSgprs: 6
; NumVgprs: 0
; NumAgprs: 0
; TotalNumVgprs: 0
; ScratchSize: 0
; MemoryBound: 0
; FloatMode: 240
; IeeeMode: 1
; LDSByteSize: 0 bytes/workgroup (compile time only)
; SGPRBlocks: 0
; VGPRBlocks: 0
; NumSGPRsForWavesPerEU: 6
; NumVGPRsForWavesPerEU: 1
; AccumOffset: 4
; Occupancy: 8
; WaveLimiterHint : 0
; COMPUTE_PGM_RSRC2:SCRATCH_EN: 0
; COMPUTE_PGM_RSRC2:USER_SGPR: 0
; COMPUTE_PGM_RSRC2:TRAP_HANDLER: 0
; COMPUTE_PGM_RSRC2:TGID_X_EN: 1
; COMPUTE_PGM_RSRC2:TGID_Y_EN: 0
; COMPUTE_PGM_RSRC2:TGID_Z_EN: 0
; COMPUTE_PGM_RSRC2:TIDIG_COMP_CNT: 0
; COMPUTE_PGM_RSRC3_GFX90A:ACCUM_OFFSET: 0
; COMPUTE_PGM_RSRC3_GFX90A:TG_SPLIT: 0
	.section	.text._ZN7rocprim17ROCPRIM_400000_NS6detail44device_merge_sort_compile_time_verifier_archINS1_11comp_targetILNS1_3genE10ELNS1_11target_archE1200ELNS1_3gpuE4ELNS1_3repE0EEENS3_ILS4_10ELS5_1201ELS6_5ELS7_0EEENS1_28merge_sort_block_sort_configILj256ELj4ELNS0_20block_sort_algorithmE0EEENS0_14default_configENS1_37merge_sort_block_sort_config_selectorIfNS0_10empty_typeEEENS1_38merge_sort_block_merge_config_selectorIfSF_EEEEvv,"axG",@progbits,_ZN7rocprim17ROCPRIM_400000_NS6detail44device_merge_sort_compile_time_verifier_archINS1_11comp_targetILNS1_3genE10ELNS1_11target_archE1200ELNS1_3gpuE4ELNS1_3repE0EEENS3_ILS4_10ELS5_1201ELS6_5ELS7_0EEENS1_28merge_sort_block_sort_configILj256ELj4ELNS0_20block_sort_algorithmE0EEENS0_14default_configENS1_37merge_sort_block_sort_config_selectorIfNS0_10empty_typeEEENS1_38merge_sort_block_merge_config_selectorIfSF_EEEEvv,comdat
	.protected	_ZN7rocprim17ROCPRIM_400000_NS6detail44device_merge_sort_compile_time_verifier_archINS1_11comp_targetILNS1_3genE10ELNS1_11target_archE1200ELNS1_3gpuE4ELNS1_3repE0EEENS3_ILS4_10ELS5_1201ELS6_5ELS7_0EEENS1_28merge_sort_block_sort_configILj256ELj4ELNS0_20block_sort_algorithmE0EEENS0_14default_configENS1_37merge_sort_block_sort_config_selectorIfNS0_10empty_typeEEENS1_38merge_sort_block_merge_config_selectorIfSF_EEEEvv ; -- Begin function _ZN7rocprim17ROCPRIM_400000_NS6detail44device_merge_sort_compile_time_verifier_archINS1_11comp_targetILNS1_3genE10ELNS1_11target_archE1200ELNS1_3gpuE4ELNS1_3repE0EEENS3_ILS4_10ELS5_1201ELS6_5ELS7_0EEENS1_28merge_sort_block_sort_configILj256ELj4ELNS0_20block_sort_algorithmE0EEENS0_14default_configENS1_37merge_sort_block_sort_config_selectorIfNS0_10empty_typeEEENS1_38merge_sort_block_merge_config_selectorIfSF_EEEEvv
	.globl	_ZN7rocprim17ROCPRIM_400000_NS6detail44device_merge_sort_compile_time_verifier_archINS1_11comp_targetILNS1_3genE10ELNS1_11target_archE1200ELNS1_3gpuE4ELNS1_3repE0EEENS3_ILS4_10ELS5_1201ELS6_5ELS7_0EEENS1_28merge_sort_block_sort_configILj256ELj4ELNS0_20block_sort_algorithmE0EEENS0_14default_configENS1_37merge_sort_block_sort_config_selectorIfNS0_10empty_typeEEENS1_38merge_sort_block_merge_config_selectorIfSF_EEEEvv
	.p2align	8
	.type	_ZN7rocprim17ROCPRIM_400000_NS6detail44device_merge_sort_compile_time_verifier_archINS1_11comp_targetILNS1_3genE10ELNS1_11target_archE1200ELNS1_3gpuE4ELNS1_3repE0EEENS3_ILS4_10ELS5_1201ELS6_5ELS7_0EEENS1_28merge_sort_block_sort_configILj256ELj4ELNS0_20block_sort_algorithmE0EEENS0_14default_configENS1_37merge_sort_block_sort_config_selectorIfNS0_10empty_typeEEENS1_38merge_sort_block_merge_config_selectorIfSF_EEEEvv,@function
_ZN7rocprim17ROCPRIM_400000_NS6detail44device_merge_sort_compile_time_verifier_archINS1_11comp_targetILNS1_3genE10ELNS1_11target_archE1200ELNS1_3gpuE4ELNS1_3repE0EEENS3_ILS4_10ELS5_1201ELS6_5ELS7_0EEENS1_28merge_sort_block_sort_configILj256ELj4ELNS0_20block_sort_algorithmE0EEENS0_14default_configENS1_37merge_sort_block_sort_config_selectorIfNS0_10empty_typeEEENS1_38merge_sort_block_merge_config_selectorIfSF_EEEEvv: ; @_ZN7rocprim17ROCPRIM_400000_NS6detail44device_merge_sort_compile_time_verifier_archINS1_11comp_targetILNS1_3genE10ELNS1_11target_archE1200ELNS1_3gpuE4ELNS1_3repE0EEENS3_ILS4_10ELS5_1201ELS6_5ELS7_0EEENS1_28merge_sort_block_sort_configILj256ELj4ELNS0_20block_sort_algorithmE0EEENS0_14default_configENS1_37merge_sort_block_sort_config_selectorIfNS0_10empty_typeEEENS1_38merge_sort_block_merge_config_selectorIfSF_EEEEvv
; %bb.0:
	s_endpgm
	.section	.rodata,"a",@progbits
	.p2align	6, 0x0
	.amdhsa_kernel _ZN7rocprim17ROCPRIM_400000_NS6detail44device_merge_sort_compile_time_verifier_archINS1_11comp_targetILNS1_3genE10ELNS1_11target_archE1200ELNS1_3gpuE4ELNS1_3repE0EEENS3_ILS4_10ELS5_1201ELS6_5ELS7_0EEENS1_28merge_sort_block_sort_configILj256ELj4ELNS0_20block_sort_algorithmE0EEENS0_14default_configENS1_37merge_sort_block_sort_config_selectorIfNS0_10empty_typeEEENS1_38merge_sort_block_merge_config_selectorIfSF_EEEEvv
		.amdhsa_group_segment_fixed_size 0
		.amdhsa_private_segment_fixed_size 0
		.amdhsa_kernarg_size 0
		.amdhsa_user_sgpr_count 0
		.amdhsa_user_sgpr_dispatch_ptr 0
		.amdhsa_user_sgpr_queue_ptr 0
		.amdhsa_user_sgpr_kernarg_segment_ptr 0
		.amdhsa_user_sgpr_dispatch_id 0
		.amdhsa_user_sgpr_kernarg_preload_length 0
		.amdhsa_user_sgpr_kernarg_preload_offset 0
		.amdhsa_user_sgpr_private_segment_size 0
		.amdhsa_uses_dynamic_stack 0
		.amdhsa_enable_private_segment 0
		.amdhsa_system_sgpr_workgroup_id_x 1
		.amdhsa_system_sgpr_workgroup_id_y 0
		.amdhsa_system_sgpr_workgroup_id_z 0
		.amdhsa_system_sgpr_workgroup_info 0
		.amdhsa_system_vgpr_workitem_id 0
		.amdhsa_next_free_vgpr 1
		.amdhsa_next_free_sgpr 0
		.amdhsa_accum_offset 4
		.amdhsa_reserve_vcc 0
		.amdhsa_float_round_mode_32 0
		.amdhsa_float_round_mode_16_64 0
		.amdhsa_float_denorm_mode_32 3
		.amdhsa_float_denorm_mode_16_64 3
		.amdhsa_dx10_clamp 1
		.amdhsa_ieee_mode 1
		.amdhsa_fp16_overflow 0
		.amdhsa_tg_split 0
		.amdhsa_exception_fp_ieee_invalid_op 0
		.amdhsa_exception_fp_denorm_src 0
		.amdhsa_exception_fp_ieee_div_zero 0
		.amdhsa_exception_fp_ieee_overflow 0
		.amdhsa_exception_fp_ieee_underflow 0
		.amdhsa_exception_fp_ieee_inexact 0
		.amdhsa_exception_int_div_zero 0
	.end_amdhsa_kernel
	.section	.text._ZN7rocprim17ROCPRIM_400000_NS6detail44device_merge_sort_compile_time_verifier_archINS1_11comp_targetILNS1_3genE10ELNS1_11target_archE1200ELNS1_3gpuE4ELNS1_3repE0EEENS3_ILS4_10ELS5_1201ELS6_5ELS7_0EEENS1_28merge_sort_block_sort_configILj256ELj4ELNS0_20block_sort_algorithmE0EEENS0_14default_configENS1_37merge_sort_block_sort_config_selectorIfNS0_10empty_typeEEENS1_38merge_sort_block_merge_config_selectorIfSF_EEEEvv,"axG",@progbits,_ZN7rocprim17ROCPRIM_400000_NS6detail44device_merge_sort_compile_time_verifier_archINS1_11comp_targetILNS1_3genE10ELNS1_11target_archE1200ELNS1_3gpuE4ELNS1_3repE0EEENS3_ILS4_10ELS5_1201ELS6_5ELS7_0EEENS1_28merge_sort_block_sort_configILj256ELj4ELNS0_20block_sort_algorithmE0EEENS0_14default_configENS1_37merge_sort_block_sort_config_selectorIfNS0_10empty_typeEEENS1_38merge_sort_block_merge_config_selectorIfSF_EEEEvv,comdat
.Lfunc_end472:
	.size	_ZN7rocprim17ROCPRIM_400000_NS6detail44device_merge_sort_compile_time_verifier_archINS1_11comp_targetILNS1_3genE10ELNS1_11target_archE1200ELNS1_3gpuE4ELNS1_3repE0EEENS3_ILS4_10ELS5_1201ELS6_5ELS7_0EEENS1_28merge_sort_block_sort_configILj256ELj4ELNS0_20block_sort_algorithmE0EEENS0_14default_configENS1_37merge_sort_block_sort_config_selectorIfNS0_10empty_typeEEENS1_38merge_sort_block_merge_config_selectorIfSF_EEEEvv, .Lfunc_end472-_ZN7rocprim17ROCPRIM_400000_NS6detail44device_merge_sort_compile_time_verifier_archINS1_11comp_targetILNS1_3genE10ELNS1_11target_archE1200ELNS1_3gpuE4ELNS1_3repE0EEENS3_ILS4_10ELS5_1201ELS6_5ELS7_0EEENS1_28merge_sort_block_sort_configILj256ELj4ELNS0_20block_sort_algorithmE0EEENS0_14default_configENS1_37merge_sort_block_sort_config_selectorIfNS0_10empty_typeEEENS1_38merge_sort_block_merge_config_selectorIfSF_EEEEvv
                                        ; -- End function
	.set _ZN7rocprim17ROCPRIM_400000_NS6detail44device_merge_sort_compile_time_verifier_archINS1_11comp_targetILNS1_3genE10ELNS1_11target_archE1200ELNS1_3gpuE4ELNS1_3repE0EEENS3_ILS4_10ELS5_1201ELS6_5ELS7_0EEENS1_28merge_sort_block_sort_configILj256ELj4ELNS0_20block_sort_algorithmE0EEENS0_14default_configENS1_37merge_sort_block_sort_config_selectorIfNS0_10empty_typeEEENS1_38merge_sort_block_merge_config_selectorIfSF_EEEEvv.num_vgpr, 0
	.set _ZN7rocprim17ROCPRIM_400000_NS6detail44device_merge_sort_compile_time_verifier_archINS1_11comp_targetILNS1_3genE10ELNS1_11target_archE1200ELNS1_3gpuE4ELNS1_3repE0EEENS3_ILS4_10ELS5_1201ELS6_5ELS7_0EEENS1_28merge_sort_block_sort_configILj256ELj4ELNS0_20block_sort_algorithmE0EEENS0_14default_configENS1_37merge_sort_block_sort_config_selectorIfNS0_10empty_typeEEENS1_38merge_sort_block_merge_config_selectorIfSF_EEEEvv.num_agpr, 0
	.set _ZN7rocprim17ROCPRIM_400000_NS6detail44device_merge_sort_compile_time_verifier_archINS1_11comp_targetILNS1_3genE10ELNS1_11target_archE1200ELNS1_3gpuE4ELNS1_3repE0EEENS3_ILS4_10ELS5_1201ELS6_5ELS7_0EEENS1_28merge_sort_block_sort_configILj256ELj4ELNS0_20block_sort_algorithmE0EEENS0_14default_configENS1_37merge_sort_block_sort_config_selectorIfNS0_10empty_typeEEENS1_38merge_sort_block_merge_config_selectorIfSF_EEEEvv.numbered_sgpr, 0
	.set _ZN7rocprim17ROCPRIM_400000_NS6detail44device_merge_sort_compile_time_verifier_archINS1_11comp_targetILNS1_3genE10ELNS1_11target_archE1200ELNS1_3gpuE4ELNS1_3repE0EEENS3_ILS4_10ELS5_1201ELS6_5ELS7_0EEENS1_28merge_sort_block_sort_configILj256ELj4ELNS0_20block_sort_algorithmE0EEENS0_14default_configENS1_37merge_sort_block_sort_config_selectorIfNS0_10empty_typeEEENS1_38merge_sort_block_merge_config_selectorIfSF_EEEEvv.num_named_barrier, 0
	.set _ZN7rocprim17ROCPRIM_400000_NS6detail44device_merge_sort_compile_time_verifier_archINS1_11comp_targetILNS1_3genE10ELNS1_11target_archE1200ELNS1_3gpuE4ELNS1_3repE0EEENS3_ILS4_10ELS5_1201ELS6_5ELS7_0EEENS1_28merge_sort_block_sort_configILj256ELj4ELNS0_20block_sort_algorithmE0EEENS0_14default_configENS1_37merge_sort_block_sort_config_selectorIfNS0_10empty_typeEEENS1_38merge_sort_block_merge_config_selectorIfSF_EEEEvv.private_seg_size, 0
	.set _ZN7rocprim17ROCPRIM_400000_NS6detail44device_merge_sort_compile_time_verifier_archINS1_11comp_targetILNS1_3genE10ELNS1_11target_archE1200ELNS1_3gpuE4ELNS1_3repE0EEENS3_ILS4_10ELS5_1201ELS6_5ELS7_0EEENS1_28merge_sort_block_sort_configILj256ELj4ELNS0_20block_sort_algorithmE0EEENS0_14default_configENS1_37merge_sort_block_sort_config_selectorIfNS0_10empty_typeEEENS1_38merge_sort_block_merge_config_selectorIfSF_EEEEvv.uses_vcc, 0
	.set _ZN7rocprim17ROCPRIM_400000_NS6detail44device_merge_sort_compile_time_verifier_archINS1_11comp_targetILNS1_3genE10ELNS1_11target_archE1200ELNS1_3gpuE4ELNS1_3repE0EEENS3_ILS4_10ELS5_1201ELS6_5ELS7_0EEENS1_28merge_sort_block_sort_configILj256ELj4ELNS0_20block_sort_algorithmE0EEENS0_14default_configENS1_37merge_sort_block_sort_config_selectorIfNS0_10empty_typeEEENS1_38merge_sort_block_merge_config_selectorIfSF_EEEEvv.uses_flat_scratch, 0
	.set _ZN7rocprim17ROCPRIM_400000_NS6detail44device_merge_sort_compile_time_verifier_archINS1_11comp_targetILNS1_3genE10ELNS1_11target_archE1200ELNS1_3gpuE4ELNS1_3repE0EEENS3_ILS4_10ELS5_1201ELS6_5ELS7_0EEENS1_28merge_sort_block_sort_configILj256ELj4ELNS0_20block_sort_algorithmE0EEENS0_14default_configENS1_37merge_sort_block_sort_config_selectorIfNS0_10empty_typeEEENS1_38merge_sort_block_merge_config_selectorIfSF_EEEEvv.has_dyn_sized_stack, 0
	.set _ZN7rocprim17ROCPRIM_400000_NS6detail44device_merge_sort_compile_time_verifier_archINS1_11comp_targetILNS1_3genE10ELNS1_11target_archE1200ELNS1_3gpuE4ELNS1_3repE0EEENS3_ILS4_10ELS5_1201ELS6_5ELS7_0EEENS1_28merge_sort_block_sort_configILj256ELj4ELNS0_20block_sort_algorithmE0EEENS0_14default_configENS1_37merge_sort_block_sort_config_selectorIfNS0_10empty_typeEEENS1_38merge_sort_block_merge_config_selectorIfSF_EEEEvv.has_recursion, 0
	.set _ZN7rocprim17ROCPRIM_400000_NS6detail44device_merge_sort_compile_time_verifier_archINS1_11comp_targetILNS1_3genE10ELNS1_11target_archE1200ELNS1_3gpuE4ELNS1_3repE0EEENS3_ILS4_10ELS5_1201ELS6_5ELS7_0EEENS1_28merge_sort_block_sort_configILj256ELj4ELNS0_20block_sort_algorithmE0EEENS0_14default_configENS1_37merge_sort_block_sort_config_selectorIfNS0_10empty_typeEEENS1_38merge_sort_block_merge_config_selectorIfSF_EEEEvv.has_indirect_call, 0
	.section	.AMDGPU.csdata,"",@progbits
; Kernel info:
; codeLenInByte = 4
; TotalNumSgprs: 6
; NumVgprs: 0
; NumAgprs: 0
; TotalNumVgprs: 0
; ScratchSize: 0
; MemoryBound: 0
; FloatMode: 240
; IeeeMode: 1
; LDSByteSize: 0 bytes/workgroup (compile time only)
; SGPRBlocks: 0
; VGPRBlocks: 0
; NumSGPRsForWavesPerEU: 6
; NumVGPRsForWavesPerEU: 1
; AccumOffset: 4
; Occupancy: 8
; WaveLimiterHint : 0
; COMPUTE_PGM_RSRC2:SCRATCH_EN: 0
; COMPUTE_PGM_RSRC2:USER_SGPR: 0
; COMPUTE_PGM_RSRC2:TRAP_HANDLER: 0
; COMPUTE_PGM_RSRC2:TGID_X_EN: 1
; COMPUTE_PGM_RSRC2:TGID_Y_EN: 0
; COMPUTE_PGM_RSRC2:TGID_Z_EN: 0
; COMPUTE_PGM_RSRC2:TIDIG_COMP_CNT: 0
; COMPUTE_PGM_RSRC3_GFX90A:ACCUM_OFFSET: 0
; COMPUTE_PGM_RSRC3_GFX90A:TG_SPLIT: 0
	.section	.text._ZN7rocprim17ROCPRIM_400000_NS6detail44device_merge_sort_compile_time_verifier_archINS1_11comp_targetILNS1_3genE9ELNS1_11target_archE1100ELNS1_3gpuE3ELNS1_3repE0EEES8_NS1_28merge_sort_block_sort_configILj256ELj4ELNS0_20block_sort_algorithmE0EEENS0_14default_configENS1_37merge_sort_block_sort_config_selectorIfNS0_10empty_typeEEENS1_38merge_sort_block_merge_config_selectorIfSE_EEEEvv,"axG",@progbits,_ZN7rocprim17ROCPRIM_400000_NS6detail44device_merge_sort_compile_time_verifier_archINS1_11comp_targetILNS1_3genE9ELNS1_11target_archE1100ELNS1_3gpuE3ELNS1_3repE0EEES8_NS1_28merge_sort_block_sort_configILj256ELj4ELNS0_20block_sort_algorithmE0EEENS0_14default_configENS1_37merge_sort_block_sort_config_selectorIfNS0_10empty_typeEEENS1_38merge_sort_block_merge_config_selectorIfSE_EEEEvv,comdat
	.protected	_ZN7rocprim17ROCPRIM_400000_NS6detail44device_merge_sort_compile_time_verifier_archINS1_11comp_targetILNS1_3genE9ELNS1_11target_archE1100ELNS1_3gpuE3ELNS1_3repE0EEES8_NS1_28merge_sort_block_sort_configILj256ELj4ELNS0_20block_sort_algorithmE0EEENS0_14default_configENS1_37merge_sort_block_sort_config_selectorIfNS0_10empty_typeEEENS1_38merge_sort_block_merge_config_selectorIfSE_EEEEvv ; -- Begin function _ZN7rocprim17ROCPRIM_400000_NS6detail44device_merge_sort_compile_time_verifier_archINS1_11comp_targetILNS1_3genE9ELNS1_11target_archE1100ELNS1_3gpuE3ELNS1_3repE0EEES8_NS1_28merge_sort_block_sort_configILj256ELj4ELNS0_20block_sort_algorithmE0EEENS0_14default_configENS1_37merge_sort_block_sort_config_selectorIfNS0_10empty_typeEEENS1_38merge_sort_block_merge_config_selectorIfSE_EEEEvv
	.globl	_ZN7rocprim17ROCPRIM_400000_NS6detail44device_merge_sort_compile_time_verifier_archINS1_11comp_targetILNS1_3genE9ELNS1_11target_archE1100ELNS1_3gpuE3ELNS1_3repE0EEES8_NS1_28merge_sort_block_sort_configILj256ELj4ELNS0_20block_sort_algorithmE0EEENS0_14default_configENS1_37merge_sort_block_sort_config_selectorIfNS0_10empty_typeEEENS1_38merge_sort_block_merge_config_selectorIfSE_EEEEvv
	.p2align	8
	.type	_ZN7rocprim17ROCPRIM_400000_NS6detail44device_merge_sort_compile_time_verifier_archINS1_11comp_targetILNS1_3genE9ELNS1_11target_archE1100ELNS1_3gpuE3ELNS1_3repE0EEES8_NS1_28merge_sort_block_sort_configILj256ELj4ELNS0_20block_sort_algorithmE0EEENS0_14default_configENS1_37merge_sort_block_sort_config_selectorIfNS0_10empty_typeEEENS1_38merge_sort_block_merge_config_selectorIfSE_EEEEvv,@function
_ZN7rocprim17ROCPRIM_400000_NS6detail44device_merge_sort_compile_time_verifier_archINS1_11comp_targetILNS1_3genE9ELNS1_11target_archE1100ELNS1_3gpuE3ELNS1_3repE0EEES8_NS1_28merge_sort_block_sort_configILj256ELj4ELNS0_20block_sort_algorithmE0EEENS0_14default_configENS1_37merge_sort_block_sort_config_selectorIfNS0_10empty_typeEEENS1_38merge_sort_block_merge_config_selectorIfSE_EEEEvv: ; @_ZN7rocprim17ROCPRIM_400000_NS6detail44device_merge_sort_compile_time_verifier_archINS1_11comp_targetILNS1_3genE9ELNS1_11target_archE1100ELNS1_3gpuE3ELNS1_3repE0EEES8_NS1_28merge_sort_block_sort_configILj256ELj4ELNS0_20block_sort_algorithmE0EEENS0_14default_configENS1_37merge_sort_block_sort_config_selectorIfNS0_10empty_typeEEENS1_38merge_sort_block_merge_config_selectorIfSE_EEEEvv
; %bb.0:
	s_endpgm
	.section	.rodata,"a",@progbits
	.p2align	6, 0x0
	.amdhsa_kernel _ZN7rocprim17ROCPRIM_400000_NS6detail44device_merge_sort_compile_time_verifier_archINS1_11comp_targetILNS1_3genE9ELNS1_11target_archE1100ELNS1_3gpuE3ELNS1_3repE0EEES8_NS1_28merge_sort_block_sort_configILj256ELj4ELNS0_20block_sort_algorithmE0EEENS0_14default_configENS1_37merge_sort_block_sort_config_selectorIfNS0_10empty_typeEEENS1_38merge_sort_block_merge_config_selectorIfSE_EEEEvv
		.amdhsa_group_segment_fixed_size 0
		.amdhsa_private_segment_fixed_size 0
		.amdhsa_kernarg_size 0
		.amdhsa_user_sgpr_count 0
		.amdhsa_user_sgpr_dispatch_ptr 0
		.amdhsa_user_sgpr_queue_ptr 0
		.amdhsa_user_sgpr_kernarg_segment_ptr 0
		.amdhsa_user_sgpr_dispatch_id 0
		.amdhsa_user_sgpr_kernarg_preload_length 0
		.amdhsa_user_sgpr_kernarg_preload_offset 0
		.amdhsa_user_sgpr_private_segment_size 0
		.amdhsa_uses_dynamic_stack 0
		.amdhsa_enable_private_segment 0
		.amdhsa_system_sgpr_workgroup_id_x 1
		.amdhsa_system_sgpr_workgroup_id_y 0
		.amdhsa_system_sgpr_workgroup_id_z 0
		.amdhsa_system_sgpr_workgroup_info 0
		.amdhsa_system_vgpr_workitem_id 0
		.amdhsa_next_free_vgpr 1
		.amdhsa_next_free_sgpr 0
		.amdhsa_accum_offset 4
		.amdhsa_reserve_vcc 0
		.amdhsa_float_round_mode_32 0
		.amdhsa_float_round_mode_16_64 0
		.amdhsa_float_denorm_mode_32 3
		.amdhsa_float_denorm_mode_16_64 3
		.amdhsa_dx10_clamp 1
		.amdhsa_ieee_mode 1
		.amdhsa_fp16_overflow 0
		.amdhsa_tg_split 0
		.amdhsa_exception_fp_ieee_invalid_op 0
		.amdhsa_exception_fp_denorm_src 0
		.amdhsa_exception_fp_ieee_div_zero 0
		.amdhsa_exception_fp_ieee_overflow 0
		.amdhsa_exception_fp_ieee_underflow 0
		.amdhsa_exception_fp_ieee_inexact 0
		.amdhsa_exception_int_div_zero 0
	.end_amdhsa_kernel
	.section	.text._ZN7rocprim17ROCPRIM_400000_NS6detail44device_merge_sort_compile_time_verifier_archINS1_11comp_targetILNS1_3genE9ELNS1_11target_archE1100ELNS1_3gpuE3ELNS1_3repE0EEES8_NS1_28merge_sort_block_sort_configILj256ELj4ELNS0_20block_sort_algorithmE0EEENS0_14default_configENS1_37merge_sort_block_sort_config_selectorIfNS0_10empty_typeEEENS1_38merge_sort_block_merge_config_selectorIfSE_EEEEvv,"axG",@progbits,_ZN7rocprim17ROCPRIM_400000_NS6detail44device_merge_sort_compile_time_verifier_archINS1_11comp_targetILNS1_3genE9ELNS1_11target_archE1100ELNS1_3gpuE3ELNS1_3repE0EEES8_NS1_28merge_sort_block_sort_configILj256ELj4ELNS0_20block_sort_algorithmE0EEENS0_14default_configENS1_37merge_sort_block_sort_config_selectorIfNS0_10empty_typeEEENS1_38merge_sort_block_merge_config_selectorIfSE_EEEEvv,comdat
.Lfunc_end473:
	.size	_ZN7rocprim17ROCPRIM_400000_NS6detail44device_merge_sort_compile_time_verifier_archINS1_11comp_targetILNS1_3genE9ELNS1_11target_archE1100ELNS1_3gpuE3ELNS1_3repE0EEES8_NS1_28merge_sort_block_sort_configILj256ELj4ELNS0_20block_sort_algorithmE0EEENS0_14default_configENS1_37merge_sort_block_sort_config_selectorIfNS0_10empty_typeEEENS1_38merge_sort_block_merge_config_selectorIfSE_EEEEvv, .Lfunc_end473-_ZN7rocprim17ROCPRIM_400000_NS6detail44device_merge_sort_compile_time_verifier_archINS1_11comp_targetILNS1_3genE9ELNS1_11target_archE1100ELNS1_3gpuE3ELNS1_3repE0EEES8_NS1_28merge_sort_block_sort_configILj256ELj4ELNS0_20block_sort_algorithmE0EEENS0_14default_configENS1_37merge_sort_block_sort_config_selectorIfNS0_10empty_typeEEENS1_38merge_sort_block_merge_config_selectorIfSE_EEEEvv
                                        ; -- End function
	.set _ZN7rocprim17ROCPRIM_400000_NS6detail44device_merge_sort_compile_time_verifier_archINS1_11comp_targetILNS1_3genE9ELNS1_11target_archE1100ELNS1_3gpuE3ELNS1_3repE0EEES8_NS1_28merge_sort_block_sort_configILj256ELj4ELNS0_20block_sort_algorithmE0EEENS0_14default_configENS1_37merge_sort_block_sort_config_selectorIfNS0_10empty_typeEEENS1_38merge_sort_block_merge_config_selectorIfSE_EEEEvv.num_vgpr, 0
	.set _ZN7rocprim17ROCPRIM_400000_NS6detail44device_merge_sort_compile_time_verifier_archINS1_11comp_targetILNS1_3genE9ELNS1_11target_archE1100ELNS1_3gpuE3ELNS1_3repE0EEES8_NS1_28merge_sort_block_sort_configILj256ELj4ELNS0_20block_sort_algorithmE0EEENS0_14default_configENS1_37merge_sort_block_sort_config_selectorIfNS0_10empty_typeEEENS1_38merge_sort_block_merge_config_selectorIfSE_EEEEvv.num_agpr, 0
	.set _ZN7rocprim17ROCPRIM_400000_NS6detail44device_merge_sort_compile_time_verifier_archINS1_11comp_targetILNS1_3genE9ELNS1_11target_archE1100ELNS1_3gpuE3ELNS1_3repE0EEES8_NS1_28merge_sort_block_sort_configILj256ELj4ELNS0_20block_sort_algorithmE0EEENS0_14default_configENS1_37merge_sort_block_sort_config_selectorIfNS0_10empty_typeEEENS1_38merge_sort_block_merge_config_selectorIfSE_EEEEvv.numbered_sgpr, 0
	.set _ZN7rocprim17ROCPRIM_400000_NS6detail44device_merge_sort_compile_time_verifier_archINS1_11comp_targetILNS1_3genE9ELNS1_11target_archE1100ELNS1_3gpuE3ELNS1_3repE0EEES8_NS1_28merge_sort_block_sort_configILj256ELj4ELNS0_20block_sort_algorithmE0EEENS0_14default_configENS1_37merge_sort_block_sort_config_selectorIfNS0_10empty_typeEEENS1_38merge_sort_block_merge_config_selectorIfSE_EEEEvv.num_named_barrier, 0
	.set _ZN7rocprim17ROCPRIM_400000_NS6detail44device_merge_sort_compile_time_verifier_archINS1_11comp_targetILNS1_3genE9ELNS1_11target_archE1100ELNS1_3gpuE3ELNS1_3repE0EEES8_NS1_28merge_sort_block_sort_configILj256ELj4ELNS0_20block_sort_algorithmE0EEENS0_14default_configENS1_37merge_sort_block_sort_config_selectorIfNS0_10empty_typeEEENS1_38merge_sort_block_merge_config_selectorIfSE_EEEEvv.private_seg_size, 0
	.set _ZN7rocprim17ROCPRIM_400000_NS6detail44device_merge_sort_compile_time_verifier_archINS1_11comp_targetILNS1_3genE9ELNS1_11target_archE1100ELNS1_3gpuE3ELNS1_3repE0EEES8_NS1_28merge_sort_block_sort_configILj256ELj4ELNS0_20block_sort_algorithmE0EEENS0_14default_configENS1_37merge_sort_block_sort_config_selectorIfNS0_10empty_typeEEENS1_38merge_sort_block_merge_config_selectorIfSE_EEEEvv.uses_vcc, 0
	.set _ZN7rocprim17ROCPRIM_400000_NS6detail44device_merge_sort_compile_time_verifier_archINS1_11comp_targetILNS1_3genE9ELNS1_11target_archE1100ELNS1_3gpuE3ELNS1_3repE0EEES8_NS1_28merge_sort_block_sort_configILj256ELj4ELNS0_20block_sort_algorithmE0EEENS0_14default_configENS1_37merge_sort_block_sort_config_selectorIfNS0_10empty_typeEEENS1_38merge_sort_block_merge_config_selectorIfSE_EEEEvv.uses_flat_scratch, 0
	.set _ZN7rocprim17ROCPRIM_400000_NS6detail44device_merge_sort_compile_time_verifier_archINS1_11comp_targetILNS1_3genE9ELNS1_11target_archE1100ELNS1_3gpuE3ELNS1_3repE0EEES8_NS1_28merge_sort_block_sort_configILj256ELj4ELNS0_20block_sort_algorithmE0EEENS0_14default_configENS1_37merge_sort_block_sort_config_selectorIfNS0_10empty_typeEEENS1_38merge_sort_block_merge_config_selectorIfSE_EEEEvv.has_dyn_sized_stack, 0
	.set _ZN7rocprim17ROCPRIM_400000_NS6detail44device_merge_sort_compile_time_verifier_archINS1_11comp_targetILNS1_3genE9ELNS1_11target_archE1100ELNS1_3gpuE3ELNS1_3repE0EEES8_NS1_28merge_sort_block_sort_configILj256ELj4ELNS0_20block_sort_algorithmE0EEENS0_14default_configENS1_37merge_sort_block_sort_config_selectorIfNS0_10empty_typeEEENS1_38merge_sort_block_merge_config_selectorIfSE_EEEEvv.has_recursion, 0
	.set _ZN7rocprim17ROCPRIM_400000_NS6detail44device_merge_sort_compile_time_verifier_archINS1_11comp_targetILNS1_3genE9ELNS1_11target_archE1100ELNS1_3gpuE3ELNS1_3repE0EEES8_NS1_28merge_sort_block_sort_configILj256ELj4ELNS0_20block_sort_algorithmE0EEENS0_14default_configENS1_37merge_sort_block_sort_config_selectorIfNS0_10empty_typeEEENS1_38merge_sort_block_merge_config_selectorIfSE_EEEEvv.has_indirect_call, 0
	.section	.AMDGPU.csdata,"",@progbits
; Kernel info:
; codeLenInByte = 4
; TotalNumSgprs: 6
; NumVgprs: 0
; NumAgprs: 0
; TotalNumVgprs: 0
; ScratchSize: 0
; MemoryBound: 0
; FloatMode: 240
; IeeeMode: 1
; LDSByteSize: 0 bytes/workgroup (compile time only)
; SGPRBlocks: 0
; VGPRBlocks: 0
; NumSGPRsForWavesPerEU: 6
; NumVGPRsForWavesPerEU: 1
; AccumOffset: 4
; Occupancy: 8
; WaveLimiterHint : 0
; COMPUTE_PGM_RSRC2:SCRATCH_EN: 0
; COMPUTE_PGM_RSRC2:USER_SGPR: 0
; COMPUTE_PGM_RSRC2:TRAP_HANDLER: 0
; COMPUTE_PGM_RSRC2:TGID_X_EN: 1
; COMPUTE_PGM_RSRC2:TGID_Y_EN: 0
; COMPUTE_PGM_RSRC2:TGID_Z_EN: 0
; COMPUTE_PGM_RSRC2:TIDIG_COMP_CNT: 0
; COMPUTE_PGM_RSRC3_GFX90A:ACCUM_OFFSET: 0
; COMPUTE_PGM_RSRC3_GFX90A:TG_SPLIT: 0
	.section	.text._ZN7rocprim17ROCPRIM_400000_NS6detail44device_merge_sort_compile_time_verifier_archINS1_11comp_targetILNS1_3genE8ELNS1_11target_archE1030ELNS1_3gpuE2ELNS1_3repE0EEES8_NS1_28merge_sort_block_sort_configILj256ELj4ELNS0_20block_sort_algorithmE0EEENS0_14default_configENS1_37merge_sort_block_sort_config_selectorIfNS0_10empty_typeEEENS1_38merge_sort_block_merge_config_selectorIfSE_EEEEvv,"axG",@progbits,_ZN7rocprim17ROCPRIM_400000_NS6detail44device_merge_sort_compile_time_verifier_archINS1_11comp_targetILNS1_3genE8ELNS1_11target_archE1030ELNS1_3gpuE2ELNS1_3repE0EEES8_NS1_28merge_sort_block_sort_configILj256ELj4ELNS0_20block_sort_algorithmE0EEENS0_14default_configENS1_37merge_sort_block_sort_config_selectorIfNS0_10empty_typeEEENS1_38merge_sort_block_merge_config_selectorIfSE_EEEEvv,comdat
	.protected	_ZN7rocprim17ROCPRIM_400000_NS6detail44device_merge_sort_compile_time_verifier_archINS1_11comp_targetILNS1_3genE8ELNS1_11target_archE1030ELNS1_3gpuE2ELNS1_3repE0EEES8_NS1_28merge_sort_block_sort_configILj256ELj4ELNS0_20block_sort_algorithmE0EEENS0_14default_configENS1_37merge_sort_block_sort_config_selectorIfNS0_10empty_typeEEENS1_38merge_sort_block_merge_config_selectorIfSE_EEEEvv ; -- Begin function _ZN7rocprim17ROCPRIM_400000_NS6detail44device_merge_sort_compile_time_verifier_archINS1_11comp_targetILNS1_3genE8ELNS1_11target_archE1030ELNS1_3gpuE2ELNS1_3repE0EEES8_NS1_28merge_sort_block_sort_configILj256ELj4ELNS0_20block_sort_algorithmE0EEENS0_14default_configENS1_37merge_sort_block_sort_config_selectorIfNS0_10empty_typeEEENS1_38merge_sort_block_merge_config_selectorIfSE_EEEEvv
	.globl	_ZN7rocprim17ROCPRIM_400000_NS6detail44device_merge_sort_compile_time_verifier_archINS1_11comp_targetILNS1_3genE8ELNS1_11target_archE1030ELNS1_3gpuE2ELNS1_3repE0EEES8_NS1_28merge_sort_block_sort_configILj256ELj4ELNS0_20block_sort_algorithmE0EEENS0_14default_configENS1_37merge_sort_block_sort_config_selectorIfNS0_10empty_typeEEENS1_38merge_sort_block_merge_config_selectorIfSE_EEEEvv
	.p2align	8
	.type	_ZN7rocprim17ROCPRIM_400000_NS6detail44device_merge_sort_compile_time_verifier_archINS1_11comp_targetILNS1_3genE8ELNS1_11target_archE1030ELNS1_3gpuE2ELNS1_3repE0EEES8_NS1_28merge_sort_block_sort_configILj256ELj4ELNS0_20block_sort_algorithmE0EEENS0_14default_configENS1_37merge_sort_block_sort_config_selectorIfNS0_10empty_typeEEENS1_38merge_sort_block_merge_config_selectorIfSE_EEEEvv,@function
_ZN7rocprim17ROCPRIM_400000_NS6detail44device_merge_sort_compile_time_verifier_archINS1_11comp_targetILNS1_3genE8ELNS1_11target_archE1030ELNS1_3gpuE2ELNS1_3repE0EEES8_NS1_28merge_sort_block_sort_configILj256ELj4ELNS0_20block_sort_algorithmE0EEENS0_14default_configENS1_37merge_sort_block_sort_config_selectorIfNS0_10empty_typeEEENS1_38merge_sort_block_merge_config_selectorIfSE_EEEEvv: ; @_ZN7rocprim17ROCPRIM_400000_NS6detail44device_merge_sort_compile_time_verifier_archINS1_11comp_targetILNS1_3genE8ELNS1_11target_archE1030ELNS1_3gpuE2ELNS1_3repE0EEES8_NS1_28merge_sort_block_sort_configILj256ELj4ELNS0_20block_sort_algorithmE0EEENS0_14default_configENS1_37merge_sort_block_sort_config_selectorIfNS0_10empty_typeEEENS1_38merge_sort_block_merge_config_selectorIfSE_EEEEvv
; %bb.0:
	s_endpgm
	.section	.rodata,"a",@progbits
	.p2align	6, 0x0
	.amdhsa_kernel _ZN7rocprim17ROCPRIM_400000_NS6detail44device_merge_sort_compile_time_verifier_archINS1_11comp_targetILNS1_3genE8ELNS1_11target_archE1030ELNS1_3gpuE2ELNS1_3repE0EEES8_NS1_28merge_sort_block_sort_configILj256ELj4ELNS0_20block_sort_algorithmE0EEENS0_14default_configENS1_37merge_sort_block_sort_config_selectorIfNS0_10empty_typeEEENS1_38merge_sort_block_merge_config_selectorIfSE_EEEEvv
		.amdhsa_group_segment_fixed_size 0
		.amdhsa_private_segment_fixed_size 0
		.amdhsa_kernarg_size 0
		.amdhsa_user_sgpr_count 0
		.amdhsa_user_sgpr_dispatch_ptr 0
		.amdhsa_user_sgpr_queue_ptr 0
		.amdhsa_user_sgpr_kernarg_segment_ptr 0
		.amdhsa_user_sgpr_dispatch_id 0
		.amdhsa_user_sgpr_kernarg_preload_length 0
		.amdhsa_user_sgpr_kernarg_preload_offset 0
		.amdhsa_user_sgpr_private_segment_size 0
		.amdhsa_uses_dynamic_stack 0
		.amdhsa_enable_private_segment 0
		.amdhsa_system_sgpr_workgroup_id_x 1
		.amdhsa_system_sgpr_workgroup_id_y 0
		.amdhsa_system_sgpr_workgroup_id_z 0
		.amdhsa_system_sgpr_workgroup_info 0
		.amdhsa_system_vgpr_workitem_id 0
		.amdhsa_next_free_vgpr 1
		.amdhsa_next_free_sgpr 0
		.amdhsa_accum_offset 4
		.amdhsa_reserve_vcc 0
		.amdhsa_float_round_mode_32 0
		.amdhsa_float_round_mode_16_64 0
		.amdhsa_float_denorm_mode_32 3
		.amdhsa_float_denorm_mode_16_64 3
		.amdhsa_dx10_clamp 1
		.amdhsa_ieee_mode 1
		.amdhsa_fp16_overflow 0
		.amdhsa_tg_split 0
		.amdhsa_exception_fp_ieee_invalid_op 0
		.amdhsa_exception_fp_denorm_src 0
		.amdhsa_exception_fp_ieee_div_zero 0
		.amdhsa_exception_fp_ieee_overflow 0
		.amdhsa_exception_fp_ieee_underflow 0
		.amdhsa_exception_fp_ieee_inexact 0
		.amdhsa_exception_int_div_zero 0
	.end_amdhsa_kernel
	.section	.text._ZN7rocprim17ROCPRIM_400000_NS6detail44device_merge_sort_compile_time_verifier_archINS1_11comp_targetILNS1_3genE8ELNS1_11target_archE1030ELNS1_3gpuE2ELNS1_3repE0EEES8_NS1_28merge_sort_block_sort_configILj256ELj4ELNS0_20block_sort_algorithmE0EEENS0_14default_configENS1_37merge_sort_block_sort_config_selectorIfNS0_10empty_typeEEENS1_38merge_sort_block_merge_config_selectorIfSE_EEEEvv,"axG",@progbits,_ZN7rocprim17ROCPRIM_400000_NS6detail44device_merge_sort_compile_time_verifier_archINS1_11comp_targetILNS1_3genE8ELNS1_11target_archE1030ELNS1_3gpuE2ELNS1_3repE0EEES8_NS1_28merge_sort_block_sort_configILj256ELj4ELNS0_20block_sort_algorithmE0EEENS0_14default_configENS1_37merge_sort_block_sort_config_selectorIfNS0_10empty_typeEEENS1_38merge_sort_block_merge_config_selectorIfSE_EEEEvv,comdat
.Lfunc_end474:
	.size	_ZN7rocprim17ROCPRIM_400000_NS6detail44device_merge_sort_compile_time_verifier_archINS1_11comp_targetILNS1_3genE8ELNS1_11target_archE1030ELNS1_3gpuE2ELNS1_3repE0EEES8_NS1_28merge_sort_block_sort_configILj256ELj4ELNS0_20block_sort_algorithmE0EEENS0_14default_configENS1_37merge_sort_block_sort_config_selectorIfNS0_10empty_typeEEENS1_38merge_sort_block_merge_config_selectorIfSE_EEEEvv, .Lfunc_end474-_ZN7rocprim17ROCPRIM_400000_NS6detail44device_merge_sort_compile_time_verifier_archINS1_11comp_targetILNS1_3genE8ELNS1_11target_archE1030ELNS1_3gpuE2ELNS1_3repE0EEES8_NS1_28merge_sort_block_sort_configILj256ELj4ELNS0_20block_sort_algorithmE0EEENS0_14default_configENS1_37merge_sort_block_sort_config_selectorIfNS0_10empty_typeEEENS1_38merge_sort_block_merge_config_selectorIfSE_EEEEvv
                                        ; -- End function
	.set _ZN7rocprim17ROCPRIM_400000_NS6detail44device_merge_sort_compile_time_verifier_archINS1_11comp_targetILNS1_3genE8ELNS1_11target_archE1030ELNS1_3gpuE2ELNS1_3repE0EEES8_NS1_28merge_sort_block_sort_configILj256ELj4ELNS0_20block_sort_algorithmE0EEENS0_14default_configENS1_37merge_sort_block_sort_config_selectorIfNS0_10empty_typeEEENS1_38merge_sort_block_merge_config_selectorIfSE_EEEEvv.num_vgpr, 0
	.set _ZN7rocprim17ROCPRIM_400000_NS6detail44device_merge_sort_compile_time_verifier_archINS1_11comp_targetILNS1_3genE8ELNS1_11target_archE1030ELNS1_3gpuE2ELNS1_3repE0EEES8_NS1_28merge_sort_block_sort_configILj256ELj4ELNS0_20block_sort_algorithmE0EEENS0_14default_configENS1_37merge_sort_block_sort_config_selectorIfNS0_10empty_typeEEENS1_38merge_sort_block_merge_config_selectorIfSE_EEEEvv.num_agpr, 0
	.set _ZN7rocprim17ROCPRIM_400000_NS6detail44device_merge_sort_compile_time_verifier_archINS1_11comp_targetILNS1_3genE8ELNS1_11target_archE1030ELNS1_3gpuE2ELNS1_3repE0EEES8_NS1_28merge_sort_block_sort_configILj256ELj4ELNS0_20block_sort_algorithmE0EEENS0_14default_configENS1_37merge_sort_block_sort_config_selectorIfNS0_10empty_typeEEENS1_38merge_sort_block_merge_config_selectorIfSE_EEEEvv.numbered_sgpr, 0
	.set _ZN7rocprim17ROCPRIM_400000_NS6detail44device_merge_sort_compile_time_verifier_archINS1_11comp_targetILNS1_3genE8ELNS1_11target_archE1030ELNS1_3gpuE2ELNS1_3repE0EEES8_NS1_28merge_sort_block_sort_configILj256ELj4ELNS0_20block_sort_algorithmE0EEENS0_14default_configENS1_37merge_sort_block_sort_config_selectorIfNS0_10empty_typeEEENS1_38merge_sort_block_merge_config_selectorIfSE_EEEEvv.num_named_barrier, 0
	.set _ZN7rocprim17ROCPRIM_400000_NS6detail44device_merge_sort_compile_time_verifier_archINS1_11comp_targetILNS1_3genE8ELNS1_11target_archE1030ELNS1_3gpuE2ELNS1_3repE0EEES8_NS1_28merge_sort_block_sort_configILj256ELj4ELNS0_20block_sort_algorithmE0EEENS0_14default_configENS1_37merge_sort_block_sort_config_selectorIfNS0_10empty_typeEEENS1_38merge_sort_block_merge_config_selectorIfSE_EEEEvv.private_seg_size, 0
	.set _ZN7rocprim17ROCPRIM_400000_NS6detail44device_merge_sort_compile_time_verifier_archINS1_11comp_targetILNS1_3genE8ELNS1_11target_archE1030ELNS1_3gpuE2ELNS1_3repE0EEES8_NS1_28merge_sort_block_sort_configILj256ELj4ELNS0_20block_sort_algorithmE0EEENS0_14default_configENS1_37merge_sort_block_sort_config_selectorIfNS0_10empty_typeEEENS1_38merge_sort_block_merge_config_selectorIfSE_EEEEvv.uses_vcc, 0
	.set _ZN7rocprim17ROCPRIM_400000_NS6detail44device_merge_sort_compile_time_verifier_archINS1_11comp_targetILNS1_3genE8ELNS1_11target_archE1030ELNS1_3gpuE2ELNS1_3repE0EEES8_NS1_28merge_sort_block_sort_configILj256ELj4ELNS0_20block_sort_algorithmE0EEENS0_14default_configENS1_37merge_sort_block_sort_config_selectorIfNS0_10empty_typeEEENS1_38merge_sort_block_merge_config_selectorIfSE_EEEEvv.uses_flat_scratch, 0
	.set _ZN7rocprim17ROCPRIM_400000_NS6detail44device_merge_sort_compile_time_verifier_archINS1_11comp_targetILNS1_3genE8ELNS1_11target_archE1030ELNS1_3gpuE2ELNS1_3repE0EEES8_NS1_28merge_sort_block_sort_configILj256ELj4ELNS0_20block_sort_algorithmE0EEENS0_14default_configENS1_37merge_sort_block_sort_config_selectorIfNS0_10empty_typeEEENS1_38merge_sort_block_merge_config_selectorIfSE_EEEEvv.has_dyn_sized_stack, 0
	.set _ZN7rocprim17ROCPRIM_400000_NS6detail44device_merge_sort_compile_time_verifier_archINS1_11comp_targetILNS1_3genE8ELNS1_11target_archE1030ELNS1_3gpuE2ELNS1_3repE0EEES8_NS1_28merge_sort_block_sort_configILj256ELj4ELNS0_20block_sort_algorithmE0EEENS0_14default_configENS1_37merge_sort_block_sort_config_selectorIfNS0_10empty_typeEEENS1_38merge_sort_block_merge_config_selectorIfSE_EEEEvv.has_recursion, 0
	.set _ZN7rocprim17ROCPRIM_400000_NS6detail44device_merge_sort_compile_time_verifier_archINS1_11comp_targetILNS1_3genE8ELNS1_11target_archE1030ELNS1_3gpuE2ELNS1_3repE0EEES8_NS1_28merge_sort_block_sort_configILj256ELj4ELNS0_20block_sort_algorithmE0EEENS0_14default_configENS1_37merge_sort_block_sort_config_selectorIfNS0_10empty_typeEEENS1_38merge_sort_block_merge_config_selectorIfSE_EEEEvv.has_indirect_call, 0
	.section	.AMDGPU.csdata,"",@progbits
; Kernel info:
; codeLenInByte = 4
; TotalNumSgprs: 6
; NumVgprs: 0
; NumAgprs: 0
; TotalNumVgprs: 0
; ScratchSize: 0
; MemoryBound: 0
; FloatMode: 240
; IeeeMode: 1
; LDSByteSize: 0 bytes/workgroup (compile time only)
; SGPRBlocks: 0
; VGPRBlocks: 0
; NumSGPRsForWavesPerEU: 6
; NumVGPRsForWavesPerEU: 1
; AccumOffset: 4
; Occupancy: 8
; WaveLimiterHint : 0
; COMPUTE_PGM_RSRC2:SCRATCH_EN: 0
; COMPUTE_PGM_RSRC2:USER_SGPR: 0
; COMPUTE_PGM_RSRC2:TRAP_HANDLER: 0
; COMPUTE_PGM_RSRC2:TGID_X_EN: 1
; COMPUTE_PGM_RSRC2:TGID_Y_EN: 0
; COMPUTE_PGM_RSRC2:TGID_Z_EN: 0
; COMPUTE_PGM_RSRC2:TIDIG_COMP_CNT: 0
; COMPUTE_PGM_RSRC3_GFX90A:ACCUM_OFFSET: 0
; COMPUTE_PGM_RSRC3_GFX90A:TG_SPLIT: 0
	.section	.text._ZN7rocprim17ROCPRIM_400000_NS6detail17trampoline_kernelINS0_14default_configENS1_38merge_sort_block_merge_config_selectorIfNS0_10empty_typeEEEZZNS1_27merge_sort_block_merge_implIS3_N6thrust23THRUST_200600_302600_NS6detail15normal_iteratorINS9_10device_ptrIfEEEEPS5_jNS1_19radix_merge_compareILb0ELb0EfNS0_19identity_decomposerEEEEE10hipError_tT0_T1_T2_jT3_P12ihipStream_tbPNSt15iterator_traitsISK_E10value_typeEPNSQ_ISL_E10value_typeEPSM_NS1_7vsmem_tEENKUlT_SK_SL_SM_E_clIPfSE_SF_SF_EESJ_SZ_SK_SL_SM_EUlSZ_E_NS1_11comp_targetILNS1_3genE0ELNS1_11target_archE4294967295ELNS1_3gpuE0ELNS1_3repE0EEENS1_48merge_mergepath_partition_config_static_selectorELNS0_4arch9wavefront6targetE1EEEvSL_,"axG",@progbits,_ZN7rocprim17ROCPRIM_400000_NS6detail17trampoline_kernelINS0_14default_configENS1_38merge_sort_block_merge_config_selectorIfNS0_10empty_typeEEEZZNS1_27merge_sort_block_merge_implIS3_N6thrust23THRUST_200600_302600_NS6detail15normal_iteratorINS9_10device_ptrIfEEEEPS5_jNS1_19radix_merge_compareILb0ELb0EfNS0_19identity_decomposerEEEEE10hipError_tT0_T1_T2_jT3_P12ihipStream_tbPNSt15iterator_traitsISK_E10value_typeEPNSQ_ISL_E10value_typeEPSM_NS1_7vsmem_tEENKUlT_SK_SL_SM_E_clIPfSE_SF_SF_EESJ_SZ_SK_SL_SM_EUlSZ_E_NS1_11comp_targetILNS1_3genE0ELNS1_11target_archE4294967295ELNS1_3gpuE0ELNS1_3repE0EEENS1_48merge_mergepath_partition_config_static_selectorELNS0_4arch9wavefront6targetE1EEEvSL_,comdat
	.protected	_ZN7rocprim17ROCPRIM_400000_NS6detail17trampoline_kernelINS0_14default_configENS1_38merge_sort_block_merge_config_selectorIfNS0_10empty_typeEEEZZNS1_27merge_sort_block_merge_implIS3_N6thrust23THRUST_200600_302600_NS6detail15normal_iteratorINS9_10device_ptrIfEEEEPS5_jNS1_19radix_merge_compareILb0ELb0EfNS0_19identity_decomposerEEEEE10hipError_tT0_T1_T2_jT3_P12ihipStream_tbPNSt15iterator_traitsISK_E10value_typeEPNSQ_ISL_E10value_typeEPSM_NS1_7vsmem_tEENKUlT_SK_SL_SM_E_clIPfSE_SF_SF_EESJ_SZ_SK_SL_SM_EUlSZ_E_NS1_11comp_targetILNS1_3genE0ELNS1_11target_archE4294967295ELNS1_3gpuE0ELNS1_3repE0EEENS1_48merge_mergepath_partition_config_static_selectorELNS0_4arch9wavefront6targetE1EEEvSL_ ; -- Begin function _ZN7rocprim17ROCPRIM_400000_NS6detail17trampoline_kernelINS0_14default_configENS1_38merge_sort_block_merge_config_selectorIfNS0_10empty_typeEEEZZNS1_27merge_sort_block_merge_implIS3_N6thrust23THRUST_200600_302600_NS6detail15normal_iteratorINS9_10device_ptrIfEEEEPS5_jNS1_19radix_merge_compareILb0ELb0EfNS0_19identity_decomposerEEEEE10hipError_tT0_T1_T2_jT3_P12ihipStream_tbPNSt15iterator_traitsISK_E10value_typeEPNSQ_ISL_E10value_typeEPSM_NS1_7vsmem_tEENKUlT_SK_SL_SM_E_clIPfSE_SF_SF_EESJ_SZ_SK_SL_SM_EUlSZ_E_NS1_11comp_targetILNS1_3genE0ELNS1_11target_archE4294967295ELNS1_3gpuE0ELNS1_3repE0EEENS1_48merge_mergepath_partition_config_static_selectorELNS0_4arch9wavefront6targetE1EEEvSL_
	.globl	_ZN7rocprim17ROCPRIM_400000_NS6detail17trampoline_kernelINS0_14default_configENS1_38merge_sort_block_merge_config_selectorIfNS0_10empty_typeEEEZZNS1_27merge_sort_block_merge_implIS3_N6thrust23THRUST_200600_302600_NS6detail15normal_iteratorINS9_10device_ptrIfEEEEPS5_jNS1_19radix_merge_compareILb0ELb0EfNS0_19identity_decomposerEEEEE10hipError_tT0_T1_T2_jT3_P12ihipStream_tbPNSt15iterator_traitsISK_E10value_typeEPNSQ_ISL_E10value_typeEPSM_NS1_7vsmem_tEENKUlT_SK_SL_SM_E_clIPfSE_SF_SF_EESJ_SZ_SK_SL_SM_EUlSZ_E_NS1_11comp_targetILNS1_3genE0ELNS1_11target_archE4294967295ELNS1_3gpuE0ELNS1_3repE0EEENS1_48merge_mergepath_partition_config_static_selectorELNS0_4arch9wavefront6targetE1EEEvSL_
	.p2align	8
	.type	_ZN7rocprim17ROCPRIM_400000_NS6detail17trampoline_kernelINS0_14default_configENS1_38merge_sort_block_merge_config_selectorIfNS0_10empty_typeEEEZZNS1_27merge_sort_block_merge_implIS3_N6thrust23THRUST_200600_302600_NS6detail15normal_iteratorINS9_10device_ptrIfEEEEPS5_jNS1_19radix_merge_compareILb0ELb0EfNS0_19identity_decomposerEEEEE10hipError_tT0_T1_T2_jT3_P12ihipStream_tbPNSt15iterator_traitsISK_E10value_typeEPNSQ_ISL_E10value_typeEPSM_NS1_7vsmem_tEENKUlT_SK_SL_SM_E_clIPfSE_SF_SF_EESJ_SZ_SK_SL_SM_EUlSZ_E_NS1_11comp_targetILNS1_3genE0ELNS1_11target_archE4294967295ELNS1_3gpuE0ELNS1_3repE0EEENS1_48merge_mergepath_partition_config_static_selectorELNS0_4arch9wavefront6targetE1EEEvSL_,@function
_ZN7rocprim17ROCPRIM_400000_NS6detail17trampoline_kernelINS0_14default_configENS1_38merge_sort_block_merge_config_selectorIfNS0_10empty_typeEEEZZNS1_27merge_sort_block_merge_implIS3_N6thrust23THRUST_200600_302600_NS6detail15normal_iteratorINS9_10device_ptrIfEEEEPS5_jNS1_19radix_merge_compareILb0ELb0EfNS0_19identity_decomposerEEEEE10hipError_tT0_T1_T2_jT3_P12ihipStream_tbPNSt15iterator_traitsISK_E10value_typeEPNSQ_ISL_E10value_typeEPSM_NS1_7vsmem_tEENKUlT_SK_SL_SM_E_clIPfSE_SF_SF_EESJ_SZ_SK_SL_SM_EUlSZ_E_NS1_11comp_targetILNS1_3genE0ELNS1_11target_archE4294967295ELNS1_3gpuE0ELNS1_3repE0EEENS1_48merge_mergepath_partition_config_static_selectorELNS0_4arch9wavefront6targetE1EEEvSL_: ; @_ZN7rocprim17ROCPRIM_400000_NS6detail17trampoline_kernelINS0_14default_configENS1_38merge_sort_block_merge_config_selectorIfNS0_10empty_typeEEEZZNS1_27merge_sort_block_merge_implIS3_N6thrust23THRUST_200600_302600_NS6detail15normal_iteratorINS9_10device_ptrIfEEEEPS5_jNS1_19radix_merge_compareILb0ELb0EfNS0_19identity_decomposerEEEEE10hipError_tT0_T1_T2_jT3_P12ihipStream_tbPNSt15iterator_traitsISK_E10value_typeEPNSQ_ISL_E10value_typeEPSM_NS1_7vsmem_tEENKUlT_SK_SL_SM_E_clIPfSE_SF_SF_EESJ_SZ_SK_SL_SM_EUlSZ_E_NS1_11comp_targetILNS1_3genE0ELNS1_11target_archE4294967295ELNS1_3gpuE0ELNS1_3repE0EEENS1_48merge_mergepath_partition_config_static_selectorELNS0_4arch9wavefront6targetE1EEEvSL_
; %bb.0:
	s_load_dword s3, s[0:1], 0x0
	v_lshl_or_b32 v0, s2, 7, v0
	s_waitcnt lgkmcnt(0)
	v_cmp_gt_u32_e32 vcc, s3, v0
	s_and_saveexec_b64 s[2:3], vcc
	s_cbranch_execz .LBB475_6
; %bb.1:
	s_load_dwordx2 s[4:5], s[0:1], 0x4
	s_load_dwordx2 s[2:3], s[0:1], 0x20
	s_waitcnt lgkmcnt(0)
	s_lshr_b32 s6, s4, 9
	s_and_b32 s6, s6, 0x7ffffe
	s_add_i32 s7, s6, -1
	s_sub_i32 s6, 0, s6
	v_and_b32_e32 v1, s6, v0
	v_lshlrev_b32_e32 v1, 10, v1
	v_min_u32_e32 v2, s5, v1
	v_add_u32_e32 v1, s4, v1
	v_min_u32_e32 v4, s5, v1
	v_add_u32_e32 v1, s4, v4
	v_and_b32_e32 v3, s7, v0
	v_min_u32_e32 v1, s5, v1
	v_sub_u32_e32 v5, v1, v2
	v_lshlrev_b32_e32 v3, 10, v3
	v_min_u32_e32 v10, v5, v3
	v_sub_u32_e32 v3, v4, v2
	v_sub_u32_e32 v1, v1, v4
	v_sub_u32_e64 v1, v10, v1 clamp
	v_min_u32_e32 v11, v10, v3
	v_cmp_lt_u32_e32 vcc, v1, v11
	s_and_saveexec_b64 s[4:5], vcc
	s_cbranch_execz .LBB475_5
; %bb.2:
	s_load_dwordx2 s[0:1], s[0:1], 0x10
	v_mov_b32_e32 v5, 0
	v_mov_b32_e32 v3, v5
	s_waitcnt lgkmcnt(0)
	v_lshl_add_u64 v[6:7], v[2:3], 2, s[0:1]
	v_lshl_add_u64 v[8:9], v[4:5], 2, s[0:1]
	s_mov_b64 s[0:1], 0
.LBB475_3:                              ; =>This Inner Loop Header: Depth=1
	v_add_u32_e32 v3, v11, v1
	v_lshrrev_b32_e32 v4, 1, v3
	v_mov_b32_e32 v13, v5
	v_xad_u32 v12, v4, -1, v10
	v_lshl_add_u64 v[14:15], v[4:5], 2, v[6:7]
	v_lshl_add_u64 v[12:13], v[12:13], 2, v[8:9]
	global_load_dword v16, v[14:15], off
	global_load_dword v17, v[12:13], off
	v_add_u32_e32 v3, 1, v4
	s_waitcnt vmcnt(0)
	v_pk_add_f32 v[12:13], v[16:17], 0 op_sel_hi:[1,0]
	s_nop 0
	v_ashrrev_i32_e32 v14, 31, v13
	v_ashrrev_i32_e32 v15, 31, v12
	v_or_b32_e32 v14, 0x80000000, v14
	v_or_b32_e32 v15, 0x80000000, v15
	v_xor_b32_e32 v13, v14, v13
	v_xor_b32_e32 v12, v15, v12
	v_cmp_gt_u32_e32 vcc, v12, v13
	s_nop 1
	v_cndmask_b32_e32 v11, v11, v4, vcc
	v_cndmask_b32_e32 v1, v3, v1, vcc
	v_cmp_ge_u32_e32 vcc, v1, v11
	s_or_b64 s[0:1], vcc, s[0:1]
	s_andn2_b64 exec, exec, s[0:1]
	s_cbranch_execnz .LBB475_3
; %bb.4:
	s_or_b64 exec, exec, s[0:1]
.LBB475_5:
	s_or_b64 exec, exec, s[4:5]
	v_add_u32_e32 v2, v1, v2
	v_mov_b32_e32 v1, 0
	v_lshl_add_u64 v[0:1], v[0:1], 2, s[2:3]
	global_store_dword v[0:1], v2, off
.LBB475_6:
	s_endpgm
	.section	.rodata,"a",@progbits
	.p2align	6, 0x0
	.amdhsa_kernel _ZN7rocprim17ROCPRIM_400000_NS6detail17trampoline_kernelINS0_14default_configENS1_38merge_sort_block_merge_config_selectorIfNS0_10empty_typeEEEZZNS1_27merge_sort_block_merge_implIS3_N6thrust23THRUST_200600_302600_NS6detail15normal_iteratorINS9_10device_ptrIfEEEEPS5_jNS1_19radix_merge_compareILb0ELb0EfNS0_19identity_decomposerEEEEE10hipError_tT0_T1_T2_jT3_P12ihipStream_tbPNSt15iterator_traitsISK_E10value_typeEPNSQ_ISL_E10value_typeEPSM_NS1_7vsmem_tEENKUlT_SK_SL_SM_E_clIPfSE_SF_SF_EESJ_SZ_SK_SL_SM_EUlSZ_E_NS1_11comp_targetILNS1_3genE0ELNS1_11target_archE4294967295ELNS1_3gpuE0ELNS1_3repE0EEENS1_48merge_mergepath_partition_config_static_selectorELNS0_4arch9wavefront6targetE1EEEvSL_
		.amdhsa_group_segment_fixed_size 0
		.amdhsa_private_segment_fixed_size 0
		.amdhsa_kernarg_size 40
		.amdhsa_user_sgpr_count 2
		.amdhsa_user_sgpr_dispatch_ptr 0
		.amdhsa_user_sgpr_queue_ptr 0
		.amdhsa_user_sgpr_kernarg_segment_ptr 1
		.amdhsa_user_sgpr_dispatch_id 0
		.amdhsa_user_sgpr_kernarg_preload_length 0
		.amdhsa_user_sgpr_kernarg_preload_offset 0
		.amdhsa_user_sgpr_private_segment_size 0
		.amdhsa_uses_dynamic_stack 0
		.amdhsa_enable_private_segment 0
		.amdhsa_system_sgpr_workgroup_id_x 1
		.amdhsa_system_sgpr_workgroup_id_y 0
		.amdhsa_system_sgpr_workgroup_id_z 0
		.amdhsa_system_sgpr_workgroup_info 0
		.amdhsa_system_vgpr_workitem_id 0
		.amdhsa_next_free_vgpr 18
		.amdhsa_next_free_sgpr 8
		.amdhsa_accum_offset 20
		.amdhsa_reserve_vcc 1
		.amdhsa_float_round_mode_32 0
		.amdhsa_float_round_mode_16_64 0
		.amdhsa_float_denorm_mode_32 3
		.amdhsa_float_denorm_mode_16_64 3
		.amdhsa_dx10_clamp 1
		.amdhsa_ieee_mode 1
		.amdhsa_fp16_overflow 0
		.amdhsa_tg_split 0
		.amdhsa_exception_fp_ieee_invalid_op 0
		.amdhsa_exception_fp_denorm_src 0
		.amdhsa_exception_fp_ieee_div_zero 0
		.amdhsa_exception_fp_ieee_overflow 0
		.amdhsa_exception_fp_ieee_underflow 0
		.amdhsa_exception_fp_ieee_inexact 0
		.amdhsa_exception_int_div_zero 0
	.end_amdhsa_kernel
	.section	.text._ZN7rocprim17ROCPRIM_400000_NS6detail17trampoline_kernelINS0_14default_configENS1_38merge_sort_block_merge_config_selectorIfNS0_10empty_typeEEEZZNS1_27merge_sort_block_merge_implIS3_N6thrust23THRUST_200600_302600_NS6detail15normal_iteratorINS9_10device_ptrIfEEEEPS5_jNS1_19radix_merge_compareILb0ELb0EfNS0_19identity_decomposerEEEEE10hipError_tT0_T1_T2_jT3_P12ihipStream_tbPNSt15iterator_traitsISK_E10value_typeEPNSQ_ISL_E10value_typeEPSM_NS1_7vsmem_tEENKUlT_SK_SL_SM_E_clIPfSE_SF_SF_EESJ_SZ_SK_SL_SM_EUlSZ_E_NS1_11comp_targetILNS1_3genE0ELNS1_11target_archE4294967295ELNS1_3gpuE0ELNS1_3repE0EEENS1_48merge_mergepath_partition_config_static_selectorELNS0_4arch9wavefront6targetE1EEEvSL_,"axG",@progbits,_ZN7rocprim17ROCPRIM_400000_NS6detail17trampoline_kernelINS0_14default_configENS1_38merge_sort_block_merge_config_selectorIfNS0_10empty_typeEEEZZNS1_27merge_sort_block_merge_implIS3_N6thrust23THRUST_200600_302600_NS6detail15normal_iteratorINS9_10device_ptrIfEEEEPS5_jNS1_19radix_merge_compareILb0ELb0EfNS0_19identity_decomposerEEEEE10hipError_tT0_T1_T2_jT3_P12ihipStream_tbPNSt15iterator_traitsISK_E10value_typeEPNSQ_ISL_E10value_typeEPSM_NS1_7vsmem_tEENKUlT_SK_SL_SM_E_clIPfSE_SF_SF_EESJ_SZ_SK_SL_SM_EUlSZ_E_NS1_11comp_targetILNS1_3genE0ELNS1_11target_archE4294967295ELNS1_3gpuE0ELNS1_3repE0EEENS1_48merge_mergepath_partition_config_static_selectorELNS0_4arch9wavefront6targetE1EEEvSL_,comdat
.Lfunc_end475:
	.size	_ZN7rocprim17ROCPRIM_400000_NS6detail17trampoline_kernelINS0_14default_configENS1_38merge_sort_block_merge_config_selectorIfNS0_10empty_typeEEEZZNS1_27merge_sort_block_merge_implIS3_N6thrust23THRUST_200600_302600_NS6detail15normal_iteratorINS9_10device_ptrIfEEEEPS5_jNS1_19radix_merge_compareILb0ELb0EfNS0_19identity_decomposerEEEEE10hipError_tT0_T1_T2_jT3_P12ihipStream_tbPNSt15iterator_traitsISK_E10value_typeEPNSQ_ISL_E10value_typeEPSM_NS1_7vsmem_tEENKUlT_SK_SL_SM_E_clIPfSE_SF_SF_EESJ_SZ_SK_SL_SM_EUlSZ_E_NS1_11comp_targetILNS1_3genE0ELNS1_11target_archE4294967295ELNS1_3gpuE0ELNS1_3repE0EEENS1_48merge_mergepath_partition_config_static_selectorELNS0_4arch9wavefront6targetE1EEEvSL_, .Lfunc_end475-_ZN7rocprim17ROCPRIM_400000_NS6detail17trampoline_kernelINS0_14default_configENS1_38merge_sort_block_merge_config_selectorIfNS0_10empty_typeEEEZZNS1_27merge_sort_block_merge_implIS3_N6thrust23THRUST_200600_302600_NS6detail15normal_iteratorINS9_10device_ptrIfEEEEPS5_jNS1_19radix_merge_compareILb0ELb0EfNS0_19identity_decomposerEEEEE10hipError_tT0_T1_T2_jT3_P12ihipStream_tbPNSt15iterator_traitsISK_E10value_typeEPNSQ_ISL_E10value_typeEPSM_NS1_7vsmem_tEENKUlT_SK_SL_SM_E_clIPfSE_SF_SF_EESJ_SZ_SK_SL_SM_EUlSZ_E_NS1_11comp_targetILNS1_3genE0ELNS1_11target_archE4294967295ELNS1_3gpuE0ELNS1_3repE0EEENS1_48merge_mergepath_partition_config_static_selectorELNS0_4arch9wavefront6targetE1EEEvSL_
                                        ; -- End function
	.set _ZN7rocprim17ROCPRIM_400000_NS6detail17trampoline_kernelINS0_14default_configENS1_38merge_sort_block_merge_config_selectorIfNS0_10empty_typeEEEZZNS1_27merge_sort_block_merge_implIS3_N6thrust23THRUST_200600_302600_NS6detail15normal_iteratorINS9_10device_ptrIfEEEEPS5_jNS1_19radix_merge_compareILb0ELb0EfNS0_19identity_decomposerEEEEE10hipError_tT0_T1_T2_jT3_P12ihipStream_tbPNSt15iterator_traitsISK_E10value_typeEPNSQ_ISL_E10value_typeEPSM_NS1_7vsmem_tEENKUlT_SK_SL_SM_E_clIPfSE_SF_SF_EESJ_SZ_SK_SL_SM_EUlSZ_E_NS1_11comp_targetILNS1_3genE0ELNS1_11target_archE4294967295ELNS1_3gpuE0ELNS1_3repE0EEENS1_48merge_mergepath_partition_config_static_selectorELNS0_4arch9wavefront6targetE1EEEvSL_.num_vgpr, 18
	.set _ZN7rocprim17ROCPRIM_400000_NS6detail17trampoline_kernelINS0_14default_configENS1_38merge_sort_block_merge_config_selectorIfNS0_10empty_typeEEEZZNS1_27merge_sort_block_merge_implIS3_N6thrust23THRUST_200600_302600_NS6detail15normal_iteratorINS9_10device_ptrIfEEEEPS5_jNS1_19radix_merge_compareILb0ELb0EfNS0_19identity_decomposerEEEEE10hipError_tT0_T1_T2_jT3_P12ihipStream_tbPNSt15iterator_traitsISK_E10value_typeEPNSQ_ISL_E10value_typeEPSM_NS1_7vsmem_tEENKUlT_SK_SL_SM_E_clIPfSE_SF_SF_EESJ_SZ_SK_SL_SM_EUlSZ_E_NS1_11comp_targetILNS1_3genE0ELNS1_11target_archE4294967295ELNS1_3gpuE0ELNS1_3repE0EEENS1_48merge_mergepath_partition_config_static_selectorELNS0_4arch9wavefront6targetE1EEEvSL_.num_agpr, 0
	.set _ZN7rocprim17ROCPRIM_400000_NS6detail17trampoline_kernelINS0_14default_configENS1_38merge_sort_block_merge_config_selectorIfNS0_10empty_typeEEEZZNS1_27merge_sort_block_merge_implIS3_N6thrust23THRUST_200600_302600_NS6detail15normal_iteratorINS9_10device_ptrIfEEEEPS5_jNS1_19radix_merge_compareILb0ELb0EfNS0_19identity_decomposerEEEEE10hipError_tT0_T1_T2_jT3_P12ihipStream_tbPNSt15iterator_traitsISK_E10value_typeEPNSQ_ISL_E10value_typeEPSM_NS1_7vsmem_tEENKUlT_SK_SL_SM_E_clIPfSE_SF_SF_EESJ_SZ_SK_SL_SM_EUlSZ_E_NS1_11comp_targetILNS1_3genE0ELNS1_11target_archE4294967295ELNS1_3gpuE0ELNS1_3repE0EEENS1_48merge_mergepath_partition_config_static_selectorELNS0_4arch9wavefront6targetE1EEEvSL_.numbered_sgpr, 8
	.set _ZN7rocprim17ROCPRIM_400000_NS6detail17trampoline_kernelINS0_14default_configENS1_38merge_sort_block_merge_config_selectorIfNS0_10empty_typeEEEZZNS1_27merge_sort_block_merge_implIS3_N6thrust23THRUST_200600_302600_NS6detail15normal_iteratorINS9_10device_ptrIfEEEEPS5_jNS1_19radix_merge_compareILb0ELb0EfNS0_19identity_decomposerEEEEE10hipError_tT0_T1_T2_jT3_P12ihipStream_tbPNSt15iterator_traitsISK_E10value_typeEPNSQ_ISL_E10value_typeEPSM_NS1_7vsmem_tEENKUlT_SK_SL_SM_E_clIPfSE_SF_SF_EESJ_SZ_SK_SL_SM_EUlSZ_E_NS1_11comp_targetILNS1_3genE0ELNS1_11target_archE4294967295ELNS1_3gpuE0ELNS1_3repE0EEENS1_48merge_mergepath_partition_config_static_selectorELNS0_4arch9wavefront6targetE1EEEvSL_.num_named_barrier, 0
	.set _ZN7rocprim17ROCPRIM_400000_NS6detail17trampoline_kernelINS0_14default_configENS1_38merge_sort_block_merge_config_selectorIfNS0_10empty_typeEEEZZNS1_27merge_sort_block_merge_implIS3_N6thrust23THRUST_200600_302600_NS6detail15normal_iteratorINS9_10device_ptrIfEEEEPS5_jNS1_19radix_merge_compareILb0ELb0EfNS0_19identity_decomposerEEEEE10hipError_tT0_T1_T2_jT3_P12ihipStream_tbPNSt15iterator_traitsISK_E10value_typeEPNSQ_ISL_E10value_typeEPSM_NS1_7vsmem_tEENKUlT_SK_SL_SM_E_clIPfSE_SF_SF_EESJ_SZ_SK_SL_SM_EUlSZ_E_NS1_11comp_targetILNS1_3genE0ELNS1_11target_archE4294967295ELNS1_3gpuE0ELNS1_3repE0EEENS1_48merge_mergepath_partition_config_static_selectorELNS0_4arch9wavefront6targetE1EEEvSL_.private_seg_size, 0
	.set _ZN7rocprim17ROCPRIM_400000_NS6detail17trampoline_kernelINS0_14default_configENS1_38merge_sort_block_merge_config_selectorIfNS0_10empty_typeEEEZZNS1_27merge_sort_block_merge_implIS3_N6thrust23THRUST_200600_302600_NS6detail15normal_iteratorINS9_10device_ptrIfEEEEPS5_jNS1_19radix_merge_compareILb0ELb0EfNS0_19identity_decomposerEEEEE10hipError_tT0_T1_T2_jT3_P12ihipStream_tbPNSt15iterator_traitsISK_E10value_typeEPNSQ_ISL_E10value_typeEPSM_NS1_7vsmem_tEENKUlT_SK_SL_SM_E_clIPfSE_SF_SF_EESJ_SZ_SK_SL_SM_EUlSZ_E_NS1_11comp_targetILNS1_3genE0ELNS1_11target_archE4294967295ELNS1_3gpuE0ELNS1_3repE0EEENS1_48merge_mergepath_partition_config_static_selectorELNS0_4arch9wavefront6targetE1EEEvSL_.uses_vcc, 1
	.set _ZN7rocprim17ROCPRIM_400000_NS6detail17trampoline_kernelINS0_14default_configENS1_38merge_sort_block_merge_config_selectorIfNS0_10empty_typeEEEZZNS1_27merge_sort_block_merge_implIS3_N6thrust23THRUST_200600_302600_NS6detail15normal_iteratorINS9_10device_ptrIfEEEEPS5_jNS1_19radix_merge_compareILb0ELb0EfNS0_19identity_decomposerEEEEE10hipError_tT0_T1_T2_jT3_P12ihipStream_tbPNSt15iterator_traitsISK_E10value_typeEPNSQ_ISL_E10value_typeEPSM_NS1_7vsmem_tEENKUlT_SK_SL_SM_E_clIPfSE_SF_SF_EESJ_SZ_SK_SL_SM_EUlSZ_E_NS1_11comp_targetILNS1_3genE0ELNS1_11target_archE4294967295ELNS1_3gpuE0ELNS1_3repE0EEENS1_48merge_mergepath_partition_config_static_selectorELNS0_4arch9wavefront6targetE1EEEvSL_.uses_flat_scratch, 0
	.set _ZN7rocprim17ROCPRIM_400000_NS6detail17trampoline_kernelINS0_14default_configENS1_38merge_sort_block_merge_config_selectorIfNS0_10empty_typeEEEZZNS1_27merge_sort_block_merge_implIS3_N6thrust23THRUST_200600_302600_NS6detail15normal_iteratorINS9_10device_ptrIfEEEEPS5_jNS1_19radix_merge_compareILb0ELb0EfNS0_19identity_decomposerEEEEE10hipError_tT0_T1_T2_jT3_P12ihipStream_tbPNSt15iterator_traitsISK_E10value_typeEPNSQ_ISL_E10value_typeEPSM_NS1_7vsmem_tEENKUlT_SK_SL_SM_E_clIPfSE_SF_SF_EESJ_SZ_SK_SL_SM_EUlSZ_E_NS1_11comp_targetILNS1_3genE0ELNS1_11target_archE4294967295ELNS1_3gpuE0ELNS1_3repE0EEENS1_48merge_mergepath_partition_config_static_selectorELNS0_4arch9wavefront6targetE1EEEvSL_.has_dyn_sized_stack, 0
	.set _ZN7rocprim17ROCPRIM_400000_NS6detail17trampoline_kernelINS0_14default_configENS1_38merge_sort_block_merge_config_selectorIfNS0_10empty_typeEEEZZNS1_27merge_sort_block_merge_implIS3_N6thrust23THRUST_200600_302600_NS6detail15normal_iteratorINS9_10device_ptrIfEEEEPS5_jNS1_19radix_merge_compareILb0ELb0EfNS0_19identity_decomposerEEEEE10hipError_tT0_T1_T2_jT3_P12ihipStream_tbPNSt15iterator_traitsISK_E10value_typeEPNSQ_ISL_E10value_typeEPSM_NS1_7vsmem_tEENKUlT_SK_SL_SM_E_clIPfSE_SF_SF_EESJ_SZ_SK_SL_SM_EUlSZ_E_NS1_11comp_targetILNS1_3genE0ELNS1_11target_archE4294967295ELNS1_3gpuE0ELNS1_3repE0EEENS1_48merge_mergepath_partition_config_static_selectorELNS0_4arch9wavefront6targetE1EEEvSL_.has_recursion, 0
	.set _ZN7rocprim17ROCPRIM_400000_NS6detail17trampoline_kernelINS0_14default_configENS1_38merge_sort_block_merge_config_selectorIfNS0_10empty_typeEEEZZNS1_27merge_sort_block_merge_implIS3_N6thrust23THRUST_200600_302600_NS6detail15normal_iteratorINS9_10device_ptrIfEEEEPS5_jNS1_19radix_merge_compareILb0ELb0EfNS0_19identity_decomposerEEEEE10hipError_tT0_T1_T2_jT3_P12ihipStream_tbPNSt15iterator_traitsISK_E10value_typeEPNSQ_ISL_E10value_typeEPSM_NS1_7vsmem_tEENKUlT_SK_SL_SM_E_clIPfSE_SF_SF_EESJ_SZ_SK_SL_SM_EUlSZ_E_NS1_11comp_targetILNS1_3genE0ELNS1_11target_archE4294967295ELNS1_3gpuE0ELNS1_3repE0EEENS1_48merge_mergepath_partition_config_static_selectorELNS0_4arch9wavefront6targetE1EEEvSL_.has_indirect_call, 0
	.section	.AMDGPU.csdata,"",@progbits
; Kernel info:
; codeLenInByte = 360
; TotalNumSgprs: 14
; NumVgprs: 18
; NumAgprs: 0
; TotalNumVgprs: 18
; ScratchSize: 0
; MemoryBound: 0
; FloatMode: 240
; IeeeMode: 1
; LDSByteSize: 0 bytes/workgroup (compile time only)
; SGPRBlocks: 1
; VGPRBlocks: 2
; NumSGPRsForWavesPerEU: 14
; NumVGPRsForWavesPerEU: 18
; AccumOffset: 20
; Occupancy: 8
; WaveLimiterHint : 0
; COMPUTE_PGM_RSRC2:SCRATCH_EN: 0
; COMPUTE_PGM_RSRC2:USER_SGPR: 2
; COMPUTE_PGM_RSRC2:TRAP_HANDLER: 0
; COMPUTE_PGM_RSRC2:TGID_X_EN: 1
; COMPUTE_PGM_RSRC2:TGID_Y_EN: 0
; COMPUTE_PGM_RSRC2:TGID_Z_EN: 0
; COMPUTE_PGM_RSRC2:TIDIG_COMP_CNT: 0
; COMPUTE_PGM_RSRC3_GFX90A:ACCUM_OFFSET: 4
; COMPUTE_PGM_RSRC3_GFX90A:TG_SPLIT: 0
	.section	.text._ZN7rocprim17ROCPRIM_400000_NS6detail17trampoline_kernelINS0_14default_configENS1_38merge_sort_block_merge_config_selectorIfNS0_10empty_typeEEEZZNS1_27merge_sort_block_merge_implIS3_N6thrust23THRUST_200600_302600_NS6detail15normal_iteratorINS9_10device_ptrIfEEEEPS5_jNS1_19radix_merge_compareILb0ELb0EfNS0_19identity_decomposerEEEEE10hipError_tT0_T1_T2_jT3_P12ihipStream_tbPNSt15iterator_traitsISK_E10value_typeEPNSQ_ISL_E10value_typeEPSM_NS1_7vsmem_tEENKUlT_SK_SL_SM_E_clIPfSE_SF_SF_EESJ_SZ_SK_SL_SM_EUlSZ_E_NS1_11comp_targetILNS1_3genE10ELNS1_11target_archE1201ELNS1_3gpuE5ELNS1_3repE0EEENS1_48merge_mergepath_partition_config_static_selectorELNS0_4arch9wavefront6targetE1EEEvSL_,"axG",@progbits,_ZN7rocprim17ROCPRIM_400000_NS6detail17trampoline_kernelINS0_14default_configENS1_38merge_sort_block_merge_config_selectorIfNS0_10empty_typeEEEZZNS1_27merge_sort_block_merge_implIS3_N6thrust23THRUST_200600_302600_NS6detail15normal_iteratorINS9_10device_ptrIfEEEEPS5_jNS1_19radix_merge_compareILb0ELb0EfNS0_19identity_decomposerEEEEE10hipError_tT0_T1_T2_jT3_P12ihipStream_tbPNSt15iterator_traitsISK_E10value_typeEPNSQ_ISL_E10value_typeEPSM_NS1_7vsmem_tEENKUlT_SK_SL_SM_E_clIPfSE_SF_SF_EESJ_SZ_SK_SL_SM_EUlSZ_E_NS1_11comp_targetILNS1_3genE10ELNS1_11target_archE1201ELNS1_3gpuE5ELNS1_3repE0EEENS1_48merge_mergepath_partition_config_static_selectorELNS0_4arch9wavefront6targetE1EEEvSL_,comdat
	.protected	_ZN7rocprim17ROCPRIM_400000_NS6detail17trampoline_kernelINS0_14default_configENS1_38merge_sort_block_merge_config_selectorIfNS0_10empty_typeEEEZZNS1_27merge_sort_block_merge_implIS3_N6thrust23THRUST_200600_302600_NS6detail15normal_iteratorINS9_10device_ptrIfEEEEPS5_jNS1_19radix_merge_compareILb0ELb0EfNS0_19identity_decomposerEEEEE10hipError_tT0_T1_T2_jT3_P12ihipStream_tbPNSt15iterator_traitsISK_E10value_typeEPNSQ_ISL_E10value_typeEPSM_NS1_7vsmem_tEENKUlT_SK_SL_SM_E_clIPfSE_SF_SF_EESJ_SZ_SK_SL_SM_EUlSZ_E_NS1_11comp_targetILNS1_3genE10ELNS1_11target_archE1201ELNS1_3gpuE5ELNS1_3repE0EEENS1_48merge_mergepath_partition_config_static_selectorELNS0_4arch9wavefront6targetE1EEEvSL_ ; -- Begin function _ZN7rocprim17ROCPRIM_400000_NS6detail17trampoline_kernelINS0_14default_configENS1_38merge_sort_block_merge_config_selectorIfNS0_10empty_typeEEEZZNS1_27merge_sort_block_merge_implIS3_N6thrust23THRUST_200600_302600_NS6detail15normal_iteratorINS9_10device_ptrIfEEEEPS5_jNS1_19radix_merge_compareILb0ELb0EfNS0_19identity_decomposerEEEEE10hipError_tT0_T1_T2_jT3_P12ihipStream_tbPNSt15iterator_traitsISK_E10value_typeEPNSQ_ISL_E10value_typeEPSM_NS1_7vsmem_tEENKUlT_SK_SL_SM_E_clIPfSE_SF_SF_EESJ_SZ_SK_SL_SM_EUlSZ_E_NS1_11comp_targetILNS1_3genE10ELNS1_11target_archE1201ELNS1_3gpuE5ELNS1_3repE0EEENS1_48merge_mergepath_partition_config_static_selectorELNS0_4arch9wavefront6targetE1EEEvSL_
	.globl	_ZN7rocprim17ROCPRIM_400000_NS6detail17trampoline_kernelINS0_14default_configENS1_38merge_sort_block_merge_config_selectorIfNS0_10empty_typeEEEZZNS1_27merge_sort_block_merge_implIS3_N6thrust23THRUST_200600_302600_NS6detail15normal_iteratorINS9_10device_ptrIfEEEEPS5_jNS1_19radix_merge_compareILb0ELb0EfNS0_19identity_decomposerEEEEE10hipError_tT0_T1_T2_jT3_P12ihipStream_tbPNSt15iterator_traitsISK_E10value_typeEPNSQ_ISL_E10value_typeEPSM_NS1_7vsmem_tEENKUlT_SK_SL_SM_E_clIPfSE_SF_SF_EESJ_SZ_SK_SL_SM_EUlSZ_E_NS1_11comp_targetILNS1_3genE10ELNS1_11target_archE1201ELNS1_3gpuE5ELNS1_3repE0EEENS1_48merge_mergepath_partition_config_static_selectorELNS0_4arch9wavefront6targetE1EEEvSL_
	.p2align	8
	.type	_ZN7rocprim17ROCPRIM_400000_NS6detail17trampoline_kernelINS0_14default_configENS1_38merge_sort_block_merge_config_selectorIfNS0_10empty_typeEEEZZNS1_27merge_sort_block_merge_implIS3_N6thrust23THRUST_200600_302600_NS6detail15normal_iteratorINS9_10device_ptrIfEEEEPS5_jNS1_19radix_merge_compareILb0ELb0EfNS0_19identity_decomposerEEEEE10hipError_tT0_T1_T2_jT3_P12ihipStream_tbPNSt15iterator_traitsISK_E10value_typeEPNSQ_ISL_E10value_typeEPSM_NS1_7vsmem_tEENKUlT_SK_SL_SM_E_clIPfSE_SF_SF_EESJ_SZ_SK_SL_SM_EUlSZ_E_NS1_11comp_targetILNS1_3genE10ELNS1_11target_archE1201ELNS1_3gpuE5ELNS1_3repE0EEENS1_48merge_mergepath_partition_config_static_selectorELNS0_4arch9wavefront6targetE1EEEvSL_,@function
_ZN7rocprim17ROCPRIM_400000_NS6detail17trampoline_kernelINS0_14default_configENS1_38merge_sort_block_merge_config_selectorIfNS0_10empty_typeEEEZZNS1_27merge_sort_block_merge_implIS3_N6thrust23THRUST_200600_302600_NS6detail15normal_iteratorINS9_10device_ptrIfEEEEPS5_jNS1_19radix_merge_compareILb0ELb0EfNS0_19identity_decomposerEEEEE10hipError_tT0_T1_T2_jT3_P12ihipStream_tbPNSt15iterator_traitsISK_E10value_typeEPNSQ_ISL_E10value_typeEPSM_NS1_7vsmem_tEENKUlT_SK_SL_SM_E_clIPfSE_SF_SF_EESJ_SZ_SK_SL_SM_EUlSZ_E_NS1_11comp_targetILNS1_3genE10ELNS1_11target_archE1201ELNS1_3gpuE5ELNS1_3repE0EEENS1_48merge_mergepath_partition_config_static_selectorELNS0_4arch9wavefront6targetE1EEEvSL_: ; @_ZN7rocprim17ROCPRIM_400000_NS6detail17trampoline_kernelINS0_14default_configENS1_38merge_sort_block_merge_config_selectorIfNS0_10empty_typeEEEZZNS1_27merge_sort_block_merge_implIS3_N6thrust23THRUST_200600_302600_NS6detail15normal_iteratorINS9_10device_ptrIfEEEEPS5_jNS1_19radix_merge_compareILb0ELb0EfNS0_19identity_decomposerEEEEE10hipError_tT0_T1_T2_jT3_P12ihipStream_tbPNSt15iterator_traitsISK_E10value_typeEPNSQ_ISL_E10value_typeEPSM_NS1_7vsmem_tEENKUlT_SK_SL_SM_E_clIPfSE_SF_SF_EESJ_SZ_SK_SL_SM_EUlSZ_E_NS1_11comp_targetILNS1_3genE10ELNS1_11target_archE1201ELNS1_3gpuE5ELNS1_3repE0EEENS1_48merge_mergepath_partition_config_static_selectorELNS0_4arch9wavefront6targetE1EEEvSL_
; %bb.0:
	.section	.rodata,"a",@progbits
	.p2align	6, 0x0
	.amdhsa_kernel _ZN7rocprim17ROCPRIM_400000_NS6detail17trampoline_kernelINS0_14default_configENS1_38merge_sort_block_merge_config_selectorIfNS0_10empty_typeEEEZZNS1_27merge_sort_block_merge_implIS3_N6thrust23THRUST_200600_302600_NS6detail15normal_iteratorINS9_10device_ptrIfEEEEPS5_jNS1_19radix_merge_compareILb0ELb0EfNS0_19identity_decomposerEEEEE10hipError_tT0_T1_T2_jT3_P12ihipStream_tbPNSt15iterator_traitsISK_E10value_typeEPNSQ_ISL_E10value_typeEPSM_NS1_7vsmem_tEENKUlT_SK_SL_SM_E_clIPfSE_SF_SF_EESJ_SZ_SK_SL_SM_EUlSZ_E_NS1_11comp_targetILNS1_3genE10ELNS1_11target_archE1201ELNS1_3gpuE5ELNS1_3repE0EEENS1_48merge_mergepath_partition_config_static_selectorELNS0_4arch9wavefront6targetE1EEEvSL_
		.amdhsa_group_segment_fixed_size 0
		.amdhsa_private_segment_fixed_size 0
		.amdhsa_kernarg_size 40
		.amdhsa_user_sgpr_count 2
		.amdhsa_user_sgpr_dispatch_ptr 0
		.amdhsa_user_sgpr_queue_ptr 0
		.amdhsa_user_sgpr_kernarg_segment_ptr 1
		.amdhsa_user_sgpr_dispatch_id 0
		.amdhsa_user_sgpr_kernarg_preload_length 0
		.amdhsa_user_sgpr_kernarg_preload_offset 0
		.amdhsa_user_sgpr_private_segment_size 0
		.amdhsa_uses_dynamic_stack 0
		.amdhsa_enable_private_segment 0
		.amdhsa_system_sgpr_workgroup_id_x 1
		.amdhsa_system_sgpr_workgroup_id_y 0
		.amdhsa_system_sgpr_workgroup_id_z 0
		.amdhsa_system_sgpr_workgroup_info 0
		.amdhsa_system_vgpr_workitem_id 0
		.amdhsa_next_free_vgpr 1
		.amdhsa_next_free_sgpr 0
		.amdhsa_accum_offset 4
		.amdhsa_reserve_vcc 0
		.amdhsa_float_round_mode_32 0
		.amdhsa_float_round_mode_16_64 0
		.amdhsa_float_denorm_mode_32 3
		.amdhsa_float_denorm_mode_16_64 3
		.amdhsa_dx10_clamp 1
		.amdhsa_ieee_mode 1
		.amdhsa_fp16_overflow 0
		.amdhsa_tg_split 0
		.amdhsa_exception_fp_ieee_invalid_op 0
		.amdhsa_exception_fp_denorm_src 0
		.amdhsa_exception_fp_ieee_div_zero 0
		.amdhsa_exception_fp_ieee_overflow 0
		.amdhsa_exception_fp_ieee_underflow 0
		.amdhsa_exception_fp_ieee_inexact 0
		.amdhsa_exception_int_div_zero 0
	.end_amdhsa_kernel
	.section	.text._ZN7rocprim17ROCPRIM_400000_NS6detail17trampoline_kernelINS0_14default_configENS1_38merge_sort_block_merge_config_selectorIfNS0_10empty_typeEEEZZNS1_27merge_sort_block_merge_implIS3_N6thrust23THRUST_200600_302600_NS6detail15normal_iteratorINS9_10device_ptrIfEEEEPS5_jNS1_19radix_merge_compareILb0ELb0EfNS0_19identity_decomposerEEEEE10hipError_tT0_T1_T2_jT3_P12ihipStream_tbPNSt15iterator_traitsISK_E10value_typeEPNSQ_ISL_E10value_typeEPSM_NS1_7vsmem_tEENKUlT_SK_SL_SM_E_clIPfSE_SF_SF_EESJ_SZ_SK_SL_SM_EUlSZ_E_NS1_11comp_targetILNS1_3genE10ELNS1_11target_archE1201ELNS1_3gpuE5ELNS1_3repE0EEENS1_48merge_mergepath_partition_config_static_selectorELNS0_4arch9wavefront6targetE1EEEvSL_,"axG",@progbits,_ZN7rocprim17ROCPRIM_400000_NS6detail17trampoline_kernelINS0_14default_configENS1_38merge_sort_block_merge_config_selectorIfNS0_10empty_typeEEEZZNS1_27merge_sort_block_merge_implIS3_N6thrust23THRUST_200600_302600_NS6detail15normal_iteratorINS9_10device_ptrIfEEEEPS5_jNS1_19radix_merge_compareILb0ELb0EfNS0_19identity_decomposerEEEEE10hipError_tT0_T1_T2_jT3_P12ihipStream_tbPNSt15iterator_traitsISK_E10value_typeEPNSQ_ISL_E10value_typeEPSM_NS1_7vsmem_tEENKUlT_SK_SL_SM_E_clIPfSE_SF_SF_EESJ_SZ_SK_SL_SM_EUlSZ_E_NS1_11comp_targetILNS1_3genE10ELNS1_11target_archE1201ELNS1_3gpuE5ELNS1_3repE0EEENS1_48merge_mergepath_partition_config_static_selectorELNS0_4arch9wavefront6targetE1EEEvSL_,comdat
.Lfunc_end476:
	.size	_ZN7rocprim17ROCPRIM_400000_NS6detail17trampoline_kernelINS0_14default_configENS1_38merge_sort_block_merge_config_selectorIfNS0_10empty_typeEEEZZNS1_27merge_sort_block_merge_implIS3_N6thrust23THRUST_200600_302600_NS6detail15normal_iteratorINS9_10device_ptrIfEEEEPS5_jNS1_19radix_merge_compareILb0ELb0EfNS0_19identity_decomposerEEEEE10hipError_tT0_T1_T2_jT3_P12ihipStream_tbPNSt15iterator_traitsISK_E10value_typeEPNSQ_ISL_E10value_typeEPSM_NS1_7vsmem_tEENKUlT_SK_SL_SM_E_clIPfSE_SF_SF_EESJ_SZ_SK_SL_SM_EUlSZ_E_NS1_11comp_targetILNS1_3genE10ELNS1_11target_archE1201ELNS1_3gpuE5ELNS1_3repE0EEENS1_48merge_mergepath_partition_config_static_selectorELNS0_4arch9wavefront6targetE1EEEvSL_, .Lfunc_end476-_ZN7rocprim17ROCPRIM_400000_NS6detail17trampoline_kernelINS0_14default_configENS1_38merge_sort_block_merge_config_selectorIfNS0_10empty_typeEEEZZNS1_27merge_sort_block_merge_implIS3_N6thrust23THRUST_200600_302600_NS6detail15normal_iteratorINS9_10device_ptrIfEEEEPS5_jNS1_19radix_merge_compareILb0ELb0EfNS0_19identity_decomposerEEEEE10hipError_tT0_T1_T2_jT3_P12ihipStream_tbPNSt15iterator_traitsISK_E10value_typeEPNSQ_ISL_E10value_typeEPSM_NS1_7vsmem_tEENKUlT_SK_SL_SM_E_clIPfSE_SF_SF_EESJ_SZ_SK_SL_SM_EUlSZ_E_NS1_11comp_targetILNS1_3genE10ELNS1_11target_archE1201ELNS1_3gpuE5ELNS1_3repE0EEENS1_48merge_mergepath_partition_config_static_selectorELNS0_4arch9wavefront6targetE1EEEvSL_
                                        ; -- End function
	.set _ZN7rocprim17ROCPRIM_400000_NS6detail17trampoline_kernelINS0_14default_configENS1_38merge_sort_block_merge_config_selectorIfNS0_10empty_typeEEEZZNS1_27merge_sort_block_merge_implIS3_N6thrust23THRUST_200600_302600_NS6detail15normal_iteratorINS9_10device_ptrIfEEEEPS5_jNS1_19radix_merge_compareILb0ELb0EfNS0_19identity_decomposerEEEEE10hipError_tT0_T1_T2_jT3_P12ihipStream_tbPNSt15iterator_traitsISK_E10value_typeEPNSQ_ISL_E10value_typeEPSM_NS1_7vsmem_tEENKUlT_SK_SL_SM_E_clIPfSE_SF_SF_EESJ_SZ_SK_SL_SM_EUlSZ_E_NS1_11comp_targetILNS1_3genE10ELNS1_11target_archE1201ELNS1_3gpuE5ELNS1_3repE0EEENS1_48merge_mergepath_partition_config_static_selectorELNS0_4arch9wavefront6targetE1EEEvSL_.num_vgpr, 0
	.set _ZN7rocprim17ROCPRIM_400000_NS6detail17trampoline_kernelINS0_14default_configENS1_38merge_sort_block_merge_config_selectorIfNS0_10empty_typeEEEZZNS1_27merge_sort_block_merge_implIS3_N6thrust23THRUST_200600_302600_NS6detail15normal_iteratorINS9_10device_ptrIfEEEEPS5_jNS1_19radix_merge_compareILb0ELb0EfNS0_19identity_decomposerEEEEE10hipError_tT0_T1_T2_jT3_P12ihipStream_tbPNSt15iterator_traitsISK_E10value_typeEPNSQ_ISL_E10value_typeEPSM_NS1_7vsmem_tEENKUlT_SK_SL_SM_E_clIPfSE_SF_SF_EESJ_SZ_SK_SL_SM_EUlSZ_E_NS1_11comp_targetILNS1_3genE10ELNS1_11target_archE1201ELNS1_3gpuE5ELNS1_3repE0EEENS1_48merge_mergepath_partition_config_static_selectorELNS0_4arch9wavefront6targetE1EEEvSL_.num_agpr, 0
	.set _ZN7rocprim17ROCPRIM_400000_NS6detail17trampoline_kernelINS0_14default_configENS1_38merge_sort_block_merge_config_selectorIfNS0_10empty_typeEEEZZNS1_27merge_sort_block_merge_implIS3_N6thrust23THRUST_200600_302600_NS6detail15normal_iteratorINS9_10device_ptrIfEEEEPS5_jNS1_19radix_merge_compareILb0ELb0EfNS0_19identity_decomposerEEEEE10hipError_tT0_T1_T2_jT3_P12ihipStream_tbPNSt15iterator_traitsISK_E10value_typeEPNSQ_ISL_E10value_typeEPSM_NS1_7vsmem_tEENKUlT_SK_SL_SM_E_clIPfSE_SF_SF_EESJ_SZ_SK_SL_SM_EUlSZ_E_NS1_11comp_targetILNS1_3genE10ELNS1_11target_archE1201ELNS1_3gpuE5ELNS1_3repE0EEENS1_48merge_mergepath_partition_config_static_selectorELNS0_4arch9wavefront6targetE1EEEvSL_.numbered_sgpr, 0
	.set _ZN7rocprim17ROCPRIM_400000_NS6detail17trampoline_kernelINS0_14default_configENS1_38merge_sort_block_merge_config_selectorIfNS0_10empty_typeEEEZZNS1_27merge_sort_block_merge_implIS3_N6thrust23THRUST_200600_302600_NS6detail15normal_iteratorINS9_10device_ptrIfEEEEPS5_jNS1_19radix_merge_compareILb0ELb0EfNS0_19identity_decomposerEEEEE10hipError_tT0_T1_T2_jT3_P12ihipStream_tbPNSt15iterator_traitsISK_E10value_typeEPNSQ_ISL_E10value_typeEPSM_NS1_7vsmem_tEENKUlT_SK_SL_SM_E_clIPfSE_SF_SF_EESJ_SZ_SK_SL_SM_EUlSZ_E_NS1_11comp_targetILNS1_3genE10ELNS1_11target_archE1201ELNS1_3gpuE5ELNS1_3repE0EEENS1_48merge_mergepath_partition_config_static_selectorELNS0_4arch9wavefront6targetE1EEEvSL_.num_named_barrier, 0
	.set _ZN7rocprim17ROCPRIM_400000_NS6detail17trampoline_kernelINS0_14default_configENS1_38merge_sort_block_merge_config_selectorIfNS0_10empty_typeEEEZZNS1_27merge_sort_block_merge_implIS3_N6thrust23THRUST_200600_302600_NS6detail15normal_iteratorINS9_10device_ptrIfEEEEPS5_jNS1_19radix_merge_compareILb0ELb0EfNS0_19identity_decomposerEEEEE10hipError_tT0_T1_T2_jT3_P12ihipStream_tbPNSt15iterator_traitsISK_E10value_typeEPNSQ_ISL_E10value_typeEPSM_NS1_7vsmem_tEENKUlT_SK_SL_SM_E_clIPfSE_SF_SF_EESJ_SZ_SK_SL_SM_EUlSZ_E_NS1_11comp_targetILNS1_3genE10ELNS1_11target_archE1201ELNS1_3gpuE5ELNS1_3repE0EEENS1_48merge_mergepath_partition_config_static_selectorELNS0_4arch9wavefront6targetE1EEEvSL_.private_seg_size, 0
	.set _ZN7rocprim17ROCPRIM_400000_NS6detail17trampoline_kernelINS0_14default_configENS1_38merge_sort_block_merge_config_selectorIfNS0_10empty_typeEEEZZNS1_27merge_sort_block_merge_implIS3_N6thrust23THRUST_200600_302600_NS6detail15normal_iteratorINS9_10device_ptrIfEEEEPS5_jNS1_19radix_merge_compareILb0ELb0EfNS0_19identity_decomposerEEEEE10hipError_tT0_T1_T2_jT3_P12ihipStream_tbPNSt15iterator_traitsISK_E10value_typeEPNSQ_ISL_E10value_typeEPSM_NS1_7vsmem_tEENKUlT_SK_SL_SM_E_clIPfSE_SF_SF_EESJ_SZ_SK_SL_SM_EUlSZ_E_NS1_11comp_targetILNS1_3genE10ELNS1_11target_archE1201ELNS1_3gpuE5ELNS1_3repE0EEENS1_48merge_mergepath_partition_config_static_selectorELNS0_4arch9wavefront6targetE1EEEvSL_.uses_vcc, 0
	.set _ZN7rocprim17ROCPRIM_400000_NS6detail17trampoline_kernelINS0_14default_configENS1_38merge_sort_block_merge_config_selectorIfNS0_10empty_typeEEEZZNS1_27merge_sort_block_merge_implIS3_N6thrust23THRUST_200600_302600_NS6detail15normal_iteratorINS9_10device_ptrIfEEEEPS5_jNS1_19radix_merge_compareILb0ELb0EfNS0_19identity_decomposerEEEEE10hipError_tT0_T1_T2_jT3_P12ihipStream_tbPNSt15iterator_traitsISK_E10value_typeEPNSQ_ISL_E10value_typeEPSM_NS1_7vsmem_tEENKUlT_SK_SL_SM_E_clIPfSE_SF_SF_EESJ_SZ_SK_SL_SM_EUlSZ_E_NS1_11comp_targetILNS1_3genE10ELNS1_11target_archE1201ELNS1_3gpuE5ELNS1_3repE0EEENS1_48merge_mergepath_partition_config_static_selectorELNS0_4arch9wavefront6targetE1EEEvSL_.uses_flat_scratch, 0
	.set _ZN7rocprim17ROCPRIM_400000_NS6detail17trampoline_kernelINS0_14default_configENS1_38merge_sort_block_merge_config_selectorIfNS0_10empty_typeEEEZZNS1_27merge_sort_block_merge_implIS3_N6thrust23THRUST_200600_302600_NS6detail15normal_iteratorINS9_10device_ptrIfEEEEPS5_jNS1_19radix_merge_compareILb0ELb0EfNS0_19identity_decomposerEEEEE10hipError_tT0_T1_T2_jT3_P12ihipStream_tbPNSt15iterator_traitsISK_E10value_typeEPNSQ_ISL_E10value_typeEPSM_NS1_7vsmem_tEENKUlT_SK_SL_SM_E_clIPfSE_SF_SF_EESJ_SZ_SK_SL_SM_EUlSZ_E_NS1_11comp_targetILNS1_3genE10ELNS1_11target_archE1201ELNS1_3gpuE5ELNS1_3repE0EEENS1_48merge_mergepath_partition_config_static_selectorELNS0_4arch9wavefront6targetE1EEEvSL_.has_dyn_sized_stack, 0
	.set _ZN7rocprim17ROCPRIM_400000_NS6detail17trampoline_kernelINS0_14default_configENS1_38merge_sort_block_merge_config_selectorIfNS0_10empty_typeEEEZZNS1_27merge_sort_block_merge_implIS3_N6thrust23THRUST_200600_302600_NS6detail15normal_iteratorINS9_10device_ptrIfEEEEPS5_jNS1_19radix_merge_compareILb0ELb0EfNS0_19identity_decomposerEEEEE10hipError_tT0_T1_T2_jT3_P12ihipStream_tbPNSt15iterator_traitsISK_E10value_typeEPNSQ_ISL_E10value_typeEPSM_NS1_7vsmem_tEENKUlT_SK_SL_SM_E_clIPfSE_SF_SF_EESJ_SZ_SK_SL_SM_EUlSZ_E_NS1_11comp_targetILNS1_3genE10ELNS1_11target_archE1201ELNS1_3gpuE5ELNS1_3repE0EEENS1_48merge_mergepath_partition_config_static_selectorELNS0_4arch9wavefront6targetE1EEEvSL_.has_recursion, 0
	.set _ZN7rocprim17ROCPRIM_400000_NS6detail17trampoline_kernelINS0_14default_configENS1_38merge_sort_block_merge_config_selectorIfNS0_10empty_typeEEEZZNS1_27merge_sort_block_merge_implIS3_N6thrust23THRUST_200600_302600_NS6detail15normal_iteratorINS9_10device_ptrIfEEEEPS5_jNS1_19radix_merge_compareILb0ELb0EfNS0_19identity_decomposerEEEEE10hipError_tT0_T1_T2_jT3_P12ihipStream_tbPNSt15iterator_traitsISK_E10value_typeEPNSQ_ISL_E10value_typeEPSM_NS1_7vsmem_tEENKUlT_SK_SL_SM_E_clIPfSE_SF_SF_EESJ_SZ_SK_SL_SM_EUlSZ_E_NS1_11comp_targetILNS1_3genE10ELNS1_11target_archE1201ELNS1_3gpuE5ELNS1_3repE0EEENS1_48merge_mergepath_partition_config_static_selectorELNS0_4arch9wavefront6targetE1EEEvSL_.has_indirect_call, 0
	.section	.AMDGPU.csdata,"",@progbits
; Kernel info:
; codeLenInByte = 0
; TotalNumSgprs: 6
; NumVgprs: 0
; NumAgprs: 0
; TotalNumVgprs: 0
; ScratchSize: 0
; MemoryBound: 0
; FloatMode: 240
; IeeeMode: 1
; LDSByteSize: 0 bytes/workgroup (compile time only)
; SGPRBlocks: 0
; VGPRBlocks: 0
; NumSGPRsForWavesPerEU: 6
; NumVGPRsForWavesPerEU: 1
; AccumOffset: 4
; Occupancy: 8
; WaveLimiterHint : 0
; COMPUTE_PGM_RSRC2:SCRATCH_EN: 0
; COMPUTE_PGM_RSRC2:USER_SGPR: 2
; COMPUTE_PGM_RSRC2:TRAP_HANDLER: 0
; COMPUTE_PGM_RSRC2:TGID_X_EN: 1
; COMPUTE_PGM_RSRC2:TGID_Y_EN: 0
; COMPUTE_PGM_RSRC2:TGID_Z_EN: 0
; COMPUTE_PGM_RSRC2:TIDIG_COMP_CNT: 0
; COMPUTE_PGM_RSRC3_GFX90A:ACCUM_OFFSET: 0
; COMPUTE_PGM_RSRC3_GFX90A:TG_SPLIT: 0
	.section	.text._ZN7rocprim17ROCPRIM_400000_NS6detail17trampoline_kernelINS0_14default_configENS1_38merge_sort_block_merge_config_selectorIfNS0_10empty_typeEEEZZNS1_27merge_sort_block_merge_implIS3_N6thrust23THRUST_200600_302600_NS6detail15normal_iteratorINS9_10device_ptrIfEEEEPS5_jNS1_19radix_merge_compareILb0ELb0EfNS0_19identity_decomposerEEEEE10hipError_tT0_T1_T2_jT3_P12ihipStream_tbPNSt15iterator_traitsISK_E10value_typeEPNSQ_ISL_E10value_typeEPSM_NS1_7vsmem_tEENKUlT_SK_SL_SM_E_clIPfSE_SF_SF_EESJ_SZ_SK_SL_SM_EUlSZ_E_NS1_11comp_targetILNS1_3genE5ELNS1_11target_archE942ELNS1_3gpuE9ELNS1_3repE0EEENS1_48merge_mergepath_partition_config_static_selectorELNS0_4arch9wavefront6targetE1EEEvSL_,"axG",@progbits,_ZN7rocprim17ROCPRIM_400000_NS6detail17trampoline_kernelINS0_14default_configENS1_38merge_sort_block_merge_config_selectorIfNS0_10empty_typeEEEZZNS1_27merge_sort_block_merge_implIS3_N6thrust23THRUST_200600_302600_NS6detail15normal_iteratorINS9_10device_ptrIfEEEEPS5_jNS1_19radix_merge_compareILb0ELb0EfNS0_19identity_decomposerEEEEE10hipError_tT0_T1_T2_jT3_P12ihipStream_tbPNSt15iterator_traitsISK_E10value_typeEPNSQ_ISL_E10value_typeEPSM_NS1_7vsmem_tEENKUlT_SK_SL_SM_E_clIPfSE_SF_SF_EESJ_SZ_SK_SL_SM_EUlSZ_E_NS1_11comp_targetILNS1_3genE5ELNS1_11target_archE942ELNS1_3gpuE9ELNS1_3repE0EEENS1_48merge_mergepath_partition_config_static_selectorELNS0_4arch9wavefront6targetE1EEEvSL_,comdat
	.protected	_ZN7rocprim17ROCPRIM_400000_NS6detail17trampoline_kernelINS0_14default_configENS1_38merge_sort_block_merge_config_selectorIfNS0_10empty_typeEEEZZNS1_27merge_sort_block_merge_implIS3_N6thrust23THRUST_200600_302600_NS6detail15normal_iteratorINS9_10device_ptrIfEEEEPS5_jNS1_19radix_merge_compareILb0ELb0EfNS0_19identity_decomposerEEEEE10hipError_tT0_T1_T2_jT3_P12ihipStream_tbPNSt15iterator_traitsISK_E10value_typeEPNSQ_ISL_E10value_typeEPSM_NS1_7vsmem_tEENKUlT_SK_SL_SM_E_clIPfSE_SF_SF_EESJ_SZ_SK_SL_SM_EUlSZ_E_NS1_11comp_targetILNS1_3genE5ELNS1_11target_archE942ELNS1_3gpuE9ELNS1_3repE0EEENS1_48merge_mergepath_partition_config_static_selectorELNS0_4arch9wavefront6targetE1EEEvSL_ ; -- Begin function _ZN7rocprim17ROCPRIM_400000_NS6detail17trampoline_kernelINS0_14default_configENS1_38merge_sort_block_merge_config_selectorIfNS0_10empty_typeEEEZZNS1_27merge_sort_block_merge_implIS3_N6thrust23THRUST_200600_302600_NS6detail15normal_iteratorINS9_10device_ptrIfEEEEPS5_jNS1_19radix_merge_compareILb0ELb0EfNS0_19identity_decomposerEEEEE10hipError_tT0_T1_T2_jT3_P12ihipStream_tbPNSt15iterator_traitsISK_E10value_typeEPNSQ_ISL_E10value_typeEPSM_NS1_7vsmem_tEENKUlT_SK_SL_SM_E_clIPfSE_SF_SF_EESJ_SZ_SK_SL_SM_EUlSZ_E_NS1_11comp_targetILNS1_3genE5ELNS1_11target_archE942ELNS1_3gpuE9ELNS1_3repE0EEENS1_48merge_mergepath_partition_config_static_selectorELNS0_4arch9wavefront6targetE1EEEvSL_
	.globl	_ZN7rocprim17ROCPRIM_400000_NS6detail17trampoline_kernelINS0_14default_configENS1_38merge_sort_block_merge_config_selectorIfNS0_10empty_typeEEEZZNS1_27merge_sort_block_merge_implIS3_N6thrust23THRUST_200600_302600_NS6detail15normal_iteratorINS9_10device_ptrIfEEEEPS5_jNS1_19radix_merge_compareILb0ELb0EfNS0_19identity_decomposerEEEEE10hipError_tT0_T1_T2_jT3_P12ihipStream_tbPNSt15iterator_traitsISK_E10value_typeEPNSQ_ISL_E10value_typeEPSM_NS1_7vsmem_tEENKUlT_SK_SL_SM_E_clIPfSE_SF_SF_EESJ_SZ_SK_SL_SM_EUlSZ_E_NS1_11comp_targetILNS1_3genE5ELNS1_11target_archE942ELNS1_3gpuE9ELNS1_3repE0EEENS1_48merge_mergepath_partition_config_static_selectorELNS0_4arch9wavefront6targetE1EEEvSL_
	.p2align	8
	.type	_ZN7rocprim17ROCPRIM_400000_NS6detail17trampoline_kernelINS0_14default_configENS1_38merge_sort_block_merge_config_selectorIfNS0_10empty_typeEEEZZNS1_27merge_sort_block_merge_implIS3_N6thrust23THRUST_200600_302600_NS6detail15normal_iteratorINS9_10device_ptrIfEEEEPS5_jNS1_19radix_merge_compareILb0ELb0EfNS0_19identity_decomposerEEEEE10hipError_tT0_T1_T2_jT3_P12ihipStream_tbPNSt15iterator_traitsISK_E10value_typeEPNSQ_ISL_E10value_typeEPSM_NS1_7vsmem_tEENKUlT_SK_SL_SM_E_clIPfSE_SF_SF_EESJ_SZ_SK_SL_SM_EUlSZ_E_NS1_11comp_targetILNS1_3genE5ELNS1_11target_archE942ELNS1_3gpuE9ELNS1_3repE0EEENS1_48merge_mergepath_partition_config_static_selectorELNS0_4arch9wavefront6targetE1EEEvSL_,@function
_ZN7rocprim17ROCPRIM_400000_NS6detail17trampoline_kernelINS0_14default_configENS1_38merge_sort_block_merge_config_selectorIfNS0_10empty_typeEEEZZNS1_27merge_sort_block_merge_implIS3_N6thrust23THRUST_200600_302600_NS6detail15normal_iteratorINS9_10device_ptrIfEEEEPS5_jNS1_19radix_merge_compareILb0ELb0EfNS0_19identity_decomposerEEEEE10hipError_tT0_T1_T2_jT3_P12ihipStream_tbPNSt15iterator_traitsISK_E10value_typeEPNSQ_ISL_E10value_typeEPSM_NS1_7vsmem_tEENKUlT_SK_SL_SM_E_clIPfSE_SF_SF_EESJ_SZ_SK_SL_SM_EUlSZ_E_NS1_11comp_targetILNS1_3genE5ELNS1_11target_archE942ELNS1_3gpuE9ELNS1_3repE0EEENS1_48merge_mergepath_partition_config_static_selectorELNS0_4arch9wavefront6targetE1EEEvSL_: ; @_ZN7rocprim17ROCPRIM_400000_NS6detail17trampoline_kernelINS0_14default_configENS1_38merge_sort_block_merge_config_selectorIfNS0_10empty_typeEEEZZNS1_27merge_sort_block_merge_implIS3_N6thrust23THRUST_200600_302600_NS6detail15normal_iteratorINS9_10device_ptrIfEEEEPS5_jNS1_19radix_merge_compareILb0ELb0EfNS0_19identity_decomposerEEEEE10hipError_tT0_T1_T2_jT3_P12ihipStream_tbPNSt15iterator_traitsISK_E10value_typeEPNSQ_ISL_E10value_typeEPSM_NS1_7vsmem_tEENKUlT_SK_SL_SM_E_clIPfSE_SF_SF_EESJ_SZ_SK_SL_SM_EUlSZ_E_NS1_11comp_targetILNS1_3genE5ELNS1_11target_archE942ELNS1_3gpuE9ELNS1_3repE0EEENS1_48merge_mergepath_partition_config_static_selectorELNS0_4arch9wavefront6targetE1EEEvSL_
; %bb.0:
	.section	.rodata,"a",@progbits
	.p2align	6, 0x0
	.amdhsa_kernel _ZN7rocprim17ROCPRIM_400000_NS6detail17trampoline_kernelINS0_14default_configENS1_38merge_sort_block_merge_config_selectorIfNS0_10empty_typeEEEZZNS1_27merge_sort_block_merge_implIS3_N6thrust23THRUST_200600_302600_NS6detail15normal_iteratorINS9_10device_ptrIfEEEEPS5_jNS1_19radix_merge_compareILb0ELb0EfNS0_19identity_decomposerEEEEE10hipError_tT0_T1_T2_jT3_P12ihipStream_tbPNSt15iterator_traitsISK_E10value_typeEPNSQ_ISL_E10value_typeEPSM_NS1_7vsmem_tEENKUlT_SK_SL_SM_E_clIPfSE_SF_SF_EESJ_SZ_SK_SL_SM_EUlSZ_E_NS1_11comp_targetILNS1_3genE5ELNS1_11target_archE942ELNS1_3gpuE9ELNS1_3repE0EEENS1_48merge_mergepath_partition_config_static_selectorELNS0_4arch9wavefront6targetE1EEEvSL_
		.amdhsa_group_segment_fixed_size 0
		.amdhsa_private_segment_fixed_size 0
		.amdhsa_kernarg_size 40
		.amdhsa_user_sgpr_count 2
		.amdhsa_user_sgpr_dispatch_ptr 0
		.amdhsa_user_sgpr_queue_ptr 0
		.amdhsa_user_sgpr_kernarg_segment_ptr 1
		.amdhsa_user_sgpr_dispatch_id 0
		.amdhsa_user_sgpr_kernarg_preload_length 0
		.amdhsa_user_sgpr_kernarg_preload_offset 0
		.amdhsa_user_sgpr_private_segment_size 0
		.amdhsa_uses_dynamic_stack 0
		.amdhsa_enable_private_segment 0
		.amdhsa_system_sgpr_workgroup_id_x 1
		.amdhsa_system_sgpr_workgroup_id_y 0
		.amdhsa_system_sgpr_workgroup_id_z 0
		.amdhsa_system_sgpr_workgroup_info 0
		.amdhsa_system_vgpr_workitem_id 0
		.amdhsa_next_free_vgpr 1
		.amdhsa_next_free_sgpr 0
		.amdhsa_accum_offset 4
		.amdhsa_reserve_vcc 0
		.amdhsa_float_round_mode_32 0
		.amdhsa_float_round_mode_16_64 0
		.amdhsa_float_denorm_mode_32 3
		.amdhsa_float_denorm_mode_16_64 3
		.amdhsa_dx10_clamp 1
		.amdhsa_ieee_mode 1
		.amdhsa_fp16_overflow 0
		.amdhsa_tg_split 0
		.amdhsa_exception_fp_ieee_invalid_op 0
		.amdhsa_exception_fp_denorm_src 0
		.amdhsa_exception_fp_ieee_div_zero 0
		.amdhsa_exception_fp_ieee_overflow 0
		.amdhsa_exception_fp_ieee_underflow 0
		.amdhsa_exception_fp_ieee_inexact 0
		.amdhsa_exception_int_div_zero 0
	.end_amdhsa_kernel
	.section	.text._ZN7rocprim17ROCPRIM_400000_NS6detail17trampoline_kernelINS0_14default_configENS1_38merge_sort_block_merge_config_selectorIfNS0_10empty_typeEEEZZNS1_27merge_sort_block_merge_implIS3_N6thrust23THRUST_200600_302600_NS6detail15normal_iteratorINS9_10device_ptrIfEEEEPS5_jNS1_19radix_merge_compareILb0ELb0EfNS0_19identity_decomposerEEEEE10hipError_tT0_T1_T2_jT3_P12ihipStream_tbPNSt15iterator_traitsISK_E10value_typeEPNSQ_ISL_E10value_typeEPSM_NS1_7vsmem_tEENKUlT_SK_SL_SM_E_clIPfSE_SF_SF_EESJ_SZ_SK_SL_SM_EUlSZ_E_NS1_11comp_targetILNS1_3genE5ELNS1_11target_archE942ELNS1_3gpuE9ELNS1_3repE0EEENS1_48merge_mergepath_partition_config_static_selectorELNS0_4arch9wavefront6targetE1EEEvSL_,"axG",@progbits,_ZN7rocprim17ROCPRIM_400000_NS6detail17trampoline_kernelINS0_14default_configENS1_38merge_sort_block_merge_config_selectorIfNS0_10empty_typeEEEZZNS1_27merge_sort_block_merge_implIS3_N6thrust23THRUST_200600_302600_NS6detail15normal_iteratorINS9_10device_ptrIfEEEEPS5_jNS1_19radix_merge_compareILb0ELb0EfNS0_19identity_decomposerEEEEE10hipError_tT0_T1_T2_jT3_P12ihipStream_tbPNSt15iterator_traitsISK_E10value_typeEPNSQ_ISL_E10value_typeEPSM_NS1_7vsmem_tEENKUlT_SK_SL_SM_E_clIPfSE_SF_SF_EESJ_SZ_SK_SL_SM_EUlSZ_E_NS1_11comp_targetILNS1_3genE5ELNS1_11target_archE942ELNS1_3gpuE9ELNS1_3repE0EEENS1_48merge_mergepath_partition_config_static_selectorELNS0_4arch9wavefront6targetE1EEEvSL_,comdat
.Lfunc_end477:
	.size	_ZN7rocprim17ROCPRIM_400000_NS6detail17trampoline_kernelINS0_14default_configENS1_38merge_sort_block_merge_config_selectorIfNS0_10empty_typeEEEZZNS1_27merge_sort_block_merge_implIS3_N6thrust23THRUST_200600_302600_NS6detail15normal_iteratorINS9_10device_ptrIfEEEEPS5_jNS1_19radix_merge_compareILb0ELb0EfNS0_19identity_decomposerEEEEE10hipError_tT0_T1_T2_jT3_P12ihipStream_tbPNSt15iterator_traitsISK_E10value_typeEPNSQ_ISL_E10value_typeEPSM_NS1_7vsmem_tEENKUlT_SK_SL_SM_E_clIPfSE_SF_SF_EESJ_SZ_SK_SL_SM_EUlSZ_E_NS1_11comp_targetILNS1_3genE5ELNS1_11target_archE942ELNS1_3gpuE9ELNS1_3repE0EEENS1_48merge_mergepath_partition_config_static_selectorELNS0_4arch9wavefront6targetE1EEEvSL_, .Lfunc_end477-_ZN7rocprim17ROCPRIM_400000_NS6detail17trampoline_kernelINS0_14default_configENS1_38merge_sort_block_merge_config_selectorIfNS0_10empty_typeEEEZZNS1_27merge_sort_block_merge_implIS3_N6thrust23THRUST_200600_302600_NS6detail15normal_iteratorINS9_10device_ptrIfEEEEPS5_jNS1_19radix_merge_compareILb0ELb0EfNS0_19identity_decomposerEEEEE10hipError_tT0_T1_T2_jT3_P12ihipStream_tbPNSt15iterator_traitsISK_E10value_typeEPNSQ_ISL_E10value_typeEPSM_NS1_7vsmem_tEENKUlT_SK_SL_SM_E_clIPfSE_SF_SF_EESJ_SZ_SK_SL_SM_EUlSZ_E_NS1_11comp_targetILNS1_3genE5ELNS1_11target_archE942ELNS1_3gpuE9ELNS1_3repE0EEENS1_48merge_mergepath_partition_config_static_selectorELNS0_4arch9wavefront6targetE1EEEvSL_
                                        ; -- End function
	.set _ZN7rocprim17ROCPRIM_400000_NS6detail17trampoline_kernelINS0_14default_configENS1_38merge_sort_block_merge_config_selectorIfNS0_10empty_typeEEEZZNS1_27merge_sort_block_merge_implIS3_N6thrust23THRUST_200600_302600_NS6detail15normal_iteratorINS9_10device_ptrIfEEEEPS5_jNS1_19radix_merge_compareILb0ELb0EfNS0_19identity_decomposerEEEEE10hipError_tT0_T1_T2_jT3_P12ihipStream_tbPNSt15iterator_traitsISK_E10value_typeEPNSQ_ISL_E10value_typeEPSM_NS1_7vsmem_tEENKUlT_SK_SL_SM_E_clIPfSE_SF_SF_EESJ_SZ_SK_SL_SM_EUlSZ_E_NS1_11comp_targetILNS1_3genE5ELNS1_11target_archE942ELNS1_3gpuE9ELNS1_3repE0EEENS1_48merge_mergepath_partition_config_static_selectorELNS0_4arch9wavefront6targetE1EEEvSL_.num_vgpr, 0
	.set _ZN7rocprim17ROCPRIM_400000_NS6detail17trampoline_kernelINS0_14default_configENS1_38merge_sort_block_merge_config_selectorIfNS0_10empty_typeEEEZZNS1_27merge_sort_block_merge_implIS3_N6thrust23THRUST_200600_302600_NS6detail15normal_iteratorINS9_10device_ptrIfEEEEPS5_jNS1_19radix_merge_compareILb0ELb0EfNS0_19identity_decomposerEEEEE10hipError_tT0_T1_T2_jT3_P12ihipStream_tbPNSt15iterator_traitsISK_E10value_typeEPNSQ_ISL_E10value_typeEPSM_NS1_7vsmem_tEENKUlT_SK_SL_SM_E_clIPfSE_SF_SF_EESJ_SZ_SK_SL_SM_EUlSZ_E_NS1_11comp_targetILNS1_3genE5ELNS1_11target_archE942ELNS1_3gpuE9ELNS1_3repE0EEENS1_48merge_mergepath_partition_config_static_selectorELNS0_4arch9wavefront6targetE1EEEvSL_.num_agpr, 0
	.set _ZN7rocprim17ROCPRIM_400000_NS6detail17trampoline_kernelINS0_14default_configENS1_38merge_sort_block_merge_config_selectorIfNS0_10empty_typeEEEZZNS1_27merge_sort_block_merge_implIS3_N6thrust23THRUST_200600_302600_NS6detail15normal_iteratorINS9_10device_ptrIfEEEEPS5_jNS1_19radix_merge_compareILb0ELb0EfNS0_19identity_decomposerEEEEE10hipError_tT0_T1_T2_jT3_P12ihipStream_tbPNSt15iterator_traitsISK_E10value_typeEPNSQ_ISL_E10value_typeEPSM_NS1_7vsmem_tEENKUlT_SK_SL_SM_E_clIPfSE_SF_SF_EESJ_SZ_SK_SL_SM_EUlSZ_E_NS1_11comp_targetILNS1_3genE5ELNS1_11target_archE942ELNS1_3gpuE9ELNS1_3repE0EEENS1_48merge_mergepath_partition_config_static_selectorELNS0_4arch9wavefront6targetE1EEEvSL_.numbered_sgpr, 0
	.set _ZN7rocprim17ROCPRIM_400000_NS6detail17trampoline_kernelINS0_14default_configENS1_38merge_sort_block_merge_config_selectorIfNS0_10empty_typeEEEZZNS1_27merge_sort_block_merge_implIS3_N6thrust23THRUST_200600_302600_NS6detail15normal_iteratorINS9_10device_ptrIfEEEEPS5_jNS1_19radix_merge_compareILb0ELb0EfNS0_19identity_decomposerEEEEE10hipError_tT0_T1_T2_jT3_P12ihipStream_tbPNSt15iterator_traitsISK_E10value_typeEPNSQ_ISL_E10value_typeEPSM_NS1_7vsmem_tEENKUlT_SK_SL_SM_E_clIPfSE_SF_SF_EESJ_SZ_SK_SL_SM_EUlSZ_E_NS1_11comp_targetILNS1_3genE5ELNS1_11target_archE942ELNS1_3gpuE9ELNS1_3repE0EEENS1_48merge_mergepath_partition_config_static_selectorELNS0_4arch9wavefront6targetE1EEEvSL_.num_named_barrier, 0
	.set _ZN7rocprim17ROCPRIM_400000_NS6detail17trampoline_kernelINS0_14default_configENS1_38merge_sort_block_merge_config_selectorIfNS0_10empty_typeEEEZZNS1_27merge_sort_block_merge_implIS3_N6thrust23THRUST_200600_302600_NS6detail15normal_iteratorINS9_10device_ptrIfEEEEPS5_jNS1_19radix_merge_compareILb0ELb0EfNS0_19identity_decomposerEEEEE10hipError_tT0_T1_T2_jT3_P12ihipStream_tbPNSt15iterator_traitsISK_E10value_typeEPNSQ_ISL_E10value_typeEPSM_NS1_7vsmem_tEENKUlT_SK_SL_SM_E_clIPfSE_SF_SF_EESJ_SZ_SK_SL_SM_EUlSZ_E_NS1_11comp_targetILNS1_3genE5ELNS1_11target_archE942ELNS1_3gpuE9ELNS1_3repE0EEENS1_48merge_mergepath_partition_config_static_selectorELNS0_4arch9wavefront6targetE1EEEvSL_.private_seg_size, 0
	.set _ZN7rocprim17ROCPRIM_400000_NS6detail17trampoline_kernelINS0_14default_configENS1_38merge_sort_block_merge_config_selectorIfNS0_10empty_typeEEEZZNS1_27merge_sort_block_merge_implIS3_N6thrust23THRUST_200600_302600_NS6detail15normal_iteratorINS9_10device_ptrIfEEEEPS5_jNS1_19radix_merge_compareILb0ELb0EfNS0_19identity_decomposerEEEEE10hipError_tT0_T1_T2_jT3_P12ihipStream_tbPNSt15iterator_traitsISK_E10value_typeEPNSQ_ISL_E10value_typeEPSM_NS1_7vsmem_tEENKUlT_SK_SL_SM_E_clIPfSE_SF_SF_EESJ_SZ_SK_SL_SM_EUlSZ_E_NS1_11comp_targetILNS1_3genE5ELNS1_11target_archE942ELNS1_3gpuE9ELNS1_3repE0EEENS1_48merge_mergepath_partition_config_static_selectorELNS0_4arch9wavefront6targetE1EEEvSL_.uses_vcc, 0
	.set _ZN7rocprim17ROCPRIM_400000_NS6detail17trampoline_kernelINS0_14default_configENS1_38merge_sort_block_merge_config_selectorIfNS0_10empty_typeEEEZZNS1_27merge_sort_block_merge_implIS3_N6thrust23THRUST_200600_302600_NS6detail15normal_iteratorINS9_10device_ptrIfEEEEPS5_jNS1_19radix_merge_compareILb0ELb0EfNS0_19identity_decomposerEEEEE10hipError_tT0_T1_T2_jT3_P12ihipStream_tbPNSt15iterator_traitsISK_E10value_typeEPNSQ_ISL_E10value_typeEPSM_NS1_7vsmem_tEENKUlT_SK_SL_SM_E_clIPfSE_SF_SF_EESJ_SZ_SK_SL_SM_EUlSZ_E_NS1_11comp_targetILNS1_3genE5ELNS1_11target_archE942ELNS1_3gpuE9ELNS1_3repE0EEENS1_48merge_mergepath_partition_config_static_selectorELNS0_4arch9wavefront6targetE1EEEvSL_.uses_flat_scratch, 0
	.set _ZN7rocprim17ROCPRIM_400000_NS6detail17trampoline_kernelINS0_14default_configENS1_38merge_sort_block_merge_config_selectorIfNS0_10empty_typeEEEZZNS1_27merge_sort_block_merge_implIS3_N6thrust23THRUST_200600_302600_NS6detail15normal_iteratorINS9_10device_ptrIfEEEEPS5_jNS1_19radix_merge_compareILb0ELb0EfNS0_19identity_decomposerEEEEE10hipError_tT0_T1_T2_jT3_P12ihipStream_tbPNSt15iterator_traitsISK_E10value_typeEPNSQ_ISL_E10value_typeEPSM_NS1_7vsmem_tEENKUlT_SK_SL_SM_E_clIPfSE_SF_SF_EESJ_SZ_SK_SL_SM_EUlSZ_E_NS1_11comp_targetILNS1_3genE5ELNS1_11target_archE942ELNS1_3gpuE9ELNS1_3repE0EEENS1_48merge_mergepath_partition_config_static_selectorELNS0_4arch9wavefront6targetE1EEEvSL_.has_dyn_sized_stack, 0
	.set _ZN7rocprim17ROCPRIM_400000_NS6detail17trampoline_kernelINS0_14default_configENS1_38merge_sort_block_merge_config_selectorIfNS0_10empty_typeEEEZZNS1_27merge_sort_block_merge_implIS3_N6thrust23THRUST_200600_302600_NS6detail15normal_iteratorINS9_10device_ptrIfEEEEPS5_jNS1_19radix_merge_compareILb0ELb0EfNS0_19identity_decomposerEEEEE10hipError_tT0_T1_T2_jT3_P12ihipStream_tbPNSt15iterator_traitsISK_E10value_typeEPNSQ_ISL_E10value_typeEPSM_NS1_7vsmem_tEENKUlT_SK_SL_SM_E_clIPfSE_SF_SF_EESJ_SZ_SK_SL_SM_EUlSZ_E_NS1_11comp_targetILNS1_3genE5ELNS1_11target_archE942ELNS1_3gpuE9ELNS1_3repE0EEENS1_48merge_mergepath_partition_config_static_selectorELNS0_4arch9wavefront6targetE1EEEvSL_.has_recursion, 0
	.set _ZN7rocprim17ROCPRIM_400000_NS6detail17trampoline_kernelINS0_14default_configENS1_38merge_sort_block_merge_config_selectorIfNS0_10empty_typeEEEZZNS1_27merge_sort_block_merge_implIS3_N6thrust23THRUST_200600_302600_NS6detail15normal_iteratorINS9_10device_ptrIfEEEEPS5_jNS1_19radix_merge_compareILb0ELb0EfNS0_19identity_decomposerEEEEE10hipError_tT0_T1_T2_jT3_P12ihipStream_tbPNSt15iterator_traitsISK_E10value_typeEPNSQ_ISL_E10value_typeEPSM_NS1_7vsmem_tEENKUlT_SK_SL_SM_E_clIPfSE_SF_SF_EESJ_SZ_SK_SL_SM_EUlSZ_E_NS1_11comp_targetILNS1_3genE5ELNS1_11target_archE942ELNS1_3gpuE9ELNS1_3repE0EEENS1_48merge_mergepath_partition_config_static_selectorELNS0_4arch9wavefront6targetE1EEEvSL_.has_indirect_call, 0
	.section	.AMDGPU.csdata,"",@progbits
; Kernel info:
; codeLenInByte = 0
; TotalNumSgprs: 6
; NumVgprs: 0
; NumAgprs: 0
; TotalNumVgprs: 0
; ScratchSize: 0
; MemoryBound: 0
; FloatMode: 240
; IeeeMode: 1
; LDSByteSize: 0 bytes/workgroup (compile time only)
; SGPRBlocks: 0
; VGPRBlocks: 0
; NumSGPRsForWavesPerEU: 6
; NumVGPRsForWavesPerEU: 1
; AccumOffset: 4
; Occupancy: 8
; WaveLimiterHint : 0
; COMPUTE_PGM_RSRC2:SCRATCH_EN: 0
; COMPUTE_PGM_RSRC2:USER_SGPR: 2
; COMPUTE_PGM_RSRC2:TRAP_HANDLER: 0
; COMPUTE_PGM_RSRC2:TGID_X_EN: 1
; COMPUTE_PGM_RSRC2:TGID_Y_EN: 0
; COMPUTE_PGM_RSRC2:TGID_Z_EN: 0
; COMPUTE_PGM_RSRC2:TIDIG_COMP_CNT: 0
; COMPUTE_PGM_RSRC3_GFX90A:ACCUM_OFFSET: 0
; COMPUTE_PGM_RSRC3_GFX90A:TG_SPLIT: 0
	.section	.text._ZN7rocprim17ROCPRIM_400000_NS6detail17trampoline_kernelINS0_14default_configENS1_38merge_sort_block_merge_config_selectorIfNS0_10empty_typeEEEZZNS1_27merge_sort_block_merge_implIS3_N6thrust23THRUST_200600_302600_NS6detail15normal_iteratorINS9_10device_ptrIfEEEEPS5_jNS1_19radix_merge_compareILb0ELb0EfNS0_19identity_decomposerEEEEE10hipError_tT0_T1_T2_jT3_P12ihipStream_tbPNSt15iterator_traitsISK_E10value_typeEPNSQ_ISL_E10value_typeEPSM_NS1_7vsmem_tEENKUlT_SK_SL_SM_E_clIPfSE_SF_SF_EESJ_SZ_SK_SL_SM_EUlSZ_E_NS1_11comp_targetILNS1_3genE4ELNS1_11target_archE910ELNS1_3gpuE8ELNS1_3repE0EEENS1_48merge_mergepath_partition_config_static_selectorELNS0_4arch9wavefront6targetE1EEEvSL_,"axG",@progbits,_ZN7rocprim17ROCPRIM_400000_NS6detail17trampoline_kernelINS0_14default_configENS1_38merge_sort_block_merge_config_selectorIfNS0_10empty_typeEEEZZNS1_27merge_sort_block_merge_implIS3_N6thrust23THRUST_200600_302600_NS6detail15normal_iteratorINS9_10device_ptrIfEEEEPS5_jNS1_19radix_merge_compareILb0ELb0EfNS0_19identity_decomposerEEEEE10hipError_tT0_T1_T2_jT3_P12ihipStream_tbPNSt15iterator_traitsISK_E10value_typeEPNSQ_ISL_E10value_typeEPSM_NS1_7vsmem_tEENKUlT_SK_SL_SM_E_clIPfSE_SF_SF_EESJ_SZ_SK_SL_SM_EUlSZ_E_NS1_11comp_targetILNS1_3genE4ELNS1_11target_archE910ELNS1_3gpuE8ELNS1_3repE0EEENS1_48merge_mergepath_partition_config_static_selectorELNS0_4arch9wavefront6targetE1EEEvSL_,comdat
	.protected	_ZN7rocprim17ROCPRIM_400000_NS6detail17trampoline_kernelINS0_14default_configENS1_38merge_sort_block_merge_config_selectorIfNS0_10empty_typeEEEZZNS1_27merge_sort_block_merge_implIS3_N6thrust23THRUST_200600_302600_NS6detail15normal_iteratorINS9_10device_ptrIfEEEEPS5_jNS1_19radix_merge_compareILb0ELb0EfNS0_19identity_decomposerEEEEE10hipError_tT0_T1_T2_jT3_P12ihipStream_tbPNSt15iterator_traitsISK_E10value_typeEPNSQ_ISL_E10value_typeEPSM_NS1_7vsmem_tEENKUlT_SK_SL_SM_E_clIPfSE_SF_SF_EESJ_SZ_SK_SL_SM_EUlSZ_E_NS1_11comp_targetILNS1_3genE4ELNS1_11target_archE910ELNS1_3gpuE8ELNS1_3repE0EEENS1_48merge_mergepath_partition_config_static_selectorELNS0_4arch9wavefront6targetE1EEEvSL_ ; -- Begin function _ZN7rocprim17ROCPRIM_400000_NS6detail17trampoline_kernelINS0_14default_configENS1_38merge_sort_block_merge_config_selectorIfNS0_10empty_typeEEEZZNS1_27merge_sort_block_merge_implIS3_N6thrust23THRUST_200600_302600_NS6detail15normal_iteratorINS9_10device_ptrIfEEEEPS5_jNS1_19radix_merge_compareILb0ELb0EfNS0_19identity_decomposerEEEEE10hipError_tT0_T1_T2_jT3_P12ihipStream_tbPNSt15iterator_traitsISK_E10value_typeEPNSQ_ISL_E10value_typeEPSM_NS1_7vsmem_tEENKUlT_SK_SL_SM_E_clIPfSE_SF_SF_EESJ_SZ_SK_SL_SM_EUlSZ_E_NS1_11comp_targetILNS1_3genE4ELNS1_11target_archE910ELNS1_3gpuE8ELNS1_3repE0EEENS1_48merge_mergepath_partition_config_static_selectorELNS0_4arch9wavefront6targetE1EEEvSL_
	.globl	_ZN7rocprim17ROCPRIM_400000_NS6detail17trampoline_kernelINS0_14default_configENS1_38merge_sort_block_merge_config_selectorIfNS0_10empty_typeEEEZZNS1_27merge_sort_block_merge_implIS3_N6thrust23THRUST_200600_302600_NS6detail15normal_iteratorINS9_10device_ptrIfEEEEPS5_jNS1_19radix_merge_compareILb0ELb0EfNS0_19identity_decomposerEEEEE10hipError_tT0_T1_T2_jT3_P12ihipStream_tbPNSt15iterator_traitsISK_E10value_typeEPNSQ_ISL_E10value_typeEPSM_NS1_7vsmem_tEENKUlT_SK_SL_SM_E_clIPfSE_SF_SF_EESJ_SZ_SK_SL_SM_EUlSZ_E_NS1_11comp_targetILNS1_3genE4ELNS1_11target_archE910ELNS1_3gpuE8ELNS1_3repE0EEENS1_48merge_mergepath_partition_config_static_selectorELNS0_4arch9wavefront6targetE1EEEvSL_
	.p2align	8
	.type	_ZN7rocprim17ROCPRIM_400000_NS6detail17trampoline_kernelINS0_14default_configENS1_38merge_sort_block_merge_config_selectorIfNS0_10empty_typeEEEZZNS1_27merge_sort_block_merge_implIS3_N6thrust23THRUST_200600_302600_NS6detail15normal_iteratorINS9_10device_ptrIfEEEEPS5_jNS1_19radix_merge_compareILb0ELb0EfNS0_19identity_decomposerEEEEE10hipError_tT0_T1_T2_jT3_P12ihipStream_tbPNSt15iterator_traitsISK_E10value_typeEPNSQ_ISL_E10value_typeEPSM_NS1_7vsmem_tEENKUlT_SK_SL_SM_E_clIPfSE_SF_SF_EESJ_SZ_SK_SL_SM_EUlSZ_E_NS1_11comp_targetILNS1_3genE4ELNS1_11target_archE910ELNS1_3gpuE8ELNS1_3repE0EEENS1_48merge_mergepath_partition_config_static_selectorELNS0_4arch9wavefront6targetE1EEEvSL_,@function
_ZN7rocprim17ROCPRIM_400000_NS6detail17trampoline_kernelINS0_14default_configENS1_38merge_sort_block_merge_config_selectorIfNS0_10empty_typeEEEZZNS1_27merge_sort_block_merge_implIS3_N6thrust23THRUST_200600_302600_NS6detail15normal_iteratorINS9_10device_ptrIfEEEEPS5_jNS1_19radix_merge_compareILb0ELb0EfNS0_19identity_decomposerEEEEE10hipError_tT0_T1_T2_jT3_P12ihipStream_tbPNSt15iterator_traitsISK_E10value_typeEPNSQ_ISL_E10value_typeEPSM_NS1_7vsmem_tEENKUlT_SK_SL_SM_E_clIPfSE_SF_SF_EESJ_SZ_SK_SL_SM_EUlSZ_E_NS1_11comp_targetILNS1_3genE4ELNS1_11target_archE910ELNS1_3gpuE8ELNS1_3repE0EEENS1_48merge_mergepath_partition_config_static_selectorELNS0_4arch9wavefront6targetE1EEEvSL_: ; @_ZN7rocprim17ROCPRIM_400000_NS6detail17trampoline_kernelINS0_14default_configENS1_38merge_sort_block_merge_config_selectorIfNS0_10empty_typeEEEZZNS1_27merge_sort_block_merge_implIS3_N6thrust23THRUST_200600_302600_NS6detail15normal_iteratorINS9_10device_ptrIfEEEEPS5_jNS1_19radix_merge_compareILb0ELb0EfNS0_19identity_decomposerEEEEE10hipError_tT0_T1_T2_jT3_P12ihipStream_tbPNSt15iterator_traitsISK_E10value_typeEPNSQ_ISL_E10value_typeEPSM_NS1_7vsmem_tEENKUlT_SK_SL_SM_E_clIPfSE_SF_SF_EESJ_SZ_SK_SL_SM_EUlSZ_E_NS1_11comp_targetILNS1_3genE4ELNS1_11target_archE910ELNS1_3gpuE8ELNS1_3repE0EEENS1_48merge_mergepath_partition_config_static_selectorELNS0_4arch9wavefront6targetE1EEEvSL_
; %bb.0:
	.section	.rodata,"a",@progbits
	.p2align	6, 0x0
	.amdhsa_kernel _ZN7rocprim17ROCPRIM_400000_NS6detail17trampoline_kernelINS0_14default_configENS1_38merge_sort_block_merge_config_selectorIfNS0_10empty_typeEEEZZNS1_27merge_sort_block_merge_implIS3_N6thrust23THRUST_200600_302600_NS6detail15normal_iteratorINS9_10device_ptrIfEEEEPS5_jNS1_19radix_merge_compareILb0ELb0EfNS0_19identity_decomposerEEEEE10hipError_tT0_T1_T2_jT3_P12ihipStream_tbPNSt15iterator_traitsISK_E10value_typeEPNSQ_ISL_E10value_typeEPSM_NS1_7vsmem_tEENKUlT_SK_SL_SM_E_clIPfSE_SF_SF_EESJ_SZ_SK_SL_SM_EUlSZ_E_NS1_11comp_targetILNS1_3genE4ELNS1_11target_archE910ELNS1_3gpuE8ELNS1_3repE0EEENS1_48merge_mergepath_partition_config_static_selectorELNS0_4arch9wavefront6targetE1EEEvSL_
		.amdhsa_group_segment_fixed_size 0
		.amdhsa_private_segment_fixed_size 0
		.amdhsa_kernarg_size 40
		.amdhsa_user_sgpr_count 2
		.amdhsa_user_sgpr_dispatch_ptr 0
		.amdhsa_user_sgpr_queue_ptr 0
		.amdhsa_user_sgpr_kernarg_segment_ptr 1
		.amdhsa_user_sgpr_dispatch_id 0
		.amdhsa_user_sgpr_kernarg_preload_length 0
		.amdhsa_user_sgpr_kernarg_preload_offset 0
		.amdhsa_user_sgpr_private_segment_size 0
		.amdhsa_uses_dynamic_stack 0
		.amdhsa_enable_private_segment 0
		.amdhsa_system_sgpr_workgroup_id_x 1
		.amdhsa_system_sgpr_workgroup_id_y 0
		.amdhsa_system_sgpr_workgroup_id_z 0
		.amdhsa_system_sgpr_workgroup_info 0
		.amdhsa_system_vgpr_workitem_id 0
		.amdhsa_next_free_vgpr 1
		.amdhsa_next_free_sgpr 0
		.amdhsa_accum_offset 4
		.amdhsa_reserve_vcc 0
		.amdhsa_float_round_mode_32 0
		.amdhsa_float_round_mode_16_64 0
		.amdhsa_float_denorm_mode_32 3
		.amdhsa_float_denorm_mode_16_64 3
		.amdhsa_dx10_clamp 1
		.amdhsa_ieee_mode 1
		.amdhsa_fp16_overflow 0
		.amdhsa_tg_split 0
		.amdhsa_exception_fp_ieee_invalid_op 0
		.amdhsa_exception_fp_denorm_src 0
		.amdhsa_exception_fp_ieee_div_zero 0
		.amdhsa_exception_fp_ieee_overflow 0
		.amdhsa_exception_fp_ieee_underflow 0
		.amdhsa_exception_fp_ieee_inexact 0
		.amdhsa_exception_int_div_zero 0
	.end_amdhsa_kernel
	.section	.text._ZN7rocprim17ROCPRIM_400000_NS6detail17trampoline_kernelINS0_14default_configENS1_38merge_sort_block_merge_config_selectorIfNS0_10empty_typeEEEZZNS1_27merge_sort_block_merge_implIS3_N6thrust23THRUST_200600_302600_NS6detail15normal_iteratorINS9_10device_ptrIfEEEEPS5_jNS1_19radix_merge_compareILb0ELb0EfNS0_19identity_decomposerEEEEE10hipError_tT0_T1_T2_jT3_P12ihipStream_tbPNSt15iterator_traitsISK_E10value_typeEPNSQ_ISL_E10value_typeEPSM_NS1_7vsmem_tEENKUlT_SK_SL_SM_E_clIPfSE_SF_SF_EESJ_SZ_SK_SL_SM_EUlSZ_E_NS1_11comp_targetILNS1_3genE4ELNS1_11target_archE910ELNS1_3gpuE8ELNS1_3repE0EEENS1_48merge_mergepath_partition_config_static_selectorELNS0_4arch9wavefront6targetE1EEEvSL_,"axG",@progbits,_ZN7rocprim17ROCPRIM_400000_NS6detail17trampoline_kernelINS0_14default_configENS1_38merge_sort_block_merge_config_selectorIfNS0_10empty_typeEEEZZNS1_27merge_sort_block_merge_implIS3_N6thrust23THRUST_200600_302600_NS6detail15normal_iteratorINS9_10device_ptrIfEEEEPS5_jNS1_19radix_merge_compareILb0ELb0EfNS0_19identity_decomposerEEEEE10hipError_tT0_T1_T2_jT3_P12ihipStream_tbPNSt15iterator_traitsISK_E10value_typeEPNSQ_ISL_E10value_typeEPSM_NS1_7vsmem_tEENKUlT_SK_SL_SM_E_clIPfSE_SF_SF_EESJ_SZ_SK_SL_SM_EUlSZ_E_NS1_11comp_targetILNS1_3genE4ELNS1_11target_archE910ELNS1_3gpuE8ELNS1_3repE0EEENS1_48merge_mergepath_partition_config_static_selectorELNS0_4arch9wavefront6targetE1EEEvSL_,comdat
.Lfunc_end478:
	.size	_ZN7rocprim17ROCPRIM_400000_NS6detail17trampoline_kernelINS0_14default_configENS1_38merge_sort_block_merge_config_selectorIfNS0_10empty_typeEEEZZNS1_27merge_sort_block_merge_implIS3_N6thrust23THRUST_200600_302600_NS6detail15normal_iteratorINS9_10device_ptrIfEEEEPS5_jNS1_19radix_merge_compareILb0ELb0EfNS0_19identity_decomposerEEEEE10hipError_tT0_T1_T2_jT3_P12ihipStream_tbPNSt15iterator_traitsISK_E10value_typeEPNSQ_ISL_E10value_typeEPSM_NS1_7vsmem_tEENKUlT_SK_SL_SM_E_clIPfSE_SF_SF_EESJ_SZ_SK_SL_SM_EUlSZ_E_NS1_11comp_targetILNS1_3genE4ELNS1_11target_archE910ELNS1_3gpuE8ELNS1_3repE0EEENS1_48merge_mergepath_partition_config_static_selectorELNS0_4arch9wavefront6targetE1EEEvSL_, .Lfunc_end478-_ZN7rocprim17ROCPRIM_400000_NS6detail17trampoline_kernelINS0_14default_configENS1_38merge_sort_block_merge_config_selectorIfNS0_10empty_typeEEEZZNS1_27merge_sort_block_merge_implIS3_N6thrust23THRUST_200600_302600_NS6detail15normal_iteratorINS9_10device_ptrIfEEEEPS5_jNS1_19radix_merge_compareILb0ELb0EfNS0_19identity_decomposerEEEEE10hipError_tT0_T1_T2_jT3_P12ihipStream_tbPNSt15iterator_traitsISK_E10value_typeEPNSQ_ISL_E10value_typeEPSM_NS1_7vsmem_tEENKUlT_SK_SL_SM_E_clIPfSE_SF_SF_EESJ_SZ_SK_SL_SM_EUlSZ_E_NS1_11comp_targetILNS1_3genE4ELNS1_11target_archE910ELNS1_3gpuE8ELNS1_3repE0EEENS1_48merge_mergepath_partition_config_static_selectorELNS0_4arch9wavefront6targetE1EEEvSL_
                                        ; -- End function
	.set _ZN7rocprim17ROCPRIM_400000_NS6detail17trampoline_kernelINS0_14default_configENS1_38merge_sort_block_merge_config_selectorIfNS0_10empty_typeEEEZZNS1_27merge_sort_block_merge_implIS3_N6thrust23THRUST_200600_302600_NS6detail15normal_iteratorINS9_10device_ptrIfEEEEPS5_jNS1_19radix_merge_compareILb0ELb0EfNS0_19identity_decomposerEEEEE10hipError_tT0_T1_T2_jT3_P12ihipStream_tbPNSt15iterator_traitsISK_E10value_typeEPNSQ_ISL_E10value_typeEPSM_NS1_7vsmem_tEENKUlT_SK_SL_SM_E_clIPfSE_SF_SF_EESJ_SZ_SK_SL_SM_EUlSZ_E_NS1_11comp_targetILNS1_3genE4ELNS1_11target_archE910ELNS1_3gpuE8ELNS1_3repE0EEENS1_48merge_mergepath_partition_config_static_selectorELNS0_4arch9wavefront6targetE1EEEvSL_.num_vgpr, 0
	.set _ZN7rocprim17ROCPRIM_400000_NS6detail17trampoline_kernelINS0_14default_configENS1_38merge_sort_block_merge_config_selectorIfNS0_10empty_typeEEEZZNS1_27merge_sort_block_merge_implIS3_N6thrust23THRUST_200600_302600_NS6detail15normal_iteratorINS9_10device_ptrIfEEEEPS5_jNS1_19radix_merge_compareILb0ELb0EfNS0_19identity_decomposerEEEEE10hipError_tT0_T1_T2_jT3_P12ihipStream_tbPNSt15iterator_traitsISK_E10value_typeEPNSQ_ISL_E10value_typeEPSM_NS1_7vsmem_tEENKUlT_SK_SL_SM_E_clIPfSE_SF_SF_EESJ_SZ_SK_SL_SM_EUlSZ_E_NS1_11comp_targetILNS1_3genE4ELNS1_11target_archE910ELNS1_3gpuE8ELNS1_3repE0EEENS1_48merge_mergepath_partition_config_static_selectorELNS0_4arch9wavefront6targetE1EEEvSL_.num_agpr, 0
	.set _ZN7rocprim17ROCPRIM_400000_NS6detail17trampoline_kernelINS0_14default_configENS1_38merge_sort_block_merge_config_selectorIfNS0_10empty_typeEEEZZNS1_27merge_sort_block_merge_implIS3_N6thrust23THRUST_200600_302600_NS6detail15normal_iteratorINS9_10device_ptrIfEEEEPS5_jNS1_19radix_merge_compareILb0ELb0EfNS0_19identity_decomposerEEEEE10hipError_tT0_T1_T2_jT3_P12ihipStream_tbPNSt15iterator_traitsISK_E10value_typeEPNSQ_ISL_E10value_typeEPSM_NS1_7vsmem_tEENKUlT_SK_SL_SM_E_clIPfSE_SF_SF_EESJ_SZ_SK_SL_SM_EUlSZ_E_NS1_11comp_targetILNS1_3genE4ELNS1_11target_archE910ELNS1_3gpuE8ELNS1_3repE0EEENS1_48merge_mergepath_partition_config_static_selectorELNS0_4arch9wavefront6targetE1EEEvSL_.numbered_sgpr, 0
	.set _ZN7rocprim17ROCPRIM_400000_NS6detail17trampoline_kernelINS0_14default_configENS1_38merge_sort_block_merge_config_selectorIfNS0_10empty_typeEEEZZNS1_27merge_sort_block_merge_implIS3_N6thrust23THRUST_200600_302600_NS6detail15normal_iteratorINS9_10device_ptrIfEEEEPS5_jNS1_19radix_merge_compareILb0ELb0EfNS0_19identity_decomposerEEEEE10hipError_tT0_T1_T2_jT3_P12ihipStream_tbPNSt15iterator_traitsISK_E10value_typeEPNSQ_ISL_E10value_typeEPSM_NS1_7vsmem_tEENKUlT_SK_SL_SM_E_clIPfSE_SF_SF_EESJ_SZ_SK_SL_SM_EUlSZ_E_NS1_11comp_targetILNS1_3genE4ELNS1_11target_archE910ELNS1_3gpuE8ELNS1_3repE0EEENS1_48merge_mergepath_partition_config_static_selectorELNS0_4arch9wavefront6targetE1EEEvSL_.num_named_barrier, 0
	.set _ZN7rocprim17ROCPRIM_400000_NS6detail17trampoline_kernelINS0_14default_configENS1_38merge_sort_block_merge_config_selectorIfNS0_10empty_typeEEEZZNS1_27merge_sort_block_merge_implIS3_N6thrust23THRUST_200600_302600_NS6detail15normal_iteratorINS9_10device_ptrIfEEEEPS5_jNS1_19radix_merge_compareILb0ELb0EfNS0_19identity_decomposerEEEEE10hipError_tT0_T1_T2_jT3_P12ihipStream_tbPNSt15iterator_traitsISK_E10value_typeEPNSQ_ISL_E10value_typeEPSM_NS1_7vsmem_tEENKUlT_SK_SL_SM_E_clIPfSE_SF_SF_EESJ_SZ_SK_SL_SM_EUlSZ_E_NS1_11comp_targetILNS1_3genE4ELNS1_11target_archE910ELNS1_3gpuE8ELNS1_3repE0EEENS1_48merge_mergepath_partition_config_static_selectorELNS0_4arch9wavefront6targetE1EEEvSL_.private_seg_size, 0
	.set _ZN7rocprim17ROCPRIM_400000_NS6detail17trampoline_kernelINS0_14default_configENS1_38merge_sort_block_merge_config_selectorIfNS0_10empty_typeEEEZZNS1_27merge_sort_block_merge_implIS3_N6thrust23THRUST_200600_302600_NS6detail15normal_iteratorINS9_10device_ptrIfEEEEPS5_jNS1_19radix_merge_compareILb0ELb0EfNS0_19identity_decomposerEEEEE10hipError_tT0_T1_T2_jT3_P12ihipStream_tbPNSt15iterator_traitsISK_E10value_typeEPNSQ_ISL_E10value_typeEPSM_NS1_7vsmem_tEENKUlT_SK_SL_SM_E_clIPfSE_SF_SF_EESJ_SZ_SK_SL_SM_EUlSZ_E_NS1_11comp_targetILNS1_3genE4ELNS1_11target_archE910ELNS1_3gpuE8ELNS1_3repE0EEENS1_48merge_mergepath_partition_config_static_selectorELNS0_4arch9wavefront6targetE1EEEvSL_.uses_vcc, 0
	.set _ZN7rocprim17ROCPRIM_400000_NS6detail17trampoline_kernelINS0_14default_configENS1_38merge_sort_block_merge_config_selectorIfNS0_10empty_typeEEEZZNS1_27merge_sort_block_merge_implIS3_N6thrust23THRUST_200600_302600_NS6detail15normal_iteratorINS9_10device_ptrIfEEEEPS5_jNS1_19radix_merge_compareILb0ELb0EfNS0_19identity_decomposerEEEEE10hipError_tT0_T1_T2_jT3_P12ihipStream_tbPNSt15iterator_traitsISK_E10value_typeEPNSQ_ISL_E10value_typeEPSM_NS1_7vsmem_tEENKUlT_SK_SL_SM_E_clIPfSE_SF_SF_EESJ_SZ_SK_SL_SM_EUlSZ_E_NS1_11comp_targetILNS1_3genE4ELNS1_11target_archE910ELNS1_3gpuE8ELNS1_3repE0EEENS1_48merge_mergepath_partition_config_static_selectorELNS0_4arch9wavefront6targetE1EEEvSL_.uses_flat_scratch, 0
	.set _ZN7rocprim17ROCPRIM_400000_NS6detail17trampoline_kernelINS0_14default_configENS1_38merge_sort_block_merge_config_selectorIfNS0_10empty_typeEEEZZNS1_27merge_sort_block_merge_implIS3_N6thrust23THRUST_200600_302600_NS6detail15normal_iteratorINS9_10device_ptrIfEEEEPS5_jNS1_19radix_merge_compareILb0ELb0EfNS0_19identity_decomposerEEEEE10hipError_tT0_T1_T2_jT3_P12ihipStream_tbPNSt15iterator_traitsISK_E10value_typeEPNSQ_ISL_E10value_typeEPSM_NS1_7vsmem_tEENKUlT_SK_SL_SM_E_clIPfSE_SF_SF_EESJ_SZ_SK_SL_SM_EUlSZ_E_NS1_11comp_targetILNS1_3genE4ELNS1_11target_archE910ELNS1_3gpuE8ELNS1_3repE0EEENS1_48merge_mergepath_partition_config_static_selectorELNS0_4arch9wavefront6targetE1EEEvSL_.has_dyn_sized_stack, 0
	.set _ZN7rocprim17ROCPRIM_400000_NS6detail17trampoline_kernelINS0_14default_configENS1_38merge_sort_block_merge_config_selectorIfNS0_10empty_typeEEEZZNS1_27merge_sort_block_merge_implIS3_N6thrust23THRUST_200600_302600_NS6detail15normal_iteratorINS9_10device_ptrIfEEEEPS5_jNS1_19radix_merge_compareILb0ELb0EfNS0_19identity_decomposerEEEEE10hipError_tT0_T1_T2_jT3_P12ihipStream_tbPNSt15iterator_traitsISK_E10value_typeEPNSQ_ISL_E10value_typeEPSM_NS1_7vsmem_tEENKUlT_SK_SL_SM_E_clIPfSE_SF_SF_EESJ_SZ_SK_SL_SM_EUlSZ_E_NS1_11comp_targetILNS1_3genE4ELNS1_11target_archE910ELNS1_3gpuE8ELNS1_3repE0EEENS1_48merge_mergepath_partition_config_static_selectorELNS0_4arch9wavefront6targetE1EEEvSL_.has_recursion, 0
	.set _ZN7rocprim17ROCPRIM_400000_NS6detail17trampoline_kernelINS0_14default_configENS1_38merge_sort_block_merge_config_selectorIfNS0_10empty_typeEEEZZNS1_27merge_sort_block_merge_implIS3_N6thrust23THRUST_200600_302600_NS6detail15normal_iteratorINS9_10device_ptrIfEEEEPS5_jNS1_19radix_merge_compareILb0ELb0EfNS0_19identity_decomposerEEEEE10hipError_tT0_T1_T2_jT3_P12ihipStream_tbPNSt15iterator_traitsISK_E10value_typeEPNSQ_ISL_E10value_typeEPSM_NS1_7vsmem_tEENKUlT_SK_SL_SM_E_clIPfSE_SF_SF_EESJ_SZ_SK_SL_SM_EUlSZ_E_NS1_11comp_targetILNS1_3genE4ELNS1_11target_archE910ELNS1_3gpuE8ELNS1_3repE0EEENS1_48merge_mergepath_partition_config_static_selectorELNS0_4arch9wavefront6targetE1EEEvSL_.has_indirect_call, 0
	.section	.AMDGPU.csdata,"",@progbits
; Kernel info:
; codeLenInByte = 0
; TotalNumSgprs: 6
; NumVgprs: 0
; NumAgprs: 0
; TotalNumVgprs: 0
; ScratchSize: 0
; MemoryBound: 0
; FloatMode: 240
; IeeeMode: 1
; LDSByteSize: 0 bytes/workgroup (compile time only)
; SGPRBlocks: 0
; VGPRBlocks: 0
; NumSGPRsForWavesPerEU: 6
; NumVGPRsForWavesPerEU: 1
; AccumOffset: 4
; Occupancy: 8
; WaveLimiterHint : 0
; COMPUTE_PGM_RSRC2:SCRATCH_EN: 0
; COMPUTE_PGM_RSRC2:USER_SGPR: 2
; COMPUTE_PGM_RSRC2:TRAP_HANDLER: 0
; COMPUTE_PGM_RSRC2:TGID_X_EN: 1
; COMPUTE_PGM_RSRC2:TGID_Y_EN: 0
; COMPUTE_PGM_RSRC2:TGID_Z_EN: 0
; COMPUTE_PGM_RSRC2:TIDIG_COMP_CNT: 0
; COMPUTE_PGM_RSRC3_GFX90A:ACCUM_OFFSET: 0
; COMPUTE_PGM_RSRC3_GFX90A:TG_SPLIT: 0
	.section	.text._ZN7rocprim17ROCPRIM_400000_NS6detail17trampoline_kernelINS0_14default_configENS1_38merge_sort_block_merge_config_selectorIfNS0_10empty_typeEEEZZNS1_27merge_sort_block_merge_implIS3_N6thrust23THRUST_200600_302600_NS6detail15normal_iteratorINS9_10device_ptrIfEEEEPS5_jNS1_19radix_merge_compareILb0ELb0EfNS0_19identity_decomposerEEEEE10hipError_tT0_T1_T2_jT3_P12ihipStream_tbPNSt15iterator_traitsISK_E10value_typeEPNSQ_ISL_E10value_typeEPSM_NS1_7vsmem_tEENKUlT_SK_SL_SM_E_clIPfSE_SF_SF_EESJ_SZ_SK_SL_SM_EUlSZ_E_NS1_11comp_targetILNS1_3genE3ELNS1_11target_archE908ELNS1_3gpuE7ELNS1_3repE0EEENS1_48merge_mergepath_partition_config_static_selectorELNS0_4arch9wavefront6targetE1EEEvSL_,"axG",@progbits,_ZN7rocprim17ROCPRIM_400000_NS6detail17trampoline_kernelINS0_14default_configENS1_38merge_sort_block_merge_config_selectorIfNS0_10empty_typeEEEZZNS1_27merge_sort_block_merge_implIS3_N6thrust23THRUST_200600_302600_NS6detail15normal_iteratorINS9_10device_ptrIfEEEEPS5_jNS1_19radix_merge_compareILb0ELb0EfNS0_19identity_decomposerEEEEE10hipError_tT0_T1_T2_jT3_P12ihipStream_tbPNSt15iterator_traitsISK_E10value_typeEPNSQ_ISL_E10value_typeEPSM_NS1_7vsmem_tEENKUlT_SK_SL_SM_E_clIPfSE_SF_SF_EESJ_SZ_SK_SL_SM_EUlSZ_E_NS1_11comp_targetILNS1_3genE3ELNS1_11target_archE908ELNS1_3gpuE7ELNS1_3repE0EEENS1_48merge_mergepath_partition_config_static_selectorELNS0_4arch9wavefront6targetE1EEEvSL_,comdat
	.protected	_ZN7rocprim17ROCPRIM_400000_NS6detail17trampoline_kernelINS0_14default_configENS1_38merge_sort_block_merge_config_selectorIfNS0_10empty_typeEEEZZNS1_27merge_sort_block_merge_implIS3_N6thrust23THRUST_200600_302600_NS6detail15normal_iteratorINS9_10device_ptrIfEEEEPS5_jNS1_19radix_merge_compareILb0ELb0EfNS0_19identity_decomposerEEEEE10hipError_tT0_T1_T2_jT3_P12ihipStream_tbPNSt15iterator_traitsISK_E10value_typeEPNSQ_ISL_E10value_typeEPSM_NS1_7vsmem_tEENKUlT_SK_SL_SM_E_clIPfSE_SF_SF_EESJ_SZ_SK_SL_SM_EUlSZ_E_NS1_11comp_targetILNS1_3genE3ELNS1_11target_archE908ELNS1_3gpuE7ELNS1_3repE0EEENS1_48merge_mergepath_partition_config_static_selectorELNS0_4arch9wavefront6targetE1EEEvSL_ ; -- Begin function _ZN7rocprim17ROCPRIM_400000_NS6detail17trampoline_kernelINS0_14default_configENS1_38merge_sort_block_merge_config_selectorIfNS0_10empty_typeEEEZZNS1_27merge_sort_block_merge_implIS3_N6thrust23THRUST_200600_302600_NS6detail15normal_iteratorINS9_10device_ptrIfEEEEPS5_jNS1_19radix_merge_compareILb0ELb0EfNS0_19identity_decomposerEEEEE10hipError_tT0_T1_T2_jT3_P12ihipStream_tbPNSt15iterator_traitsISK_E10value_typeEPNSQ_ISL_E10value_typeEPSM_NS1_7vsmem_tEENKUlT_SK_SL_SM_E_clIPfSE_SF_SF_EESJ_SZ_SK_SL_SM_EUlSZ_E_NS1_11comp_targetILNS1_3genE3ELNS1_11target_archE908ELNS1_3gpuE7ELNS1_3repE0EEENS1_48merge_mergepath_partition_config_static_selectorELNS0_4arch9wavefront6targetE1EEEvSL_
	.globl	_ZN7rocprim17ROCPRIM_400000_NS6detail17trampoline_kernelINS0_14default_configENS1_38merge_sort_block_merge_config_selectorIfNS0_10empty_typeEEEZZNS1_27merge_sort_block_merge_implIS3_N6thrust23THRUST_200600_302600_NS6detail15normal_iteratorINS9_10device_ptrIfEEEEPS5_jNS1_19radix_merge_compareILb0ELb0EfNS0_19identity_decomposerEEEEE10hipError_tT0_T1_T2_jT3_P12ihipStream_tbPNSt15iterator_traitsISK_E10value_typeEPNSQ_ISL_E10value_typeEPSM_NS1_7vsmem_tEENKUlT_SK_SL_SM_E_clIPfSE_SF_SF_EESJ_SZ_SK_SL_SM_EUlSZ_E_NS1_11comp_targetILNS1_3genE3ELNS1_11target_archE908ELNS1_3gpuE7ELNS1_3repE0EEENS1_48merge_mergepath_partition_config_static_selectorELNS0_4arch9wavefront6targetE1EEEvSL_
	.p2align	8
	.type	_ZN7rocprim17ROCPRIM_400000_NS6detail17trampoline_kernelINS0_14default_configENS1_38merge_sort_block_merge_config_selectorIfNS0_10empty_typeEEEZZNS1_27merge_sort_block_merge_implIS3_N6thrust23THRUST_200600_302600_NS6detail15normal_iteratorINS9_10device_ptrIfEEEEPS5_jNS1_19radix_merge_compareILb0ELb0EfNS0_19identity_decomposerEEEEE10hipError_tT0_T1_T2_jT3_P12ihipStream_tbPNSt15iterator_traitsISK_E10value_typeEPNSQ_ISL_E10value_typeEPSM_NS1_7vsmem_tEENKUlT_SK_SL_SM_E_clIPfSE_SF_SF_EESJ_SZ_SK_SL_SM_EUlSZ_E_NS1_11comp_targetILNS1_3genE3ELNS1_11target_archE908ELNS1_3gpuE7ELNS1_3repE0EEENS1_48merge_mergepath_partition_config_static_selectorELNS0_4arch9wavefront6targetE1EEEvSL_,@function
_ZN7rocprim17ROCPRIM_400000_NS6detail17trampoline_kernelINS0_14default_configENS1_38merge_sort_block_merge_config_selectorIfNS0_10empty_typeEEEZZNS1_27merge_sort_block_merge_implIS3_N6thrust23THRUST_200600_302600_NS6detail15normal_iteratorINS9_10device_ptrIfEEEEPS5_jNS1_19radix_merge_compareILb0ELb0EfNS0_19identity_decomposerEEEEE10hipError_tT0_T1_T2_jT3_P12ihipStream_tbPNSt15iterator_traitsISK_E10value_typeEPNSQ_ISL_E10value_typeEPSM_NS1_7vsmem_tEENKUlT_SK_SL_SM_E_clIPfSE_SF_SF_EESJ_SZ_SK_SL_SM_EUlSZ_E_NS1_11comp_targetILNS1_3genE3ELNS1_11target_archE908ELNS1_3gpuE7ELNS1_3repE0EEENS1_48merge_mergepath_partition_config_static_selectorELNS0_4arch9wavefront6targetE1EEEvSL_: ; @_ZN7rocprim17ROCPRIM_400000_NS6detail17trampoline_kernelINS0_14default_configENS1_38merge_sort_block_merge_config_selectorIfNS0_10empty_typeEEEZZNS1_27merge_sort_block_merge_implIS3_N6thrust23THRUST_200600_302600_NS6detail15normal_iteratorINS9_10device_ptrIfEEEEPS5_jNS1_19radix_merge_compareILb0ELb0EfNS0_19identity_decomposerEEEEE10hipError_tT0_T1_T2_jT3_P12ihipStream_tbPNSt15iterator_traitsISK_E10value_typeEPNSQ_ISL_E10value_typeEPSM_NS1_7vsmem_tEENKUlT_SK_SL_SM_E_clIPfSE_SF_SF_EESJ_SZ_SK_SL_SM_EUlSZ_E_NS1_11comp_targetILNS1_3genE3ELNS1_11target_archE908ELNS1_3gpuE7ELNS1_3repE0EEENS1_48merge_mergepath_partition_config_static_selectorELNS0_4arch9wavefront6targetE1EEEvSL_
; %bb.0:
	.section	.rodata,"a",@progbits
	.p2align	6, 0x0
	.amdhsa_kernel _ZN7rocprim17ROCPRIM_400000_NS6detail17trampoline_kernelINS0_14default_configENS1_38merge_sort_block_merge_config_selectorIfNS0_10empty_typeEEEZZNS1_27merge_sort_block_merge_implIS3_N6thrust23THRUST_200600_302600_NS6detail15normal_iteratorINS9_10device_ptrIfEEEEPS5_jNS1_19radix_merge_compareILb0ELb0EfNS0_19identity_decomposerEEEEE10hipError_tT0_T1_T2_jT3_P12ihipStream_tbPNSt15iterator_traitsISK_E10value_typeEPNSQ_ISL_E10value_typeEPSM_NS1_7vsmem_tEENKUlT_SK_SL_SM_E_clIPfSE_SF_SF_EESJ_SZ_SK_SL_SM_EUlSZ_E_NS1_11comp_targetILNS1_3genE3ELNS1_11target_archE908ELNS1_3gpuE7ELNS1_3repE0EEENS1_48merge_mergepath_partition_config_static_selectorELNS0_4arch9wavefront6targetE1EEEvSL_
		.amdhsa_group_segment_fixed_size 0
		.amdhsa_private_segment_fixed_size 0
		.amdhsa_kernarg_size 40
		.amdhsa_user_sgpr_count 2
		.amdhsa_user_sgpr_dispatch_ptr 0
		.amdhsa_user_sgpr_queue_ptr 0
		.amdhsa_user_sgpr_kernarg_segment_ptr 1
		.amdhsa_user_sgpr_dispatch_id 0
		.amdhsa_user_sgpr_kernarg_preload_length 0
		.amdhsa_user_sgpr_kernarg_preload_offset 0
		.amdhsa_user_sgpr_private_segment_size 0
		.amdhsa_uses_dynamic_stack 0
		.amdhsa_enable_private_segment 0
		.amdhsa_system_sgpr_workgroup_id_x 1
		.amdhsa_system_sgpr_workgroup_id_y 0
		.amdhsa_system_sgpr_workgroup_id_z 0
		.amdhsa_system_sgpr_workgroup_info 0
		.amdhsa_system_vgpr_workitem_id 0
		.amdhsa_next_free_vgpr 1
		.amdhsa_next_free_sgpr 0
		.amdhsa_accum_offset 4
		.amdhsa_reserve_vcc 0
		.amdhsa_float_round_mode_32 0
		.amdhsa_float_round_mode_16_64 0
		.amdhsa_float_denorm_mode_32 3
		.amdhsa_float_denorm_mode_16_64 3
		.amdhsa_dx10_clamp 1
		.amdhsa_ieee_mode 1
		.amdhsa_fp16_overflow 0
		.amdhsa_tg_split 0
		.amdhsa_exception_fp_ieee_invalid_op 0
		.amdhsa_exception_fp_denorm_src 0
		.amdhsa_exception_fp_ieee_div_zero 0
		.amdhsa_exception_fp_ieee_overflow 0
		.amdhsa_exception_fp_ieee_underflow 0
		.amdhsa_exception_fp_ieee_inexact 0
		.amdhsa_exception_int_div_zero 0
	.end_amdhsa_kernel
	.section	.text._ZN7rocprim17ROCPRIM_400000_NS6detail17trampoline_kernelINS0_14default_configENS1_38merge_sort_block_merge_config_selectorIfNS0_10empty_typeEEEZZNS1_27merge_sort_block_merge_implIS3_N6thrust23THRUST_200600_302600_NS6detail15normal_iteratorINS9_10device_ptrIfEEEEPS5_jNS1_19radix_merge_compareILb0ELb0EfNS0_19identity_decomposerEEEEE10hipError_tT0_T1_T2_jT3_P12ihipStream_tbPNSt15iterator_traitsISK_E10value_typeEPNSQ_ISL_E10value_typeEPSM_NS1_7vsmem_tEENKUlT_SK_SL_SM_E_clIPfSE_SF_SF_EESJ_SZ_SK_SL_SM_EUlSZ_E_NS1_11comp_targetILNS1_3genE3ELNS1_11target_archE908ELNS1_3gpuE7ELNS1_3repE0EEENS1_48merge_mergepath_partition_config_static_selectorELNS0_4arch9wavefront6targetE1EEEvSL_,"axG",@progbits,_ZN7rocprim17ROCPRIM_400000_NS6detail17trampoline_kernelINS0_14default_configENS1_38merge_sort_block_merge_config_selectorIfNS0_10empty_typeEEEZZNS1_27merge_sort_block_merge_implIS3_N6thrust23THRUST_200600_302600_NS6detail15normal_iteratorINS9_10device_ptrIfEEEEPS5_jNS1_19radix_merge_compareILb0ELb0EfNS0_19identity_decomposerEEEEE10hipError_tT0_T1_T2_jT3_P12ihipStream_tbPNSt15iterator_traitsISK_E10value_typeEPNSQ_ISL_E10value_typeEPSM_NS1_7vsmem_tEENKUlT_SK_SL_SM_E_clIPfSE_SF_SF_EESJ_SZ_SK_SL_SM_EUlSZ_E_NS1_11comp_targetILNS1_3genE3ELNS1_11target_archE908ELNS1_3gpuE7ELNS1_3repE0EEENS1_48merge_mergepath_partition_config_static_selectorELNS0_4arch9wavefront6targetE1EEEvSL_,comdat
.Lfunc_end479:
	.size	_ZN7rocprim17ROCPRIM_400000_NS6detail17trampoline_kernelINS0_14default_configENS1_38merge_sort_block_merge_config_selectorIfNS0_10empty_typeEEEZZNS1_27merge_sort_block_merge_implIS3_N6thrust23THRUST_200600_302600_NS6detail15normal_iteratorINS9_10device_ptrIfEEEEPS5_jNS1_19radix_merge_compareILb0ELb0EfNS0_19identity_decomposerEEEEE10hipError_tT0_T1_T2_jT3_P12ihipStream_tbPNSt15iterator_traitsISK_E10value_typeEPNSQ_ISL_E10value_typeEPSM_NS1_7vsmem_tEENKUlT_SK_SL_SM_E_clIPfSE_SF_SF_EESJ_SZ_SK_SL_SM_EUlSZ_E_NS1_11comp_targetILNS1_3genE3ELNS1_11target_archE908ELNS1_3gpuE7ELNS1_3repE0EEENS1_48merge_mergepath_partition_config_static_selectorELNS0_4arch9wavefront6targetE1EEEvSL_, .Lfunc_end479-_ZN7rocprim17ROCPRIM_400000_NS6detail17trampoline_kernelINS0_14default_configENS1_38merge_sort_block_merge_config_selectorIfNS0_10empty_typeEEEZZNS1_27merge_sort_block_merge_implIS3_N6thrust23THRUST_200600_302600_NS6detail15normal_iteratorINS9_10device_ptrIfEEEEPS5_jNS1_19radix_merge_compareILb0ELb0EfNS0_19identity_decomposerEEEEE10hipError_tT0_T1_T2_jT3_P12ihipStream_tbPNSt15iterator_traitsISK_E10value_typeEPNSQ_ISL_E10value_typeEPSM_NS1_7vsmem_tEENKUlT_SK_SL_SM_E_clIPfSE_SF_SF_EESJ_SZ_SK_SL_SM_EUlSZ_E_NS1_11comp_targetILNS1_3genE3ELNS1_11target_archE908ELNS1_3gpuE7ELNS1_3repE0EEENS1_48merge_mergepath_partition_config_static_selectorELNS0_4arch9wavefront6targetE1EEEvSL_
                                        ; -- End function
	.set _ZN7rocprim17ROCPRIM_400000_NS6detail17trampoline_kernelINS0_14default_configENS1_38merge_sort_block_merge_config_selectorIfNS0_10empty_typeEEEZZNS1_27merge_sort_block_merge_implIS3_N6thrust23THRUST_200600_302600_NS6detail15normal_iteratorINS9_10device_ptrIfEEEEPS5_jNS1_19radix_merge_compareILb0ELb0EfNS0_19identity_decomposerEEEEE10hipError_tT0_T1_T2_jT3_P12ihipStream_tbPNSt15iterator_traitsISK_E10value_typeEPNSQ_ISL_E10value_typeEPSM_NS1_7vsmem_tEENKUlT_SK_SL_SM_E_clIPfSE_SF_SF_EESJ_SZ_SK_SL_SM_EUlSZ_E_NS1_11comp_targetILNS1_3genE3ELNS1_11target_archE908ELNS1_3gpuE7ELNS1_3repE0EEENS1_48merge_mergepath_partition_config_static_selectorELNS0_4arch9wavefront6targetE1EEEvSL_.num_vgpr, 0
	.set _ZN7rocprim17ROCPRIM_400000_NS6detail17trampoline_kernelINS0_14default_configENS1_38merge_sort_block_merge_config_selectorIfNS0_10empty_typeEEEZZNS1_27merge_sort_block_merge_implIS3_N6thrust23THRUST_200600_302600_NS6detail15normal_iteratorINS9_10device_ptrIfEEEEPS5_jNS1_19radix_merge_compareILb0ELb0EfNS0_19identity_decomposerEEEEE10hipError_tT0_T1_T2_jT3_P12ihipStream_tbPNSt15iterator_traitsISK_E10value_typeEPNSQ_ISL_E10value_typeEPSM_NS1_7vsmem_tEENKUlT_SK_SL_SM_E_clIPfSE_SF_SF_EESJ_SZ_SK_SL_SM_EUlSZ_E_NS1_11comp_targetILNS1_3genE3ELNS1_11target_archE908ELNS1_3gpuE7ELNS1_3repE0EEENS1_48merge_mergepath_partition_config_static_selectorELNS0_4arch9wavefront6targetE1EEEvSL_.num_agpr, 0
	.set _ZN7rocprim17ROCPRIM_400000_NS6detail17trampoline_kernelINS0_14default_configENS1_38merge_sort_block_merge_config_selectorIfNS0_10empty_typeEEEZZNS1_27merge_sort_block_merge_implIS3_N6thrust23THRUST_200600_302600_NS6detail15normal_iteratorINS9_10device_ptrIfEEEEPS5_jNS1_19radix_merge_compareILb0ELb0EfNS0_19identity_decomposerEEEEE10hipError_tT0_T1_T2_jT3_P12ihipStream_tbPNSt15iterator_traitsISK_E10value_typeEPNSQ_ISL_E10value_typeEPSM_NS1_7vsmem_tEENKUlT_SK_SL_SM_E_clIPfSE_SF_SF_EESJ_SZ_SK_SL_SM_EUlSZ_E_NS1_11comp_targetILNS1_3genE3ELNS1_11target_archE908ELNS1_3gpuE7ELNS1_3repE0EEENS1_48merge_mergepath_partition_config_static_selectorELNS0_4arch9wavefront6targetE1EEEvSL_.numbered_sgpr, 0
	.set _ZN7rocprim17ROCPRIM_400000_NS6detail17trampoline_kernelINS0_14default_configENS1_38merge_sort_block_merge_config_selectorIfNS0_10empty_typeEEEZZNS1_27merge_sort_block_merge_implIS3_N6thrust23THRUST_200600_302600_NS6detail15normal_iteratorINS9_10device_ptrIfEEEEPS5_jNS1_19radix_merge_compareILb0ELb0EfNS0_19identity_decomposerEEEEE10hipError_tT0_T1_T2_jT3_P12ihipStream_tbPNSt15iterator_traitsISK_E10value_typeEPNSQ_ISL_E10value_typeEPSM_NS1_7vsmem_tEENKUlT_SK_SL_SM_E_clIPfSE_SF_SF_EESJ_SZ_SK_SL_SM_EUlSZ_E_NS1_11comp_targetILNS1_3genE3ELNS1_11target_archE908ELNS1_3gpuE7ELNS1_3repE0EEENS1_48merge_mergepath_partition_config_static_selectorELNS0_4arch9wavefront6targetE1EEEvSL_.num_named_barrier, 0
	.set _ZN7rocprim17ROCPRIM_400000_NS6detail17trampoline_kernelINS0_14default_configENS1_38merge_sort_block_merge_config_selectorIfNS0_10empty_typeEEEZZNS1_27merge_sort_block_merge_implIS3_N6thrust23THRUST_200600_302600_NS6detail15normal_iteratorINS9_10device_ptrIfEEEEPS5_jNS1_19radix_merge_compareILb0ELb0EfNS0_19identity_decomposerEEEEE10hipError_tT0_T1_T2_jT3_P12ihipStream_tbPNSt15iterator_traitsISK_E10value_typeEPNSQ_ISL_E10value_typeEPSM_NS1_7vsmem_tEENKUlT_SK_SL_SM_E_clIPfSE_SF_SF_EESJ_SZ_SK_SL_SM_EUlSZ_E_NS1_11comp_targetILNS1_3genE3ELNS1_11target_archE908ELNS1_3gpuE7ELNS1_3repE0EEENS1_48merge_mergepath_partition_config_static_selectorELNS0_4arch9wavefront6targetE1EEEvSL_.private_seg_size, 0
	.set _ZN7rocprim17ROCPRIM_400000_NS6detail17trampoline_kernelINS0_14default_configENS1_38merge_sort_block_merge_config_selectorIfNS0_10empty_typeEEEZZNS1_27merge_sort_block_merge_implIS3_N6thrust23THRUST_200600_302600_NS6detail15normal_iteratorINS9_10device_ptrIfEEEEPS5_jNS1_19radix_merge_compareILb0ELb0EfNS0_19identity_decomposerEEEEE10hipError_tT0_T1_T2_jT3_P12ihipStream_tbPNSt15iterator_traitsISK_E10value_typeEPNSQ_ISL_E10value_typeEPSM_NS1_7vsmem_tEENKUlT_SK_SL_SM_E_clIPfSE_SF_SF_EESJ_SZ_SK_SL_SM_EUlSZ_E_NS1_11comp_targetILNS1_3genE3ELNS1_11target_archE908ELNS1_3gpuE7ELNS1_3repE0EEENS1_48merge_mergepath_partition_config_static_selectorELNS0_4arch9wavefront6targetE1EEEvSL_.uses_vcc, 0
	.set _ZN7rocprim17ROCPRIM_400000_NS6detail17trampoline_kernelINS0_14default_configENS1_38merge_sort_block_merge_config_selectorIfNS0_10empty_typeEEEZZNS1_27merge_sort_block_merge_implIS3_N6thrust23THRUST_200600_302600_NS6detail15normal_iteratorINS9_10device_ptrIfEEEEPS5_jNS1_19radix_merge_compareILb0ELb0EfNS0_19identity_decomposerEEEEE10hipError_tT0_T1_T2_jT3_P12ihipStream_tbPNSt15iterator_traitsISK_E10value_typeEPNSQ_ISL_E10value_typeEPSM_NS1_7vsmem_tEENKUlT_SK_SL_SM_E_clIPfSE_SF_SF_EESJ_SZ_SK_SL_SM_EUlSZ_E_NS1_11comp_targetILNS1_3genE3ELNS1_11target_archE908ELNS1_3gpuE7ELNS1_3repE0EEENS1_48merge_mergepath_partition_config_static_selectorELNS0_4arch9wavefront6targetE1EEEvSL_.uses_flat_scratch, 0
	.set _ZN7rocprim17ROCPRIM_400000_NS6detail17trampoline_kernelINS0_14default_configENS1_38merge_sort_block_merge_config_selectorIfNS0_10empty_typeEEEZZNS1_27merge_sort_block_merge_implIS3_N6thrust23THRUST_200600_302600_NS6detail15normal_iteratorINS9_10device_ptrIfEEEEPS5_jNS1_19radix_merge_compareILb0ELb0EfNS0_19identity_decomposerEEEEE10hipError_tT0_T1_T2_jT3_P12ihipStream_tbPNSt15iterator_traitsISK_E10value_typeEPNSQ_ISL_E10value_typeEPSM_NS1_7vsmem_tEENKUlT_SK_SL_SM_E_clIPfSE_SF_SF_EESJ_SZ_SK_SL_SM_EUlSZ_E_NS1_11comp_targetILNS1_3genE3ELNS1_11target_archE908ELNS1_3gpuE7ELNS1_3repE0EEENS1_48merge_mergepath_partition_config_static_selectorELNS0_4arch9wavefront6targetE1EEEvSL_.has_dyn_sized_stack, 0
	.set _ZN7rocprim17ROCPRIM_400000_NS6detail17trampoline_kernelINS0_14default_configENS1_38merge_sort_block_merge_config_selectorIfNS0_10empty_typeEEEZZNS1_27merge_sort_block_merge_implIS3_N6thrust23THRUST_200600_302600_NS6detail15normal_iteratorINS9_10device_ptrIfEEEEPS5_jNS1_19radix_merge_compareILb0ELb0EfNS0_19identity_decomposerEEEEE10hipError_tT0_T1_T2_jT3_P12ihipStream_tbPNSt15iterator_traitsISK_E10value_typeEPNSQ_ISL_E10value_typeEPSM_NS1_7vsmem_tEENKUlT_SK_SL_SM_E_clIPfSE_SF_SF_EESJ_SZ_SK_SL_SM_EUlSZ_E_NS1_11comp_targetILNS1_3genE3ELNS1_11target_archE908ELNS1_3gpuE7ELNS1_3repE0EEENS1_48merge_mergepath_partition_config_static_selectorELNS0_4arch9wavefront6targetE1EEEvSL_.has_recursion, 0
	.set _ZN7rocprim17ROCPRIM_400000_NS6detail17trampoline_kernelINS0_14default_configENS1_38merge_sort_block_merge_config_selectorIfNS0_10empty_typeEEEZZNS1_27merge_sort_block_merge_implIS3_N6thrust23THRUST_200600_302600_NS6detail15normal_iteratorINS9_10device_ptrIfEEEEPS5_jNS1_19radix_merge_compareILb0ELb0EfNS0_19identity_decomposerEEEEE10hipError_tT0_T1_T2_jT3_P12ihipStream_tbPNSt15iterator_traitsISK_E10value_typeEPNSQ_ISL_E10value_typeEPSM_NS1_7vsmem_tEENKUlT_SK_SL_SM_E_clIPfSE_SF_SF_EESJ_SZ_SK_SL_SM_EUlSZ_E_NS1_11comp_targetILNS1_3genE3ELNS1_11target_archE908ELNS1_3gpuE7ELNS1_3repE0EEENS1_48merge_mergepath_partition_config_static_selectorELNS0_4arch9wavefront6targetE1EEEvSL_.has_indirect_call, 0
	.section	.AMDGPU.csdata,"",@progbits
; Kernel info:
; codeLenInByte = 0
; TotalNumSgprs: 6
; NumVgprs: 0
; NumAgprs: 0
; TotalNumVgprs: 0
; ScratchSize: 0
; MemoryBound: 0
; FloatMode: 240
; IeeeMode: 1
; LDSByteSize: 0 bytes/workgroup (compile time only)
; SGPRBlocks: 0
; VGPRBlocks: 0
; NumSGPRsForWavesPerEU: 6
; NumVGPRsForWavesPerEU: 1
; AccumOffset: 4
; Occupancy: 8
; WaveLimiterHint : 0
; COMPUTE_PGM_RSRC2:SCRATCH_EN: 0
; COMPUTE_PGM_RSRC2:USER_SGPR: 2
; COMPUTE_PGM_RSRC2:TRAP_HANDLER: 0
; COMPUTE_PGM_RSRC2:TGID_X_EN: 1
; COMPUTE_PGM_RSRC2:TGID_Y_EN: 0
; COMPUTE_PGM_RSRC2:TGID_Z_EN: 0
; COMPUTE_PGM_RSRC2:TIDIG_COMP_CNT: 0
; COMPUTE_PGM_RSRC3_GFX90A:ACCUM_OFFSET: 0
; COMPUTE_PGM_RSRC3_GFX90A:TG_SPLIT: 0
	.section	.text._ZN7rocprim17ROCPRIM_400000_NS6detail17trampoline_kernelINS0_14default_configENS1_38merge_sort_block_merge_config_selectorIfNS0_10empty_typeEEEZZNS1_27merge_sort_block_merge_implIS3_N6thrust23THRUST_200600_302600_NS6detail15normal_iteratorINS9_10device_ptrIfEEEEPS5_jNS1_19radix_merge_compareILb0ELb0EfNS0_19identity_decomposerEEEEE10hipError_tT0_T1_T2_jT3_P12ihipStream_tbPNSt15iterator_traitsISK_E10value_typeEPNSQ_ISL_E10value_typeEPSM_NS1_7vsmem_tEENKUlT_SK_SL_SM_E_clIPfSE_SF_SF_EESJ_SZ_SK_SL_SM_EUlSZ_E_NS1_11comp_targetILNS1_3genE2ELNS1_11target_archE906ELNS1_3gpuE6ELNS1_3repE0EEENS1_48merge_mergepath_partition_config_static_selectorELNS0_4arch9wavefront6targetE1EEEvSL_,"axG",@progbits,_ZN7rocprim17ROCPRIM_400000_NS6detail17trampoline_kernelINS0_14default_configENS1_38merge_sort_block_merge_config_selectorIfNS0_10empty_typeEEEZZNS1_27merge_sort_block_merge_implIS3_N6thrust23THRUST_200600_302600_NS6detail15normal_iteratorINS9_10device_ptrIfEEEEPS5_jNS1_19radix_merge_compareILb0ELb0EfNS0_19identity_decomposerEEEEE10hipError_tT0_T1_T2_jT3_P12ihipStream_tbPNSt15iterator_traitsISK_E10value_typeEPNSQ_ISL_E10value_typeEPSM_NS1_7vsmem_tEENKUlT_SK_SL_SM_E_clIPfSE_SF_SF_EESJ_SZ_SK_SL_SM_EUlSZ_E_NS1_11comp_targetILNS1_3genE2ELNS1_11target_archE906ELNS1_3gpuE6ELNS1_3repE0EEENS1_48merge_mergepath_partition_config_static_selectorELNS0_4arch9wavefront6targetE1EEEvSL_,comdat
	.protected	_ZN7rocprim17ROCPRIM_400000_NS6detail17trampoline_kernelINS0_14default_configENS1_38merge_sort_block_merge_config_selectorIfNS0_10empty_typeEEEZZNS1_27merge_sort_block_merge_implIS3_N6thrust23THRUST_200600_302600_NS6detail15normal_iteratorINS9_10device_ptrIfEEEEPS5_jNS1_19radix_merge_compareILb0ELb0EfNS0_19identity_decomposerEEEEE10hipError_tT0_T1_T2_jT3_P12ihipStream_tbPNSt15iterator_traitsISK_E10value_typeEPNSQ_ISL_E10value_typeEPSM_NS1_7vsmem_tEENKUlT_SK_SL_SM_E_clIPfSE_SF_SF_EESJ_SZ_SK_SL_SM_EUlSZ_E_NS1_11comp_targetILNS1_3genE2ELNS1_11target_archE906ELNS1_3gpuE6ELNS1_3repE0EEENS1_48merge_mergepath_partition_config_static_selectorELNS0_4arch9wavefront6targetE1EEEvSL_ ; -- Begin function _ZN7rocprim17ROCPRIM_400000_NS6detail17trampoline_kernelINS0_14default_configENS1_38merge_sort_block_merge_config_selectorIfNS0_10empty_typeEEEZZNS1_27merge_sort_block_merge_implIS3_N6thrust23THRUST_200600_302600_NS6detail15normal_iteratorINS9_10device_ptrIfEEEEPS5_jNS1_19radix_merge_compareILb0ELb0EfNS0_19identity_decomposerEEEEE10hipError_tT0_T1_T2_jT3_P12ihipStream_tbPNSt15iterator_traitsISK_E10value_typeEPNSQ_ISL_E10value_typeEPSM_NS1_7vsmem_tEENKUlT_SK_SL_SM_E_clIPfSE_SF_SF_EESJ_SZ_SK_SL_SM_EUlSZ_E_NS1_11comp_targetILNS1_3genE2ELNS1_11target_archE906ELNS1_3gpuE6ELNS1_3repE0EEENS1_48merge_mergepath_partition_config_static_selectorELNS0_4arch9wavefront6targetE1EEEvSL_
	.globl	_ZN7rocprim17ROCPRIM_400000_NS6detail17trampoline_kernelINS0_14default_configENS1_38merge_sort_block_merge_config_selectorIfNS0_10empty_typeEEEZZNS1_27merge_sort_block_merge_implIS3_N6thrust23THRUST_200600_302600_NS6detail15normal_iteratorINS9_10device_ptrIfEEEEPS5_jNS1_19radix_merge_compareILb0ELb0EfNS0_19identity_decomposerEEEEE10hipError_tT0_T1_T2_jT3_P12ihipStream_tbPNSt15iterator_traitsISK_E10value_typeEPNSQ_ISL_E10value_typeEPSM_NS1_7vsmem_tEENKUlT_SK_SL_SM_E_clIPfSE_SF_SF_EESJ_SZ_SK_SL_SM_EUlSZ_E_NS1_11comp_targetILNS1_3genE2ELNS1_11target_archE906ELNS1_3gpuE6ELNS1_3repE0EEENS1_48merge_mergepath_partition_config_static_selectorELNS0_4arch9wavefront6targetE1EEEvSL_
	.p2align	8
	.type	_ZN7rocprim17ROCPRIM_400000_NS6detail17trampoline_kernelINS0_14default_configENS1_38merge_sort_block_merge_config_selectorIfNS0_10empty_typeEEEZZNS1_27merge_sort_block_merge_implIS3_N6thrust23THRUST_200600_302600_NS6detail15normal_iteratorINS9_10device_ptrIfEEEEPS5_jNS1_19radix_merge_compareILb0ELb0EfNS0_19identity_decomposerEEEEE10hipError_tT0_T1_T2_jT3_P12ihipStream_tbPNSt15iterator_traitsISK_E10value_typeEPNSQ_ISL_E10value_typeEPSM_NS1_7vsmem_tEENKUlT_SK_SL_SM_E_clIPfSE_SF_SF_EESJ_SZ_SK_SL_SM_EUlSZ_E_NS1_11comp_targetILNS1_3genE2ELNS1_11target_archE906ELNS1_3gpuE6ELNS1_3repE0EEENS1_48merge_mergepath_partition_config_static_selectorELNS0_4arch9wavefront6targetE1EEEvSL_,@function
_ZN7rocprim17ROCPRIM_400000_NS6detail17trampoline_kernelINS0_14default_configENS1_38merge_sort_block_merge_config_selectorIfNS0_10empty_typeEEEZZNS1_27merge_sort_block_merge_implIS3_N6thrust23THRUST_200600_302600_NS6detail15normal_iteratorINS9_10device_ptrIfEEEEPS5_jNS1_19radix_merge_compareILb0ELb0EfNS0_19identity_decomposerEEEEE10hipError_tT0_T1_T2_jT3_P12ihipStream_tbPNSt15iterator_traitsISK_E10value_typeEPNSQ_ISL_E10value_typeEPSM_NS1_7vsmem_tEENKUlT_SK_SL_SM_E_clIPfSE_SF_SF_EESJ_SZ_SK_SL_SM_EUlSZ_E_NS1_11comp_targetILNS1_3genE2ELNS1_11target_archE906ELNS1_3gpuE6ELNS1_3repE0EEENS1_48merge_mergepath_partition_config_static_selectorELNS0_4arch9wavefront6targetE1EEEvSL_: ; @_ZN7rocprim17ROCPRIM_400000_NS6detail17trampoline_kernelINS0_14default_configENS1_38merge_sort_block_merge_config_selectorIfNS0_10empty_typeEEEZZNS1_27merge_sort_block_merge_implIS3_N6thrust23THRUST_200600_302600_NS6detail15normal_iteratorINS9_10device_ptrIfEEEEPS5_jNS1_19radix_merge_compareILb0ELb0EfNS0_19identity_decomposerEEEEE10hipError_tT0_T1_T2_jT3_P12ihipStream_tbPNSt15iterator_traitsISK_E10value_typeEPNSQ_ISL_E10value_typeEPSM_NS1_7vsmem_tEENKUlT_SK_SL_SM_E_clIPfSE_SF_SF_EESJ_SZ_SK_SL_SM_EUlSZ_E_NS1_11comp_targetILNS1_3genE2ELNS1_11target_archE906ELNS1_3gpuE6ELNS1_3repE0EEENS1_48merge_mergepath_partition_config_static_selectorELNS0_4arch9wavefront6targetE1EEEvSL_
; %bb.0:
	.section	.rodata,"a",@progbits
	.p2align	6, 0x0
	.amdhsa_kernel _ZN7rocprim17ROCPRIM_400000_NS6detail17trampoline_kernelINS0_14default_configENS1_38merge_sort_block_merge_config_selectorIfNS0_10empty_typeEEEZZNS1_27merge_sort_block_merge_implIS3_N6thrust23THRUST_200600_302600_NS6detail15normal_iteratorINS9_10device_ptrIfEEEEPS5_jNS1_19radix_merge_compareILb0ELb0EfNS0_19identity_decomposerEEEEE10hipError_tT0_T1_T2_jT3_P12ihipStream_tbPNSt15iterator_traitsISK_E10value_typeEPNSQ_ISL_E10value_typeEPSM_NS1_7vsmem_tEENKUlT_SK_SL_SM_E_clIPfSE_SF_SF_EESJ_SZ_SK_SL_SM_EUlSZ_E_NS1_11comp_targetILNS1_3genE2ELNS1_11target_archE906ELNS1_3gpuE6ELNS1_3repE0EEENS1_48merge_mergepath_partition_config_static_selectorELNS0_4arch9wavefront6targetE1EEEvSL_
		.amdhsa_group_segment_fixed_size 0
		.amdhsa_private_segment_fixed_size 0
		.amdhsa_kernarg_size 40
		.amdhsa_user_sgpr_count 2
		.amdhsa_user_sgpr_dispatch_ptr 0
		.amdhsa_user_sgpr_queue_ptr 0
		.amdhsa_user_sgpr_kernarg_segment_ptr 1
		.amdhsa_user_sgpr_dispatch_id 0
		.amdhsa_user_sgpr_kernarg_preload_length 0
		.amdhsa_user_sgpr_kernarg_preload_offset 0
		.amdhsa_user_sgpr_private_segment_size 0
		.amdhsa_uses_dynamic_stack 0
		.amdhsa_enable_private_segment 0
		.amdhsa_system_sgpr_workgroup_id_x 1
		.amdhsa_system_sgpr_workgroup_id_y 0
		.amdhsa_system_sgpr_workgroup_id_z 0
		.amdhsa_system_sgpr_workgroup_info 0
		.amdhsa_system_vgpr_workitem_id 0
		.amdhsa_next_free_vgpr 1
		.amdhsa_next_free_sgpr 0
		.amdhsa_accum_offset 4
		.amdhsa_reserve_vcc 0
		.amdhsa_float_round_mode_32 0
		.amdhsa_float_round_mode_16_64 0
		.amdhsa_float_denorm_mode_32 3
		.amdhsa_float_denorm_mode_16_64 3
		.amdhsa_dx10_clamp 1
		.amdhsa_ieee_mode 1
		.amdhsa_fp16_overflow 0
		.amdhsa_tg_split 0
		.amdhsa_exception_fp_ieee_invalid_op 0
		.amdhsa_exception_fp_denorm_src 0
		.amdhsa_exception_fp_ieee_div_zero 0
		.amdhsa_exception_fp_ieee_overflow 0
		.amdhsa_exception_fp_ieee_underflow 0
		.amdhsa_exception_fp_ieee_inexact 0
		.amdhsa_exception_int_div_zero 0
	.end_amdhsa_kernel
	.section	.text._ZN7rocprim17ROCPRIM_400000_NS6detail17trampoline_kernelINS0_14default_configENS1_38merge_sort_block_merge_config_selectorIfNS0_10empty_typeEEEZZNS1_27merge_sort_block_merge_implIS3_N6thrust23THRUST_200600_302600_NS6detail15normal_iteratorINS9_10device_ptrIfEEEEPS5_jNS1_19radix_merge_compareILb0ELb0EfNS0_19identity_decomposerEEEEE10hipError_tT0_T1_T2_jT3_P12ihipStream_tbPNSt15iterator_traitsISK_E10value_typeEPNSQ_ISL_E10value_typeEPSM_NS1_7vsmem_tEENKUlT_SK_SL_SM_E_clIPfSE_SF_SF_EESJ_SZ_SK_SL_SM_EUlSZ_E_NS1_11comp_targetILNS1_3genE2ELNS1_11target_archE906ELNS1_3gpuE6ELNS1_3repE0EEENS1_48merge_mergepath_partition_config_static_selectorELNS0_4arch9wavefront6targetE1EEEvSL_,"axG",@progbits,_ZN7rocprim17ROCPRIM_400000_NS6detail17trampoline_kernelINS0_14default_configENS1_38merge_sort_block_merge_config_selectorIfNS0_10empty_typeEEEZZNS1_27merge_sort_block_merge_implIS3_N6thrust23THRUST_200600_302600_NS6detail15normal_iteratorINS9_10device_ptrIfEEEEPS5_jNS1_19radix_merge_compareILb0ELb0EfNS0_19identity_decomposerEEEEE10hipError_tT0_T1_T2_jT3_P12ihipStream_tbPNSt15iterator_traitsISK_E10value_typeEPNSQ_ISL_E10value_typeEPSM_NS1_7vsmem_tEENKUlT_SK_SL_SM_E_clIPfSE_SF_SF_EESJ_SZ_SK_SL_SM_EUlSZ_E_NS1_11comp_targetILNS1_3genE2ELNS1_11target_archE906ELNS1_3gpuE6ELNS1_3repE0EEENS1_48merge_mergepath_partition_config_static_selectorELNS0_4arch9wavefront6targetE1EEEvSL_,comdat
.Lfunc_end480:
	.size	_ZN7rocprim17ROCPRIM_400000_NS6detail17trampoline_kernelINS0_14default_configENS1_38merge_sort_block_merge_config_selectorIfNS0_10empty_typeEEEZZNS1_27merge_sort_block_merge_implIS3_N6thrust23THRUST_200600_302600_NS6detail15normal_iteratorINS9_10device_ptrIfEEEEPS5_jNS1_19radix_merge_compareILb0ELb0EfNS0_19identity_decomposerEEEEE10hipError_tT0_T1_T2_jT3_P12ihipStream_tbPNSt15iterator_traitsISK_E10value_typeEPNSQ_ISL_E10value_typeEPSM_NS1_7vsmem_tEENKUlT_SK_SL_SM_E_clIPfSE_SF_SF_EESJ_SZ_SK_SL_SM_EUlSZ_E_NS1_11comp_targetILNS1_3genE2ELNS1_11target_archE906ELNS1_3gpuE6ELNS1_3repE0EEENS1_48merge_mergepath_partition_config_static_selectorELNS0_4arch9wavefront6targetE1EEEvSL_, .Lfunc_end480-_ZN7rocprim17ROCPRIM_400000_NS6detail17trampoline_kernelINS0_14default_configENS1_38merge_sort_block_merge_config_selectorIfNS0_10empty_typeEEEZZNS1_27merge_sort_block_merge_implIS3_N6thrust23THRUST_200600_302600_NS6detail15normal_iteratorINS9_10device_ptrIfEEEEPS5_jNS1_19radix_merge_compareILb0ELb0EfNS0_19identity_decomposerEEEEE10hipError_tT0_T1_T2_jT3_P12ihipStream_tbPNSt15iterator_traitsISK_E10value_typeEPNSQ_ISL_E10value_typeEPSM_NS1_7vsmem_tEENKUlT_SK_SL_SM_E_clIPfSE_SF_SF_EESJ_SZ_SK_SL_SM_EUlSZ_E_NS1_11comp_targetILNS1_3genE2ELNS1_11target_archE906ELNS1_3gpuE6ELNS1_3repE0EEENS1_48merge_mergepath_partition_config_static_selectorELNS0_4arch9wavefront6targetE1EEEvSL_
                                        ; -- End function
	.set _ZN7rocprim17ROCPRIM_400000_NS6detail17trampoline_kernelINS0_14default_configENS1_38merge_sort_block_merge_config_selectorIfNS0_10empty_typeEEEZZNS1_27merge_sort_block_merge_implIS3_N6thrust23THRUST_200600_302600_NS6detail15normal_iteratorINS9_10device_ptrIfEEEEPS5_jNS1_19radix_merge_compareILb0ELb0EfNS0_19identity_decomposerEEEEE10hipError_tT0_T1_T2_jT3_P12ihipStream_tbPNSt15iterator_traitsISK_E10value_typeEPNSQ_ISL_E10value_typeEPSM_NS1_7vsmem_tEENKUlT_SK_SL_SM_E_clIPfSE_SF_SF_EESJ_SZ_SK_SL_SM_EUlSZ_E_NS1_11comp_targetILNS1_3genE2ELNS1_11target_archE906ELNS1_3gpuE6ELNS1_3repE0EEENS1_48merge_mergepath_partition_config_static_selectorELNS0_4arch9wavefront6targetE1EEEvSL_.num_vgpr, 0
	.set _ZN7rocprim17ROCPRIM_400000_NS6detail17trampoline_kernelINS0_14default_configENS1_38merge_sort_block_merge_config_selectorIfNS0_10empty_typeEEEZZNS1_27merge_sort_block_merge_implIS3_N6thrust23THRUST_200600_302600_NS6detail15normal_iteratorINS9_10device_ptrIfEEEEPS5_jNS1_19radix_merge_compareILb0ELb0EfNS0_19identity_decomposerEEEEE10hipError_tT0_T1_T2_jT3_P12ihipStream_tbPNSt15iterator_traitsISK_E10value_typeEPNSQ_ISL_E10value_typeEPSM_NS1_7vsmem_tEENKUlT_SK_SL_SM_E_clIPfSE_SF_SF_EESJ_SZ_SK_SL_SM_EUlSZ_E_NS1_11comp_targetILNS1_3genE2ELNS1_11target_archE906ELNS1_3gpuE6ELNS1_3repE0EEENS1_48merge_mergepath_partition_config_static_selectorELNS0_4arch9wavefront6targetE1EEEvSL_.num_agpr, 0
	.set _ZN7rocprim17ROCPRIM_400000_NS6detail17trampoline_kernelINS0_14default_configENS1_38merge_sort_block_merge_config_selectorIfNS0_10empty_typeEEEZZNS1_27merge_sort_block_merge_implIS3_N6thrust23THRUST_200600_302600_NS6detail15normal_iteratorINS9_10device_ptrIfEEEEPS5_jNS1_19radix_merge_compareILb0ELb0EfNS0_19identity_decomposerEEEEE10hipError_tT0_T1_T2_jT3_P12ihipStream_tbPNSt15iterator_traitsISK_E10value_typeEPNSQ_ISL_E10value_typeEPSM_NS1_7vsmem_tEENKUlT_SK_SL_SM_E_clIPfSE_SF_SF_EESJ_SZ_SK_SL_SM_EUlSZ_E_NS1_11comp_targetILNS1_3genE2ELNS1_11target_archE906ELNS1_3gpuE6ELNS1_3repE0EEENS1_48merge_mergepath_partition_config_static_selectorELNS0_4arch9wavefront6targetE1EEEvSL_.numbered_sgpr, 0
	.set _ZN7rocprim17ROCPRIM_400000_NS6detail17trampoline_kernelINS0_14default_configENS1_38merge_sort_block_merge_config_selectorIfNS0_10empty_typeEEEZZNS1_27merge_sort_block_merge_implIS3_N6thrust23THRUST_200600_302600_NS6detail15normal_iteratorINS9_10device_ptrIfEEEEPS5_jNS1_19radix_merge_compareILb0ELb0EfNS0_19identity_decomposerEEEEE10hipError_tT0_T1_T2_jT3_P12ihipStream_tbPNSt15iterator_traitsISK_E10value_typeEPNSQ_ISL_E10value_typeEPSM_NS1_7vsmem_tEENKUlT_SK_SL_SM_E_clIPfSE_SF_SF_EESJ_SZ_SK_SL_SM_EUlSZ_E_NS1_11comp_targetILNS1_3genE2ELNS1_11target_archE906ELNS1_3gpuE6ELNS1_3repE0EEENS1_48merge_mergepath_partition_config_static_selectorELNS0_4arch9wavefront6targetE1EEEvSL_.num_named_barrier, 0
	.set _ZN7rocprim17ROCPRIM_400000_NS6detail17trampoline_kernelINS0_14default_configENS1_38merge_sort_block_merge_config_selectorIfNS0_10empty_typeEEEZZNS1_27merge_sort_block_merge_implIS3_N6thrust23THRUST_200600_302600_NS6detail15normal_iteratorINS9_10device_ptrIfEEEEPS5_jNS1_19radix_merge_compareILb0ELb0EfNS0_19identity_decomposerEEEEE10hipError_tT0_T1_T2_jT3_P12ihipStream_tbPNSt15iterator_traitsISK_E10value_typeEPNSQ_ISL_E10value_typeEPSM_NS1_7vsmem_tEENKUlT_SK_SL_SM_E_clIPfSE_SF_SF_EESJ_SZ_SK_SL_SM_EUlSZ_E_NS1_11comp_targetILNS1_3genE2ELNS1_11target_archE906ELNS1_3gpuE6ELNS1_3repE0EEENS1_48merge_mergepath_partition_config_static_selectorELNS0_4arch9wavefront6targetE1EEEvSL_.private_seg_size, 0
	.set _ZN7rocprim17ROCPRIM_400000_NS6detail17trampoline_kernelINS0_14default_configENS1_38merge_sort_block_merge_config_selectorIfNS0_10empty_typeEEEZZNS1_27merge_sort_block_merge_implIS3_N6thrust23THRUST_200600_302600_NS6detail15normal_iteratorINS9_10device_ptrIfEEEEPS5_jNS1_19radix_merge_compareILb0ELb0EfNS0_19identity_decomposerEEEEE10hipError_tT0_T1_T2_jT3_P12ihipStream_tbPNSt15iterator_traitsISK_E10value_typeEPNSQ_ISL_E10value_typeEPSM_NS1_7vsmem_tEENKUlT_SK_SL_SM_E_clIPfSE_SF_SF_EESJ_SZ_SK_SL_SM_EUlSZ_E_NS1_11comp_targetILNS1_3genE2ELNS1_11target_archE906ELNS1_3gpuE6ELNS1_3repE0EEENS1_48merge_mergepath_partition_config_static_selectorELNS0_4arch9wavefront6targetE1EEEvSL_.uses_vcc, 0
	.set _ZN7rocprim17ROCPRIM_400000_NS6detail17trampoline_kernelINS0_14default_configENS1_38merge_sort_block_merge_config_selectorIfNS0_10empty_typeEEEZZNS1_27merge_sort_block_merge_implIS3_N6thrust23THRUST_200600_302600_NS6detail15normal_iteratorINS9_10device_ptrIfEEEEPS5_jNS1_19radix_merge_compareILb0ELb0EfNS0_19identity_decomposerEEEEE10hipError_tT0_T1_T2_jT3_P12ihipStream_tbPNSt15iterator_traitsISK_E10value_typeEPNSQ_ISL_E10value_typeEPSM_NS1_7vsmem_tEENKUlT_SK_SL_SM_E_clIPfSE_SF_SF_EESJ_SZ_SK_SL_SM_EUlSZ_E_NS1_11comp_targetILNS1_3genE2ELNS1_11target_archE906ELNS1_3gpuE6ELNS1_3repE0EEENS1_48merge_mergepath_partition_config_static_selectorELNS0_4arch9wavefront6targetE1EEEvSL_.uses_flat_scratch, 0
	.set _ZN7rocprim17ROCPRIM_400000_NS6detail17trampoline_kernelINS0_14default_configENS1_38merge_sort_block_merge_config_selectorIfNS0_10empty_typeEEEZZNS1_27merge_sort_block_merge_implIS3_N6thrust23THRUST_200600_302600_NS6detail15normal_iteratorINS9_10device_ptrIfEEEEPS5_jNS1_19radix_merge_compareILb0ELb0EfNS0_19identity_decomposerEEEEE10hipError_tT0_T1_T2_jT3_P12ihipStream_tbPNSt15iterator_traitsISK_E10value_typeEPNSQ_ISL_E10value_typeEPSM_NS1_7vsmem_tEENKUlT_SK_SL_SM_E_clIPfSE_SF_SF_EESJ_SZ_SK_SL_SM_EUlSZ_E_NS1_11comp_targetILNS1_3genE2ELNS1_11target_archE906ELNS1_3gpuE6ELNS1_3repE0EEENS1_48merge_mergepath_partition_config_static_selectorELNS0_4arch9wavefront6targetE1EEEvSL_.has_dyn_sized_stack, 0
	.set _ZN7rocprim17ROCPRIM_400000_NS6detail17trampoline_kernelINS0_14default_configENS1_38merge_sort_block_merge_config_selectorIfNS0_10empty_typeEEEZZNS1_27merge_sort_block_merge_implIS3_N6thrust23THRUST_200600_302600_NS6detail15normal_iteratorINS9_10device_ptrIfEEEEPS5_jNS1_19radix_merge_compareILb0ELb0EfNS0_19identity_decomposerEEEEE10hipError_tT0_T1_T2_jT3_P12ihipStream_tbPNSt15iterator_traitsISK_E10value_typeEPNSQ_ISL_E10value_typeEPSM_NS1_7vsmem_tEENKUlT_SK_SL_SM_E_clIPfSE_SF_SF_EESJ_SZ_SK_SL_SM_EUlSZ_E_NS1_11comp_targetILNS1_3genE2ELNS1_11target_archE906ELNS1_3gpuE6ELNS1_3repE0EEENS1_48merge_mergepath_partition_config_static_selectorELNS0_4arch9wavefront6targetE1EEEvSL_.has_recursion, 0
	.set _ZN7rocprim17ROCPRIM_400000_NS6detail17trampoline_kernelINS0_14default_configENS1_38merge_sort_block_merge_config_selectorIfNS0_10empty_typeEEEZZNS1_27merge_sort_block_merge_implIS3_N6thrust23THRUST_200600_302600_NS6detail15normal_iteratorINS9_10device_ptrIfEEEEPS5_jNS1_19radix_merge_compareILb0ELb0EfNS0_19identity_decomposerEEEEE10hipError_tT0_T1_T2_jT3_P12ihipStream_tbPNSt15iterator_traitsISK_E10value_typeEPNSQ_ISL_E10value_typeEPSM_NS1_7vsmem_tEENKUlT_SK_SL_SM_E_clIPfSE_SF_SF_EESJ_SZ_SK_SL_SM_EUlSZ_E_NS1_11comp_targetILNS1_3genE2ELNS1_11target_archE906ELNS1_3gpuE6ELNS1_3repE0EEENS1_48merge_mergepath_partition_config_static_selectorELNS0_4arch9wavefront6targetE1EEEvSL_.has_indirect_call, 0
	.section	.AMDGPU.csdata,"",@progbits
; Kernel info:
; codeLenInByte = 0
; TotalNumSgprs: 6
; NumVgprs: 0
; NumAgprs: 0
; TotalNumVgprs: 0
; ScratchSize: 0
; MemoryBound: 0
; FloatMode: 240
; IeeeMode: 1
; LDSByteSize: 0 bytes/workgroup (compile time only)
; SGPRBlocks: 0
; VGPRBlocks: 0
; NumSGPRsForWavesPerEU: 6
; NumVGPRsForWavesPerEU: 1
; AccumOffset: 4
; Occupancy: 8
; WaveLimiterHint : 0
; COMPUTE_PGM_RSRC2:SCRATCH_EN: 0
; COMPUTE_PGM_RSRC2:USER_SGPR: 2
; COMPUTE_PGM_RSRC2:TRAP_HANDLER: 0
; COMPUTE_PGM_RSRC2:TGID_X_EN: 1
; COMPUTE_PGM_RSRC2:TGID_Y_EN: 0
; COMPUTE_PGM_RSRC2:TGID_Z_EN: 0
; COMPUTE_PGM_RSRC2:TIDIG_COMP_CNT: 0
; COMPUTE_PGM_RSRC3_GFX90A:ACCUM_OFFSET: 0
; COMPUTE_PGM_RSRC3_GFX90A:TG_SPLIT: 0
	.section	.text._ZN7rocprim17ROCPRIM_400000_NS6detail17trampoline_kernelINS0_14default_configENS1_38merge_sort_block_merge_config_selectorIfNS0_10empty_typeEEEZZNS1_27merge_sort_block_merge_implIS3_N6thrust23THRUST_200600_302600_NS6detail15normal_iteratorINS9_10device_ptrIfEEEEPS5_jNS1_19radix_merge_compareILb0ELb0EfNS0_19identity_decomposerEEEEE10hipError_tT0_T1_T2_jT3_P12ihipStream_tbPNSt15iterator_traitsISK_E10value_typeEPNSQ_ISL_E10value_typeEPSM_NS1_7vsmem_tEENKUlT_SK_SL_SM_E_clIPfSE_SF_SF_EESJ_SZ_SK_SL_SM_EUlSZ_E_NS1_11comp_targetILNS1_3genE9ELNS1_11target_archE1100ELNS1_3gpuE3ELNS1_3repE0EEENS1_48merge_mergepath_partition_config_static_selectorELNS0_4arch9wavefront6targetE1EEEvSL_,"axG",@progbits,_ZN7rocprim17ROCPRIM_400000_NS6detail17trampoline_kernelINS0_14default_configENS1_38merge_sort_block_merge_config_selectorIfNS0_10empty_typeEEEZZNS1_27merge_sort_block_merge_implIS3_N6thrust23THRUST_200600_302600_NS6detail15normal_iteratorINS9_10device_ptrIfEEEEPS5_jNS1_19radix_merge_compareILb0ELb0EfNS0_19identity_decomposerEEEEE10hipError_tT0_T1_T2_jT3_P12ihipStream_tbPNSt15iterator_traitsISK_E10value_typeEPNSQ_ISL_E10value_typeEPSM_NS1_7vsmem_tEENKUlT_SK_SL_SM_E_clIPfSE_SF_SF_EESJ_SZ_SK_SL_SM_EUlSZ_E_NS1_11comp_targetILNS1_3genE9ELNS1_11target_archE1100ELNS1_3gpuE3ELNS1_3repE0EEENS1_48merge_mergepath_partition_config_static_selectorELNS0_4arch9wavefront6targetE1EEEvSL_,comdat
	.protected	_ZN7rocprim17ROCPRIM_400000_NS6detail17trampoline_kernelINS0_14default_configENS1_38merge_sort_block_merge_config_selectorIfNS0_10empty_typeEEEZZNS1_27merge_sort_block_merge_implIS3_N6thrust23THRUST_200600_302600_NS6detail15normal_iteratorINS9_10device_ptrIfEEEEPS5_jNS1_19radix_merge_compareILb0ELb0EfNS0_19identity_decomposerEEEEE10hipError_tT0_T1_T2_jT3_P12ihipStream_tbPNSt15iterator_traitsISK_E10value_typeEPNSQ_ISL_E10value_typeEPSM_NS1_7vsmem_tEENKUlT_SK_SL_SM_E_clIPfSE_SF_SF_EESJ_SZ_SK_SL_SM_EUlSZ_E_NS1_11comp_targetILNS1_3genE9ELNS1_11target_archE1100ELNS1_3gpuE3ELNS1_3repE0EEENS1_48merge_mergepath_partition_config_static_selectorELNS0_4arch9wavefront6targetE1EEEvSL_ ; -- Begin function _ZN7rocprim17ROCPRIM_400000_NS6detail17trampoline_kernelINS0_14default_configENS1_38merge_sort_block_merge_config_selectorIfNS0_10empty_typeEEEZZNS1_27merge_sort_block_merge_implIS3_N6thrust23THRUST_200600_302600_NS6detail15normal_iteratorINS9_10device_ptrIfEEEEPS5_jNS1_19radix_merge_compareILb0ELb0EfNS0_19identity_decomposerEEEEE10hipError_tT0_T1_T2_jT3_P12ihipStream_tbPNSt15iterator_traitsISK_E10value_typeEPNSQ_ISL_E10value_typeEPSM_NS1_7vsmem_tEENKUlT_SK_SL_SM_E_clIPfSE_SF_SF_EESJ_SZ_SK_SL_SM_EUlSZ_E_NS1_11comp_targetILNS1_3genE9ELNS1_11target_archE1100ELNS1_3gpuE3ELNS1_3repE0EEENS1_48merge_mergepath_partition_config_static_selectorELNS0_4arch9wavefront6targetE1EEEvSL_
	.globl	_ZN7rocprim17ROCPRIM_400000_NS6detail17trampoline_kernelINS0_14default_configENS1_38merge_sort_block_merge_config_selectorIfNS0_10empty_typeEEEZZNS1_27merge_sort_block_merge_implIS3_N6thrust23THRUST_200600_302600_NS6detail15normal_iteratorINS9_10device_ptrIfEEEEPS5_jNS1_19radix_merge_compareILb0ELb0EfNS0_19identity_decomposerEEEEE10hipError_tT0_T1_T2_jT3_P12ihipStream_tbPNSt15iterator_traitsISK_E10value_typeEPNSQ_ISL_E10value_typeEPSM_NS1_7vsmem_tEENKUlT_SK_SL_SM_E_clIPfSE_SF_SF_EESJ_SZ_SK_SL_SM_EUlSZ_E_NS1_11comp_targetILNS1_3genE9ELNS1_11target_archE1100ELNS1_3gpuE3ELNS1_3repE0EEENS1_48merge_mergepath_partition_config_static_selectorELNS0_4arch9wavefront6targetE1EEEvSL_
	.p2align	8
	.type	_ZN7rocprim17ROCPRIM_400000_NS6detail17trampoline_kernelINS0_14default_configENS1_38merge_sort_block_merge_config_selectorIfNS0_10empty_typeEEEZZNS1_27merge_sort_block_merge_implIS3_N6thrust23THRUST_200600_302600_NS6detail15normal_iteratorINS9_10device_ptrIfEEEEPS5_jNS1_19radix_merge_compareILb0ELb0EfNS0_19identity_decomposerEEEEE10hipError_tT0_T1_T2_jT3_P12ihipStream_tbPNSt15iterator_traitsISK_E10value_typeEPNSQ_ISL_E10value_typeEPSM_NS1_7vsmem_tEENKUlT_SK_SL_SM_E_clIPfSE_SF_SF_EESJ_SZ_SK_SL_SM_EUlSZ_E_NS1_11comp_targetILNS1_3genE9ELNS1_11target_archE1100ELNS1_3gpuE3ELNS1_3repE0EEENS1_48merge_mergepath_partition_config_static_selectorELNS0_4arch9wavefront6targetE1EEEvSL_,@function
_ZN7rocprim17ROCPRIM_400000_NS6detail17trampoline_kernelINS0_14default_configENS1_38merge_sort_block_merge_config_selectorIfNS0_10empty_typeEEEZZNS1_27merge_sort_block_merge_implIS3_N6thrust23THRUST_200600_302600_NS6detail15normal_iteratorINS9_10device_ptrIfEEEEPS5_jNS1_19radix_merge_compareILb0ELb0EfNS0_19identity_decomposerEEEEE10hipError_tT0_T1_T2_jT3_P12ihipStream_tbPNSt15iterator_traitsISK_E10value_typeEPNSQ_ISL_E10value_typeEPSM_NS1_7vsmem_tEENKUlT_SK_SL_SM_E_clIPfSE_SF_SF_EESJ_SZ_SK_SL_SM_EUlSZ_E_NS1_11comp_targetILNS1_3genE9ELNS1_11target_archE1100ELNS1_3gpuE3ELNS1_3repE0EEENS1_48merge_mergepath_partition_config_static_selectorELNS0_4arch9wavefront6targetE1EEEvSL_: ; @_ZN7rocprim17ROCPRIM_400000_NS6detail17trampoline_kernelINS0_14default_configENS1_38merge_sort_block_merge_config_selectorIfNS0_10empty_typeEEEZZNS1_27merge_sort_block_merge_implIS3_N6thrust23THRUST_200600_302600_NS6detail15normal_iteratorINS9_10device_ptrIfEEEEPS5_jNS1_19radix_merge_compareILb0ELb0EfNS0_19identity_decomposerEEEEE10hipError_tT0_T1_T2_jT3_P12ihipStream_tbPNSt15iterator_traitsISK_E10value_typeEPNSQ_ISL_E10value_typeEPSM_NS1_7vsmem_tEENKUlT_SK_SL_SM_E_clIPfSE_SF_SF_EESJ_SZ_SK_SL_SM_EUlSZ_E_NS1_11comp_targetILNS1_3genE9ELNS1_11target_archE1100ELNS1_3gpuE3ELNS1_3repE0EEENS1_48merge_mergepath_partition_config_static_selectorELNS0_4arch9wavefront6targetE1EEEvSL_
; %bb.0:
	.section	.rodata,"a",@progbits
	.p2align	6, 0x0
	.amdhsa_kernel _ZN7rocprim17ROCPRIM_400000_NS6detail17trampoline_kernelINS0_14default_configENS1_38merge_sort_block_merge_config_selectorIfNS0_10empty_typeEEEZZNS1_27merge_sort_block_merge_implIS3_N6thrust23THRUST_200600_302600_NS6detail15normal_iteratorINS9_10device_ptrIfEEEEPS5_jNS1_19radix_merge_compareILb0ELb0EfNS0_19identity_decomposerEEEEE10hipError_tT0_T1_T2_jT3_P12ihipStream_tbPNSt15iterator_traitsISK_E10value_typeEPNSQ_ISL_E10value_typeEPSM_NS1_7vsmem_tEENKUlT_SK_SL_SM_E_clIPfSE_SF_SF_EESJ_SZ_SK_SL_SM_EUlSZ_E_NS1_11comp_targetILNS1_3genE9ELNS1_11target_archE1100ELNS1_3gpuE3ELNS1_3repE0EEENS1_48merge_mergepath_partition_config_static_selectorELNS0_4arch9wavefront6targetE1EEEvSL_
		.amdhsa_group_segment_fixed_size 0
		.amdhsa_private_segment_fixed_size 0
		.amdhsa_kernarg_size 40
		.amdhsa_user_sgpr_count 2
		.amdhsa_user_sgpr_dispatch_ptr 0
		.amdhsa_user_sgpr_queue_ptr 0
		.amdhsa_user_sgpr_kernarg_segment_ptr 1
		.amdhsa_user_sgpr_dispatch_id 0
		.amdhsa_user_sgpr_kernarg_preload_length 0
		.amdhsa_user_sgpr_kernarg_preload_offset 0
		.amdhsa_user_sgpr_private_segment_size 0
		.amdhsa_uses_dynamic_stack 0
		.amdhsa_enable_private_segment 0
		.amdhsa_system_sgpr_workgroup_id_x 1
		.amdhsa_system_sgpr_workgroup_id_y 0
		.amdhsa_system_sgpr_workgroup_id_z 0
		.amdhsa_system_sgpr_workgroup_info 0
		.amdhsa_system_vgpr_workitem_id 0
		.amdhsa_next_free_vgpr 1
		.amdhsa_next_free_sgpr 0
		.amdhsa_accum_offset 4
		.amdhsa_reserve_vcc 0
		.amdhsa_float_round_mode_32 0
		.amdhsa_float_round_mode_16_64 0
		.amdhsa_float_denorm_mode_32 3
		.amdhsa_float_denorm_mode_16_64 3
		.amdhsa_dx10_clamp 1
		.amdhsa_ieee_mode 1
		.amdhsa_fp16_overflow 0
		.amdhsa_tg_split 0
		.amdhsa_exception_fp_ieee_invalid_op 0
		.amdhsa_exception_fp_denorm_src 0
		.amdhsa_exception_fp_ieee_div_zero 0
		.amdhsa_exception_fp_ieee_overflow 0
		.amdhsa_exception_fp_ieee_underflow 0
		.amdhsa_exception_fp_ieee_inexact 0
		.amdhsa_exception_int_div_zero 0
	.end_amdhsa_kernel
	.section	.text._ZN7rocprim17ROCPRIM_400000_NS6detail17trampoline_kernelINS0_14default_configENS1_38merge_sort_block_merge_config_selectorIfNS0_10empty_typeEEEZZNS1_27merge_sort_block_merge_implIS3_N6thrust23THRUST_200600_302600_NS6detail15normal_iteratorINS9_10device_ptrIfEEEEPS5_jNS1_19radix_merge_compareILb0ELb0EfNS0_19identity_decomposerEEEEE10hipError_tT0_T1_T2_jT3_P12ihipStream_tbPNSt15iterator_traitsISK_E10value_typeEPNSQ_ISL_E10value_typeEPSM_NS1_7vsmem_tEENKUlT_SK_SL_SM_E_clIPfSE_SF_SF_EESJ_SZ_SK_SL_SM_EUlSZ_E_NS1_11comp_targetILNS1_3genE9ELNS1_11target_archE1100ELNS1_3gpuE3ELNS1_3repE0EEENS1_48merge_mergepath_partition_config_static_selectorELNS0_4arch9wavefront6targetE1EEEvSL_,"axG",@progbits,_ZN7rocprim17ROCPRIM_400000_NS6detail17trampoline_kernelINS0_14default_configENS1_38merge_sort_block_merge_config_selectorIfNS0_10empty_typeEEEZZNS1_27merge_sort_block_merge_implIS3_N6thrust23THRUST_200600_302600_NS6detail15normal_iteratorINS9_10device_ptrIfEEEEPS5_jNS1_19radix_merge_compareILb0ELb0EfNS0_19identity_decomposerEEEEE10hipError_tT0_T1_T2_jT3_P12ihipStream_tbPNSt15iterator_traitsISK_E10value_typeEPNSQ_ISL_E10value_typeEPSM_NS1_7vsmem_tEENKUlT_SK_SL_SM_E_clIPfSE_SF_SF_EESJ_SZ_SK_SL_SM_EUlSZ_E_NS1_11comp_targetILNS1_3genE9ELNS1_11target_archE1100ELNS1_3gpuE3ELNS1_3repE0EEENS1_48merge_mergepath_partition_config_static_selectorELNS0_4arch9wavefront6targetE1EEEvSL_,comdat
.Lfunc_end481:
	.size	_ZN7rocprim17ROCPRIM_400000_NS6detail17trampoline_kernelINS0_14default_configENS1_38merge_sort_block_merge_config_selectorIfNS0_10empty_typeEEEZZNS1_27merge_sort_block_merge_implIS3_N6thrust23THRUST_200600_302600_NS6detail15normal_iteratorINS9_10device_ptrIfEEEEPS5_jNS1_19radix_merge_compareILb0ELb0EfNS0_19identity_decomposerEEEEE10hipError_tT0_T1_T2_jT3_P12ihipStream_tbPNSt15iterator_traitsISK_E10value_typeEPNSQ_ISL_E10value_typeEPSM_NS1_7vsmem_tEENKUlT_SK_SL_SM_E_clIPfSE_SF_SF_EESJ_SZ_SK_SL_SM_EUlSZ_E_NS1_11comp_targetILNS1_3genE9ELNS1_11target_archE1100ELNS1_3gpuE3ELNS1_3repE0EEENS1_48merge_mergepath_partition_config_static_selectorELNS0_4arch9wavefront6targetE1EEEvSL_, .Lfunc_end481-_ZN7rocprim17ROCPRIM_400000_NS6detail17trampoline_kernelINS0_14default_configENS1_38merge_sort_block_merge_config_selectorIfNS0_10empty_typeEEEZZNS1_27merge_sort_block_merge_implIS3_N6thrust23THRUST_200600_302600_NS6detail15normal_iteratorINS9_10device_ptrIfEEEEPS5_jNS1_19radix_merge_compareILb0ELb0EfNS0_19identity_decomposerEEEEE10hipError_tT0_T1_T2_jT3_P12ihipStream_tbPNSt15iterator_traitsISK_E10value_typeEPNSQ_ISL_E10value_typeEPSM_NS1_7vsmem_tEENKUlT_SK_SL_SM_E_clIPfSE_SF_SF_EESJ_SZ_SK_SL_SM_EUlSZ_E_NS1_11comp_targetILNS1_3genE9ELNS1_11target_archE1100ELNS1_3gpuE3ELNS1_3repE0EEENS1_48merge_mergepath_partition_config_static_selectorELNS0_4arch9wavefront6targetE1EEEvSL_
                                        ; -- End function
	.set _ZN7rocprim17ROCPRIM_400000_NS6detail17trampoline_kernelINS0_14default_configENS1_38merge_sort_block_merge_config_selectorIfNS0_10empty_typeEEEZZNS1_27merge_sort_block_merge_implIS3_N6thrust23THRUST_200600_302600_NS6detail15normal_iteratorINS9_10device_ptrIfEEEEPS5_jNS1_19radix_merge_compareILb0ELb0EfNS0_19identity_decomposerEEEEE10hipError_tT0_T1_T2_jT3_P12ihipStream_tbPNSt15iterator_traitsISK_E10value_typeEPNSQ_ISL_E10value_typeEPSM_NS1_7vsmem_tEENKUlT_SK_SL_SM_E_clIPfSE_SF_SF_EESJ_SZ_SK_SL_SM_EUlSZ_E_NS1_11comp_targetILNS1_3genE9ELNS1_11target_archE1100ELNS1_3gpuE3ELNS1_3repE0EEENS1_48merge_mergepath_partition_config_static_selectorELNS0_4arch9wavefront6targetE1EEEvSL_.num_vgpr, 0
	.set _ZN7rocprim17ROCPRIM_400000_NS6detail17trampoline_kernelINS0_14default_configENS1_38merge_sort_block_merge_config_selectorIfNS0_10empty_typeEEEZZNS1_27merge_sort_block_merge_implIS3_N6thrust23THRUST_200600_302600_NS6detail15normal_iteratorINS9_10device_ptrIfEEEEPS5_jNS1_19radix_merge_compareILb0ELb0EfNS0_19identity_decomposerEEEEE10hipError_tT0_T1_T2_jT3_P12ihipStream_tbPNSt15iterator_traitsISK_E10value_typeEPNSQ_ISL_E10value_typeEPSM_NS1_7vsmem_tEENKUlT_SK_SL_SM_E_clIPfSE_SF_SF_EESJ_SZ_SK_SL_SM_EUlSZ_E_NS1_11comp_targetILNS1_3genE9ELNS1_11target_archE1100ELNS1_3gpuE3ELNS1_3repE0EEENS1_48merge_mergepath_partition_config_static_selectorELNS0_4arch9wavefront6targetE1EEEvSL_.num_agpr, 0
	.set _ZN7rocprim17ROCPRIM_400000_NS6detail17trampoline_kernelINS0_14default_configENS1_38merge_sort_block_merge_config_selectorIfNS0_10empty_typeEEEZZNS1_27merge_sort_block_merge_implIS3_N6thrust23THRUST_200600_302600_NS6detail15normal_iteratorINS9_10device_ptrIfEEEEPS5_jNS1_19radix_merge_compareILb0ELb0EfNS0_19identity_decomposerEEEEE10hipError_tT0_T1_T2_jT3_P12ihipStream_tbPNSt15iterator_traitsISK_E10value_typeEPNSQ_ISL_E10value_typeEPSM_NS1_7vsmem_tEENKUlT_SK_SL_SM_E_clIPfSE_SF_SF_EESJ_SZ_SK_SL_SM_EUlSZ_E_NS1_11comp_targetILNS1_3genE9ELNS1_11target_archE1100ELNS1_3gpuE3ELNS1_3repE0EEENS1_48merge_mergepath_partition_config_static_selectorELNS0_4arch9wavefront6targetE1EEEvSL_.numbered_sgpr, 0
	.set _ZN7rocprim17ROCPRIM_400000_NS6detail17trampoline_kernelINS0_14default_configENS1_38merge_sort_block_merge_config_selectorIfNS0_10empty_typeEEEZZNS1_27merge_sort_block_merge_implIS3_N6thrust23THRUST_200600_302600_NS6detail15normal_iteratorINS9_10device_ptrIfEEEEPS5_jNS1_19radix_merge_compareILb0ELb0EfNS0_19identity_decomposerEEEEE10hipError_tT0_T1_T2_jT3_P12ihipStream_tbPNSt15iterator_traitsISK_E10value_typeEPNSQ_ISL_E10value_typeEPSM_NS1_7vsmem_tEENKUlT_SK_SL_SM_E_clIPfSE_SF_SF_EESJ_SZ_SK_SL_SM_EUlSZ_E_NS1_11comp_targetILNS1_3genE9ELNS1_11target_archE1100ELNS1_3gpuE3ELNS1_3repE0EEENS1_48merge_mergepath_partition_config_static_selectorELNS0_4arch9wavefront6targetE1EEEvSL_.num_named_barrier, 0
	.set _ZN7rocprim17ROCPRIM_400000_NS6detail17trampoline_kernelINS0_14default_configENS1_38merge_sort_block_merge_config_selectorIfNS0_10empty_typeEEEZZNS1_27merge_sort_block_merge_implIS3_N6thrust23THRUST_200600_302600_NS6detail15normal_iteratorINS9_10device_ptrIfEEEEPS5_jNS1_19radix_merge_compareILb0ELb0EfNS0_19identity_decomposerEEEEE10hipError_tT0_T1_T2_jT3_P12ihipStream_tbPNSt15iterator_traitsISK_E10value_typeEPNSQ_ISL_E10value_typeEPSM_NS1_7vsmem_tEENKUlT_SK_SL_SM_E_clIPfSE_SF_SF_EESJ_SZ_SK_SL_SM_EUlSZ_E_NS1_11comp_targetILNS1_3genE9ELNS1_11target_archE1100ELNS1_3gpuE3ELNS1_3repE0EEENS1_48merge_mergepath_partition_config_static_selectorELNS0_4arch9wavefront6targetE1EEEvSL_.private_seg_size, 0
	.set _ZN7rocprim17ROCPRIM_400000_NS6detail17trampoline_kernelINS0_14default_configENS1_38merge_sort_block_merge_config_selectorIfNS0_10empty_typeEEEZZNS1_27merge_sort_block_merge_implIS3_N6thrust23THRUST_200600_302600_NS6detail15normal_iteratorINS9_10device_ptrIfEEEEPS5_jNS1_19radix_merge_compareILb0ELb0EfNS0_19identity_decomposerEEEEE10hipError_tT0_T1_T2_jT3_P12ihipStream_tbPNSt15iterator_traitsISK_E10value_typeEPNSQ_ISL_E10value_typeEPSM_NS1_7vsmem_tEENKUlT_SK_SL_SM_E_clIPfSE_SF_SF_EESJ_SZ_SK_SL_SM_EUlSZ_E_NS1_11comp_targetILNS1_3genE9ELNS1_11target_archE1100ELNS1_3gpuE3ELNS1_3repE0EEENS1_48merge_mergepath_partition_config_static_selectorELNS0_4arch9wavefront6targetE1EEEvSL_.uses_vcc, 0
	.set _ZN7rocprim17ROCPRIM_400000_NS6detail17trampoline_kernelINS0_14default_configENS1_38merge_sort_block_merge_config_selectorIfNS0_10empty_typeEEEZZNS1_27merge_sort_block_merge_implIS3_N6thrust23THRUST_200600_302600_NS6detail15normal_iteratorINS9_10device_ptrIfEEEEPS5_jNS1_19radix_merge_compareILb0ELb0EfNS0_19identity_decomposerEEEEE10hipError_tT0_T1_T2_jT3_P12ihipStream_tbPNSt15iterator_traitsISK_E10value_typeEPNSQ_ISL_E10value_typeEPSM_NS1_7vsmem_tEENKUlT_SK_SL_SM_E_clIPfSE_SF_SF_EESJ_SZ_SK_SL_SM_EUlSZ_E_NS1_11comp_targetILNS1_3genE9ELNS1_11target_archE1100ELNS1_3gpuE3ELNS1_3repE0EEENS1_48merge_mergepath_partition_config_static_selectorELNS0_4arch9wavefront6targetE1EEEvSL_.uses_flat_scratch, 0
	.set _ZN7rocprim17ROCPRIM_400000_NS6detail17trampoline_kernelINS0_14default_configENS1_38merge_sort_block_merge_config_selectorIfNS0_10empty_typeEEEZZNS1_27merge_sort_block_merge_implIS3_N6thrust23THRUST_200600_302600_NS6detail15normal_iteratorINS9_10device_ptrIfEEEEPS5_jNS1_19radix_merge_compareILb0ELb0EfNS0_19identity_decomposerEEEEE10hipError_tT0_T1_T2_jT3_P12ihipStream_tbPNSt15iterator_traitsISK_E10value_typeEPNSQ_ISL_E10value_typeEPSM_NS1_7vsmem_tEENKUlT_SK_SL_SM_E_clIPfSE_SF_SF_EESJ_SZ_SK_SL_SM_EUlSZ_E_NS1_11comp_targetILNS1_3genE9ELNS1_11target_archE1100ELNS1_3gpuE3ELNS1_3repE0EEENS1_48merge_mergepath_partition_config_static_selectorELNS0_4arch9wavefront6targetE1EEEvSL_.has_dyn_sized_stack, 0
	.set _ZN7rocprim17ROCPRIM_400000_NS6detail17trampoline_kernelINS0_14default_configENS1_38merge_sort_block_merge_config_selectorIfNS0_10empty_typeEEEZZNS1_27merge_sort_block_merge_implIS3_N6thrust23THRUST_200600_302600_NS6detail15normal_iteratorINS9_10device_ptrIfEEEEPS5_jNS1_19radix_merge_compareILb0ELb0EfNS0_19identity_decomposerEEEEE10hipError_tT0_T1_T2_jT3_P12ihipStream_tbPNSt15iterator_traitsISK_E10value_typeEPNSQ_ISL_E10value_typeEPSM_NS1_7vsmem_tEENKUlT_SK_SL_SM_E_clIPfSE_SF_SF_EESJ_SZ_SK_SL_SM_EUlSZ_E_NS1_11comp_targetILNS1_3genE9ELNS1_11target_archE1100ELNS1_3gpuE3ELNS1_3repE0EEENS1_48merge_mergepath_partition_config_static_selectorELNS0_4arch9wavefront6targetE1EEEvSL_.has_recursion, 0
	.set _ZN7rocprim17ROCPRIM_400000_NS6detail17trampoline_kernelINS0_14default_configENS1_38merge_sort_block_merge_config_selectorIfNS0_10empty_typeEEEZZNS1_27merge_sort_block_merge_implIS3_N6thrust23THRUST_200600_302600_NS6detail15normal_iteratorINS9_10device_ptrIfEEEEPS5_jNS1_19radix_merge_compareILb0ELb0EfNS0_19identity_decomposerEEEEE10hipError_tT0_T1_T2_jT3_P12ihipStream_tbPNSt15iterator_traitsISK_E10value_typeEPNSQ_ISL_E10value_typeEPSM_NS1_7vsmem_tEENKUlT_SK_SL_SM_E_clIPfSE_SF_SF_EESJ_SZ_SK_SL_SM_EUlSZ_E_NS1_11comp_targetILNS1_3genE9ELNS1_11target_archE1100ELNS1_3gpuE3ELNS1_3repE0EEENS1_48merge_mergepath_partition_config_static_selectorELNS0_4arch9wavefront6targetE1EEEvSL_.has_indirect_call, 0
	.section	.AMDGPU.csdata,"",@progbits
; Kernel info:
; codeLenInByte = 0
; TotalNumSgprs: 6
; NumVgprs: 0
; NumAgprs: 0
; TotalNumVgprs: 0
; ScratchSize: 0
; MemoryBound: 0
; FloatMode: 240
; IeeeMode: 1
; LDSByteSize: 0 bytes/workgroup (compile time only)
; SGPRBlocks: 0
; VGPRBlocks: 0
; NumSGPRsForWavesPerEU: 6
; NumVGPRsForWavesPerEU: 1
; AccumOffset: 4
; Occupancy: 8
; WaveLimiterHint : 0
; COMPUTE_PGM_RSRC2:SCRATCH_EN: 0
; COMPUTE_PGM_RSRC2:USER_SGPR: 2
; COMPUTE_PGM_RSRC2:TRAP_HANDLER: 0
; COMPUTE_PGM_RSRC2:TGID_X_EN: 1
; COMPUTE_PGM_RSRC2:TGID_Y_EN: 0
; COMPUTE_PGM_RSRC2:TGID_Z_EN: 0
; COMPUTE_PGM_RSRC2:TIDIG_COMP_CNT: 0
; COMPUTE_PGM_RSRC3_GFX90A:ACCUM_OFFSET: 0
; COMPUTE_PGM_RSRC3_GFX90A:TG_SPLIT: 0
	.section	.text._ZN7rocprim17ROCPRIM_400000_NS6detail17trampoline_kernelINS0_14default_configENS1_38merge_sort_block_merge_config_selectorIfNS0_10empty_typeEEEZZNS1_27merge_sort_block_merge_implIS3_N6thrust23THRUST_200600_302600_NS6detail15normal_iteratorINS9_10device_ptrIfEEEEPS5_jNS1_19radix_merge_compareILb0ELb0EfNS0_19identity_decomposerEEEEE10hipError_tT0_T1_T2_jT3_P12ihipStream_tbPNSt15iterator_traitsISK_E10value_typeEPNSQ_ISL_E10value_typeEPSM_NS1_7vsmem_tEENKUlT_SK_SL_SM_E_clIPfSE_SF_SF_EESJ_SZ_SK_SL_SM_EUlSZ_E_NS1_11comp_targetILNS1_3genE8ELNS1_11target_archE1030ELNS1_3gpuE2ELNS1_3repE0EEENS1_48merge_mergepath_partition_config_static_selectorELNS0_4arch9wavefront6targetE1EEEvSL_,"axG",@progbits,_ZN7rocprim17ROCPRIM_400000_NS6detail17trampoline_kernelINS0_14default_configENS1_38merge_sort_block_merge_config_selectorIfNS0_10empty_typeEEEZZNS1_27merge_sort_block_merge_implIS3_N6thrust23THRUST_200600_302600_NS6detail15normal_iteratorINS9_10device_ptrIfEEEEPS5_jNS1_19radix_merge_compareILb0ELb0EfNS0_19identity_decomposerEEEEE10hipError_tT0_T1_T2_jT3_P12ihipStream_tbPNSt15iterator_traitsISK_E10value_typeEPNSQ_ISL_E10value_typeEPSM_NS1_7vsmem_tEENKUlT_SK_SL_SM_E_clIPfSE_SF_SF_EESJ_SZ_SK_SL_SM_EUlSZ_E_NS1_11comp_targetILNS1_3genE8ELNS1_11target_archE1030ELNS1_3gpuE2ELNS1_3repE0EEENS1_48merge_mergepath_partition_config_static_selectorELNS0_4arch9wavefront6targetE1EEEvSL_,comdat
	.protected	_ZN7rocprim17ROCPRIM_400000_NS6detail17trampoline_kernelINS0_14default_configENS1_38merge_sort_block_merge_config_selectorIfNS0_10empty_typeEEEZZNS1_27merge_sort_block_merge_implIS3_N6thrust23THRUST_200600_302600_NS6detail15normal_iteratorINS9_10device_ptrIfEEEEPS5_jNS1_19radix_merge_compareILb0ELb0EfNS0_19identity_decomposerEEEEE10hipError_tT0_T1_T2_jT3_P12ihipStream_tbPNSt15iterator_traitsISK_E10value_typeEPNSQ_ISL_E10value_typeEPSM_NS1_7vsmem_tEENKUlT_SK_SL_SM_E_clIPfSE_SF_SF_EESJ_SZ_SK_SL_SM_EUlSZ_E_NS1_11comp_targetILNS1_3genE8ELNS1_11target_archE1030ELNS1_3gpuE2ELNS1_3repE0EEENS1_48merge_mergepath_partition_config_static_selectorELNS0_4arch9wavefront6targetE1EEEvSL_ ; -- Begin function _ZN7rocprim17ROCPRIM_400000_NS6detail17trampoline_kernelINS0_14default_configENS1_38merge_sort_block_merge_config_selectorIfNS0_10empty_typeEEEZZNS1_27merge_sort_block_merge_implIS3_N6thrust23THRUST_200600_302600_NS6detail15normal_iteratorINS9_10device_ptrIfEEEEPS5_jNS1_19radix_merge_compareILb0ELb0EfNS0_19identity_decomposerEEEEE10hipError_tT0_T1_T2_jT3_P12ihipStream_tbPNSt15iterator_traitsISK_E10value_typeEPNSQ_ISL_E10value_typeEPSM_NS1_7vsmem_tEENKUlT_SK_SL_SM_E_clIPfSE_SF_SF_EESJ_SZ_SK_SL_SM_EUlSZ_E_NS1_11comp_targetILNS1_3genE8ELNS1_11target_archE1030ELNS1_3gpuE2ELNS1_3repE0EEENS1_48merge_mergepath_partition_config_static_selectorELNS0_4arch9wavefront6targetE1EEEvSL_
	.globl	_ZN7rocprim17ROCPRIM_400000_NS6detail17trampoline_kernelINS0_14default_configENS1_38merge_sort_block_merge_config_selectorIfNS0_10empty_typeEEEZZNS1_27merge_sort_block_merge_implIS3_N6thrust23THRUST_200600_302600_NS6detail15normal_iteratorINS9_10device_ptrIfEEEEPS5_jNS1_19radix_merge_compareILb0ELb0EfNS0_19identity_decomposerEEEEE10hipError_tT0_T1_T2_jT3_P12ihipStream_tbPNSt15iterator_traitsISK_E10value_typeEPNSQ_ISL_E10value_typeEPSM_NS1_7vsmem_tEENKUlT_SK_SL_SM_E_clIPfSE_SF_SF_EESJ_SZ_SK_SL_SM_EUlSZ_E_NS1_11comp_targetILNS1_3genE8ELNS1_11target_archE1030ELNS1_3gpuE2ELNS1_3repE0EEENS1_48merge_mergepath_partition_config_static_selectorELNS0_4arch9wavefront6targetE1EEEvSL_
	.p2align	8
	.type	_ZN7rocprim17ROCPRIM_400000_NS6detail17trampoline_kernelINS0_14default_configENS1_38merge_sort_block_merge_config_selectorIfNS0_10empty_typeEEEZZNS1_27merge_sort_block_merge_implIS3_N6thrust23THRUST_200600_302600_NS6detail15normal_iteratorINS9_10device_ptrIfEEEEPS5_jNS1_19radix_merge_compareILb0ELb0EfNS0_19identity_decomposerEEEEE10hipError_tT0_T1_T2_jT3_P12ihipStream_tbPNSt15iterator_traitsISK_E10value_typeEPNSQ_ISL_E10value_typeEPSM_NS1_7vsmem_tEENKUlT_SK_SL_SM_E_clIPfSE_SF_SF_EESJ_SZ_SK_SL_SM_EUlSZ_E_NS1_11comp_targetILNS1_3genE8ELNS1_11target_archE1030ELNS1_3gpuE2ELNS1_3repE0EEENS1_48merge_mergepath_partition_config_static_selectorELNS0_4arch9wavefront6targetE1EEEvSL_,@function
_ZN7rocprim17ROCPRIM_400000_NS6detail17trampoline_kernelINS0_14default_configENS1_38merge_sort_block_merge_config_selectorIfNS0_10empty_typeEEEZZNS1_27merge_sort_block_merge_implIS3_N6thrust23THRUST_200600_302600_NS6detail15normal_iteratorINS9_10device_ptrIfEEEEPS5_jNS1_19radix_merge_compareILb0ELb0EfNS0_19identity_decomposerEEEEE10hipError_tT0_T1_T2_jT3_P12ihipStream_tbPNSt15iterator_traitsISK_E10value_typeEPNSQ_ISL_E10value_typeEPSM_NS1_7vsmem_tEENKUlT_SK_SL_SM_E_clIPfSE_SF_SF_EESJ_SZ_SK_SL_SM_EUlSZ_E_NS1_11comp_targetILNS1_3genE8ELNS1_11target_archE1030ELNS1_3gpuE2ELNS1_3repE0EEENS1_48merge_mergepath_partition_config_static_selectorELNS0_4arch9wavefront6targetE1EEEvSL_: ; @_ZN7rocprim17ROCPRIM_400000_NS6detail17trampoline_kernelINS0_14default_configENS1_38merge_sort_block_merge_config_selectorIfNS0_10empty_typeEEEZZNS1_27merge_sort_block_merge_implIS3_N6thrust23THRUST_200600_302600_NS6detail15normal_iteratorINS9_10device_ptrIfEEEEPS5_jNS1_19radix_merge_compareILb0ELb0EfNS0_19identity_decomposerEEEEE10hipError_tT0_T1_T2_jT3_P12ihipStream_tbPNSt15iterator_traitsISK_E10value_typeEPNSQ_ISL_E10value_typeEPSM_NS1_7vsmem_tEENKUlT_SK_SL_SM_E_clIPfSE_SF_SF_EESJ_SZ_SK_SL_SM_EUlSZ_E_NS1_11comp_targetILNS1_3genE8ELNS1_11target_archE1030ELNS1_3gpuE2ELNS1_3repE0EEENS1_48merge_mergepath_partition_config_static_selectorELNS0_4arch9wavefront6targetE1EEEvSL_
; %bb.0:
	.section	.rodata,"a",@progbits
	.p2align	6, 0x0
	.amdhsa_kernel _ZN7rocprim17ROCPRIM_400000_NS6detail17trampoline_kernelINS0_14default_configENS1_38merge_sort_block_merge_config_selectorIfNS0_10empty_typeEEEZZNS1_27merge_sort_block_merge_implIS3_N6thrust23THRUST_200600_302600_NS6detail15normal_iteratorINS9_10device_ptrIfEEEEPS5_jNS1_19radix_merge_compareILb0ELb0EfNS0_19identity_decomposerEEEEE10hipError_tT0_T1_T2_jT3_P12ihipStream_tbPNSt15iterator_traitsISK_E10value_typeEPNSQ_ISL_E10value_typeEPSM_NS1_7vsmem_tEENKUlT_SK_SL_SM_E_clIPfSE_SF_SF_EESJ_SZ_SK_SL_SM_EUlSZ_E_NS1_11comp_targetILNS1_3genE8ELNS1_11target_archE1030ELNS1_3gpuE2ELNS1_3repE0EEENS1_48merge_mergepath_partition_config_static_selectorELNS0_4arch9wavefront6targetE1EEEvSL_
		.amdhsa_group_segment_fixed_size 0
		.amdhsa_private_segment_fixed_size 0
		.amdhsa_kernarg_size 40
		.amdhsa_user_sgpr_count 2
		.amdhsa_user_sgpr_dispatch_ptr 0
		.amdhsa_user_sgpr_queue_ptr 0
		.amdhsa_user_sgpr_kernarg_segment_ptr 1
		.amdhsa_user_sgpr_dispatch_id 0
		.amdhsa_user_sgpr_kernarg_preload_length 0
		.amdhsa_user_sgpr_kernarg_preload_offset 0
		.amdhsa_user_sgpr_private_segment_size 0
		.amdhsa_uses_dynamic_stack 0
		.amdhsa_enable_private_segment 0
		.amdhsa_system_sgpr_workgroup_id_x 1
		.amdhsa_system_sgpr_workgroup_id_y 0
		.amdhsa_system_sgpr_workgroup_id_z 0
		.amdhsa_system_sgpr_workgroup_info 0
		.amdhsa_system_vgpr_workitem_id 0
		.amdhsa_next_free_vgpr 1
		.amdhsa_next_free_sgpr 0
		.amdhsa_accum_offset 4
		.amdhsa_reserve_vcc 0
		.amdhsa_float_round_mode_32 0
		.amdhsa_float_round_mode_16_64 0
		.amdhsa_float_denorm_mode_32 3
		.amdhsa_float_denorm_mode_16_64 3
		.amdhsa_dx10_clamp 1
		.amdhsa_ieee_mode 1
		.amdhsa_fp16_overflow 0
		.amdhsa_tg_split 0
		.amdhsa_exception_fp_ieee_invalid_op 0
		.amdhsa_exception_fp_denorm_src 0
		.amdhsa_exception_fp_ieee_div_zero 0
		.amdhsa_exception_fp_ieee_overflow 0
		.amdhsa_exception_fp_ieee_underflow 0
		.amdhsa_exception_fp_ieee_inexact 0
		.amdhsa_exception_int_div_zero 0
	.end_amdhsa_kernel
	.section	.text._ZN7rocprim17ROCPRIM_400000_NS6detail17trampoline_kernelINS0_14default_configENS1_38merge_sort_block_merge_config_selectorIfNS0_10empty_typeEEEZZNS1_27merge_sort_block_merge_implIS3_N6thrust23THRUST_200600_302600_NS6detail15normal_iteratorINS9_10device_ptrIfEEEEPS5_jNS1_19radix_merge_compareILb0ELb0EfNS0_19identity_decomposerEEEEE10hipError_tT0_T1_T2_jT3_P12ihipStream_tbPNSt15iterator_traitsISK_E10value_typeEPNSQ_ISL_E10value_typeEPSM_NS1_7vsmem_tEENKUlT_SK_SL_SM_E_clIPfSE_SF_SF_EESJ_SZ_SK_SL_SM_EUlSZ_E_NS1_11comp_targetILNS1_3genE8ELNS1_11target_archE1030ELNS1_3gpuE2ELNS1_3repE0EEENS1_48merge_mergepath_partition_config_static_selectorELNS0_4arch9wavefront6targetE1EEEvSL_,"axG",@progbits,_ZN7rocprim17ROCPRIM_400000_NS6detail17trampoline_kernelINS0_14default_configENS1_38merge_sort_block_merge_config_selectorIfNS0_10empty_typeEEEZZNS1_27merge_sort_block_merge_implIS3_N6thrust23THRUST_200600_302600_NS6detail15normal_iteratorINS9_10device_ptrIfEEEEPS5_jNS1_19radix_merge_compareILb0ELb0EfNS0_19identity_decomposerEEEEE10hipError_tT0_T1_T2_jT3_P12ihipStream_tbPNSt15iterator_traitsISK_E10value_typeEPNSQ_ISL_E10value_typeEPSM_NS1_7vsmem_tEENKUlT_SK_SL_SM_E_clIPfSE_SF_SF_EESJ_SZ_SK_SL_SM_EUlSZ_E_NS1_11comp_targetILNS1_3genE8ELNS1_11target_archE1030ELNS1_3gpuE2ELNS1_3repE0EEENS1_48merge_mergepath_partition_config_static_selectorELNS0_4arch9wavefront6targetE1EEEvSL_,comdat
.Lfunc_end482:
	.size	_ZN7rocprim17ROCPRIM_400000_NS6detail17trampoline_kernelINS0_14default_configENS1_38merge_sort_block_merge_config_selectorIfNS0_10empty_typeEEEZZNS1_27merge_sort_block_merge_implIS3_N6thrust23THRUST_200600_302600_NS6detail15normal_iteratorINS9_10device_ptrIfEEEEPS5_jNS1_19radix_merge_compareILb0ELb0EfNS0_19identity_decomposerEEEEE10hipError_tT0_T1_T2_jT3_P12ihipStream_tbPNSt15iterator_traitsISK_E10value_typeEPNSQ_ISL_E10value_typeEPSM_NS1_7vsmem_tEENKUlT_SK_SL_SM_E_clIPfSE_SF_SF_EESJ_SZ_SK_SL_SM_EUlSZ_E_NS1_11comp_targetILNS1_3genE8ELNS1_11target_archE1030ELNS1_3gpuE2ELNS1_3repE0EEENS1_48merge_mergepath_partition_config_static_selectorELNS0_4arch9wavefront6targetE1EEEvSL_, .Lfunc_end482-_ZN7rocprim17ROCPRIM_400000_NS6detail17trampoline_kernelINS0_14default_configENS1_38merge_sort_block_merge_config_selectorIfNS0_10empty_typeEEEZZNS1_27merge_sort_block_merge_implIS3_N6thrust23THRUST_200600_302600_NS6detail15normal_iteratorINS9_10device_ptrIfEEEEPS5_jNS1_19radix_merge_compareILb0ELb0EfNS0_19identity_decomposerEEEEE10hipError_tT0_T1_T2_jT3_P12ihipStream_tbPNSt15iterator_traitsISK_E10value_typeEPNSQ_ISL_E10value_typeEPSM_NS1_7vsmem_tEENKUlT_SK_SL_SM_E_clIPfSE_SF_SF_EESJ_SZ_SK_SL_SM_EUlSZ_E_NS1_11comp_targetILNS1_3genE8ELNS1_11target_archE1030ELNS1_3gpuE2ELNS1_3repE0EEENS1_48merge_mergepath_partition_config_static_selectorELNS0_4arch9wavefront6targetE1EEEvSL_
                                        ; -- End function
	.set _ZN7rocprim17ROCPRIM_400000_NS6detail17trampoline_kernelINS0_14default_configENS1_38merge_sort_block_merge_config_selectorIfNS0_10empty_typeEEEZZNS1_27merge_sort_block_merge_implIS3_N6thrust23THRUST_200600_302600_NS6detail15normal_iteratorINS9_10device_ptrIfEEEEPS5_jNS1_19radix_merge_compareILb0ELb0EfNS0_19identity_decomposerEEEEE10hipError_tT0_T1_T2_jT3_P12ihipStream_tbPNSt15iterator_traitsISK_E10value_typeEPNSQ_ISL_E10value_typeEPSM_NS1_7vsmem_tEENKUlT_SK_SL_SM_E_clIPfSE_SF_SF_EESJ_SZ_SK_SL_SM_EUlSZ_E_NS1_11comp_targetILNS1_3genE8ELNS1_11target_archE1030ELNS1_3gpuE2ELNS1_3repE0EEENS1_48merge_mergepath_partition_config_static_selectorELNS0_4arch9wavefront6targetE1EEEvSL_.num_vgpr, 0
	.set _ZN7rocprim17ROCPRIM_400000_NS6detail17trampoline_kernelINS0_14default_configENS1_38merge_sort_block_merge_config_selectorIfNS0_10empty_typeEEEZZNS1_27merge_sort_block_merge_implIS3_N6thrust23THRUST_200600_302600_NS6detail15normal_iteratorINS9_10device_ptrIfEEEEPS5_jNS1_19radix_merge_compareILb0ELb0EfNS0_19identity_decomposerEEEEE10hipError_tT0_T1_T2_jT3_P12ihipStream_tbPNSt15iterator_traitsISK_E10value_typeEPNSQ_ISL_E10value_typeEPSM_NS1_7vsmem_tEENKUlT_SK_SL_SM_E_clIPfSE_SF_SF_EESJ_SZ_SK_SL_SM_EUlSZ_E_NS1_11comp_targetILNS1_3genE8ELNS1_11target_archE1030ELNS1_3gpuE2ELNS1_3repE0EEENS1_48merge_mergepath_partition_config_static_selectorELNS0_4arch9wavefront6targetE1EEEvSL_.num_agpr, 0
	.set _ZN7rocprim17ROCPRIM_400000_NS6detail17trampoline_kernelINS0_14default_configENS1_38merge_sort_block_merge_config_selectorIfNS0_10empty_typeEEEZZNS1_27merge_sort_block_merge_implIS3_N6thrust23THRUST_200600_302600_NS6detail15normal_iteratorINS9_10device_ptrIfEEEEPS5_jNS1_19radix_merge_compareILb0ELb0EfNS0_19identity_decomposerEEEEE10hipError_tT0_T1_T2_jT3_P12ihipStream_tbPNSt15iterator_traitsISK_E10value_typeEPNSQ_ISL_E10value_typeEPSM_NS1_7vsmem_tEENKUlT_SK_SL_SM_E_clIPfSE_SF_SF_EESJ_SZ_SK_SL_SM_EUlSZ_E_NS1_11comp_targetILNS1_3genE8ELNS1_11target_archE1030ELNS1_3gpuE2ELNS1_3repE0EEENS1_48merge_mergepath_partition_config_static_selectorELNS0_4arch9wavefront6targetE1EEEvSL_.numbered_sgpr, 0
	.set _ZN7rocprim17ROCPRIM_400000_NS6detail17trampoline_kernelINS0_14default_configENS1_38merge_sort_block_merge_config_selectorIfNS0_10empty_typeEEEZZNS1_27merge_sort_block_merge_implIS3_N6thrust23THRUST_200600_302600_NS6detail15normal_iteratorINS9_10device_ptrIfEEEEPS5_jNS1_19radix_merge_compareILb0ELb0EfNS0_19identity_decomposerEEEEE10hipError_tT0_T1_T2_jT3_P12ihipStream_tbPNSt15iterator_traitsISK_E10value_typeEPNSQ_ISL_E10value_typeEPSM_NS1_7vsmem_tEENKUlT_SK_SL_SM_E_clIPfSE_SF_SF_EESJ_SZ_SK_SL_SM_EUlSZ_E_NS1_11comp_targetILNS1_3genE8ELNS1_11target_archE1030ELNS1_3gpuE2ELNS1_3repE0EEENS1_48merge_mergepath_partition_config_static_selectorELNS0_4arch9wavefront6targetE1EEEvSL_.num_named_barrier, 0
	.set _ZN7rocprim17ROCPRIM_400000_NS6detail17trampoline_kernelINS0_14default_configENS1_38merge_sort_block_merge_config_selectorIfNS0_10empty_typeEEEZZNS1_27merge_sort_block_merge_implIS3_N6thrust23THRUST_200600_302600_NS6detail15normal_iteratorINS9_10device_ptrIfEEEEPS5_jNS1_19radix_merge_compareILb0ELb0EfNS0_19identity_decomposerEEEEE10hipError_tT0_T1_T2_jT3_P12ihipStream_tbPNSt15iterator_traitsISK_E10value_typeEPNSQ_ISL_E10value_typeEPSM_NS1_7vsmem_tEENKUlT_SK_SL_SM_E_clIPfSE_SF_SF_EESJ_SZ_SK_SL_SM_EUlSZ_E_NS1_11comp_targetILNS1_3genE8ELNS1_11target_archE1030ELNS1_3gpuE2ELNS1_3repE0EEENS1_48merge_mergepath_partition_config_static_selectorELNS0_4arch9wavefront6targetE1EEEvSL_.private_seg_size, 0
	.set _ZN7rocprim17ROCPRIM_400000_NS6detail17trampoline_kernelINS0_14default_configENS1_38merge_sort_block_merge_config_selectorIfNS0_10empty_typeEEEZZNS1_27merge_sort_block_merge_implIS3_N6thrust23THRUST_200600_302600_NS6detail15normal_iteratorINS9_10device_ptrIfEEEEPS5_jNS1_19radix_merge_compareILb0ELb0EfNS0_19identity_decomposerEEEEE10hipError_tT0_T1_T2_jT3_P12ihipStream_tbPNSt15iterator_traitsISK_E10value_typeEPNSQ_ISL_E10value_typeEPSM_NS1_7vsmem_tEENKUlT_SK_SL_SM_E_clIPfSE_SF_SF_EESJ_SZ_SK_SL_SM_EUlSZ_E_NS1_11comp_targetILNS1_3genE8ELNS1_11target_archE1030ELNS1_3gpuE2ELNS1_3repE0EEENS1_48merge_mergepath_partition_config_static_selectorELNS0_4arch9wavefront6targetE1EEEvSL_.uses_vcc, 0
	.set _ZN7rocprim17ROCPRIM_400000_NS6detail17trampoline_kernelINS0_14default_configENS1_38merge_sort_block_merge_config_selectorIfNS0_10empty_typeEEEZZNS1_27merge_sort_block_merge_implIS3_N6thrust23THRUST_200600_302600_NS6detail15normal_iteratorINS9_10device_ptrIfEEEEPS5_jNS1_19radix_merge_compareILb0ELb0EfNS0_19identity_decomposerEEEEE10hipError_tT0_T1_T2_jT3_P12ihipStream_tbPNSt15iterator_traitsISK_E10value_typeEPNSQ_ISL_E10value_typeEPSM_NS1_7vsmem_tEENKUlT_SK_SL_SM_E_clIPfSE_SF_SF_EESJ_SZ_SK_SL_SM_EUlSZ_E_NS1_11comp_targetILNS1_3genE8ELNS1_11target_archE1030ELNS1_3gpuE2ELNS1_3repE0EEENS1_48merge_mergepath_partition_config_static_selectorELNS0_4arch9wavefront6targetE1EEEvSL_.uses_flat_scratch, 0
	.set _ZN7rocprim17ROCPRIM_400000_NS6detail17trampoline_kernelINS0_14default_configENS1_38merge_sort_block_merge_config_selectorIfNS0_10empty_typeEEEZZNS1_27merge_sort_block_merge_implIS3_N6thrust23THRUST_200600_302600_NS6detail15normal_iteratorINS9_10device_ptrIfEEEEPS5_jNS1_19radix_merge_compareILb0ELb0EfNS0_19identity_decomposerEEEEE10hipError_tT0_T1_T2_jT3_P12ihipStream_tbPNSt15iterator_traitsISK_E10value_typeEPNSQ_ISL_E10value_typeEPSM_NS1_7vsmem_tEENKUlT_SK_SL_SM_E_clIPfSE_SF_SF_EESJ_SZ_SK_SL_SM_EUlSZ_E_NS1_11comp_targetILNS1_3genE8ELNS1_11target_archE1030ELNS1_3gpuE2ELNS1_3repE0EEENS1_48merge_mergepath_partition_config_static_selectorELNS0_4arch9wavefront6targetE1EEEvSL_.has_dyn_sized_stack, 0
	.set _ZN7rocprim17ROCPRIM_400000_NS6detail17trampoline_kernelINS0_14default_configENS1_38merge_sort_block_merge_config_selectorIfNS0_10empty_typeEEEZZNS1_27merge_sort_block_merge_implIS3_N6thrust23THRUST_200600_302600_NS6detail15normal_iteratorINS9_10device_ptrIfEEEEPS5_jNS1_19radix_merge_compareILb0ELb0EfNS0_19identity_decomposerEEEEE10hipError_tT0_T1_T2_jT3_P12ihipStream_tbPNSt15iterator_traitsISK_E10value_typeEPNSQ_ISL_E10value_typeEPSM_NS1_7vsmem_tEENKUlT_SK_SL_SM_E_clIPfSE_SF_SF_EESJ_SZ_SK_SL_SM_EUlSZ_E_NS1_11comp_targetILNS1_3genE8ELNS1_11target_archE1030ELNS1_3gpuE2ELNS1_3repE0EEENS1_48merge_mergepath_partition_config_static_selectorELNS0_4arch9wavefront6targetE1EEEvSL_.has_recursion, 0
	.set _ZN7rocprim17ROCPRIM_400000_NS6detail17trampoline_kernelINS0_14default_configENS1_38merge_sort_block_merge_config_selectorIfNS0_10empty_typeEEEZZNS1_27merge_sort_block_merge_implIS3_N6thrust23THRUST_200600_302600_NS6detail15normal_iteratorINS9_10device_ptrIfEEEEPS5_jNS1_19radix_merge_compareILb0ELb0EfNS0_19identity_decomposerEEEEE10hipError_tT0_T1_T2_jT3_P12ihipStream_tbPNSt15iterator_traitsISK_E10value_typeEPNSQ_ISL_E10value_typeEPSM_NS1_7vsmem_tEENKUlT_SK_SL_SM_E_clIPfSE_SF_SF_EESJ_SZ_SK_SL_SM_EUlSZ_E_NS1_11comp_targetILNS1_3genE8ELNS1_11target_archE1030ELNS1_3gpuE2ELNS1_3repE0EEENS1_48merge_mergepath_partition_config_static_selectorELNS0_4arch9wavefront6targetE1EEEvSL_.has_indirect_call, 0
	.section	.AMDGPU.csdata,"",@progbits
; Kernel info:
; codeLenInByte = 0
; TotalNumSgprs: 6
; NumVgprs: 0
; NumAgprs: 0
; TotalNumVgprs: 0
; ScratchSize: 0
; MemoryBound: 0
; FloatMode: 240
; IeeeMode: 1
; LDSByteSize: 0 bytes/workgroup (compile time only)
; SGPRBlocks: 0
; VGPRBlocks: 0
; NumSGPRsForWavesPerEU: 6
; NumVGPRsForWavesPerEU: 1
; AccumOffset: 4
; Occupancy: 8
; WaveLimiterHint : 0
; COMPUTE_PGM_RSRC2:SCRATCH_EN: 0
; COMPUTE_PGM_RSRC2:USER_SGPR: 2
; COMPUTE_PGM_RSRC2:TRAP_HANDLER: 0
; COMPUTE_PGM_RSRC2:TGID_X_EN: 1
; COMPUTE_PGM_RSRC2:TGID_Y_EN: 0
; COMPUTE_PGM_RSRC2:TGID_Z_EN: 0
; COMPUTE_PGM_RSRC2:TIDIG_COMP_CNT: 0
; COMPUTE_PGM_RSRC3_GFX90A:ACCUM_OFFSET: 0
; COMPUTE_PGM_RSRC3_GFX90A:TG_SPLIT: 0
	.section	.text._ZN7rocprim17ROCPRIM_400000_NS6detail17trampoline_kernelINS0_14default_configENS1_38merge_sort_block_merge_config_selectorIfNS0_10empty_typeEEEZZNS1_27merge_sort_block_merge_implIS3_N6thrust23THRUST_200600_302600_NS6detail15normal_iteratorINS9_10device_ptrIfEEEEPS5_jNS1_19radix_merge_compareILb0ELb0EfNS0_19identity_decomposerEEEEE10hipError_tT0_T1_T2_jT3_P12ihipStream_tbPNSt15iterator_traitsISK_E10value_typeEPNSQ_ISL_E10value_typeEPSM_NS1_7vsmem_tEENKUlT_SK_SL_SM_E_clIPfSE_SF_SF_EESJ_SZ_SK_SL_SM_EUlSZ_E0_NS1_11comp_targetILNS1_3genE0ELNS1_11target_archE4294967295ELNS1_3gpuE0ELNS1_3repE0EEENS1_38merge_mergepath_config_static_selectorELNS0_4arch9wavefront6targetE1EEEvSL_,"axG",@progbits,_ZN7rocprim17ROCPRIM_400000_NS6detail17trampoline_kernelINS0_14default_configENS1_38merge_sort_block_merge_config_selectorIfNS0_10empty_typeEEEZZNS1_27merge_sort_block_merge_implIS3_N6thrust23THRUST_200600_302600_NS6detail15normal_iteratorINS9_10device_ptrIfEEEEPS5_jNS1_19radix_merge_compareILb0ELb0EfNS0_19identity_decomposerEEEEE10hipError_tT0_T1_T2_jT3_P12ihipStream_tbPNSt15iterator_traitsISK_E10value_typeEPNSQ_ISL_E10value_typeEPSM_NS1_7vsmem_tEENKUlT_SK_SL_SM_E_clIPfSE_SF_SF_EESJ_SZ_SK_SL_SM_EUlSZ_E0_NS1_11comp_targetILNS1_3genE0ELNS1_11target_archE4294967295ELNS1_3gpuE0ELNS1_3repE0EEENS1_38merge_mergepath_config_static_selectorELNS0_4arch9wavefront6targetE1EEEvSL_,comdat
	.protected	_ZN7rocprim17ROCPRIM_400000_NS6detail17trampoline_kernelINS0_14default_configENS1_38merge_sort_block_merge_config_selectorIfNS0_10empty_typeEEEZZNS1_27merge_sort_block_merge_implIS3_N6thrust23THRUST_200600_302600_NS6detail15normal_iteratorINS9_10device_ptrIfEEEEPS5_jNS1_19radix_merge_compareILb0ELb0EfNS0_19identity_decomposerEEEEE10hipError_tT0_T1_T2_jT3_P12ihipStream_tbPNSt15iterator_traitsISK_E10value_typeEPNSQ_ISL_E10value_typeEPSM_NS1_7vsmem_tEENKUlT_SK_SL_SM_E_clIPfSE_SF_SF_EESJ_SZ_SK_SL_SM_EUlSZ_E0_NS1_11comp_targetILNS1_3genE0ELNS1_11target_archE4294967295ELNS1_3gpuE0ELNS1_3repE0EEENS1_38merge_mergepath_config_static_selectorELNS0_4arch9wavefront6targetE1EEEvSL_ ; -- Begin function _ZN7rocprim17ROCPRIM_400000_NS6detail17trampoline_kernelINS0_14default_configENS1_38merge_sort_block_merge_config_selectorIfNS0_10empty_typeEEEZZNS1_27merge_sort_block_merge_implIS3_N6thrust23THRUST_200600_302600_NS6detail15normal_iteratorINS9_10device_ptrIfEEEEPS5_jNS1_19radix_merge_compareILb0ELb0EfNS0_19identity_decomposerEEEEE10hipError_tT0_T1_T2_jT3_P12ihipStream_tbPNSt15iterator_traitsISK_E10value_typeEPNSQ_ISL_E10value_typeEPSM_NS1_7vsmem_tEENKUlT_SK_SL_SM_E_clIPfSE_SF_SF_EESJ_SZ_SK_SL_SM_EUlSZ_E0_NS1_11comp_targetILNS1_3genE0ELNS1_11target_archE4294967295ELNS1_3gpuE0ELNS1_3repE0EEENS1_38merge_mergepath_config_static_selectorELNS0_4arch9wavefront6targetE1EEEvSL_
	.globl	_ZN7rocprim17ROCPRIM_400000_NS6detail17trampoline_kernelINS0_14default_configENS1_38merge_sort_block_merge_config_selectorIfNS0_10empty_typeEEEZZNS1_27merge_sort_block_merge_implIS3_N6thrust23THRUST_200600_302600_NS6detail15normal_iteratorINS9_10device_ptrIfEEEEPS5_jNS1_19radix_merge_compareILb0ELb0EfNS0_19identity_decomposerEEEEE10hipError_tT0_T1_T2_jT3_P12ihipStream_tbPNSt15iterator_traitsISK_E10value_typeEPNSQ_ISL_E10value_typeEPSM_NS1_7vsmem_tEENKUlT_SK_SL_SM_E_clIPfSE_SF_SF_EESJ_SZ_SK_SL_SM_EUlSZ_E0_NS1_11comp_targetILNS1_3genE0ELNS1_11target_archE4294967295ELNS1_3gpuE0ELNS1_3repE0EEENS1_38merge_mergepath_config_static_selectorELNS0_4arch9wavefront6targetE1EEEvSL_
	.p2align	8
	.type	_ZN7rocprim17ROCPRIM_400000_NS6detail17trampoline_kernelINS0_14default_configENS1_38merge_sort_block_merge_config_selectorIfNS0_10empty_typeEEEZZNS1_27merge_sort_block_merge_implIS3_N6thrust23THRUST_200600_302600_NS6detail15normal_iteratorINS9_10device_ptrIfEEEEPS5_jNS1_19radix_merge_compareILb0ELb0EfNS0_19identity_decomposerEEEEE10hipError_tT0_T1_T2_jT3_P12ihipStream_tbPNSt15iterator_traitsISK_E10value_typeEPNSQ_ISL_E10value_typeEPSM_NS1_7vsmem_tEENKUlT_SK_SL_SM_E_clIPfSE_SF_SF_EESJ_SZ_SK_SL_SM_EUlSZ_E0_NS1_11comp_targetILNS1_3genE0ELNS1_11target_archE4294967295ELNS1_3gpuE0ELNS1_3repE0EEENS1_38merge_mergepath_config_static_selectorELNS0_4arch9wavefront6targetE1EEEvSL_,@function
_ZN7rocprim17ROCPRIM_400000_NS6detail17trampoline_kernelINS0_14default_configENS1_38merge_sort_block_merge_config_selectorIfNS0_10empty_typeEEEZZNS1_27merge_sort_block_merge_implIS3_N6thrust23THRUST_200600_302600_NS6detail15normal_iteratorINS9_10device_ptrIfEEEEPS5_jNS1_19radix_merge_compareILb0ELb0EfNS0_19identity_decomposerEEEEE10hipError_tT0_T1_T2_jT3_P12ihipStream_tbPNSt15iterator_traitsISK_E10value_typeEPNSQ_ISL_E10value_typeEPSM_NS1_7vsmem_tEENKUlT_SK_SL_SM_E_clIPfSE_SF_SF_EESJ_SZ_SK_SL_SM_EUlSZ_E0_NS1_11comp_targetILNS1_3genE0ELNS1_11target_archE4294967295ELNS1_3gpuE0ELNS1_3repE0EEENS1_38merge_mergepath_config_static_selectorELNS0_4arch9wavefront6targetE1EEEvSL_: ; @_ZN7rocprim17ROCPRIM_400000_NS6detail17trampoline_kernelINS0_14default_configENS1_38merge_sort_block_merge_config_selectorIfNS0_10empty_typeEEEZZNS1_27merge_sort_block_merge_implIS3_N6thrust23THRUST_200600_302600_NS6detail15normal_iteratorINS9_10device_ptrIfEEEEPS5_jNS1_19radix_merge_compareILb0ELb0EfNS0_19identity_decomposerEEEEE10hipError_tT0_T1_T2_jT3_P12ihipStream_tbPNSt15iterator_traitsISK_E10value_typeEPNSQ_ISL_E10value_typeEPSM_NS1_7vsmem_tEENKUlT_SK_SL_SM_E_clIPfSE_SF_SF_EESJ_SZ_SK_SL_SM_EUlSZ_E0_NS1_11comp_targetILNS1_3genE0ELNS1_11target_archE4294967295ELNS1_3gpuE0ELNS1_3repE0EEENS1_38merge_mergepath_config_static_selectorELNS0_4arch9wavefront6targetE1EEEvSL_
; %bb.0:
	s_load_dwordx2 s[18:19], s[0:1], 0x40
	s_load_dword s5, s[0:1], 0x30
	s_add_u32 s14, s0, 64
	s_addc_u32 s15, s1, 0
	s_waitcnt lgkmcnt(0)
	s_mul_i32 s4, s19, s4
	s_add_i32 s3, s4, s3
	s_mul_i32 s3, s3, s18
	s_add_i32 s16, s3, s2
	s_cmp_ge_u32 s16, s5
	s_cbranch_scc1 .LBB483_73
; %bb.1:
	s_load_dwordx2 s[4:5], s[0:1], 0x28
	s_load_dwordx2 s[6:7], s[0:1], 0x38
	;; [unrolled: 1-line block ×3, first 2 shown]
	s_mov_b32 s17, 0
	v_mov_b32_e32 v11, 0
	s_waitcnt lgkmcnt(0)
	s_lshr_b32 s22, s4, 10
	s_cmp_lg_u32 s16, s22
	s_cselect_b64 s[8:9], -1, 0
	s_lshl_b64 s[10:11], s[16:17], 2
	s_add_u32 s6, s6, s10
	s_addc_u32 s7, s7, s11
	s_lshr_b32 s3, s5, 9
	s_and_b32 s3, s3, 0x7ffffe
	s_load_dwordx2 s[10:11], s[6:7], 0x0
	s_sub_i32 s3, 0, s3
	s_and_b32 s7, s16, s3
	s_lshl_b32 s19, s7, 10
	s_lshl_b32 s6, s16, 10
	;; [unrolled: 1-line block ×3, first 2 shown]
	s_sub_i32 s20, s6, s19
	s_add_i32 s7, s7, s5
	s_add_i32 s21, s7, s20
	s_waitcnt lgkmcnt(0)
	s_sub_i32 s20, s21, s10
	s_sub_i32 s21, s21, s11
	;; [unrolled: 1-line block ×3, first 2 shown]
	s_min_u32 s20, s4, s20
	s_addk_i32 s21, 0x400
	s_or_b32 s3, s16, s3
	s_min_u32 s19, s4, s7
	s_add_i32 s7, s7, s5
	s_cmp_eq_u32 s3, -1
	s_cselect_b32 s3, s7, s21
	s_cselect_b32 s5, s19, s11
	s_min_u32 s3, s3, s4
	s_mov_b32 s11, s17
	s_sub_i32 s5, s5, s10
	s_sub_i32 s19, s3, s20
	s_lshl_b64 s[10:11], s[10:11], 2
	s_add_u32 s10, s12, s10
	s_mov_b32 s21, s17
	s_addc_u32 s11, s13, s11
	s_lshl_b64 s[20:21], s[20:21], 2
	s_add_u32 s12, s12, s20
	s_addc_u32 s13, s13, s21
	s_cmp_lt_u32 s2, s18
	s_cselect_b32 s2, 12, 18
	global_load_dword v1, v11, s[14:15] offset:14
	s_add_u32 s2, s14, s2
	s_addc_u32 s3, s15, 0
	global_load_ushort v2, v11, s[2:3]
	s_cmp_eq_u32 s16, s22
	v_lshlrev_b32_e32 v10, 2, v0
	s_waitcnt vmcnt(1)
	v_lshrrev_b32_e32 v3, 16, v1
	v_and_b32_e32 v1, 0xffff, v1
	v_mul_lo_u32 v1, v1, v3
	s_waitcnt vmcnt(0)
	v_mul_lo_u32 v1, v1, v2
	v_add_u32_e32 v14, v1, v0
	v_add_u32_e32 v12, v14, v1
	s_cbranch_scc1 .LBB483_3
; %bb.2:
	v_subrev_co_u32_e32 v4, vcc, s5, v0
	v_mov_b32_e32 v5, v11
	v_lshl_add_u64 v[2:3], s[10:11], 0, v[10:11]
	v_lshl_add_u64 v[4:5], v[4:5], 2, s[12:13]
	v_cndmask_b32_e32 v3, v5, v3, vcc
	v_cndmask_b32_e32 v2, v4, v2, vcc
	v_mov_b32_e32 v15, v11
	v_subrev_co_u32_e32 v6, vcc, s5, v14
	v_mov_b32_e32 v7, v11
	v_lshl_add_u64 v[4:5], v[14:15], 2, s[10:11]
	v_lshl_add_u64 v[6:7], v[6:7], 2, s[12:13]
	v_cndmask_b32_e32 v5, v7, v5, vcc
	v_cndmask_b32_e32 v4, v6, v4, vcc
	v_mov_b32_e32 v13, v11
	v_subrev_co_u32_e32 v6, vcc, s5, v12
	v_mov_b32_e32 v7, v11
	global_load_dword v2, v[2:3], off
	v_lshl_add_u64 v[6:7], v[6:7], 2, s[12:13]
	global_load_dword v3, v[4:5], off
	v_lshl_add_u64 v[4:5], v[12:13], 2, s[10:11]
	v_cndmask_b32_e32 v4, v6, v4, vcc
	v_add_u32_e32 v6, v12, v1
	v_cndmask_b32_e32 v5, v7, v5, vcc
	v_mov_b32_e32 v7, v11
	v_subrev_co_u32_e32 v16, vcc, s5, v6
	v_mov_b32_e32 v17, v11
	v_lshl_add_u64 v[8:9], v[6:7], 2, s[10:11]
	v_lshl_add_u64 v[16:17], v[16:17], 2, s[12:13]
	v_cndmask_b32_e32 v9, v17, v9, vcc
	v_cndmask_b32_e32 v8, v16, v8, vcc
	global_load_dword v4, v[4:5], off
	v_mov_b32_e32 v17, v11
	global_load_dword v5, v[8:9], off
	v_add_u32_e32 v8, v6, v1
	v_mov_b32_e32 v9, v11
	v_subrev_co_u32_e32 v16, vcc, s5, v8
	v_lshl_add_u64 v[6:7], v[8:9], 2, s[10:11]
	v_lshl_add_u64 v[16:17], v[16:17], 2, s[12:13]
	v_add_u32_e32 v8, v8, v1
	v_cndmask_b32_e32 v7, v17, v7, vcc
	v_cndmask_b32_e32 v6, v16, v6, vcc
	v_subrev_co_u32_e32 v18, vcc, s5, v8
	v_mov_b32_e32 v19, v11
	v_lshl_add_u64 v[16:17], v[8:9], 2, s[10:11]
	v_lshl_add_u64 v[18:19], v[18:19], 2, s[12:13]
	v_cndmask_b32_e32 v17, v19, v17, vcc
	v_cndmask_b32_e32 v16, v18, v16, vcc
	global_load_dword v6, v[6:7], off
	v_mov_b32_e32 v19, v11
	global_load_dword v7, v[16:17], off
	v_add_u32_e32 v16, v8, v1
	v_mov_b32_e32 v17, v11
	v_subrev_co_u32_e32 v18, vcc, s5, v16
	v_lshl_add_u64 v[8:9], v[16:17], 2, s[10:11]
	v_lshl_add_u64 v[18:19], v[18:19], 2, s[12:13]
	v_add_u32_e32 v16, v16, v1
	v_cndmask_b32_e32 v9, v19, v9, vcc
	v_cndmask_b32_e32 v8, v18, v8, vcc
	v_lshl_add_u64 v[18:19], v[16:17], 2, s[10:11]
	v_subrev_co_u32_e32 v16, vcc, s5, v16
	v_lshl_add_u64 v[16:17], v[16:17], 2, s[12:13]
	s_nop 0
	v_cndmask_b32_e32 v17, v17, v19, vcc
	v_cndmask_b32_e32 v16, v16, v18, vcc
	global_load_dword v8, v[8:9], off
	s_add_i32 s7, s19, s5
	global_load_dword v9, v[16:17], off
	s_load_dwordx2 s[2:3], s[0:1], 0x10
	s_cbranch_execz .LBB483_4
	s_branch .LBB483_19
.LBB483_3:
                                        ; implicit-def: $vgpr2_vgpr3_vgpr4_vgpr5_vgpr6_vgpr7_vgpr8_vgpr9
                                        ; implicit-def: $sgpr7
	s_load_dwordx2 s[2:3], s[0:1], 0x10
.LBB483_4:
	s_add_i32 s7, s19, s5
	s_waitcnt vmcnt(7)
	v_mov_b32_e32 v2, 0
	v_cmp_gt_u32_e32 vcc, s7, v0
	s_waitcnt vmcnt(6)
	v_mov_b32_e32 v3, v2
	s_waitcnt vmcnt(5)
	v_mov_b32_e32 v4, v2
	;; [unrolled: 2-line block ×7, first 2 shown]
	s_and_saveexec_b64 s[0:1], vcc
	s_cbranch_execnz .LBB483_74
; %bb.5:
	s_or_b64 exec, exec, s[0:1]
	v_cmp_gt_u32_e32 vcc, s7, v14
	s_and_saveexec_b64 s[0:1], vcc
	s_cbranch_execnz .LBB483_75
.LBB483_6:
	s_or_b64 exec, exec, s[0:1]
	v_cmp_gt_u32_e32 vcc, s7, v12
	s_and_saveexec_b64 s[0:1], vcc
	s_cbranch_execz .LBB483_8
.LBB483_7:
	v_mov_b32_e32 v13, 0
	v_subrev_co_u32_e32 v16, vcc, s5, v12
	v_mov_b32_e32 v17, v13
	v_lshl_add_u64 v[14:15], v[12:13], 2, s[10:11]
	v_lshl_add_u64 v[16:17], v[16:17], 2, s[12:13]
	v_cndmask_b32_e32 v15, v17, v15, vcc
	v_cndmask_b32_e32 v14, v16, v14, vcc
	global_load_dword v4, v[14:15], off
.LBB483_8:
	s_or_b64 exec, exec, s[0:1]
	v_add_u32_e32 v12, v12, v1
	v_cmp_gt_u32_e32 vcc, s7, v12
	s_and_saveexec_b64 s[0:1], vcc
	s_cbranch_execz .LBB483_10
; %bb.9:
	v_mov_b32_e32 v13, 0
	v_subrev_co_u32_e32 v16, vcc, s5, v12
	v_mov_b32_e32 v17, v13
	v_lshl_add_u64 v[14:15], v[12:13], 2, s[10:11]
	v_lshl_add_u64 v[16:17], v[16:17], 2, s[12:13]
	v_cndmask_b32_e32 v15, v17, v15, vcc
	v_cndmask_b32_e32 v14, v16, v14, vcc
	global_load_dword v5, v[14:15], off
.LBB483_10:
	s_or_b64 exec, exec, s[0:1]
	v_add_u32_e32 v12, v12, v1
	v_cmp_gt_u32_e32 vcc, s7, v12
	s_and_saveexec_b64 s[0:1], vcc
	s_cbranch_execz .LBB483_12
; %bb.11:
	v_mov_b32_e32 v13, 0
	v_subrev_co_u32_e32 v16, vcc, s5, v12
	v_mov_b32_e32 v17, v13
	v_lshl_add_u64 v[14:15], v[12:13], 2, s[10:11]
	v_lshl_add_u64 v[16:17], v[16:17], 2, s[12:13]
	v_cndmask_b32_e32 v15, v17, v15, vcc
	v_cndmask_b32_e32 v14, v16, v14, vcc
	global_load_dword v6, v[14:15], off
.LBB483_12:
	;; [unrolled: 15-line block ×4, first 2 shown]
	s_or_b64 exec, exec, s[0:1]
	v_add_u32_e32 v12, v12, v1
	v_cmp_gt_u32_e32 vcc, s7, v12
	s_and_saveexec_b64 s[0:1], vcc
	s_cbranch_execz .LBB483_18
; %bb.17:
	v_mov_b32_e32 v13, 0
	v_lshl_add_u64 v[14:15], v[12:13], 2, s[10:11]
	v_subrev_co_u32_e32 v12, vcc, s5, v12
	v_lshl_add_u64 v[12:13], v[12:13], 2, s[12:13]
	s_nop 0
	v_cndmask_b32_e32 v13, v13, v15, vcc
	v_cndmask_b32_e32 v12, v12, v14, vcc
	global_load_dword v9, v[12:13], off
.LBB483_18:
	s_or_b64 exec, exec, s[0:1]
.LBB483_19:
	v_lshlrev_b32_e32 v1, 3, v0
	v_min_u32_e32 v12, s7, v1
	v_sub_u32_e64 v11, v12, s19 clamp
	v_min_u32_e32 v13, s5, v12
	v_cmp_lt_u32_e32 vcc, v11, v13
	s_waitcnt vmcnt(0)
	ds_write2st64_b32 v10, v2, v3 offset1:2
	ds_write2st64_b32 v10, v4, v5 offset0:4 offset1:6
	ds_write2st64_b32 v10, v6, v7 offset0:8 offset1:10
	;; [unrolled: 1-line block ×3, first 2 shown]
	s_waitcnt lgkmcnt(0)
	s_barrier
	s_and_saveexec_b64 s[0:1], vcc
	s_cbranch_execz .LBB483_23
; %bb.20:
	v_lshlrev_b32_e32 v14, 2, v12
	v_lshl_add_u32 v14, s5, 2, v14
	s_mov_b64 s[10:11], 0
.LBB483_21:                             ; =>This Inner Loop Header: Depth=1
	v_add_u32_e32 v15, v13, v11
	v_lshrrev_b32_e32 v15, 1, v15
	v_not_b32_e32 v16, v15
	v_lshlrev_b32_e32 v17, 2, v15
	v_lshl_add_u32 v19, v16, 2, v14
	ds_read_b32 v16, v17
	ds_read_b32 v17, v19
	v_add_u32_e32 v18, 1, v15
	s_waitcnt lgkmcnt(0)
	v_pk_add_f32 v[16:17], v[16:17], 0 op_sel_hi:[1,0]
	s_nop 0
	v_ashrrev_i32_e32 v19, 31, v17
	v_ashrrev_i32_e32 v20, 31, v16
	v_or_b32_e32 v19, 0x80000000, v19
	v_or_b32_e32 v20, 0x80000000, v20
	v_xor_b32_e32 v17, v19, v17
	v_xor_b32_e32 v16, v20, v16
	v_cmp_gt_u32_e32 vcc, v16, v17
	s_nop 1
	v_cndmask_b32_e32 v13, v13, v15, vcc
	v_cndmask_b32_e32 v11, v18, v11, vcc
	v_cmp_ge_u32_e32 vcc, v11, v13
	s_or_b64 s[10:11], vcc, s[10:11]
	s_andn2_b64 exec, exec, s[10:11]
	s_cbranch_execnz .LBB483_21
; %bb.22:
	s_or_b64 exec, exec, s[10:11]
.LBB483_23:
	s_or_b64 exec, exec, s[0:1]
	v_sub_u32_e32 v12, v12, v11
	v_add_u32_e32 v12, s5, v12
	v_cmp_ge_u32_e32 vcc, s5, v11
	v_cmp_ge_u32_e64 s[0:1], s7, v12
	s_or_b64 s[0:1], vcc, s[0:1]
	s_and_saveexec_b64 s[10:11], s[0:1]
	s_xor_b64 s[10:11], exec, s[10:11]
	s_cbranch_execz .LBB483_59
; %bb.24:
	v_cmp_le_u32_e32 vcc, s5, v11
	v_cmp_gt_u32_e64 s[0:1], s5, v11
                                        ; implicit-def: $vgpr8
	s_and_saveexec_b64 s[12:13], s[0:1]
; %bb.25:
	v_lshlrev_b32_e32 v2, 2, v11
	ds_read_b32 v8, v2
; %bb.26:
	s_or_b64 exec, exec, s[12:13]
	v_cmp_le_u32_e64 s[12:13], s7, v12
	v_cmp_gt_u32_e64 s[0:1], s7, v12
	s_and_saveexec_b64 s[14:15], s[0:1]
; %bb.27:
	v_lshlrev_b32_e32 v2, 2, v12
	ds_read_b32 v9, v2
; %bb.28:
	s_or_b64 exec, exec, s[14:15]
	s_nor_b64 s[14:15], vcc, s[12:13]
	s_and_saveexec_b64 s[0:1], s[14:15]
	s_cbranch_execz .LBB483_30
; %bb.29:
	s_waitcnt lgkmcnt(0)
	v_pk_add_f32 v[2:3], v[8:9], 0 op_sel_hi:[1,0]
	s_andn2_b64 s[12:13], s[12:13], exec
	v_ashrrev_i32_e32 v4, 31, v3
	v_ashrrev_i32_e32 v5, 31, v2
	v_or_b32_e32 v4, 0x80000000, v4
	v_or_b32_e32 v5, 0x80000000, v5
	v_xor_b32_e32 v3, v4, v3
	v_xor_b32_e32 v2, v5, v2
	v_cmp_le_u32_e32 vcc, v2, v3
	s_and_b64 s[14:15], vcc, exec
	s_or_b64 s[12:13], s[12:13], s[14:15]
.LBB483_30:
	s_or_b64 exec, exec, s[0:1]
	v_mov_b32_e32 v3, s7
	v_mov_b32_e32 v4, s5
	v_cndmask_b32_e64 v2, v12, v11, s[12:13]
	v_cndmask_b32_e64 v3, v3, v4, s[12:13]
	v_add_u32_e32 v4, 1, v2
	v_add_u32_e32 v2, -1, v3
	v_min_u32_e32 v2, v4, v2
	v_lshlrev_b32_e32 v2, 2, v2
	ds_read_b32 v3, v2
	v_cndmask_b32_e64 v5, v4, v12, s[12:13]
	v_cndmask_b32_e64 v6, v11, v4, s[12:13]
	v_cmp_gt_u32_e32 vcc, s7, v5
	s_mov_b64 s[14:15], -1
	s_waitcnt lgkmcnt(0)
	v_cndmask_b32_e64 v2, v3, v9, s[12:13]
	v_cndmask_b32_e64 v3, v8, v3, s[12:13]
	s_mov_b64 s[0:1], -1
	s_and_saveexec_b64 s[16:17], vcc
	s_cbranch_execz .LBB483_34
; %bb.31:
	v_cmp_gt_u32_e32 vcc, s5, v6
	s_mov_b64 s[18:19], 0
	s_and_saveexec_b64 s[0:1], vcc
; %bb.32:
	v_add_f32_e32 v4, 0, v3
	v_add_f32_e32 v7, 0, v2
	v_ashrrev_i32_e32 v11, 31, v4
	s_brev_b32 s18, 1
	v_bitop3_b32 v4, v11, v4, s18 bitop3:0x36
	v_ashrrev_i32_e32 v11, 31, v7
	v_bitop3_b32 v7, v11, v7, s18 bitop3:0x36
	v_cmp_le_u32_e32 vcc, v4, v7
	s_and_b64 s[18:19], vcc, exec
; %bb.33:
	s_or_b64 exec, exec, s[0:1]
	s_orn2_b64 s[0:1], s[18:19], exec
.LBB483_34:
	s_or_b64 exec, exec, s[16:17]
	v_mov_b32_e32 v7, s7
	v_mov_b32_e32 v11, s5
	v_cndmask_b32_e64 v4, v5, v6, s[0:1]
	v_cndmask_b32_e64 v7, v7, v11, s[0:1]
	v_add_u32_e32 v12, 1, v4
	v_add_u32_e32 v4, -1, v7
	v_min_u32_e32 v4, v12, v4
	v_lshlrev_b32_e32 v4, 2, v4
	ds_read_b32 v7, v4
	v_cndmask_b32_e64 v6, v6, v12, s[0:1]
	s_waitcnt lgkmcnt(0)
	v_cndmask_b32_e64 v4, v7, v2, s[0:1]
	v_cndmask_b32_e64 v11, v3, v7, s[0:1]
	;; [unrolled: 1-line block ×3, first 2 shown]
	v_cmp_gt_u32_e32 vcc, s7, v7
	s_and_saveexec_b64 s[16:17], vcc
	s_cbranch_execz .LBB483_38
; %bb.35:
	v_cmp_gt_u32_e32 vcc, s5, v6
	s_mov_b64 s[18:19], 0
	s_and_saveexec_b64 s[14:15], vcc
; %bb.36:
	v_add_f32_e32 v5, 0, v11
	v_add_f32_e32 v12, 0, v4
	v_ashrrev_i32_e32 v13, 31, v5
	s_brev_b32 s18, 1
	v_bitop3_b32 v5, v13, v5, s18 bitop3:0x36
	v_ashrrev_i32_e32 v13, 31, v12
	v_bitop3_b32 v12, v13, v12, s18 bitop3:0x36
	v_cmp_le_u32_e32 vcc, v5, v12
	s_and_b64 s[18:19], vcc, exec
; %bb.37:
	s_or_b64 exec, exec, s[14:15]
	s_orn2_b64 s[14:15], s[18:19], exec
.LBB483_38:
	s_or_b64 exec, exec, s[16:17]
	v_mov_b32_e32 v12, s7
	v_mov_b32_e32 v13, s5
	v_cndmask_b32_e64 v5, v7, v6, s[14:15]
	v_cndmask_b32_e64 v12, v12, v13, s[14:15]
	v_add_u32_e32 v13, 1, v5
	v_add_u32_e32 v5, -1, v12
	v_min_u32_e32 v5, v13, v5
	v_lshlrev_b32_e32 v5, 2, v5
	ds_read_b32 v12, v5
	v_cndmask_b32_e64 v7, v13, v7, s[14:15]
	v_cndmask_b32_e64 v14, v6, v13, s[14:15]
	v_cmp_gt_u32_e32 vcc, s7, v7
	s_mov_b64 s[18:19], -1
	s_waitcnt lgkmcnt(0)
	v_cndmask_b32_e64 v5, v12, v4, s[14:15]
	v_cndmask_b32_e64 v12, v11, v12, s[14:15]
	s_mov_b64 s[16:17], -1
	s_and_saveexec_b64 s[20:21], vcc
	s_cbranch_execz .LBB483_42
; %bb.39:
	v_cmp_gt_u32_e32 vcc, s5, v14
	s_mov_b64 s[22:23], 0
	s_and_saveexec_b64 s[16:17], vcc
; %bb.40:
	v_add_f32_e32 v6, 0, v12
	v_add_f32_e32 v13, 0, v5
	v_ashrrev_i32_e32 v15, 31, v6
	s_brev_b32 s22, 1
	v_bitop3_b32 v6, v15, v6, s22 bitop3:0x36
	v_ashrrev_i32_e32 v15, 31, v13
	v_bitop3_b32 v13, v15, v13, s22 bitop3:0x36
	v_cmp_le_u32_e32 vcc, v6, v13
	s_and_b64 s[22:23], vcc, exec
; %bb.41:
	s_or_b64 exec, exec, s[16:17]
	s_orn2_b64 s[16:17], s[22:23], exec
.LBB483_42:
	s_or_b64 exec, exec, s[20:21]
	v_mov_b32_e32 v13, s7
	v_mov_b32_e32 v15, s5
	v_cndmask_b32_e64 v6, v7, v14, s[16:17]
	v_cndmask_b32_e64 v13, v13, v15, s[16:17]
	v_add_u32_e32 v16, 1, v6
	v_add_u32_e32 v6, -1, v13
	v_min_u32_e32 v6, v16, v6
	v_lshlrev_b32_e32 v6, 2, v6
	ds_read_b32 v13, v6
	v_cndmask_b32_e64 v15, v16, v7, s[16:17]
	v_cndmask_b32_e64 v14, v14, v16, s[16:17]
	v_cmp_gt_u32_e32 vcc, s7, v15
	s_waitcnt lgkmcnt(0)
	v_cndmask_b32_e64 v6, v13, v5, s[16:17]
	v_cndmask_b32_e64 v13, v12, v13, s[16:17]
	s_and_saveexec_b64 s[20:21], vcc
	s_cbranch_execz .LBB483_46
; %bb.43:
	v_cmp_gt_u32_e32 vcc, s5, v14
	s_mov_b64 s[22:23], 0
	s_and_saveexec_b64 s[18:19], vcc
; %bb.44:
	v_add_f32_e32 v7, 0, v13
	v_add_f32_e32 v16, 0, v6
	v_ashrrev_i32_e32 v17, 31, v7
	s_brev_b32 s22, 1
	v_bitop3_b32 v7, v17, v7, s22 bitop3:0x36
	v_ashrrev_i32_e32 v17, 31, v16
	v_bitop3_b32 v16, v17, v16, s22 bitop3:0x36
	v_cmp_le_u32_e32 vcc, v7, v16
	s_and_b64 s[22:23], vcc, exec
; %bb.45:
	s_or_b64 exec, exec, s[18:19]
	s_orn2_b64 s[18:19], s[22:23], exec
.LBB483_46:
	s_or_b64 exec, exec, s[20:21]
	v_mov_b32_e32 v16, s7
	v_mov_b32_e32 v17, s5
	v_cndmask_b32_e64 v7, v15, v14, s[18:19]
	v_cndmask_b32_e64 v16, v16, v17, s[18:19]
	v_add_u32_e32 v18, 1, v7
	v_add_u32_e32 v7, -1, v16
	v_min_u32_e32 v7, v18, v7
	v_lshlrev_b32_e32 v7, 2, v7
	ds_read_b32 v16, v7
	v_cndmask_b32_e64 v17, v18, v15, s[18:19]
	v_cndmask_b32_e64 v19, v14, v18, s[18:19]
	v_cmp_gt_u32_e32 vcc, s7, v17
	s_mov_b64 s[20:21], -1
	s_waitcnt lgkmcnt(0)
	v_cndmask_b32_e64 v7, v16, v6, s[18:19]
	v_cndmask_b32_e64 v16, v13, v16, s[18:19]
	s_mov_b64 s[22:23], -1
	s_and_saveexec_b64 s[24:25], vcc
	s_cbranch_execz .LBB483_50
; %bb.47:
	v_cmp_gt_u32_e32 vcc, s5, v19
	s_mov_b64 s[26:27], 0
	s_and_saveexec_b64 s[22:23], vcc
; %bb.48:
	v_add_f32_e32 v14, 0, v16
	v_add_f32_e32 v15, 0, v7
	v_ashrrev_i32_e32 v18, 31, v14
	s_brev_b32 s26, 1
	v_bitop3_b32 v14, v18, v14, s26 bitop3:0x36
	v_ashrrev_i32_e32 v18, 31, v15
	v_bitop3_b32 v15, v18, v15, s26 bitop3:0x36
	v_cmp_le_u32_e32 vcc, v14, v15
	s_and_b64 s[26:27], vcc, exec
; %bb.49:
	s_or_b64 exec, exec, s[22:23]
	s_orn2_b64 s[22:23], s[26:27], exec
.LBB483_50:
	s_or_b64 exec, exec, s[24:25]
	v_mov_b32_e32 v15, s7
	v_mov_b32_e32 v18, s5
	v_cndmask_b32_e64 v14, v17, v19, s[22:23]
	v_cndmask_b32_e64 v15, v15, v18, s[22:23]
	v_add_u32_e32 v20, 1, v14
	v_add_u32_e32 v14, -1, v15
	v_min_u32_e32 v14, v20, v14
	v_lshlrev_b32_e32 v14, 2, v14
	ds_read_b32 v15, v14
	v_cndmask_b32_e64 v18, v20, v17, s[22:23]
	v_cndmask_b32_e64 v17, v19, v20, s[22:23]
	v_cmp_gt_u32_e32 vcc, s7, v18
	s_waitcnt lgkmcnt(0)
	v_cndmask_b32_e64 v14, v15, v7, s[22:23]
	v_cndmask_b32_e64 v15, v16, v15, s[22:23]
	s_and_saveexec_b64 s[24:25], vcc
	s_cbranch_execz .LBB483_54
; %bb.51:
	v_cmp_gt_u32_e32 vcc, s5, v17
	s_mov_b64 s[26:27], 0
	s_and_saveexec_b64 s[20:21], vcc
; %bb.52:
	v_add_f32_e32 v19, 0, v15
	v_add_f32_e32 v20, 0, v14
	v_ashrrev_i32_e32 v21, 31, v19
	s_brev_b32 s26, 1
	v_bitop3_b32 v19, v21, v19, s26 bitop3:0x36
	v_ashrrev_i32_e32 v21, 31, v20
	v_bitop3_b32 v20, v21, v20, s26 bitop3:0x36
	v_cmp_le_u32_e32 vcc, v19, v20
	s_and_b64 s[26:27], vcc, exec
; %bb.53:
	s_or_b64 exec, exec, s[20:21]
	s_orn2_b64 s[20:21], s[26:27], exec
.LBB483_54:
	s_or_b64 exec, exec, s[24:25]
	v_cndmask_b32_e64 v7, v7, v16, s[22:23]
	v_mov_b32_e32 v16, s7
	v_mov_b32_e32 v19, s5
	v_cndmask_b32_e64 v6, v6, v13, s[18:19]
	v_cndmask_b32_e64 v13, v18, v17, s[20:21]
	;; [unrolled: 1-line block ×3, first 2 shown]
	v_add_u32_e32 v13, 1, v13
	v_add_u32_e32 v16, -1, v16
	v_min_u32_e32 v16, v13, v16
	v_lshlrev_b32_e32 v16, 2, v16
	ds_read_b32 v16, v16
	v_cndmask_b32_e64 v3, v2, v3, s[0:1]
	v_cndmask_b32_e64 v2, v9, v8, s[12:13]
	v_cndmask_b32_e64 v8, v13, v18, s[20:21]
	v_cndmask_b32_e64 v5, v5, v12, s[16:17]
	v_cndmask_b32_e64 v4, v4, v11, s[14:15]
	s_waitcnt lgkmcnt(0)
	v_cndmask_b32_e64 v9, v15, v16, s[20:21]
	v_cmp_gt_u32_e32 vcc, s7, v8
	s_and_saveexec_b64 s[0:1], vcc
	s_cbranch_execz .LBB483_58
; %bb.55:
	v_cndmask_b32_e64 v11, v17, v13, s[20:21]
	v_cndmask_b32_e64 v8, v16, v14, s[20:21]
	v_cmp_gt_u32_e32 vcc, s5, v11
	s_and_saveexec_b64 s[12:13], vcc
; %bb.56:
	v_add_f32_e32 v11, 0, v9
	v_add_f32_e32 v12, 0, v8
	v_ashrrev_i32_e32 v13, 31, v11
	s_brev_b32 s5, 1
	v_bitop3_b32 v11, v13, v11, s5 bitop3:0x36
	v_ashrrev_i32_e32 v13, 31, v12
	v_bitop3_b32 v12, v13, v12, s5 bitop3:0x36
	v_cmp_gt_u32_e32 vcc, v11, v12
	s_nop 1
	v_cndmask_b32_e32 v8, v9, v8, vcc
; %bb.57:
	s_or_b64 exec, exec, s[12:13]
	v_mov_b32_e32 v9, v8
.LBB483_58:
	s_or_b64 exec, exec, s[0:1]
	v_cndmask_b32_e64 v8, v14, v15, s[20:21]
.LBB483_59:
	s_andn2_saveexec_b64 s[0:1], s[10:11]
	s_or_b64 exec, exec, s[0:1]
	v_and_b32_e32 v11, 0x7c, v0
	v_lshl_add_u32 v1, v1, 2, v11
	s_barrier
	s_barrier
	ds_write2_b32 v1, v2, v3 offset1:1
	ds_write2_b32 v1, v4, v5 offset0:2 offset1:3
	ds_write2_b32 v1, v6, v7 offset0:4 offset1:5
	;; [unrolled: 1-line block ×3, first 2 shown]
	v_lshrrev_b32_e32 v1, 3, v0
	v_and_b32_e32 v1, 12, v1
	v_or_b32_e32 v9, 0x80, v0
	v_add_u32_e32 v12, v1, v10
	v_lshrrev_b32_e32 v1, 3, v9
	v_and_b32_e32 v1, 28, v1
	v_or_b32_e32 v8, 0x100, v0
	v_add_u32_e32 v13, v1, v10
	;; [unrolled: 4-line block ×6, first 2 shown]
	v_lshrrev_b32_e32 v1, 3, v4
	s_mov_b32 s7, 0
	v_and_b32_e32 v1, 0x6c, v1
	s_lshl_b64 s[0:1], s[6:7], 2
	v_add_u32_e32 v18, v1, v10
	v_or_b32_e32 v1, 0x380, v0
	s_add_u32 s0, s2, s0
	v_lshrrev_b32_e32 v2, 3, v1
	s_addc_u32 s1, s3, s1
	v_and_b32_e32 v2, 0x7c, v2
	v_mov_b32_e32 v11, 0
	v_add_u32_e32 v19, v2, v10
	v_lshl_add_u64 v[2:3], s[0:1], 0, v[10:11]
	s_and_b64 vcc, exec, s[8:9]
	s_waitcnt lgkmcnt(0)
	s_cbranch_vccz .LBB483_61
; %bb.60:
	s_barrier
	ds_read_b32 v10, v12
	ds_read_b32 v11, v13 offset:512
	ds_read_b32 v20, v14 offset:1024
	;; [unrolled: 1-line block ×7, first 2 shown]
	s_waitcnt lgkmcnt(7)
	global_store_dword v[2:3], v10, off
	s_waitcnt lgkmcnt(6)
	global_store_dword v[2:3], v11, off offset:512
	s_waitcnt lgkmcnt(5)
	global_store_dword v[2:3], v20, off offset:1024
	;; [unrolled: 2-line block ×6, first 2 shown]
	s_mov_b64 s[0:1], -1
	s_cbranch_execz .LBB483_62
	s_branch .LBB483_71
.LBB483_61:
	s_mov_b64 s[0:1], 0
                                        ; implicit-def: $vgpr22
.LBB483_62:
	s_barrier
	s_waitcnt lgkmcnt(0)
	ds_read_b32 v21, v13 offset:512
	ds_read_b32 v20, v14 offset:1024
	;; [unrolled: 1-line block ×7, first 2 shown]
	s_sub_i32 s2, s4, s6
	v_cmp_gt_u32_e32 vcc, s2, v0
	s_and_saveexec_b64 s[0:1], vcc
	s_cbranch_execnz .LBB483_76
; %bb.63:
	s_or_b64 exec, exec, s[0:1]
	v_cmp_gt_u32_e32 vcc, s2, v9
	s_and_saveexec_b64 s[0:1], vcc
	s_cbranch_execnz .LBB483_77
.LBB483_64:
	s_or_b64 exec, exec, s[0:1]
	v_cmp_gt_u32_e32 vcc, s2, v8
	s_and_saveexec_b64 s[0:1], vcc
	s_cbranch_execnz .LBB483_78
.LBB483_65:
	s_or_b64 exec, exec, s[0:1]
	v_cmp_gt_u32_e32 vcc, s2, v7
	s_and_saveexec_b64 s[0:1], vcc
	s_cbranch_execnz .LBB483_79
.LBB483_66:
	s_or_b64 exec, exec, s[0:1]
	v_cmp_gt_u32_e32 vcc, s2, v6
	s_and_saveexec_b64 s[0:1], vcc
	s_cbranch_execnz .LBB483_80
.LBB483_67:
	s_or_b64 exec, exec, s[0:1]
	v_cmp_gt_u32_e32 vcc, s2, v5
	s_and_saveexec_b64 s[0:1], vcc
	s_cbranch_execnz .LBB483_81
.LBB483_68:
	s_or_b64 exec, exec, s[0:1]
	v_cmp_gt_u32_e32 vcc, s2, v4
	s_and_saveexec_b64 s[0:1], vcc
	s_cbranch_execz .LBB483_70
.LBB483_69:
	s_waitcnt lgkmcnt(1)
	global_store_dword v[2:3], v10, off offset:3072
.LBB483_70:
	s_or_b64 exec, exec, s[0:1]
	v_cmp_gt_u32_e64 s[0:1], s2, v1
.LBB483_71:
	s_and_saveexec_b64 s[2:3], s[0:1]
	s_cbranch_execz .LBB483_73
; %bb.72:
	s_waitcnt lgkmcnt(0)
	global_store_dword v[2:3], v22, off offset:3584
.LBB483_73:
	s_endpgm
.LBB483_74:
	v_mov_b32_e32 v11, v2
	v_subrev_co_u32_e32 v6, vcc, s5, v0
	v_mov_b32_e32 v7, v2
	v_lshl_add_u64 v[4:5], s[10:11], 0, v[10:11]
	v_lshl_add_u64 v[6:7], v[6:7], 2, s[12:13]
	v_cndmask_b32_e32 v5, v7, v5, vcc
	v_cndmask_b32_e32 v4, v6, v4, vcc
	global_load_dword v16, v[4:5], off
	v_mov_b32_e32 v17, v2
	v_mov_b32_e32 v18, v2
	v_mov_b32_e32 v19, v2
	v_mov_b32_e32 v20, v2
	v_mov_b32_e32 v21, v2
	v_mov_b32_e32 v22, v2
	v_mov_b32_e32 v23, v2
	s_waitcnt vmcnt(0)
	v_mov_b64_e32 v[2:3], v[16:17]
	v_mov_b64_e32 v[4:5], v[18:19]
	v_mov_b64_e32 v[6:7], v[20:21]
	v_mov_b64_e32 v[8:9], v[22:23]
	s_or_b64 exec, exec, s[0:1]
	v_cmp_gt_u32_e32 vcc, s7, v14
	s_and_saveexec_b64 s[0:1], vcc
	s_cbranch_execz .LBB483_6
.LBB483_75:
	v_mov_b32_e32 v15, 0
	v_lshl_add_u64 v[16:17], v[14:15], 2, s[10:11]
	v_subrev_co_u32_e32 v14, vcc, s5, v14
	v_lshl_add_u64 v[14:15], v[14:15], 2, s[12:13]
	s_nop 0
	v_cndmask_b32_e32 v15, v15, v17, vcc
	v_cndmask_b32_e32 v14, v14, v16, vcc
	global_load_dword v3, v[14:15], off
	s_or_b64 exec, exec, s[0:1]
	v_cmp_gt_u32_e32 vcc, s7, v12
	s_and_saveexec_b64 s[0:1], vcc
	s_cbranch_execnz .LBB483_7
	s_branch .LBB483_8
.LBB483_76:
	ds_read_b32 v0, v12
	s_waitcnt lgkmcnt(0)
	global_store_dword v[2:3], v0, off
	s_or_b64 exec, exec, s[0:1]
	v_cmp_gt_u32_e32 vcc, s2, v9
	s_and_saveexec_b64 s[0:1], vcc
	s_cbranch_execz .LBB483_64
.LBB483_77:
	s_waitcnt lgkmcnt(6)
	global_store_dword v[2:3], v21, off offset:512
	s_or_b64 exec, exec, s[0:1]
	v_cmp_gt_u32_e32 vcc, s2, v8
	s_and_saveexec_b64 s[0:1], vcc
	s_cbranch_execz .LBB483_65
.LBB483_78:
	s_waitcnt lgkmcnt(5)
	global_store_dword v[2:3], v20, off offset:1024
	s_or_b64 exec, exec, s[0:1]
	v_cmp_gt_u32_e32 vcc, s2, v7
	s_and_saveexec_b64 s[0:1], vcc
	s_cbranch_execz .LBB483_66
.LBB483_79:
	s_waitcnt lgkmcnt(4)
	global_store_dword v[2:3], v14, off offset:1536
	s_or_b64 exec, exec, s[0:1]
	v_cmp_gt_u32_e32 vcc, s2, v6
	s_and_saveexec_b64 s[0:1], vcc
	s_cbranch_execz .LBB483_67
.LBB483_80:
	s_waitcnt lgkmcnt(3)
	global_store_dword v[2:3], v13, off offset:2048
	s_or_b64 exec, exec, s[0:1]
	v_cmp_gt_u32_e32 vcc, s2, v5
	s_and_saveexec_b64 s[0:1], vcc
	s_cbranch_execz .LBB483_68
.LBB483_81:
	s_waitcnt lgkmcnt(2)
	global_store_dword v[2:3], v11, off offset:2560
	s_or_b64 exec, exec, s[0:1]
	v_cmp_gt_u32_e32 vcc, s2, v4
	s_and_saveexec_b64 s[0:1], vcc
	s_cbranch_execnz .LBB483_69
	s_branch .LBB483_70
	.section	.rodata,"a",@progbits
	.p2align	6, 0x0
	.amdhsa_kernel _ZN7rocprim17ROCPRIM_400000_NS6detail17trampoline_kernelINS0_14default_configENS1_38merge_sort_block_merge_config_selectorIfNS0_10empty_typeEEEZZNS1_27merge_sort_block_merge_implIS3_N6thrust23THRUST_200600_302600_NS6detail15normal_iteratorINS9_10device_ptrIfEEEEPS5_jNS1_19radix_merge_compareILb0ELb0EfNS0_19identity_decomposerEEEEE10hipError_tT0_T1_T2_jT3_P12ihipStream_tbPNSt15iterator_traitsISK_E10value_typeEPNSQ_ISL_E10value_typeEPSM_NS1_7vsmem_tEENKUlT_SK_SL_SM_E_clIPfSE_SF_SF_EESJ_SZ_SK_SL_SM_EUlSZ_E0_NS1_11comp_targetILNS1_3genE0ELNS1_11target_archE4294967295ELNS1_3gpuE0ELNS1_3repE0EEENS1_38merge_mergepath_config_static_selectorELNS0_4arch9wavefront6targetE1EEEvSL_
		.amdhsa_group_segment_fixed_size 4224
		.amdhsa_private_segment_fixed_size 0
		.amdhsa_kernarg_size 320
		.amdhsa_user_sgpr_count 2
		.amdhsa_user_sgpr_dispatch_ptr 0
		.amdhsa_user_sgpr_queue_ptr 0
		.amdhsa_user_sgpr_kernarg_segment_ptr 1
		.amdhsa_user_sgpr_dispatch_id 0
		.amdhsa_user_sgpr_kernarg_preload_length 0
		.amdhsa_user_sgpr_kernarg_preload_offset 0
		.amdhsa_user_sgpr_private_segment_size 0
		.amdhsa_uses_dynamic_stack 0
		.amdhsa_enable_private_segment 0
		.amdhsa_system_sgpr_workgroup_id_x 1
		.amdhsa_system_sgpr_workgroup_id_y 1
		.amdhsa_system_sgpr_workgroup_id_z 1
		.amdhsa_system_sgpr_workgroup_info 0
		.amdhsa_system_vgpr_workitem_id 0
		.amdhsa_next_free_vgpr 26
		.amdhsa_next_free_sgpr 28
		.amdhsa_accum_offset 28
		.amdhsa_reserve_vcc 1
		.amdhsa_float_round_mode_32 0
		.amdhsa_float_round_mode_16_64 0
		.amdhsa_float_denorm_mode_32 3
		.amdhsa_float_denorm_mode_16_64 3
		.amdhsa_dx10_clamp 1
		.amdhsa_ieee_mode 1
		.amdhsa_fp16_overflow 0
		.amdhsa_tg_split 0
		.amdhsa_exception_fp_ieee_invalid_op 0
		.amdhsa_exception_fp_denorm_src 0
		.amdhsa_exception_fp_ieee_div_zero 0
		.amdhsa_exception_fp_ieee_overflow 0
		.amdhsa_exception_fp_ieee_underflow 0
		.amdhsa_exception_fp_ieee_inexact 0
		.amdhsa_exception_int_div_zero 0
	.end_amdhsa_kernel
	.section	.text._ZN7rocprim17ROCPRIM_400000_NS6detail17trampoline_kernelINS0_14default_configENS1_38merge_sort_block_merge_config_selectorIfNS0_10empty_typeEEEZZNS1_27merge_sort_block_merge_implIS3_N6thrust23THRUST_200600_302600_NS6detail15normal_iteratorINS9_10device_ptrIfEEEEPS5_jNS1_19radix_merge_compareILb0ELb0EfNS0_19identity_decomposerEEEEE10hipError_tT0_T1_T2_jT3_P12ihipStream_tbPNSt15iterator_traitsISK_E10value_typeEPNSQ_ISL_E10value_typeEPSM_NS1_7vsmem_tEENKUlT_SK_SL_SM_E_clIPfSE_SF_SF_EESJ_SZ_SK_SL_SM_EUlSZ_E0_NS1_11comp_targetILNS1_3genE0ELNS1_11target_archE4294967295ELNS1_3gpuE0ELNS1_3repE0EEENS1_38merge_mergepath_config_static_selectorELNS0_4arch9wavefront6targetE1EEEvSL_,"axG",@progbits,_ZN7rocprim17ROCPRIM_400000_NS6detail17trampoline_kernelINS0_14default_configENS1_38merge_sort_block_merge_config_selectorIfNS0_10empty_typeEEEZZNS1_27merge_sort_block_merge_implIS3_N6thrust23THRUST_200600_302600_NS6detail15normal_iteratorINS9_10device_ptrIfEEEEPS5_jNS1_19radix_merge_compareILb0ELb0EfNS0_19identity_decomposerEEEEE10hipError_tT0_T1_T2_jT3_P12ihipStream_tbPNSt15iterator_traitsISK_E10value_typeEPNSQ_ISL_E10value_typeEPSM_NS1_7vsmem_tEENKUlT_SK_SL_SM_E_clIPfSE_SF_SF_EESJ_SZ_SK_SL_SM_EUlSZ_E0_NS1_11comp_targetILNS1_3genE0ELNS1_11target_archE4294967295ELNS1_3gpuE0ELNS1_3repE0EEENS1_38merge_mergepath_config_static_selectorELNS0_4arch9wavefront6targetE1EEEvSL_,comdat
.Lfunc_end483:
	.size	_ZN7rocprim17ROCPRIM_400000_NS6detail17trampoline_kernelINS0_14default_configENS1_38merge_sort_block_merge_config_selectorIfNS0_10empty_typeEEEZZNS1_27merge_sort_block_merge_implIS3_N6thrust23THRUST_200600_302600_NS6detail15normal_iteratorINS9_10device_ptrIfEEEEPS5_jNS1_19radix_merge_compareILb0ELb0EfNS0_19identity_decomposerEEEEE10hipError_tT0_T1_T2_jT3_P12ihipStream_tbPNSt15iterator_traitsISK_E10value_typeEPNSQ_ISL_E10value_typeEPSM_NS1_7vsmem_tEENKUlT_SK_SL_SM_E_clIPfSE_SF_SF_EESJ_SZ_SK_SL_SM_EUlSZ_E0_NS1_11comp_targetILNS1_3genE0ELNS1_11target_archE4294967295ELNS1_3gpuE0ELNS1_3repE0EEENS1_38merge_mergepath_config_static_selectorELNS0_4arch9wavefront6targetE1EEEvSL_, .Lfunc_end483-_ZN7rocprim17ROCPRIM_400000_NS6detail17trampoline_kernelINS0_14default_configENS1_38merge_sort_block_merge_config_selectorIfNS0_10empty_typeEEEZZNS1_27merge_sort_block_merge_implIS3_N6thrust23THRUST_200600_302600_NS6detail15normal_iteratorINS9_10device_ptrIfEEEEPS5_jNS1_19radix_merge_compareILb0ELb0EfNS0_19identity_decomposerEEEEE10hipError_tT0_T1_T2_jT3_P12ihipStream_tbPNSt15iterator_traitsISK_E10value_typeEPNSQ_ISL_E10value_typeEPSM_NS1_7vsmem_tEENKUlT_SK_SL_SM_E_clIPfSE_SF_SF_EESJ_SZ_SK_SL_SM_EUlSZ_E0_NS1_11comp_targetILNS1_3genE0ELNS1_11target_archE4294967295ELNS1_3gpuE0ELNS1_3repE0EEENS1_38merge_mergepath_config_static_selectorELNS0_4arch9wavefront6targetE1EEEvSL_
                                        ; -- End function
	.set _ZN7rocprim17ROCPRIM_400000_NS6detail17trampoline_kernelINS0_14default_configENS1_38merge_sort_block_merge_config_selectorIfNS0_10empty_typeEEEZZNS1_27merge_sort_block_merge_implIS3_N6thrust23THRUST_200600_302600_NS6detail15normal_iteratorINS9_10device_ptrIfEEEEPS5_jNS1_19radix_merge_compareILb0ELb0EfNS0_19identity_decomposerEEEEE10hipError_tT0_T1_T2_jT3_P12ihipStream_tbPNSt15iterator_traitsISK_E10value_typeEPNSQ_ISL_E10value_typeEPSM_NS1_7vsmem_tEENKUlT_SK_SL_SM_E_clIPfSE_SF_SF_EESJ_SZ_SK_SL_SM_EUlSZ_E0_NS1_11comp_targetILNS1_3genE0ELNS1_11target_archE4294967295ELNS1_3gpuE0ELNS1_3repE0EEENS1_38merge_mergepath_config_static_selectorELNS0_4arch9wavefront6targetE1EEEvSL_.num_vgpr, 26
	.set _ZN7rocprim17ROCPRIM_400000_NS6detail17trampoline_kernelINS0_14default_configENS1_38merge_sort_block_merge_config_selectorIfNS0_10empty_typeEEEZZNS1_27merge_sort_block_merge_implIS3_N6thrust23THRUST_200600_302600_NS6detail15normal_iteratorINS9_10device_ptrIfEEEEPS5_jNS1_19radix_merge_compareILb0ELb0EfNS0_19identity_decomposerEEEEE10hipError_tT0_T1_T2_jT3_P12ihipStream_tbPNSt15iterator_traitsISK_E10value_typeEPNSQ_ISL_E10value_typeEPSM_NS1_7vsmem_tEENKUlT_SK_SL_SM_E_clIPfSE_SF_SF_EESJ_SZ_SK_SL_SM_EUlSZ_E0_NS1_11comp_targetILNS1_3genE0ELNS1_11target_archE4294967295ELNS1_3gpuE0ELNS1_3repE0EEENS1_38merge_mergepath_config_static_selectorELNS0_4arch9wavefront6targetE1EEEvSL_.num_agpr, 0
	.set _ZN7rocprim17ROCPRIM_400000_NS6detail17trampoline_kernelINS0_14default_configENS1_38merge_sort_block_merge_config_selectorIfNS0_10empty_typeEEEZZNS1_27merge_sort_block_merge_implIS3_N6thrust23THRUST_200600_302600_NS6detail15normal_iteratorINS9_10device_ptrIfEEEEPS5_jNS1_19radix_merge_compareILb0ELb0EfNS0_19identity_decomposerEEEEE10hipError_tT0_T1_T2_jT3_P12ihipStream_tbPNSt15iterator_traitsISK_E10value_typeEPNSQ_ISL_E10value_typeEPSM_NS1_7vsmem_tEENKUlT_SK_SL_SM_E_clIPfSE_SF_SF_EESJ_SZ_SK_SL_SM_EUlSZ_E0_NS1_11comp_targetILNS1_3genE0ELNS1_11target_archE4294967295ELNS1_3gpuE0ELNS1_3repE0EEENS1_38merge_mergepath_config_static_selectorELNS0_4arch9wavefront6targetE1EEEvSL_.numbered_sgpr, 28
	.set _ZN7rocprim17ROCPRIM_400000_NS6detail17trampoline_kernelINS0_14default_configENS1_38merge_sort_block_merge_config_selectorIfNS0_10empty_typeEEEZZNS1_27merge_sort_block_merge_implIS3_N6thrust23THRUST_200600_302600_NS6detail15normal_iteratorINS9_10device_ptrIfEEEEPS5_jNS1_19radix_merge_compareILb0ELb0EfNS0_19identity_decomposerEEEEE10hipError_tT0_T1_T2_jT3_P12ihipStream_tbPNSt15iterator_traitsISK_E10value_typeEPNSQ_ISL_E10value_typeEPSM_NS1_7vsmem_tEENKUlT_SK_SL_SM_E_clIPfSE_SF_SF_EESJ_SZ_SK_SL_SM_EUlSZ_E0_NS1_11comp_targetILNS1_3genE0ELNS1_11target_archE4294967295ELNS1_3gpuE0ELNS1_3repE0EEENS1_38merge_mergepath_config_static_selectorELNS0_4arch9wavefront6targetE1EEEvSL_.num_named_barrier, 0
	.set _ZN7rocprim17ROCPRIM_400000_NS6detail17trampoline_kernelINS0_14default_configENS1_38merge_sort_block_merge_config_selectorIfNS0_10empty_typeEEEZZNS1_27merge_sort_block_merge_implIS3_N6thrust23THRUST_200600_302600_NS6detail15normal_iteratorINS9_10device_ptrIfEEEEPS5_jNS1_19radix_merge_compareILb0ELb0EfNS0_19identity_decomposerEEEEE10hipError_tT0_T1_T2_jT3_P12ihipStream_tbPNSt15iterator_traitsISK_E10value_typeEPNSQ_ISL_E10value_typeEPSM_NS1_7vsmem_tEENKUlT_SK_SL_SM_E_clIPfSE_SF_SF_EESJ_SZ_SK_SL_SM_EUlSZ_E0_NS1_11comp_targetILNS1_3genE0ELNS1_11target_archE4294967295ELNS1_3gpuE0ELNS1_3repE0EEENS1_38merge_mergepath_config_static_selectorELNS0_4arch9wavefront6targetE1EEEvSL_.private_seg_size, 0
	.set _ZN7rocprim17ROCPRIM_400000_NS6detail17trampoline_kernelINS0_14default_configENS1_38merge_sort_block_merge_config_selectorIfNS0_10empty_typeEEEZZNS1_27merge_sort_block_merge_implIS3_N6thrust23THRUST_200600_302600_NS6detail15normal_iteratorINS9_10device_ptrIfEEEEPS5_jNS1_19radix_merge_compareILb0ELb0EfNS0_19identity_decomposerEEEEE10hipError_tT0_T1_T2_jT3_P12ihipStream_tbPNSt15iterator_traitsISK_E10value_typeEPNSQ_ISL_E10value_typeEPSM_NS1_7vsmem_tEENKUlT_SK_SL_SM_E_clIPfSE_SF_SF_EESJ_SZ_SK_SL_SM_EUlSZ_E0_NS1_11comp_targetILNS1_3genE0ELNS1_11target_archE4294967295ELNS1_3gpuE0ELNS1_3repE0EEENS1_38merge_mergepath_config_static_selectorELNS0_4arch9wavefront6targetE1EEEvSL_.uses_vcc, 1
	.set _ZN7rocprim17ROCPRIM_400000_NS6detail17trampoline_kernelINS0_14default_configENS1_38merge_sort_block_merge_config_selectorIfNS0_10empty_typeEEEZZNS1_27merge_sort_block_merge_implIS3_N6thrust23THRUST_200600_302600_NS6detail15normal_iteratorINS9_10device_ptrIfEEEEPS5_jNS1_19radix_merge_compareILb0ELb0EfNS0_19identity_decomposerEEEEE10hipError_tT0_T1_T2_jT3_P12ihipStream_tbPNSt15iterator_traitsISK_E10value_typeEPNSQ_ISL_E10value_typeEPSM_NS1_7vsmem_tEENKUlT_SK_SL_SM_E_clIPfSE_SF_SF_EESJ_SZ_SK_SL_SM_EUlSZ_E0_NS1_11comp_targetILNS1_3genE0ELNS1_11target_archE4294967295ELNS1_3gpuE0ELNS1_3repE0EEENS1_38merge_mergepath_config_static_selectorELNS0_4arch9wavefront6targetE1EEEvSL_.uses_flat_scratch, 0
	.set _ZN7rocprim17ROCPRIM_400000_NS6detail17trampoline_kernelINS0_14default_configENS1_38merge_sort_block_merge_config_selectorIfNS0_10empty_typeEEEZZNS1_27merge_sort_block_merge_implIS3_N6thrust23THRUST_200600_302600_NS6detail15normal_iteratorINS9_10device_ptrIfEEEEPS5_jNS1_19radix_merge_compareILb0ELb0EfNS0_19identity_decomposerEEEEE10hipError_tT0_T1_T2_jT3_P12ihipStream_tbPNSt15iterator_traitsISK_E10value_typeEPNSQ_ISL_E10value_typeEPSM_NS1_7vsmem_tEENKUlT_SK_SL_SM_E_clIPfSE_SF_SF_EESJ_SZ_SK_SL_SM_EUlSZ_E0_NS1_11comp_targetILNS1_3genE0ELNS1_11target_archE4294967295ELNS1_3gpuE0ELNS1_3repE0EEENS1_38merge_mergepath_config_static_selectorELNS0_4arch9wavefront6targetE1EEEvSL_.has_dyn_sized_stack, 0
	.set _ZN7rocprim17ROCPRIM_400000_NS6detail17trampoline_kernelINS0_14default_configENS1_38merge_sort_block_merge_config_selectorIfNS0_10empty_typeEEEZZNS1_27merge_sort_block_merge_implIS3_N6thrust23THRUST_200600_302600_NS6detail15normal_iteratorINS9_10device_ptrIfEEEEPS5_jNS1_19radix_merge_compareILb0ELb0EfNS0_19identity_decomposerEEEEE10hipError_tT0_T1_T2_jT3_P12ihipStream_tbPNSt15iterator_traitsISK_E10value_typeEPNSQ_ISL_E10value_typeEPSM_NS1_7vsmem_tEENKUlT_SK_SL_SM_E_clIPfSE_SF_SF_EESJ_SZ_SK_SL_SM_EUlSZ_E0_NS1_11comp_targetILNS1_3genE0ELNS1_11target_archE4294967295ELNS1_3gpuE0ELNS1_3repE0EEENS1_38merge_mergepath_config_static_selectorELNS0_4arch9wavefront6targetE1EEEvSL_.has_recursion, 0
	.set _ZN7rocprim17ROCPRIM_400000_NS6detail17trampoline_kernelINS0_14default_configENS1_38merge_sort_block_merge_config_selectorIfNS0_10empty_typeEEEZZNS1_27merge_sort_block_merge_implIS3_N6thrust23THRUST_200600_302600_NS6detail15normal_iteratorINS9_10device_ptrIfEEEEPS5_jNS1_19radix_merge_compareILb0ELb0EfNS0_19identity_decomposerEEEEE10hipError_tT0_T1_T2_jT3_P12ihipStream_tbPNSt15iterator_traitsISK_E10value_typeEPNSQ_ISL_E10value_typeEPSM_NS1_7vsmem_tEENKUlT_SK_SL_SM_E_clIPfSE_SF_SF_EESJ_SZ_SK_SL_SM_EUlSZ_E0_NS1_11comp_targetILNS1_3genE0ELNS1_11target_archE4294967295ELNS1_3gpuE0ELNS1_3repE0EEENS1_38merge_mergepath_config_static_selectorELNS0_4arch9wavefront6targetE1EEEvSL_.has_indirect_call, 0
	.section	.AMDGPU.csdata,"",@progbits
; Kernel info:
; codeLenInByte = 3860
; TotalNumSgprs: 34
; NumVgprs: 26
; NumAgprs: 0
; TotalNumVgprs: 26
; ScratchSize: 0
; MemoryBound: 0
; FloatMode: 240
; IeeeMode: 1
; LDSByteSize: 4224 bytes/workgroup (compile time only)
; SGPRBlocks: 4
; VGPRBlocks: 3
; NumSGPRsForWavesPerEU: 34
; NumVGPRsForWavesPerEU: 26
; AccumOffset: 28
; Occupancy: 8
; WaveLimiterHint : 1
; COMPUTE_PGM_RSRC2:SCRATCH_EN: 0
; COMPUTE_PGM_RSRC2:USER_SGPR: 2
; COMPUTE_PGM_RSRC2:TRAP_HANDLER: 0
; COMPUTE_PGM_RSRC2:TGID_X_EN: 1
; COMPUTE_PGM_RSRC2:TGID_Y_EN: 1
; COMPUTE_PGM_RSRC2:TGID_Z_EN: 1
; COMPUTE_PGM_RSRC2:TIDIG_COMP_CNT: 0
; COMPUTE_PGM_RSRC3_GFX90A:ACCUM_OFFSET: 6
; COMPUTE_PGM_RSRC3_GFX90A:TG_SPLIT: 0
	.section	.text._ZN7rocprim17ROCPRIM_400000_NS6detail17trampoline_kernelINS0_14default_configENS1_38merge_sort_block_merge_config_selectorIfNS0_10empty_typeEEEZZNS1_27merge_sort_block_merge_implIS3_N6thrust23THRUST_200600_302600_NS6detail15normal_iteratorINS9_10device_ptrIfEEEEPS5_jNS1_19radix_merge_compareILb0ELb0EfNS0_19identity_decomposerEEEEE10hipError_tT0_T1_T2_jT3_P12ihipStream_tbPNSt15iterator_traitsISK_E10value_typeEPNSQ_ISL_E10value_typeEPSM_NS1_7vsmem_tEENKUlT_SK_SL_SM_E_clIPfSE_SF_SF_EESJ_SZ_SK_SL_SM_EUlSZ_E0_NS1_11comp_targetILNS1_3genE10ELNS1_11target_archE1201ELNS1_3gpuE5ELNS1_3repE0EEENS1_38merge_mergepath_config_static_selectorELNS0_4arch9wavefront6targetE1EEEvSL_,"axG",@progbits,_ZN7rocprim17ROCPRIM_400000_NS6detail17trampoline_kernelINS0_14default_configENS1_38merge_sort_block_merge_config_selectorIfNS0_10empty_typeEEEZZNS1_27merge_sort_block_merge_implIS3_N6thrust23THRUST_200600_302600_NS6detail15normal_iteratorINS9_10device_ptrIfEEEEPS5_jNS1_19radix_merge_compareILb0ELb0EfNS0_19identity_decomposerEEEEE10hipError_tT0_T1_T2_jT3_P12ihipStream_tbPNSt15iterator_traitsISK_E10value_typeEPNSQ_ISL_E10value_typeEPSM_NS1_7vsmem_tEENKUlT_SK_SL_SM_E_clIPfSE_SF_SF_EESJ_SZ_SK_SL_SM_EUlSZ_E0_NS1_11comp_targetILNS1_3genE10ELNS1_11target_archE1201ELNS1_3gpuE5ELNS1_3repE0EEENS1_38merge_mergepath_config_static_selectorELNS0_4arch9wavefront6targetE1EEEvSL_,comdat
	.protected	_ZN7rocprim17ROCPRIM_400000_NS6detail17trampoline_kernelINS0_14default_configENS1_38merge_sort_block_merge_config_selectorIfNS0_10empty_typeEEEZZNS1_27merge_sort_block_merge_implIS3_N6thrust23THRUST_200600_302600_NS6detail15normal_iteratorINS9_10device_ptrIfEEEEPS5_jNS1_19radix_merge_compareILb0ELb0EfNS0_19identity_decomposerEEEEE10hipError_tT0_T1_T2_jT3_P12ihipStream_tbPNSt15iterator_traitsISK_E10value_typeEPNSQ_ISL_E10value_typeEPSM_NS1_7vsmem_tEENKUlT_SK_SL_SM_E_clIPfSE_SF_SF_EESJ_SZ_SK_SL_SM_EUlSZ_E0_NS1_11comp_targetILNS1_3genE10ELNS1_11target_archE1201ELNS1_3gpuE5ELNS1_3repE0EEENS1_38merge_mergepath_config_static_selectorELNS0_4arch9wavefront6targetE1EEEvSL_ ; -- Begin function _ZN7rocprim17ROCPRIM_400000_NS6detail17trampoline_kernelINS0_14default_configENS1_38merge_sort_block_merge_config_selectorIfNS0_10empty_typeEEEZZNS1_27merge_sort_block_merge_implIS3_N6thrust23THRUST_200600_302600_NS6detail15normal_iteratorINS9_10device_ptrIfEEEEPS5_jNS1_19radix_merge_compareILb0ELb0EfNS0_19identity_decomposerEEEEE10hipError_tT0_T1_T2_jT3_P12ihipStream_tbPNSt15iterator_traitsISK_E10value_typeEPNSQ_ISL_E10value_typeEPSM_NS1_7vsmem_tEENKUlT_SK_SL_SM_E_clIPfSE_SF_SF_EESJ_SZ_SK_SL_SM_EUlSZ_E0_NS1_11comp_targetILNS1_3genE10ELNS1_11target_archE1201ELNS1_3gpuE5ELNS1_3repE0EEENS1_38merge_mergepath_config_static_selectorELNS0_4arch9wavefront6targetE1EEEvSL_
	.globl	_ZN7rocprim17ROCPRIM_400000_NS6detail17trampoline_kernelINS0_14default_configENS1_38merge_sort_block_merge_config_selectorIfNS0_10empty_typeEEEZZNS1_27merge_sort_block_merge_implIS3_N6thrust23THRUST_200600_302600_NS6detail15normal_iteratorINS9_10device_ptrIfEEEEPS5_jNS1_19radix_merge_compareILb0ELb0EfNS0_19identity_decomposerEEEEE10hipError_tT0_T1_T2_jT3_P12ihipStream_tbPNSt15iterator_traitsISK_E10value_typeEPNSQ_ISL_E10value_typeEPSM_NS1_7vsmem_tEENKUlT_SK_SL_SM_E_clIPfSE_SF_SF_EESJ_SZ_SK_SL_SM_EUlSZ_E0_NS1_11comp_targetILNS1_3genE10ELNS1_11target_archE1201ELNS1_3gpuE5ELNS1_3repE0EEENS1_38merge_mergepath_config_static_selectorELNS0_4arch9wavefront6targetE1EEEvSL_
	.p2align	8
	.type	_ZN7rocprim17ROCPRIM_400000_NS6detail17trampoline_kernelINS0_14default_configENS1_38merge_sort_block_merge_config_selectorIfNS0_10empty_typeEEEZZNS1_27merge_sort_block_merge_implIS3_N6thrust23THRUST_200600_302600_NS6detail15normal_iteratorINS9_10device_ptrIfEEEEPS5_jNS1_19radix_merge_compareILb0ELb0EfNS0_19identity_decomposerEEEEE10hipError_tT0_T1_T2_jT3_P12ihipStream_tbPNSt15iterator_traitsISK_E10value_typeEPNSQ_ISL_E10value_typeEPSM_NS1_7vsmem_tEENKUlT_SK_SL_SM_E_clIPfSE_SF_SF_EESJ_SZ_SK_SL_SM_EUlSZ_E0_NS1_11comp_targetILNS1_3genE10ELNS1_11target_archE1201ELNS1_3gpuE5ELNS1_3repE0EEENS1_38merge_mergepath_config_static_selectorELNS0_4arch9wavefront6targetE1EEEvSL_,@function
_ZN7rocprim17ROCPRIM_400000_NS6detail17trampoline_kernelINS0_14default_configENS1_38merge_sort_block_merge_config_selectorIfNS0_10empty_typeEEEZZNS1_27merge_sort_block_merge_implIS3_N6thrust23THRUST_200600_302600_NS6detail15normal_iteratorINS9_10device_ptrIfEEEEPS5_jNS1_19radix_merge_compareILb0ELb0EfNS0_19identity_decomposerEEEEE10hipError_tT0_T1_T2_jT3_P12ihipStream_tbPNSt15iterator_traitsISK_E10value_typeEPNSQ_ISL_E10value_typeEPSM_NS1_7vsmem_tEENKUlT_SK_SL_SM_E_clIPfSE_SF_SF_EESJ_SZ_SK_SL_SM_EUlSZ_E0_NS1_11comp_targetILNS1_3genE10ELNS1_11target_archE1201ELNS1_3gpuE5ELNS1_3repE0EEENS1_38merge_mergepath_config_static_selectorELNS0_4arch9wavefront6targetE1EEEvSL_: ; @_ZN7rocprim17ROCPRIM_400000_NS6detail17trampoline_kernelINS0_14default_configENS1_38merge_sort_block_merge_config_selectorIfNS0_10empty_typeEEEZZNS1_27merge_sort_block_merge_implIS3_N6thrust23THRUST_200600_302600_NS6detail15normal_iteratorINS9_10device_ptrIfEEEEPS5_jNS1_19radix_merge_compareILb0ELb0EfNS0_19identity_decomposerEEEEE10hipError_tT0_T1_T2_jT3_P12ihipStream_tbPNSt15iterator_traitsISK_E10value_typeEPNSQ_ISL_E10value_typeEPSM_NS1_7vsmem_tEENKUlT_SK_SL_SM_E_clIPfSE_SF_SF_EESJ_SZ_SK_SL_SM_EUlSZ_E0_NS1_11comp_targetILNS1_3genE10ELNS1_11target_archE1201ELNS1_3gpuE5ELNS1_3repE0EEENS1_38merge_mergepath_config_static_selectorELNS0_4arch9wavefront6targetE1EEEvSL_
; %bb.0:
	.section	.rodata,"a",@progbits
	.p2align	6, 0x0
	.amdhsa_kernel _ZN7rocprim17ROCPRIM_400000_NS6detail17trampoline_kernelINS0_14default_configENS1_38merge_sort_block_merge_config_selectorIfNS0_10empty_typeEEEZZNS1_27merge_sort_block_merge_implIS3_N6thrust23THRUST_200600_302600_NS6detail15normal_iteratorINS9_10device_ptrIfEEEEPS5_jNS1_19radix_merge_compareILb0ELb0EfNS0_19identity_decomposerEEEEE10hipError_tT0_T1_T2_jT3_P12ihipStream_tbPNSt15iterator_traitsISK_E10value_typeEPNSQ_ISL_E10value_typeEPSM_NS1_7vsmem_tEENKUlT_SK_SL_SM_E_clIPfSE_SF_SF_EESJ_SZ_SK_SL_SM_EUlSZ_E0_NS1_11comp_targetILNS1_3genE10ELNS1_11target_archE1201ELNS1_3gpuE5ELNS1_3repE0EEENS1_38merge_mergepath_config_static_selectorELNS0_4arch9wavefront6targetE1EEEvSL_
		.amdhsa_group_segment_fixed_size 0
		.amdhsa_private_segment_fixed_size 0
		.amdhsa_kernarg_size 64
		.amdhsa_user_sgpr_count 2
		.amdhsa_user_sgpr_dispatch_ptr 0
		.amdhsa_user_sgpr_queue_ptr 0
		.amdhsa_user_sgpr_kernarg_segment_ptr 1
		.amdhsa_user_sgpr_dispatch_id 0
		.amdhsa_user_sgpr_kernarg_preload_length 0
		.amdhsa_user_sgpr_kernarg_preload_offset 0
		.amdhsa_user_sgpr_private_segment_size 0
		.amdhsa_uses_dynamic_stack 0
		.amdhsa_enable_private_segment 0
		.amdhsa_system_sgpr_workgroup_id_x 1
		.amdhsa_system_sgpr_workgroup_id_y 0
		.amdhsa_system_sgpr_workgroup_id_z 0
		.amdhsa_system_sgpr_workgroup_info 0
		.amdhsa_system_vgpr_workitem_id 0
		.amdhsa_next_free_vgpr 1
		.amdhsa_next_free_sgpr 0
		.amdhsa_accum_offset 4
		.amdhsa_reserve_vcc 0
		.amdhsa_float_round_mode_32 0
		.amdhsa_float_round_mode_16_64 0
		.amdhsa_float_denorm_mode_32 3
		.amdhsa_float_denorm_mode_16_64 3
		.amdhsa_dx10_clamp 1
		.amdhsa_ieee_mode 1
		.amdhsa_fp16_overflow 0
		.amdhsa_tg_split 0
		.amdhsa_exception_fp_ieee_invalid_op 0
		.amdhsa_exception_fp_denorm_src 0
		.amdhsa_exception_fp_ieee_div_zero 0
		.amdhsa_exception_fp_ieee_overflow 0
		.amdhsa_exception_fp_ieee_underflow 0
		.amdhsa_exception_fp_ieee_inexact 0
		.amdhsa_exception_int_div_zero 0
	.end_amdhsa_kernel
	.section	.text._ZN7rocprim17ROCPRIM_400000_NS6detail17trampoline_kernelINS0_14default_configENS1_38merge_sort_block_merge_config_selectorIfNS0_10empty_typeEEEZZNS1_27merge_sort_block_merge_implIS3_N6thrust23THRUST_200600_302600_NS6detail15normal_iteratorINS9_10device_ptrIfEEEEPS5_jNS1_19radix_merge_compareILb0ELb0EfNS0_19identity_decomposerEEEEE10hipError_tT0_T1_T2_jT3_P12ihipStream_tbPNSt15iterator_traitsISK_E10value_typeEPNSQ_ISL_E10value_typeEPSM_NS1_7vsmem_tEENKUlT_SK_SL_SM_E_clIPfSE_SF_SF_EESJ_SZ_SK_SL_SM_EUlSZ_E0_NS1_11comp_targetILNS1_3genE10ELNS1_11target_archE1201ELNS1_3gpuE5ELNS1_3repE0EEENS1_38merge_mergepath_config_static_selectorELNS0_4arch9wavefront6targetE1EEEvSL_,"axG",@progbits,_ZN7rocprim17ROCPRIM_400000_NS6detail17trampoline_kernelINS0_14default_configENS1_38merge_sort_block_merge_config_selectorIfNS0_10empty_typeEEEZZNS1_27merge_sort_block_merge_implIS3_N6thrust23THRUST_200600_302600_NS6detail15normal_iteratorINS9_10device_ptrIfEEEEPS5_jNS1_19radix_merge_compareILb0ELb0EfNS0_19identity_decomposerEEEEE10hipError_tT0_T1_T2_jT3_P12ihipStream_tbPNSt15iterator_traitsISK_E10value_typeEPNSQ_ISL_E10value_typeEPSM_NS1_7vsmem_tEENKUlT_SK_SL_SM_E_clIPfSE_SF_SF_EESJ_SZ_SK_SL_SM_EUlSZ_E0_NS1_11comp_targetILNS1_3genE10ELNS1_11target_archE1201ELNS1_3gpuE5ELNS1_3repE0EEENS1_38merge_mergepath_config_static_selectorELNS0_4arch9wavefront6targetE1EEEvSL_,comdat
.Lfunc_end484:
	.size	_ZN7rocprim17ROCPRIM_400000_NS6detail17trampoline_kernelINS0_14default_configENS1_38merge_sort_block_merge_config_selectorIfNS0_10empty_typeEEEZZNS1_27merge_sort_block_merge_implIS3_N6thrust23THRUST_200600_302600_NS6detail15normal_iteratorINS9_10device_ptrIfEEEEPS5_jNS1_19radix_merge_compareILb0ELb0EfNS0_19identity_decomposerEEEEE10hipError_tT0_T1_T2_jT3_P12ihipStream_tbPNSt15iterator_traitsISK_E10value_typeEPNSQ_ISL_E10value_typeEPSM_NS1_7vsmem_tEENKUlT_SK_SL_SM_E_clIPfSE_SF_SF_EESJ_SZ_SK_SL_SM_EUlSZ_E0_NS1_11comp_targetILNS1_3genE10ELNS1_11target_archE1201ELNS1_3gpuE5ELNS1_3repE0EEENS1_38merge_mergepath_config_static_selectorELNS0_4arch9wavefront6targetE1EEEvSL_, .Lfunc_end484-_ZN7rocprim17ROCPRIM_400000_NS6detail17trampoline_kernelINS0_14default_configENS1_38merge_sort_block_merge_config_selectorIfNS0_10empty_typeEEEZZNS1_27merge_sort_block_merge_implIS3_N6thrust23THRUST_200600_302600_NS6detail15normal_iteratorINS9_10device_ptrIfEEEEPS5_jNS1_19radix_merge_compareILb0ELb0EfNS0_19identity_decomposerEEEEE10hipError_tT0_T1_T2_jT3_P12ihipStream_tbPNSt15iterator_traitsISK_E10value_typeEPNSQ_ISL_E10value_typeEPSM_NS1_7vsmem_tEENKUlT_SK_SL_SM_E_clIPfSE_SF_SF_EESJ_SZ_SK_SL_SM_EUlSZ_E0_NS1_11comp_targetILNS1_3genE10ELNS1_11target_archE1201ELNS1_3gpuE5ELNS1_3repE0EEENS1_38merge_mergepath_config_static_selectorELNS0_4arch9wavefront6targetE1EEEvSL_
                                        ; -- End function
	.set _ZN7rocprim17ROCPRIM_400000_NS6detail17trampoline_kernelINS0_14default_configENS1_38merge_sort_block_merge_config_selectorIfNS0_10empty_typeEEEZZNS1_27merge_sort_block_merge_implIS3_N6thrust23THRUST_200600_302600_NS6detail15normal_iteratorINS9_10device_ptrIfEEEEPS5_jNS1_19radix_merge_compareILb0ELb0EfNS0_19identity_decomposerEEEEE10hipError_tT0_T1_T2_jT3_P12ihipStream_tbPNSt15iterator_traitsISK_E10value_typeEPNSQ_ISL_E10value_typeEPSM_NS1_7vsmem_tEENKUlT_SK_SL_SM_E_clIPfSE_SF_SF_EESJ_SZ_SK_SL_SM_EUlSZ_E0_NS1_11comp_targetILNS1_3genE10ELNS1_11target_archE1201ELNS1_3gpuE5ELNS1_3repE0EEENS1_38merge_mergepath_config_static_selectorELNS0_4arch9wavefront6targetE1EEEvSL_.num_vgpr, 0
	.set _ZN7rocprim17ROCPRIM_400000_NS6detail17trampoline_kernelINS0_14default_configENS1_38merge_sort_block_merge_config_selectorIfNS0_10empty_typeEEEZZNS1_27merge_sort_block_merge_implIS3_N6thrust23THRUST_200600_302600_NS6detail15normal_iteratorINS9_10device_ptrIfEEEEPS5_jNS1_19radix_merge_compareILb0ELb0EfNS0_19identity_decomposerEEEEE10hipError_tT0_T1_T2_jT3_P12ihipStream_tbPNSt15iterator_traitsISK_E10value_typeEPNSQ_ISL_E10value_typeEPSM_NS1_7vsmem_tEENKUlT_SK_SL_SM_E_clIPfSE_SF_SF_EESJ_SZ_SK_SL_SM_EUlSZ_E0_NS1_11comp_targetILNS1_3genE10ELNS1_11target_archE1201ELNS1_3gpuE5ELNS1_3repE0EEENS1_38merge_mergepath_config_static_selectorELNS0_4arch9wavefront6targetE1EEEvSL_.num_agpr, 0
	.set _ZN7rocprim17ROCPRIM_400000_NS6detail17trampoline_kernelINS0_14default_configENS1_38merge_sort_block_merge_config_selectorIfNS0_10empty_typeEEEZZNS1_27merge_sort_block_merge_implIS3_N6thrust23THRUST_200600_302600_NS6detail15normal_iteratorINS9_10device_ptrIfEEEEPS5_jNS1_19radix_merge_compareILb0ELb0EfNS0_19identity_decomposerEEEEE10hipError_tT0_T1_T2_jT3_P12ihipStream_tbPNSt15iterator_traitsISK_E10value_typeEPNSQ_ISL_E10value_typeEPSM_NS1_7vsmem_tEENKUlT_SK_SL_SM_E_clIPfSE_SF_SF_EESJ_SZ_SK_SL_SM_EUlSZ_E0_NS1_11comp_targetILNS1_3genE10ELNS1_11target_archE1201ELNS1_3gpuE5ELNS1_3repE0EEENS1_38merge_mergepath_config_static_selectorELNS0_4arch9wavefront6targetE1EEEvSL_.numbered_sgpr, 0
	.set _ZN7rocprim17ROCPRIM_400000_NS6detail17trampoline_kernelINS0_14default_configENS1_38merge_sort_block_merge_config_selectorIfNS0_10empty_typeEEEZZNS1_27merge_sort_block_merge_implIS3_N6thrust23THRUST_200600_302600_NS6detail15normal_iteratorINS9_10device_ptrIfEEEEPS5_jNS1_19radix_merge_compareILb0ELb0EfNS0_19identity_decomposerEEEEE10hipError_tT0_T1_T2_jT3_P12ihipStream_tbPNSt15iterator_traitsISK_E10value_typeEPNSQ_ISL_E10value_typeEPSM_NS1_7vsmem_tEENKUlT_SK_SL_SM_E_clIPfSE_SF_SF_EESJ_SZ_SK_SL_SM_EUlSZ_E0_NS1_11comp_targetILNS1_3genE10ELNS1_11target_archE1201ELNS1_3gpuE5ELNS1_3repE0EEENS1_38merge_mergepath_config_static_selectorELNS0_4arch9wavefront6targetE1EEEvSL_.num_named_barrier, 0
	.set _ZN7rocprim17ROCPRIM_400000_NS6detail17trampoline_kernelINS0_14default_configENS1_38merge_sort_block_merge_config_selectorIfNS0_10empty_typeEEEZZNS1_27merge_sort_block_merge_implIS3_N6thrust23THRUST_200600_302600_NS6detail15normal_iteratorINS9_10device_ptrIfEEEEPS5_jNS1_19radix_merge_compareILb0ELb0EfNS0_19identity_decomposerEEEEE10hipError_tT0_T1_T2_jT3_P12ihipStream_tbPNSt15iterator_traitsISK_E10value_typeEPNSQ_ISL_E10value_typeEPSM_NS1_7vsmem_tEENKUlT_SK_SL_SM_E_clIPfSE_SF_SF_EESJ_SZ_SK_SL_SM_EUlSZ_E0_NS1_11comp_targetILNS1_3genE10ELNS1_11target_archE1201ELNS1_3gpuE5ELNS1_3repE0EEENS1_38merge_mergepath_config_static_selectorELNS0_4arch9wavefront6targetE1EEEvSL_.private_seg_size, 0
	.set _ZN7rocprim17ROCPRIM_400000_NS6detail17trampoline_kernelINS0_14default_configENS1_38merge_sort_block_merge_config_selectorIfNS0_10empty_typeEEEZZNS1_27merge_sort_block_merge_implIS3_N6thrust23THRUST_200600_302600_NS6detail15normal_iteratorINS9_10device_ptrIfEEEEPS5_jNS1_19radix_merge_compareILb0ELb0EfNS0_19identity_decomposerEEEEE10hipError_tT0_T1_T2_jT3_P12ihipStream_tbPNSt15iterator_traitsISK_E10value_typeEPNSQ_ISL_E10value_typeEPSM_NS1_7vsmem_tEENKUlT_SK_SL_SM_E_clIPfSE_SF_SF_EESJ_SZ_SK_SL_SM_EUlSZ_E0_NS1_11comp_targetILNS1_3genE10ELNS1_11target_archE1201ELNS1_3gpuE5ELNS1_3repE0EEENS1_38merge_mergepath_config_static_selectorELNS0_4arch9wavefront6targetE1EEEvSL_.uses_vcc, 0
	.set _ZN7rocprim17ROCPRIM_400000_NS6detail17trampoline_kernelINS0_14default_configENS1_38merge_sort_block_merge_config_selectorIfNS0_10empty_typeEEEZZNS1_27merge_sort_block_merge_implIS3_N6thrust23THRUST_200600_302600_NS6detail15normal_iteratorINS9_10device_ptrIfEEEEPS5_jNS1_19radix_merge_compareILb0ELb0EfNS0_19identity_decomposerEEEEE10hipError_tT0_T1_T2_jT3_P12ihipStream_tbPNSt15iterator_traitsISK_E10value_typeEPNSQ_ISL_E10value_typeEPSM_NS1_7vsmem_tEENKUlT_SK_SL_SM_E_clIPfSE_SF_SF_EESJ_SZ_SK_SL_SM_EUlSZ_E0_NS1_11comp_targetILNS1_3genE10ELNS1_11target_archE1201ELNS1_3gpuE5ELNS1_3repE0EEENS1_38merge_mergepath_config_static_selectorELNS0_4arch9wavefront6targetE1EEEvSL_.uses_flat_scratch, 0
	.set _ZN7rocprim17ROCPRIM_400000_NS6detail17trampoline_kernelINS0_14default_configENS1_38merge_sort_block_merge_config_selectorIfNS0_10empty_typeEEEZZNS1_27merge_sort_block_merge_implIS3_N6thrust23THRUST_200600_302600_NS6detail15normal_iteratorINS9_10device_ptrIfEEEEPS5_jNS1_19radix_merge_compareILb0ELb0EfNS0_19identity_decomposerEEEEE10hipError_tT0_T1_T2_jT3_P12ihipStream_tbPNSt15iterator_traitsISK_E10value_typeEPNSQ_ISL_E10value_typeEPSM_NS1_7vsmem_tEENKUlT_SK_SL_SM_E_clIPfSE_SF_SF_EESJ_SZ_SK_SL_SM_EUlSZ_E0_NS1_11comp_targetILNS1_3genE10ELNS1_11target_archE1201ELNS1_3gpuE5ELNS1_3repE0EEENS1_38merge_mergepath_config_static_selectorELNS0_4arch9wavefront6targetE1EEEvSL_.has_dyn_sized_stack, 0
	.set _ZN7rocprim17ROCPRIM_400000_NS6detail17trampoline_kernelINS0_14default_configENS1_38merge_sort_block_merge_config_selectorIfNS0_10empty_typeEEEZZNS1_27merge_sort_block_merge_implIS3_N6thrust23THRUST_200600_302600_NS6detail15normal_iteratorINS9_10device_ptrIfEEEEPS5_jNS1_19radix_merge_compareILb0ELb0EfNS0_19identity_decomposerEEEEE10hipError_tT0_T1_T2_jT3_P12ihipStream_tbPNSt15iterator_traitsISK_E10value_typeEPNSQ_ISL_E10value_typeEPSM_NS1_7vsmem_tEENKUlT_SK_SL_SM_E_clIPfSE_SF_SF_EESJ_SZ_SK_SL_SM_EUlSZ_E0_NS1_11comp_targetILNS1_3genE10ELNS1_11target_archE1201ELNS1_3gpuE5ELNS1_3repE0EEENS1_38merge_mergepath_config_static_selectorELNS0_4arch9wavefront6targetE1EEEvSL_.has_recursion, 0
	.set _ZN7rocprim17ROCPRIM_400000_NS6detail17trampoline_kernelINS0_14default_configENS1_38merge_sort_block_merge_config_selectorIfNS0_10empty_typeEEEZZNS1_27merge_sort_block_merge_implIS3_N6thrust23THRUST_200600_302600_NS6detail15normal_iteratorINS9_10device_ptrIfEEEEPS5_jNS1_19radix_merge_compareILb0ELb0EfNS0_19identity_decomposerEEEEE10hipError_tT0_T1_T2_jT3_P12ihipStream_tbPNSt15iterator_traitsISK_E10value_typeEPNSQ_ISL_E10value_typeEPSM_NS1_7vsmem_tEENKUlT_SK_SL_SM_E_clIPfSE_SF_SF_EESJ_SZ_SK_SL_SM_EUlSZ_E0_NS1_11comp_targetILNS1_3genE10ELNS1_11target_archE1201ELNS1_3gpuE5ELNS1_3repE0EEENS1_38merge_mergepath_config_static_selectorELNS0_4arch9wavefront6targetE1EEEvSL_.has_indirect_call, 0
	.section	.AMDGPU.csdata,"",@progbits
; Kernel info:
; codeLenInByte = 0
; TotalNumSgprs: 6
; NumVgprs: 0
; NumAgprs: 0
; TotalNumVgprs: 0
; ScratchSize: 0
; MemoryBound: 0
; FloatMode: 240
; IeeeMode: 1
; LDSByteSize: 0 bytes/workgroup (compile time only)
; SGPRBlocks: 0
; VGPRBlocks: 0
; NumSGPRsForWavesPerEU: 6
; NumVGPRsForWavesPerEU: 1
; AccumOffset: 4
; Occupancy: 8
; WaveLimiterHint : 0
; COMPUTE_PGM_RSRC2:SCRATCH_EN: 0
; COMPUTE_PGM_RSRC2:USER_SGPR: 2
; COMPUTE_PGM_RSRC2:TRAP_HANDLER: 0
; COMPUTE_PGM_RSRC2:TGID_X_EN: 1
; COMPUTE_PGM_RSRC2:TGID_Y_EN: 0
; COMPUTE_PGM_RSRC2:TGID_Z_EN: 0
; COMPUTE_PGM_RSRC2:TIDIG_COMP_CNT: 0
; COMPUTE_PGM_RSRC3_GFX90A:ACCUM_OFFSET: 0
; COMPUTE_PGM_RSRC3_GFX90A:TG_SPLIT: 0
	.section	.text._ZN7rocprim17ROCPRIM_400000_NS6detail17trampoline_kernelINS0_14default_configENS1_38merge_sort_block_merge_config_selectorIfNS0_10empty_typeEEEZZNS1_27merge_sort_block_merge_implIS3_N6thrust23THRUST_200600_302600_NS6detail15normal_iteratorINS9_10device_ptrIfEEEEPS5_jNS1_19radix_merge_compareILb0ELb0EfNS0_19identity_decomposerEEEEE10hipError_tT0_T1_T2_jT3_P12ihipStream_tbPNSt15iterator_traitsISK_E10value_typeEPNSQ_ISL_E10value_typeEPSM_NS1_7vsmem_tEENKUlT_SK_SL_SM_E_clIPfSE_SF_SF_EESJ_SZ_SK_SL_SM_EUlSZ_E0_NS1_11comp_targetILNS1_3genE5ELNS1_11target_archE942ELNS1_3gpuE9ELNS1_3repE0EEENS1_38merge_mergepath_config_static_selectorELNS0_4arch9wavefront6targetE1EEEvSL_,"axG",@progbits,_ZN7rocprim17ROCPRIM_400000_NS6detail17trampoline_kernelINS0_14default_configENS1_38merge_sort_block_merge_config_selectorIfNS0_10empty_typeEEEZZNS1_27merge_sort_block_merge_implIS3_N6thrust23THRUST_200600_302600_NS6detail15normal_iteratorINS9_10device_ptrIfEEEEPS5_jNS1_19radix_merge_compareILb0ELb0EfNS0_19identity_decomposerEEEEE10hipError_tT0_T1_T2_jT3_P12ihipStream_tbPNSt15iterator_traitsISK_E10value_typeEPNSQ_ISL_E10value_typeEPSM_NS1_7vsmem_tEENKUlT_SK_SL_SM_E_clIPfSE_SF_SF_EESJ_SZ_SK_SL_SM_EUlSZ_E0_NS1_11comp_targetILNS1_3genE5ELNS1_11target_archE942ELNS1_3gpuE9ELNS1_3repE0EEENS1_38merge_mergepath_config_static_selectorELNS0_4arch9wavefront6targetE1EEEvSL_,comdat
	.protected	_ZN7rocprim17ROCPRIM_400000_NS6detail17trampoline_kernelINS0_14default_configENS1_38merge_sort_block_merge_config_selectorIfNS0_10empty_typeEEEZZNS1_27merge_sort_block_merge_implIS3_N6thrust23THRUST_200600_302600_NS6detail15normal_iteratorINS9_10device_ptrIfEEEEPS5_jNS1_19radix_merge_compareILb0ELb0EfNS0_19identity_decomposerEEEEE10hipError_tT0_T1_T2_jT3_P12ihipStream_tbPNSt15iterator_traitsISK_E10value_typeEPNSQ_ISL_E10value_typeEPSM_NS1_7vsmem_tEENKUlT_SK_SL_SM_E_clIPfSE_SF_SF_EESJ_SZ_SK_SL_SM_EUlSZ_E0_NS1_11comp_targetILNS1_3genE5ELNS1_11target_archE942ELNS1_3gpuE9ELNS1_3repE0EEENS1_38merge_mergepath_config_static_selectorELNS0_4arch9wavefront6targetE1EEEvSL_ ; -- Begin function _ZN7rocprim17ROCPRIM_400000_NS6detail17trampoline_kernelINS0_14default_configENS1_38merge_sort_block_merge_config_selectorIfNS0_10empty_typeEEEZZNS1_27merge_sort_block_merge_implIS3_N6thrust23THRUST_200600_302600_NS6detail15normal_iteratorINS9_10device_ptrIfEEEEPS5_jNS1_19radix_merge_compareILb0ELb0EfNS0_19identity_decomposerEEEEE10hipError_tT0_T1_T2_jT3_P12ihipStream_tbPNSt15iterator_traitsISK_E10value_typeEPNSQ_ISL_E10value_typeEPSM_NS1_7vsmem_tEENKUlT_SK_SL_SM_E_clIPfSE_SF_SF_EESJ_SZ_SK_SL_SM_EUlSZ_E0_NS1_11comp_targetILNS1_3genE5ELNS1_11target_archE942ELNS1_3gpuE9ELNS1_3repE0EEENS1_38merge_mergepath_config_static_selectorELNS0_4arch9wavefront6targetE1EEEvSL_
	.globl	_ZN7rocprim17ROCPRIM_400000_NS6detail17trampoline_kernelINS0_14default_configENS1_38merge_sort_block_merge_config_selectorIfNS0_10empty_typeEEEZZNS1_27merge_sort_block_merge_implIS3_N6thrust23THRUST_200600_302600_NS6detail15normal_iteratorINS9_10device_ptrIfEEEEPS5_jNS1_19radix_merge_compareILb0ELb0EfNS0_19identity_decomposerEEEEE10hipError_tT0_T1_T2_jT3_P12ihipStream_tbPNSt15iterator_traitsISK_E10value_typeEPNSQ_ISL_E10value_typeEPSM_NS1_7vsmem_tEENKUlT_SK_SL_SM_E_clIPfSE_SF_SF_EESJ_SZ_SK_SL_SM_EUlSZ_E0_NS1_11comp_targetILNS1_3genE5ELNS1_11target_archE942ELNS1_3gpuE9ELNS1_3repE0EEENS1_38merge_mergepath_config_static_selectorELNS0_4arch9wavefront6targetE1EEEvSL_
	.p2align	8
	.type	_ZN7rocprim17ROCPRIM_400000_NS6detail17trampoline_kernelINS0_14default_configENS1_38merge_sort_block_merge_config_selectorIfNS0_10empty_typeEEEZZNS1_27merge_sort_block_merge_implIS3_N6thrust23THRUST_200600_302600_NS6detail15normal_iteratorINS9_10device_ptrIfEEEEPS5_jNS1_19radix_merge_compareILb0ELb0EfNS0_19identity_decomposerEEEEE10hipError_tT0_T1_T2_jT3_P12ihipStream_tbPNSt15iterator_traitsISK_E10value_typeEPNSQ_ISL_E10value_typeEPSM_NS1_7vsmem_tEENKUlT_SK_SL_SM_E_clIPfSE_SF_SF_EESJ_SZ_SK_SL_SM_EUlSZ_E0_NS1_11comp_targetILNS1_3genE5ELNS1_11target_archE942ELNS1_3gpuE9ELNS1_3repE0EEENS1_38merge_mergepath_config_static_selectorELNS0_4arch9wavefront6targetE1EEEvSL_,@function
_ZN7rocprim17ROCPRIM_400000_NS6detail17trampoline_kernelINS0_14default_configENS1_38merge_sort_block_merge_config_selectorIfNS0_10empty_typeEEEZZNS1_27merge_sort_block_merge_implIS3_N6thrust23THRUST_200600_302600_NS6detail15normal_iteratorINS9_10device_ptrIfEEEEPS5_jNS1_19radix_merge_compareILb0ELb0EfNS0_19identity_decomposerEEEEE10hipError_tT0_T1_T2_jT3_P12ihipStream_tbPNSt15iterator_traitsISK_E10value_typeEPNSQ_ISL_E10value_typeEPSM_NS1_7vsmem_tEENKUlT_SK_SL_SM_E_clIPfSE_SF_SF_EESJ_SZ_SK_SL_SM_EUlSZ_E0_NS1_11comp_targetILNS1_3genE5ELNS1_11target_archE942ELNS1_3gpuE9ELNS1_3repE0EEENS1_38merge_mergepath_config_static_selectorELNS0_4arch9wavefront6targetE1EEEvSL_: ; @_ZN7rocprim17ROCPRIM_400000_NS6detail17trampoline_kernelINS0_14default_configENS1_38merge_sort_block_merge_config_selectorIfNS0_10empty_typeEEEZZNS1_27merge_sort_block_merge_implIS3_N6thrust23THRUST_200600_302600_NS6detail15normal_iteratorINS9_10device_ptrIfEEEEPS5_jNS1_19radix_merge_compareILb0ELb0EfNS0_19identity_decomposerEEEEE10hipError_tT0_T1_T2_jT3_P12ihipStream_tbPNSt15iterator_traitsISK_E10value_typeEPNSQ_ISL_E10value_typeEPSM_NS1_7vsmem_tEENKUlT_SK_SL_SM_E_clIPfSE_SF_SF_EESJ_SZ_SK_SL_SM_EUlSZ_E0_NS1_11comp_targetILNS1_3genE5ELNS1_11target_archE942ELNS1_3gpuE9ELNS1_3repE0EEENS1_38merge_mergepath_config_static_selectorELNS0_4arch9wavefront6targetE1EEEvSL_
; %bb.0:
	.section	.rodata,"a",@progbits
	.p2align	6, 0x0
	.amdhsa_kernel _ZN7rocprim17ROCPRIM_400000_NS6detail17trampoline_kernelINS0_14default_configENS1_38merge_sort_block_merge_config_selectorIfNS0_10empty_typeEEEZZNS1_27merge_sort_block_merge_implIS3_N6thrust23THRUST_200600_302600_NS6detail15normal_iteratorINS9_10device_ptrIfEEEEPS5_jNS1_19radix_merge_compareILb0ELb0EfNS0_19identity_decomposerEEEEE10hipError_tT0_T1_T2_jT3_P12ihipStream_tbPNSt15iterator_traitsISK_E10value_typeEPNSQ_ISL_E10value_typeEPSM_NS1_7vsmem_tEENKUlT_SK_SL_SM_E_clIPfSE_SF_SF_EESJ_SZ_SK_SL_SM_EUlSZ_E0_NS1_11comp_targetILNS1_3genE5ELNS1_11target_archE942ELNS1_3gpuE9ELNS1_3repE0EEENS1_38merge_mergepath_config_static_selectorELNS0_4arch9wavefront6targetE1EEEvSL_
		.amdhsa_group_segment_fixed_size 0
		.amdhsa_private_segment_fixed_size 0
		.amdhsa_kernarg_size 64
		.amdhsa_user_sgpr_count 2
		.amdhsa_user_sgpr_dispatch_ptr 0
		.amdhsa_user_sgpr_queue_ptr 0
		.amdhsa_user_sgpr_kernarg_segment_ptr 1
		.amdhsa_user_sgpr_dispatch_id 0
		.amdhsa_user_sgpr_kernarg_preload_length 0
		.amdhsa_user_sgpr_kernarg_preload_offset 0
		.amdhsa_user_sgpr_private_segment_size 0
		.amdhsa_uses_dynamic_stack 0
		.amdhsa_enable_private_segment 0
		.amdhsa_system_sgpr_workgroup_id_x 1
		.amdhsa_system_sgpr_workgroup_id_y 0
		.amdhsa_system_sgpr_workgroup_id_z 0
		.amdhsa_system_sgpr_workgroup_info 0
		.amdhsa_system_vgpr_workitem_id 0
		.amdhsa_next_free_vgpr 1
		.amdhsa_next_free_sgpr 0
		.amdhsa_accum_offset 4
		.amdhsa_reserve_vcc 0
		.amdhsa_float_round_mode_32 0
		.amdhsa_float_round_mode_16_64 0
		.amdhsa_float_denorm_mode_32 3
		.amdhsa_float_denorm_mode_16_64 3
		.amdhsa_dx10_clamp 1
		.amdhsa_ieee_mode 1
		.amdhsa_fp16_overflow 0
		.amdhsa_tg_split 0
		.amdhsa_exception_fp_ieee_invalid_op 0
		.amdhsa_exception_fp_denorm_src 0
		.amdhsa_exception_fp_ieee_div_zero 0
		.amdhsa_exception_fp_ieee_overflow 0
		.amdhsa_exception_fp_ieee_underflow 0
		.amdhsa_exception_fp_ieee_inexact 0
		.amdhsa_exception_int_div_zero 0
	.end_amdhsa_kernel
	.section	.text._ZN7rocprim17ROCPRIM_400000_NS6detail17trampoline_kernelINS0_14default_configENS1_38merge_sort_block_merge_config_selectorIfNS0_10empty_typeEEEZZNS1_27merge_sort_block_merge_implIS3_N6thrust23THRUST_200600_302600_NS6detail15normal_iteratorINS9_10device_ptrIfEEEEPS5_jNS1_19radix_merge_compareILb0ELb0EfNS0_19identity_decomposerEEEEE10hipError_tT0_T1_T2_jT3_P12ihipStream_tbPNSt15iterator_traitsISK_E10value_typeEPNSQ_ISL_E10value_typeEPSM_NS1_7vsmem_tEENKUlT_SK_SL_SM_E_clIPfSE_SF_SF_EESJ_SZ_SK_SL_SM_EUlSZ_E0_NS1_11comp_targetILNS1_3genE5ELNS1_11target_archE942ELNS1_3gpuE9ELNS1_3repE0EEENS1_38merge_mergepath_config_static_selectorELNS0_4arch9wavefront6targetE1EEEvSL_,"axG",@progbits,_ZN7rocprim17ROCPRIM_400000_NS6detail17trampoline_kernelINS0_14default_configENS1_38merge_sort_block_merge_config_selectorIfNS0_10empty_typeEEEZZNS1_27merge_sort_block_merge_implIS3_N6thrust23THRUST_200600_302600_NS6detail15normal_iteratorINS9_10device_ptrIfEEEEPS5_jNS1_19radix_merge_compareILb0ELb0EfNS0_19identity_decomposerEEEEE10hipError_tT0_T1_T2_jT3_P12ihipStream_tbPNSt15iterator_traitsISK_E10value_typeEPNSQ_ISL_E10value_typeEPSM_NS1_7vsmem_tEENKUlT_SK_SL_SM_E_clIPfSE_SF_SF_EESJ_SZ_SK_SL_SM_EUlSZ_E0_NS1_11comp_targetILNS1_3genE5ELNS1_11target_archE942ELNS1_3gpuE9ELNS1_3repE0EEENS1_38merge_mergepath_config_static_selectorELNS0_4arch9wavefront6targetE1EEEvSL_,comdat
.Lfunc_end485:
	.size	_ZN7rocprim17ROCPRIM_400000_NS6detail17trampoline_kernelINS0_14default_configENS1_38merge_sort_block_merge_config_selectorIfNS0_10empty_typeEEEZZNS1_27merge_sort_block_merge_implIS3_N6thrust23THRUST_200600_302600_NS6detail15normal_iteratorINS9_10device_ptrIfEEEEPS5_jNS1_19radix_merge_compareILb0ELb0EfNS0_19identity_decomposerEEEEE10hipError_tT0_T1_T2_jT3_P12ihipStream_tbPNSt15iterator_traitsISK_E10value_typeEPNSQ_ISL_E10value_typeEPSM_NS1_7vsmem_tEENKUlT_SK_SL_SM_E_clIPfSE_SF_SF_EESJ_SZ_SK_SL_SM_EUlSZ_E0_NS1_11comp_targetILNS1_3genE5ELNS1_11target_archE942ELNS1_3gpuE9ELNS1_3repE0EEENS1_38merge_mergepath_config_static_selectorELNS0_4arch9wavefront6targetE1EEEvSL_, .Lfunc_end485-_ZN7rocprim17ROCPRIM_400000_NS6detail17trampoline_kernelINS0_14default_configENS1_38merge_sort_block_merge_config_selectorIfNS0_10empty_typeEEEZZNS1_27merge_sort_block_merge_implIS3_N6thrust23THRUST_200600_302600_NS6detail15normal_iteratorINS9_10device_ptrIfEEEEPS5_jNS1_19radix_merge_compareILb0ELb0EfNS0_19identity_decomposerEEEEE10hipError_tT0_T1_T2_jT3_P12ihipStream_tbPNSt15iterator_traitsISK_E10value_typeEPNSQ_ISL_E10value_typeEPSM_NS1_7vsmem_tEENKUlT_SK_SL_SM_E_clIPfSE_SF_SF_EESJ_SZ_SK_SL_SM_EUlSZ_E0_NS1_11comp_targetILNS1_3genE5ELNS1_11target_archE942ELNS1_3gpuE9ELNS1_3repE0EEENS1_38merge_mergepath_config_static_selectorELNS0_4arch9wavefront6targetE1EEEvSL_
                                        ; -- End function
	.set _ZN7rocprim17ROCPRIM_400000_NS6detail17trampoline_kernelINS0_14default_configENS1_38merge_sort_block_merge_config_selectorIfNS0_10empty_typeEEEZZNS1_27merge_sort_block_merge_implIS3_N6thrust23THRUST_200600_302600_NS6detail15normal_iteratorINS9_10device_ptrIfEEEEPS5_jNS1_19radix_merge_compareILb0ELb0EfNS0_19identity_decomposerEEEEE10hipError_tT0_T1_T2_jT3_P12ihipStream_tbPNSt15iterator_traitsISK_E10value_typeEPNSQ_ISL_E10value_typeEPSM_NS1_7vsmem_tEENKUlT_SK_SL_SM_E_clIPfSE_SF_SF_EESJ_SZ_SK_SL_SM_EUlSZ_E0_NS1_11comp_targetILNS1_3genE5ELNS1_11target_archE942ELNS1_3gpuE9ELNS1_3repE0EEENS1_38merge_mergepath_config_static_selectorELNS0_4arch9wavefront6targetE1EEEvSL_.num_vgpr, 0
	.set _ZN7rocprim17ROCPRIM_400000_NS6detail17trampoline_kernelINS0_14default_configENS1_38merge_sort_block_merge_config_selectorIfNS0_10empty_typeEEEZZNS1_27merge_sort_block_merge_implIS3_N6thrust23THRUST_200600_302600_NS6detail15normal_iteratorINS9_10device_ptrIfEEEEPS5_jNS1_19radix_merge_compareILb0ELb0EfNS0_19identity_decomposerEEEEE10hipError_tT0_T1_T2_jT3_P12ihipStream_tbPNSt15iterator_traitsISK_E10value_typeEPNSQ_ISL_E10value_typeEPSM_NS1_7vsmem_tEENKUlT_SK_SL_SM_E_clIPfSE_SF_SF_EESJ_SZ_SK_SL_SM_EUlSZ_E0_NS1_11comp_targetILNS1_3genE5ELNS1_11target_archE942ELNS1_3gpuE9ELNS1_3repE0EEENS1_38merge_mergepath_config_static_selectorELNS0_4arch9wavefront6targetE1EEEvSL_.num_agpr, 0
	.set _ZN7rocprim17ROCPRIM_400000_NS6detail17trampoline_kernelINS0_14default_configENS1_38merge_sort_block_merge_config_selectorIfNS0_10empty_typeEEEZZNS1_27merge_sort_block_merge_implIS3_N6thrust23THRUST_200600_302600_NS6detail15normal_iteratorINS9_10device_ptrIfEEEEPS5_jNS1_19radix_merge_compareILb0ELb0EfNS0_19identity_decomposerEEEEE10hipError_tT0_T1_T2_jT3_P12ihipStream_tbPNSt15iterator_traitsISK_E10value_typeEPNSQ_ISL_E10value_typeEPSM_NS1_7vsmem_tEENKUlT_SK_SL_SM_E_clIPfSE_SF_SF_EESJ_SZ_SK_SL_SM_EUlSZ_E0_NS1_11comp_targetILNS1_3genE5ELNS1_11target_archE942ELNS1_3gpuE9ELNS1_3repE0EEENS1_38merge_mergepath_config_static_selectorELNS0_4arch9wavefront6targetE1EEEvSL_.numbered_sgpr, 0
	.set _ZN7rocprim17ROCPRIM_400000_NS6detail17trampoline_kernelINS0_14default_configENS1_38merge_sort_block_merge_config_selectorIfNS0_10empty_typeEEEZZNS1_27merge_sort_block_merge_implIS3_N6thrust23THRUST_200600_302600_NS6detail15normal_iteratorINS9_10device_ptrIfEEEEPS5_jNS1_19radix_merge_compareILb0ELb0EfNS0_19identity_decomposerEEEEE10hipError_tT0_T1_T2_jT3_P12ihipStream_tbPNSt15iterator_traitsISK_E10value_typeEPNSQ_ISL_E10value_typeEPSM_NS1_7vsmem_tEENKUlT_SK_SL_SM_E_clIPfSE_SF_SF_EESJ_SZ_SK_SL_SM_EUlSZ_E0_NS1_11comp_targetILNS1_3genE5ELNS1_11target_archE942ELNS1_3gpuE9ELNS1_3repE0EEENS1_38merge_mergepath_config_static_selectorELNS0_4arch9wavefront6targetE1EEEvSL_.num_named_barrier, 0
	.set _ZN7rocprim17ROCPRIM_400000_NS6detail17trampoline_kernelINS0_14default_configENS1_38merge_sort_block_merge_config_selectorIfNS0_10empty_typeEEEZZNS1_27merge_sort_block_merge_implIS3_N6thrust23THRUST_200600_302600_NS6detail15normal_iteratorINS9_10device_ptrIfEEEEPS5_jNS1_19radix_merge_compareILb0ELb0EfNS0_19identity_decomposerEEEEE10hipError_tT0_T1_T2_jT3_P12ihipStream_tbPNSt15iterator_traitsISK_E10value_typeEPNSQ_ISL_E10value_typeEPSM_NS1_7vsmem_tEENKUlT_SK_SL_SM_E_clIPfSE_SF_SF_EESJ_SZ_SK_SL_SM_EUlSZ_E0_NS1_11comp_targetILNS1_3genE5ELNS1_11target_archE942ELNS1_3gpuE9ELNS1_3repE0EEENS1_38merge_mergepath_config_static_selectorELNS0_4arch9wavefront6targetE1EEEvSL_.private_seg_size, 0
	.set _ZN7rocprim17ROCPRIM_400000_NS6detail17trampoline_kernelINS0_14default_configENS1_38merge_sort_block_merge_config_selectorIfNS0_10empty_typeEEEZZNS1_27merge_sort_block_merge_implIS3_N6thrust23THRUST_200600_302600_NS6detail15normal_iteratorINS9_10device_ptrIfEEEEPS5_jNS1_19radix_merge_compareILb0ELb0EfNS0_19identity_decomposerEEEEE10hipError_tT0_T1_T2_jT3_P12ihipStream_tbPNSt15iterator_traitsISK_E10value_typeEPNSQ_ISL_E10value_typeEPSM_NS1_7vsmem_tEENKUlT_SK_SL_SM_E_clIPfSE_SF_SF_EESJ_SZ_SK_SL_SM_EUlSZ_E0_NS1_11comp_targetILNS1_3genE5ELNS1_11target_archE942ELNS1_3gpuE9ELNS1_3repE0EEENS1_38merge_mergepath_config_static_selectorELNS0_4arch9wavefront6targetE1EEEvSL_.uses_vcc, 0
	.set _ZN7rocprim17ROCPRIM_400000_NS6detail17trampoline_kernelINS0_14default_configENS1_38merge_sort_block_merge_config_selectorIfNS0_10empty_typeEEEZZNS1_27merge_sort_block_merge_implIS3_N6thrust23THRUST_200600_302600_NS6detail15normal_iteratorINS9_10device_ptrIfEEEEPS5_jNS1_19radix_merge_compareILb0ELb0EfNS0_19identity_decomposerEEEEE10hipError_tT0_T1_T2_jT3_P12ihipStream_tbPNSt15iterator_traitsISK_E10value_typeEPNSQ_ISL_E10value_typeEPSM_NS1_7vsmem_tEENKUlT_SK_SL_SM_E_clIPfSE_SF_SF_EESJ_SZ_SK_SL_SM_EUlSZ_E0_NS1_11comp_targetILNS1_3genE5ELNS1_11target_archE942ELNS1_3gpuE9ELNS1_3repE0EEENS1_38merge_mergepath_config_static_selectorELNS0_4arch9wavefront6targetE1EEEvSL_.uses_flat_scratch, 0
	.set _ZN7rocprim17ROCPRIM_400000_NS6detail17trampoline_kernelINS0_14default_configENS1_38merge_sort_block_merge_config_selectorIfNS0_10empty_typeEEEZZNS1_27merge_sort_block_merge_implIS3_N6thrust23THRUST_200600_302600_NS6detail15normal_iteratorINS9_10device_ptrIfEEEEPS5_jNS1_19radix_merge_compareILb0ELb0EfNS0_19identity_decomposerEEEEE10hipError_tT0_T1_T2_jT3_P12ihipStream_tbPNSt15iterator_traitsISK_E10value_typeEPNSQ_ISL_E10value_typeEPSM_NS1_7vsmem_tEENKUlT_SK_SL_SM_E_clIPfSE_SF_SF_EESJ_SZ_SK_SL_SM_EUlSZ_E0_NS1_11comp_targetILNS1_3genE5ELNS1_11target_archE942ELNS1_3gpuE9ELNS1_3repE0EEENS1_38merge_mergepath_config_static_selectorELNS0_4arch9wavefront6targetE1EEEvSL_.has_dyn_sized_stack, 0
	.set _ZN7rocprim17ROCPRIM_400000_NS6detail17trampoline_kernelINS0_14default_configENS1_38merge_sort_block_merge_config_selectorIfNS0_10empty_typeEEEZZNS1_27merge_sort_block_merge_implIS3_N6thrust23THRUST_200600_302600_NS6detail15normal_iteratorINS9_10device_ptrIfEEEEPS5_jNS1_19radix_merge_compareILb0ELb0EfNS0_19identity_decomposerEEEEE10hipError_tT0_T1_T2_jT3_P12ihipStream_tbPNSt15iterator_traitsISK_E10value_typeEPNSQ_ISL_E10value_typeEPSM_NS1_7vsmem_tEENKUlT_SK_SL_SM_E_clIPfSE_SF_SF_EESJ_SZ_SK_SL_SM_EUlSZ_E0_NS1_11comp_targetILNS1_3genE5ELNS1_11target_archE942ELNS1_3gpuE9ELNS1_3repE0EEENS1_38merge_mergepath_config_static_selectorELNS0_4arch9wavefront6targetE1EEEvSL_.has_recursion, 0
	.set _ZN7rocprim17ROCPRIM_400000_NS6detail17trampoline_kernelINS0_14default_configENS1_38merge_sort_block_merge_config_selectorIfNS0_10empty_typeEEEZZNS1_27merge_sort_block_merge_implIS3_N6thrust23THRUST_200600_302600_NS6detail15normal_iteratorINS9_10device_ptrIfEEEEPS5_jNS1_19radix_merge_compareILb0ELb0EfNS0_19identity_decomposerEEEEE10hipError_tT0_T1_T2_jT3_P12ihipStream_tbPNSt15iterator_traitsISK_E10value_typeEPNSQ_ISL_E10value_typeEPSM_NS1_7vsmem_tEENKUlT_SK_SL_SM_E_clIPfSE_SF_SF_EESJ_SZ_SK_SL_SM_EUlSZ_E0_NS1_11comp_targetILNS1_3genE5ELNS1_11target_archE942ELNS1_3gpuE9ELNS1_3repE0EEENS1_38merge_mergepath_config_static_selectorELNS0_4arch9wavefront6targetE1EEEvSL_.has_indirect_call, 0
	.section	.AMDGPU.csdata,"",@progbits
; Kernel info:
; codeLenInByte = 0
; TotalNumSgprs: 6
; NumVgprs: 0
; NumAgprs: 0
; TotalNumVgprs: 0
; ScratchSize: 0
; MemoryBound: 0
; FloatMode: 240
; IeeeMode: 1
; LDSByteSize: 0 bytes/workgroup (compile time only)
; SGPRBlocks: 0
; VGPRBlocks: 0
; NumSGPRsForWavesPerEU: 6
; NumVGPRsForWavesPerEU: 1
; AccumOffset: 4
; Occupancy: 8
; WaveLimiterHint : 0
; COMPUTE_PGM_RSRC2:SCRATCH_EN: 0
; COMPUTE_PGM_RSRC2:USER_SGPR: 2
; COMPUTE_PGM_RSRC2:TRAP_HANDLER: 0
; COMPUTE_PGM_RSRC2:TGID_X_EN: 1
; COMPUTE_PGM_RSRC2:TGID_Y_EN: 0
; COMPUTE_PGM_RSRC2:TGID_Z_EN: 0
; COMPUTE_PGM_RSRC2:TIDIG_COMP_CNT: 0
; COMPUTE_PGM_RSRC3_GFX90A:ACCUM_OFFSET: 0
; COMPUTE_PGM_RSRC3_GFX90A:TG_SPLIT: 0
	.section	.text._ZN7rocprim17ROCPRIM_400000_NS6detail17trampoline_kernelINS0_14default_configENS1_38merge_sort_block_merge_config_selectorIfNS0_10empty_typeEEEZZNS1_27merge_sort_block_merge_implIS3_N6thrust23THRUST_200600_302600_NS6detail15normal_iteratorINS9_10device_ptrIfEEEEPS5_jNS1_19radix_merge_compareILb0ELb0EfNS0_19identity_decomposerEEEEE10hipError_tT0_T1_T2_jT3_P12ihipStream_tbPNSt15iterator_traitsISK_E10value_typeEPNSQ_ISL_E10value_typeEPSM_NS1_7vsmem_tEENKUlT_SK_SL_SM_E_clIPfSE_SF_SF_EESJ_SZ_SK_SL_SM_EUlSZ_E0_NS1_11comp_targetILNS1_3genE4ELNS1_11target_archE910ELNS1_3gpuE8ELNS1_3repE0EEENS1_38merge_mergepath_config_static_selectorELNS0_4arch9wavefront6targetE1EEEvSL_,"axG",@progbits,_ZN7rocprim17ROCPRIM_400000_NS6detail17trampoline_kernelINS0_14default_configENS1_38merge_sort_block_merge_config_selectorIfNS0_10empty_typeEEEZZNS1_27merge_sort_block_merge_implIS3_N6thrust23THRUST_200600_302600_NS6detail15normal_iteratorINS9_10device_ptrIfEEEEPS5_jNS1_19radix_merge_compareILb0ELb0EfNS0_19identity_decomposerEEEEE10hipError_tT0_T1_T2_jT3_P12ihipStream_tbPNSt15iterator_traitsISK_E10value_typeEPNSQ_ISL_E10value_typeEPSM_NS1_7vsmem_tEENKUlT_SK_SL_SM_E_clIPfSE_SF_SF_EESJ_SZ_SK_SL_SM_EUlSZ_E0_NS1_11comp_targetILNS1_3genE4ELNS1_11target_archE910ELNS1_3gpuE8ELNS1_3repE0EEENS1_38merge_mergepath_config_static_selectorELNS0_4arch9wavefront6targetE1EEEvSL_,comdat
	.protected	_ZN7rocprim17ROCPRIM_400000_NS6detail17trampoline_kernelINS0_14default_configENS1_38merge_sort_block_merge_config_selectorIfNS0_10empty_typeEEEZZNS1_27merge_sort_block_merge_implIS3_N6thrust23THRUST_200600_302600_NS6detail15normal_iteratorINS9_10device_ptrIfEEEEPS5_jNS1_19radix_merge_compareILb0ELb0EfNS0_19identity_decomposerEEEEE10hipError_tT0_T1_T2_jT3_P12ihipStream_tbPNSt15iterator_traitsISK_E10value_typeEPNSQ_ISL_E10value_typeEPSM_NS1_7vsmem_tEENKUlT_SK_SL_SM_E_clIPfSE_SF_SF_EESJ_SZ_SK_SL_SM_EUlSZ_E0_NS1_11comp_targetILNS1_3genE4ELNS1_11target_archE910ELNS1_3gpuE8ELNS1_3repE0EEENS1_38merge_mergepath_config_static_selectorELNS0_4arch9wavefront6targetE1EEEvSL_ ; -- Begin function _ZN7rocprim17ROCPRIM_400000_NS6detail17trampoline_kernelINS0_14default_configENS1_38merge_sort_block_merge_config_selectorIfNS0_10empty_typeEEEZZNS1_27merge_sort_block_merge_implIS3_N6thrust23THRUST_200600_302600_NS6detail15normal_iteratorINS9_10device_ptrIfEEEEPS5_jNS1_19radix_merge_compareILb0ELb0EfNS0_19identity_decomposerEEEEE10hipError_tT0_T1_T2_jT3_P12ihipStream_tbPNSt15iterator_traitsISK_E10value_typeEPNSQ_ISL_E10value_typeEPSM_NS1_7vsmem_tEENKUlT_SK_SL_SM_E_clIPfSE_SF_SF_EESJ_SZ_SK_SL_SM_EUlSZ_E0_NS1_11comp_targetILNS1_3genE4ELNS1_11target_archE910ELNS1_3gpuE8ELNS1_3repE0EEENS1_38merge_mergepath_config_static_selectorELNS0_4arch9wavefront6targetE1EEEvSL_
	.globl	_ZN7rocprim17ROCPRIM_400000_NS6detail17trampoline_kernelINS0_14default_configENS1_38merge_sort_block_merge_config_selectorIfNS0_10empty_typeEEEZZNS1_27merge_sort_block_merge_implIS3_N6thrust23THRUST_200600_302600_NS6detail15normal_iteratorINS9_10device_ptrIfEEEEPS5_jNS1_19radix_merge_compareILb0ELb0EfNS0_19identity_decomposerEEEEE10hipError_tT0_T1_T2_jT3_P12ihipStream_tbPNSt15iterator_traitsISK_E10value_typeEPNSQ_ISL_E10value_typeEPSM_NS1_7vsmem_tEENKUlT_SK_SL_SM_E_clIPfSE_SF_SF_EESJ_SZ_SK_SL_SM_EUlSZ_E0_NS1_11comp_targetILNS1_3genE4ELNS1_11target_archE910ELNS1_3gpuE8ELNS1_3repE0EEENS1_38merge_mergepath_config_static_selectorELNS0_4arch9wavefront6targetE1EEEvSL_
	.p2align	8
	.type	_ZN7rocprim17ROCPRIM_400000_NS6detail17trampoline_kernelINS0_14default_configENS1_38merge_sort_block_merge_config_selectorIfNS0_10empty_typeEEEZZNS1_27merge_sort_block_merge_implIS3_N6thrust23THRUST_200600_302600_NS6detail15normal_iteratorINS9_10device_ptrIfEEEEPS5_jNS1_19radix_merge_compareILb0ELb0EfNS0_19identity_decomposerEEEEE10hipError_tT0_T1_T2_jT3_P12ihipStream_tbPNSt15iterator_traitsISK_E10value_typeEPNSQ_ISL_E10value_typeEPSM_NS1_7vsmem_tEENKUlT_SK_SL_SM_E_clIPfSE_SF_SF_EESJ_SZ_SK_SL_SM_EUlSZ_E0_NS1_11comp_targetILNS1_3genE4ELNS1_11target_archE910ELNS1_3gpuE8ELNS1_3repE0EEENS1_38merge_mergepath_config_static_selectorELNS0_4arch9wavefront6targetE1EEEvSL_,@function
_ZN7rocprim17ROCPRIM_400000_NS6detail17trampoline_kernelINS0_14default_configENS1_38merge_sort_block_merge_config_selectorIfNS0_10empty_typeEEEZZNS1_27merge_sort_block_merge_implIS3_N6thrust23THRUST_200600_302600_NS6detail15normal_iteratorINS9_10device_ptrIfEEEEPS5_jNS1_19radix_merge_compareILb0ELb0EfNS0_19identity_decomposerEEEEE10hipError_tT0_T1_T2_jT3_P12ihipStream_tbPNSt15iterator_traitsISK_E10value_typeEPNSQ_ISL_E10value_typeEPSM_NS1_7vsmem_tEENKUlT_SK_SL_SM_E_clIPfSE_SF_SF_EESJ_SZ_SK_SL_SM_EUlSZ_E0_NS1_11comp_targetILNS1_3genE4ELNS1_11target_archE910ELNS1_3gpuE8ELNS1_3repE0EEENS1_38merge_mergepath_config_static_selectorELNS0_4arch9wavefront6targetE1EEEvSL_: ; @_ZN7rocprim17ROCPRIM_400000_NS6detail17trampoline_kernelINS0_14default_configENS1_38merge_sort_block_merge_config_selectorIfNS0_10empty_typeEEEZZNS1_27merge_sort_block_merge_implIS3_N6thrust23THRUST_200600_302600_NS6detail15normal_iteratorINS9_10device_ptrIfEEEEPS5_jNS1_19radix_merge_compareILb0ELb0EfNS0_19identity_decomposerEEEEE10hipError_tT0_T1_T2_jT3_P12ihipStream_tbPNSt15iterator_traitsISK_E10value_typeEPNSQ_ISL_E10value_typeEPSM_NS1_7vsmem_tEENKUlT_SK_SL_SM_E_clIPfSE_SF_SF_EESJ_SZ_SK_SL_SM_EUlSZ_E0_NS1_11comp_targetILNS1_3genE4ELNS1_11target_archE910ELNS1_3gpuE8ELNS1_3repE0EEENS1_38merge_mergepath_config_static_selectorELNS0_4arch9wavefront6targetE1EEEvSL_
; %bb.0:
	.section	.rodata,"a",@progbits
	.p2align	6, 0x0
	.amdhsa_kernel _ZN7rocprim17ROCPRIM_400000_NS6detail17trampoline_kernelINS0_14default_configENS1_38merge_sort_block_merge_config_selectorIfNS0_10empty_typeEEEZZNS1_27merge_sort_block_merge_implIS3_N6thrust23THRUST_200600_302600_NS6detail15normal_iteratorINS9_10device_ptrIfEEEEPS5_jNS1_19radix_merge_compareILb0ELb0EfNS0_19identity_decomposerEEEEE10hipError_tT0_T1_T2_jT3_P12ihipStream_tbPNSt15iterator_traitsISK_E10value_typeEPNSQ_ISL_E10value_typeEPSM_NS1_7vsmem_tEENKUlT_SK_SL_SM_E_clIPfSE_SF_SF_EESJ_SZ_SK_SL_SM_EUlSZ_E0_NS1_11comp_targetILNS1_3genE4ELNS1_11target_archE910ELNS1_3gpuE8ELNS1_3repE0EEENS1_38merge_mergepath_config_static_selectorELNS0_4arch9wavefront6targetE1EEEvSL_
		.amdhsa_group_segment_fixed_size 0
		.amdhsa_private_segment_fixed_size 0
		.amdhsa_kernarg_size 64
		.amdhsa_user_sgpr_count 2
		.amdhsa_user_sgpr_dispatch_ptr 0
		.amdhsa_user_sgpr_queue_ptr 0
		.amdhsa_user_sgpr_kernarg_segment_ptr 1
		.amdhsa_user_sgpr_dispatch_id 0
		.amdhsa_user_sgpr_kernarg_preload_length 0
		.amdhsa_user_sgpr_kernarg_preload_offset 0
		.amdhsa_user_sgpr_private_segment_size 0
		.amdhsa_uses_dynamic_stack 0
		.amdhsa_enable_private_segment 0
		.amdhsa_system_sgpr_workgroup_id_x 1
		.amdhsa_system_sgpr_workgroup_id_y 0
		.amdhsa_system_sgpr_workgroup_id_z 0
		.amdhsa_system_sgpr_workgroup_info 0
		.amdhsa_system_vgpr_workitem_id 0
		.amdhsa_next_free_vgpr 1
		.amdhsa_next_free_sgpr 0
		.amdhsa_accum_offset 4
		.amdhsa_reserve_vcc 0
		.amdhsa_float_round_mode_32 0
		.amdhsa_float_round_mode_16_64 0
		.amdhsa_float_denorm_mode_32 3
		.amdhsa_float_denorm_mode_16_64 3
		.amdhsa_dx10_clamp 1
		.amdhsa_ieee_mode 1
		.amdhsa_fp16_overflow 0
		.amdhsa_tg_split 0
		.amdhsa_exception_fp_ieee_invalid_op 0
		.amdhsa_exception_fp_denorm_src 0
		.amdhsa_exception_fp_ieee_div_zero 0
		.amdhsa_exception_fp_ieee_overflow 0
		.amdhsa_exception_fp_ieee_underflow 0
		.amdhsa_exception_fp_ieee_inexact 0
		.amdhsa_exception_int_div_zero 0
	.end_amdhsa_kernel
	.section	.text._ZN7rocprim17ROCPRIM_400000_NS6detail17trampoline_kernelINS0_14default_configENS1_38merge_sort_block_merge_config_selectorIfNS0_10empty_typeEEEZZNS1_27merge_sort_block_merge_implIS3_N6thrust23THRUST_200600_302600_NS6detail15normal_iteratorINS9_10device_ptrIfEEEEPS5_jNS1_19radix_merge_compareILb0ELb0EfNS0_19identity_decomposerEEEEE10hipError_tT0_T1_T2_jT3_P12ihipStream_tbPNSt15iterator_traitsISK_E10value_typeEPNSQ_ISL_E10value_typeEPSM_NS1_7vsmem_tEENKUlT_SK_SL_SM_E_clIPfSE_SF_SF_EESJ_SZ_SK_SL_SM_EUlSZ_E0_NS1_11comp_targetILNS1_3genE4ELNS1_11target_archE910ELNS1_3gpuE8ELNS1_3repE0EEENS1_38merge_mergepath_config_static_selectorELNS0_4arch9wavefront6targetE1EEEvSL_,"axG",@progbits,_ZN7rocprim17ROCPRIM_400000_NS6detail17trampoline_kernelINS0_14default_configENS1_38merge_sort_block_merge_config_selectorIfNS0_10empty_typeEEEZZNS1_27merge_sort_block_merge_implIS3_N6thrust23THRUST_200600_302600_NS6detail15normal_iteratorINS9_10device_ptrIfEEEEPS5_jNS1_19radix_merge_compareILb0ELb0EfNS0_19identity_decomposerEEEEE10hipError_tT0_T1_T2_jT3_P12ihipStream_tbPNSt15iterator_traitsISK_E10value_typeEPNSQ_ISL_E10value_typeEPSM_NS1_7vsmem_tEENKUlT_SK_SL_SM_E_clIPfSE_SF_SF_EESJ_SZ_SK_SL_SM_EUlSZ_E0_NS1_11comp_targetILNS1_3genE4ELNS1_11target_archE910ELNS1_3gpuE8ELNS1_3repE0EEENS1_38merge_mergepath_config_static_selectorELNS0_4arch9wavefront6targetE1EEEvSL_,comdat
.Lfunc_end486:
	.size	_ZN7rocprim17ROCPRIM_400000_NS6detail17trampoline_kernelINS0_14default_configENS1_38merge_sort_block_merge_config_selectorIfNS0_10empty_typeEEEZZNS1_27merge_sort_block_merge_implIS3_N6thrust23THRUST_200600_302600_NS6detail15normal_iteratorINS9_10device_ptrIfEEEEPS5_jNS1_19radix_merge_compareILb0ELb0EfNS0_19identity_decomposerEEEEE10hipError_tT0_T1_T2_jT3_P12ihipStream_tbPNSt15iterator_traitsISK_E10value_typeEPNSQ_ISL_E10value_typeEPSM_NS1_7vsmem_tEENKUlT_SK_SL_SM_E_clIPfSE_SF_SF_EESJ_SZ_SK_SL_SM_EUlSZ_E0_NS1_11comp_targetILNS1_3genE4ELNS1_11target_archE910ELNS1_3gpuE8ELNS1_3repE0EEENS1_38merge_mergepath_config_static_selectorELNS0_4arch9wavefront6targetE1EEEvSL_, .Lfunc_end486-_ZN7rocprim17ROCPRIM_400000_NS6detail17trampoline_kernelINS0_14default_configENS1_38merge_sort_block_merge_config_selectorIfNS0_10empty_typeEEEZZNS1_27merge_sort_block_merge_implIS3_N6thrust23THRUST_200600_302600_NS6detail15normal_iteratorINS9_10device_ptrIfEEEEPS5_jNS1_19radix_merge_compareILb0ELb0EfNS0_19identity_decomposerEEEEE10hipError_tT0_T1_T2_jT3_P12ihipStream_tbPNSt15iterator_traitsISK_E10value_typeEPNSQ_ISL_E10value_typeEPSM_NS1_7vsmem_tEENKUlT_SK_SL_SM_E_clIPfSE_SF_SF_EESJ_SZ_SK_SL_SM_EUlSZ_E0_NS1_11comp_targetILNS1_3genE4ELNS1_11target_archE910ELNS1_3gpuE8ELNS1_3repE0EEENS1_38merge_mergepath_config_static_selectorELNS0_4arch9wavefront6targetE1EEEvSL_
                                        ; -- End function
	.set _ZN7rocprim17ROCPRIM_400000_NS6detail17trampoline_kernelINS0_14default_configENS1_38merge_sort_block_merge_config_selectorIfNS0_10empty_typeEEEZZNS1_27merge_sort_block_merge_implIS3_N6thrust23THRUST_200600_302600_NS6detail15normal_iteratorINS9_10device_ptrIfEEEEPS5_jNS1_19radix_merge_compareILb0ELb0EfNS0_19identity_decomposerEEEEE10hipError_tT0_T1_T2_jT3_P12ihipStream_tbPNSt15iterator_traitsISK_E10value_typeEPNSQ_ISL_E10value_typeEPSM_NS1_7vsmem_tEENKUlT_SK_SL_SM_E_clIPfSE_SF_SF_EESJ_SZ_SK_SL_SM_EUlSZ_E0_NS1_11comp_targetILNS1_3genE4ELNS1_11target_archE910ELNS1_3gpuE8ELNS1_3repE0EEENS1_38merge_mergepath_config_static_selectorELNS0_4arch9wavefront6targetE1EEEvSL_.num_vgpr, 0
	.set _ZN7rocprim17ROCPRIM_400000_NS6detail17trampoline_kernelINS0_14default_configENS1_38merge_sort_block_merge_config_selectorIfNS0_10empty_typeEEEZZNS1_27merge_sort_block_merge_implIS3_N6thrust23THRUST_200600_302600_NS6detail15normal_iteratorINS9_10device_ptrIfEEEEPS5_jNS1_19radix_merge_compareILb0ELb0EfNS0_19identity_decomposerEEEEE10hipError_tT0_T1_T2_jT3_P12ihipStream_tbPNSt15iterator_traitsISK_E10value_typeEPNSQ_ISL_E10value_typeEPSM_NS1_7vsmem_tEENKUlT_SK_SL_SM_E_clIPfSE_SF_SF_EESJ_SZ_SK_SL_SM_EUlSZ_E0_NS1_11comp_targetILNS1_3genE4ELNS1_11target_archE910ELNS1_3gpuE8ELNS1_3repE0EEENS1_38merge_mergepath_config_static_selectorELNS0_4arch9wavefront6targetE1EEEvSL_.num_agpr, 0
	.set _ZN7rocprim17ROCPRIM_400000_NS6detail17trampoline_kernelINS0_14default_configENS1_38merge_sort_block_merge_config_selectorIfNS0_10empty_typeEEEZZNS1_27merge_sort_block_merge_implIS3_N6thrust23THRUST_200600_302600_NS6detail15normal_iteratorINS9_10device_ptrIfEEEEPS5_jNS1_19radix_merge_compareILb0ELb0EfNS0_19identity_decomposerEEEEE10hipError_tT0_T1_T2_jT3_P12ihipStream_tbPNSt15iterator_traitsISK_E10value_typeEPNSQ_ISL_E10value_typeEPSM_NS1_7vsmem_tEENKUlT_SK_SL_SM_E_clIPfSE_SF_SF_EESJ_SZ_SK_SL_SM_EUlSZ_E0_NS1_11comp_targetILNS1_3genE4ELNS1_11target_archE910ELNS1_3gpuE8ELNS1_3repE0EEENS1_38merge_mergepath_config_static_selectorELNS0_4arch9wavefront6targetE1EEEvSL_.numbered_sgpr, 0
	.set _ZN7rocprim17ROCPRIM_400000_NS6detail17trampoline_kernelINS0_14default_configENS1_38merge_sort_block_merge_config_selectorIfNS0_10empty_typeEEEZZNS1_27merge_sort_block_merge_implIS3_N6thrust23THRUST_200600_302600_NS6detail15normal_iteratorINS9_10device_ptrIfEEEEPS5_jNS1_19radix_merge_compareILb0ELb0EfNS0_19identity_decomposerEEEEE10hipError_tT0_T1_T2_jT3_P12ihipStream_tbPNSt15iterator_traitsISK_E10value_typeEPNSQ_ISL_E10value_typeEPSM_NS1_7vsmem_tEENKUlT_SK_SL_SM_E_clIPfSE_SF_SF_EESJ_SZ_SK_SL_SM_EUlSZ_E0_NS1_11comp_targetILNS1_3genE4ELNS1_11target_archE910ELNS1_3gpuE8ELNS1_3repE0EEENS1_38merge_mergepath_config_static_selectorELNS0_4arch9wavefront6targetE1EEEvSL_.num_named_barrier, 0
	.set _ZN7rocprim17ROCPRIM_400000_NS6detail17trampoline_kernelINS0_14default_configENS1_38merge_sort_block_merge_config_selectorIfNS0_10empty_typeEEEZZNS1_27merge_sort_block_merge_implIS3_N6thrust23THRUST_200600_302600_NS6detail15normal_iteratorINS9_10device_ptrIfEEEEPS5_jNS1_19radix_merge_compareILb0ELb0EfNS0_19identity_decomposerEEEEE10hipError_tT0_T1_T2_jT3_P12ihipStream_tbPNSt15iterator_traitsISK_E10value_typeEPNSQ_ISL_E10value_typeEPSM_NS1_7vsmem_tEENKUlT_SK_SL_SM_E_clIPfSE_SF_SF_EESJ_SZ_SK_SL_SM_EUlSZ_E0_NS1_11comp_targetILNS1_3genE4ELNS1_11target_archE910ELNS1_3gpuE8ELNS1_3repE0EEENS1_38merge_mergepath_config_static_selectorELNS0_4arch9wavefront6targetE1EEEvSL_.private_seg_size, 0
	.set _ZN7rocprim17ROCPRIM_400000_NS6detail17trampoline_kernelINS0_14default_configENS1_38merge_sort_block_merge_config_selectorIfNS0_10empty_typeEEEZZNS1_27merge_sort_block_merge_implIS3_N6thrust23THRUST_200600_302600_NS6detail15normal_iteratorINS9_10device_ptrIfEEEEPS5_jNS1_19radix_merge_compareILb0ELb0EfNS0_19identity_decomposerEEEEE10hipError_tT0_T1_T2_jT3_P12ihipStream_tbPNSt15iterator_traitsISK_E10value_typeEPNSQ_ISL_E10value_typeEPSM_NS1_7vsmem_tEENKUlT_SK_SL_SM_E_clIPfSE_SF_SF_EESJ_SZ_SK_SL_SM_EUlSZ_E0_NS1_11comp_targetILNS1_3genE4ELNS1_11target_archE910ELNS1_3gpuE8ELNS1_3repE0EEENS1_38merge_mergepath_config_static_selectorELNS0_4arch9wavefront6targetE1EEEvSL_.uses_vcc, 0
	.set _ZN7rocprim17ROCPRIM_400000_NS6detail17trampoline_kernelINS0_14default_configENS1_38merge_sort_block_merge_config_selectorIfNS0_10empty_typeEEEZZNS1_27merge_sort_block_merge_implIS3_N6thrust23THRUST_200600_302600_NS6detail15normal_iteratorINS9_10device_ptrIfEEEEPS5_jNS1_19radix_merge_compareILb0ELb0EfNS0_19identity_decomposerEEEEE10hipError_tT0_T1_T2_jT3_P12ihipStream_tbPNSt15iterator_traitsISK_E10value_typeEPNSQ_ISL_E10value_typeEPSM_NS1_7vsmem_tEENKUlT_SK_SL_SM_E_clIPfSE_SF_SF_EESJ_SZ_SK_SL_SM_EUlSZ_E0_NS1_11comp_targetILNS1_3genE4ELNS1_11target_archE910ELNS1_3gpuE8ELNS1_3repE0EEENS1_38merge_mergepath_config_static_selectorELNS0_4arch9wavefront6targetE1EEEvSL_.uses_flat_scratch, 0
	.set _ZN7rocprim17ROCPRIM_400000_NS6detail17trampoline_kernelINS0_14default_configENS1_38merge_sort_block_merge_config_selectorIfNS0_10empty_typeEEEZZNS1_27merge_sort_block_merge_implIS3_N6thrust23THRUST_200600_302600_NS6detail15normal_iteratorINS9_10device_ptrIfEEEEPS5_jNS1_19radix_merge_compareILb0ELb0EfNS0_19identity_decomposerEEEEE10hipError_tT0_T1_T2_jT3_P12ihipStream_tbPNSt15iterator_traitsISK_E10value_typeEPNSQ_ISL_E10value_typeEPSM_NS1_7vsmem_tEENKUlT_SK_SL_SM_E_clIPfSE_SF_SF_EESJ_SZ_SK_SL_SM_EUlSZ_E0_NS1_11comp_targetILNS1_3genE4ELNS1_11target_archE910ELNS1_3gpuE8ELNS1_3repE0EEENS1_38merge_mergepath_config_static_selectorELNS0_4arch9wavefront6targetE1EEEvSL_.has_dyn_sized_stack, 0
	.set _ZN7rocprim17ROCPRIM_400000_NS6detail17trampoline_kernelINS0_14default_configENS1_38merge_sort_block_merge_config_selectorIfNS0_10empty_typeEEEZZNS1_27merge_sort_block_merge_implIS3_N6thrust23THRUST_200600_302600_NS6detail15normal_iteratorINS9_10device_ptrIfEEEEPS5_jNS1_19radix_merge_compareILb0ELb0EfNS0_19identity_decomposerEEEEE10hipError_tT0_T1_T2_jT3_P12ihipStream_tbPNSt15iterator_traitsISK_E10value_typeEPNSQ_ISL_E10value_typeEPSM_NS1_7vsmem_tEENKUlT_SK_SL_SM_E_clIPfSE_SF_SF_EESJ_SZ_SK_SL_SM_EUlSZ_E0_NS1_11comp_targetILNS1_3genE4ELNS1_11target_archE910ELNS1_3gpuE8ELNS1_3repE0EEENS1_38merge_mergepath_config_static_selectorELNS0_4arch9wavefront6targetE1EEEvSL_.has_recursion, 0
	.set _ZN7rocprim17ROCPRIM_400000_NS6detail17trampoline_kernelINS0_14default_configENS1_38merge_sort_block_merge_config_selectorIfNS0_10empty_typeEEEZZNS1_27merge_sort_block_merge_implIS3_N6thrust23THRUST_200600_302600_NS6detail15normal_iteratorINS9_10device_ptrIfEEEEPS5_jNS1_19radix_merge_compareILb0ELb0EfNS0_19identity_decomposerEEEEE10hipError_tT0_T1_T2_jT3_P12ihipStream_tbPNSt15iterator_traitsISK_E10value_typeEPNSQ_ISL_E10value_typeEPSM_NS1_7vsmem_tEENKUlT_SK_SL_SM_E_clIPfSE_SF_SF_EESJ_SZ_SK_SL_SM_EUlSZ_E0_NS1_11comp_targetILNS1_3genE4ELNS1_11target_archE910ELNS1_3gpuE8ELNS1_3repE0EEENS1_38merge_mergepath_config_static_selectorELNS0_4arch9wavefront6targetE1EEEvSL_.has_indirect_call, 0
	.section	.AMDGPU.csdata,"",@progbits
; Kernel info:
; codeLenInByte = 0
; TotalNumSgprs: 6
; NumVgprs: 0
; NumAgprs: 0
; TotalNumVgprs: 0
; ScratchSize: 0
; MemoryBound: 0
; FloatMode: 240
; IeeeMode: 1
; LDSByteSize: 0 bytes/workgroup (compile time only)
; SGPRBlocks: 0
; VGPRBlocks: 0
; NumSGPRsForWavesPerEU: 6
; NumVGPRsForWavesPerEU: 1
; AccumOffset: 4
; Occupancy: 8
; WaveLimiterHint : 0
; COMPUTE_PGM_RSRC2:SCRATCH_EN: 0
; COMPUTE_PGM_RSRC2:USER_SGPR: 2
; COMPUTE_PGM_RSRC2:TRAP_HANDLER: 0
; COMPUTE_PGM_RSRC2:TGID_X_EN: 1
; COMPUTE_PGM_RSRC2:TGID_Y_EN: 0
; COMPUTE_PGM_RSRC2:TGID_Z_EN: 0
; COMPUTE_PGM_RSRC2:TIDIG_COMP_CNT: 0
; COMPUTE_PGM_RSRC3_GFX90A:ACCUM_OFFSET: 0
; COMPUTE_PGM_RSRC3_GFX90A:TG_SPLIT: 0
	.section	.text._ZN7rocprim17ROCPRIM_400000_NS6detail17trampoline_kernelINS0_14default_configENS1_38merge_sort_block_merge_config_selectorIfNS0_10empty_typeEEEZZNS1_27merge_sort_block_merge_implIS3_N6thrust23THRUST_200600_302600_NS6detail15normal_iteratorINS9_10device_ptrIfEEEEPS5_jNS1_19radix_merge_compareILb0ELb0EfNS0_19identity_decomposerEEEEE10hipError_tT0_T1_T2_jT3_P12ihipStream_tbPNSt15iterator_traitsISK_E10value_typeEPNSQ_ISL_E10value_typeEPSM_NS1_7vsmem_tEENKUlT_SK_SL_SM_E_clIPfSE_SF_SF_EESJ_SZ_SK_SL_SM_EUlSZ_E0_NS1_11comp_targetILNS1_3genE3ELNS1_11target_archE908ELNS1_3gpuE7ELNS1_3repE0EEENS1_38merge_mergepath_config_static_selectorELNS0_4arch9wavefront6targetE1EEEvSL_,"axG",@progbits,_ZN7rocprim17ROCPRIM_400000_NS6detail17trampoline_kernelINS0_14default_configENS1_38merge_sort_block_merge_config_selectorIfNS0_10empty_typeEEEZZNS1_27merge_sort_block_merge_implIS3_N6thrust23THRUST_200600_302600_NS6detail15normal_iteratorINS9_10device_ptrIfEEEEPS5_jNS1_19radix_merge_compareILb0ELb0EfNS0_19identity_decomposerEEEEE10hipError_tT0_T1_T2_jT3_P12ihipStream_tbPNSt15iterator_traitsISK_E10value_typeEPNSQ_ISL_E10value_typeEPSM_NS1_7vsmem_tEENKUlT_SK_SL_SM_E_clIPfSE_SF_SF_EESJ_SZ_SK_SL_SM_EUlSZ_E0_NS1_11comp_targetILNS1_3genE3ELNS1_11target_archE908ELNS1_3gpuE7ELNS1_3repE0EEENS1_38merge_mergepath_config_static_selectorELNS0_4arch9wavefront6targetE1EEEvSL_,comdat
	.protected	_ZN7rocprim17ROCPRIM_400000_NS6detail17trampoline_kernelINS0_14default_configENS1_38merge_sort_block_merge_config_selectorIfNS0_10empty_typeEEEZZNS1_27merge_sort_block_merge_implIS3_N6thrust23THRUST_200600_302600_NS6detail15normal_iteratorINS9_10device_ptrIfEEEEPS5_jNS1_19radix_merge_compareILb0ELb0EfNS0_19identity_decomposerEEEEE10hipError_tT0_T1_T2_jT3_P12ihipStream_tbPNSt15iterator_traitsISK_E10value_typeEPNSQ_ISL_E10value_typeEPSM_NS1_7vsmem_tEENKUlT_SK_SL_SM_E_clIPfSE_SF_SF_EESJ_SZ_SK_SL_SM_EUlSZ_E0_NS1_11comp_targetILNS1_3genE3ELNS1_11target_archE908ELNS1_3gpuE7ELNS1_3repE0EEENS1_38merge_mergepath_config_static_selectorELNS0_4arch9wavefront6targetE1EEEvSL_ ; -- Begin function _ZN7rocprim17ROCPRIM_400000_NS6detail17trampoline_kernelINS0_14default_configENS1_38merge_sort_block_merge_config_selectorIfNS0_10empty_typeEEEZZNS1_27merge_sort_block_merge_implIS3_N6thrust23THRUST_200600_302600_NS6detail15normal_iteratorINS9_10device_ptrIfEEEEPS5_jNS1_19radix_merge_compareILb0ELb0EfNS0_19identity_decomposerEEEEE10hipError_tT0_T1_T2_jT3_P12ihipStream_tbPNSt15iterator_traitsISK_E10value_typeEPNSQ_ISL_E10value_typeEPSM_NS1_7vsmem_tEENKUlT_SK_SL_SM_E_clIPfSE_SF_SF_EESJ_SZ_SK_SL_SM_EUlSZ_E0_NS1_11comp_targetILNS1_3genE3ELNS1_11target_archE908ELNS1_3gpuE7ELNS1_3repE0EEENS1_38merge_mergepath_config_static_selectorELNS0_4arch9wavefront6targetE1EEEvSL_
	.globl	_ZN7rocprim17ROCPRIM_400000_NS6detail17trampoline_kernelINS0_14default_configENS1_38merge_sort_block_merge_config_selectorIfNS0_10empty_typeEEEZZNS1_27merge_sort_block_merge_implIS3_N6thrust23THRUST_200600_302600_NS6detail15normal_iteratorINS9_10device_ptrIfEEEEPS5_jNS1_19radix_merge_compareILb0ELb0EfNS0_19identity_decomposerEEEEE10hipError_tT0_T1_T2_jT3_P12ihipStream_tbPNSt15iterator_traitsISK_E10value_typeEPNSQ_ISL_E10value_typeEPSM_NS1_7vsmem_tEENKUlT_SK_SL_SM_E_clIPfSE_SF_SF_EESJ_SZ_SK_SL_SM_EUlSZ_E0_NS1_11comp_targetILNS1_3genE3ELNS1_11target_archE908ELNS1_3gpuE7ELNS1_3repE0EEENS1_38merge_mergepath_config_static_selectorELNS0_4arch9wavefront6targetE1EEEvSL_
	.p2align	8
	.type	_ZN7rocprim17ROCPRIM_400000_NS6detail17trampoline_kernelINS0_14default_configENS1_38merge_sort_block_merge_config_selectorIfNS0_10empty_typeEEEZZNS1_27merge_sort_block_merge_implIS3_N6thrust23THRUST_200600_302600_NS6detail15normal_iteratorINS9_10device_ptrIfEEEEPS5_jNS1_19radix_merge_compareILb0ELb0EfNS0_19identity_decomposerEEEEE10hipError_tT0_T1_T2_jT3_P12ihipStream_tbPNSt15iterator_traitsISK_E10value_typeEPNSQ_ISL_E10value_typeEPSM_NS1_7vsmem_tEENKUlT_SK_SL_SM_E_clIPfSE_SF_SF_EESJ_SZ_SK_SL_SM_EUlSZ_E0_NS1_11comp_targetILNS1_3genE3ELNS1_11target_archE908ELNS1_3gpuE7ELNS1_3repE0EEENS1_38merge_mergepath_config_static_selectorELNS0_4arch9wavefront6targetE1EEEvSL_,@function
_ZN7rocprim17ROCPRIM_400000_NS6detail17trampoline_kernelINS0_14default_configENS1_38merge_sort_block_merge_config_selectorIfNS0_10empty_typeEEEZZNS1_27merge_sort_block_merge_implIS3_N6thrust23THRUST_200600_302600_NS6detail15normal_iteratorINS9_10device_ptrIfEEEEPS5_jNS1_19radix_merge_compareILb0ELb0EfNS0_19identity_decomposerEEEEE10hipError_tT0_T1_T2_jT3_P12ihipStream_tbPNSt15iterator_traitsISK_E10value_typeEPNSQ_ISL_E10value_typeEPSM_NS1_7vsmem_tEENKUlT_SK_SL_SM_E_clIPfSE_SF_SF_EESJ_SZ_SK_SL_SM_EUlSZ_E0_NS1_11comp_targetILNS1_3genE3ELNS1_11target_archE908ELNS1_3gpuE7ELNS1_3repE0EEENS1_38merge_mergepath_config_static_selectorELNS0_4arch9wavefront6targetE1EEEvSL_: ; @_ZN7rocprim17ROCPRIM_400000_NS6detail17trampoline_kernelINS0_14default_configENS1_38merge_sort_block_merge_config_selectorIfNS0_10empty_typeEEEZZNS1_27merge_sort_block_merge_implIS3_N6thrust23THRUST_200600_302600_NS6detail15normal_iteratorINS9_10device_ptrIfEEEEPS5_jNS1_19radix_merge_compareILb0ELb0EfNS0_19identity_decomposerEEEEE10hipError_tT0_T1_T2_jT3_P12ihipStream_tbPNSt15iterator_traitsISK_E10value_typeEPNSQ_ISL_E10value_typeEPSM_NS1_7vsmem_tEENKUlT_SK_SL_SM_E_clIPfSE_SF_SF_EESJ_SZ_SK_SL_SM_EUlSZ_E0_NS1_11comp_targetILNS1_3genE3ELNS1_11target_archE908ELNS1_3gpuE7ELNS1_3repE0EEENS1_38merge_mergepath_config_static_selectorELNS0_4arch9wavefront6targetE1EEEvSL_
; %bb.0:
	.section	.rodata,"a",@progbits
	.p2align	6, 0x0
	.amdhsa_kernel _ZN7rocprim17ROCPRIM_400000_NS6detail17trampoline_kernelINS0_14default_configENS1_38merge_sort_block_merge_config_selectorIfNS0_10empty_typeEEEZZNS1_27merge_sort_block_merge_implIS3_N6thrust23THRUST_200600_302600_NS6detail15normal_iteratorINS9_10device_ptrIfEEEEPS5_jNS1_19radix_merge_compareILb0ELb0EfNS0_19identity_decomposerEEEEE10hipError_tT0_T1_T2_jT3_P12ihipStream_tbPNSt15iterator_traitsISK_E10value_typeEPNSQ_ISL_E10value_typeEPSM_NS1_7vsmem_tEENKUlT_SK_SL_SM_E_clIPfSE_SF_SF_EESJ_SZ_SK_SL_SM_EUlSZ_E0_NS1_11comp_targetILNS1_3genE3ELNS1_11target_archE908ELNS1_3gpuE7ELNS1_3repE0EEENS1_38merge_mergepath_config_static_selectorELNS0_4arch9wavefront6targetE1EEEvSL_
		.amdhsa_group_segment_fixed_size 0
		.amdhsa_private_segment_fixed_size 0
		.amdhsa_kernarg_size 64
		.amdhsa_user_sgpr_count 2
		.amdhsa_user_sgpr_dispatch_ptr 0
		.amdhsa_user_sgpr_queue_ptr 0
		.amdhsa_user_sgpr_kernarg_segment_ptr 1
		.amdhsa_user_sgpr_dispatch_id 0
		.amdhsa_user_sgpr_kernarg_preload_length 0
		.amdhsa_user_sgpr_kernarg_preload_offset 0
		.amdhsa_user_sgpr_private_segment_size 0
		.amdhsa_uses_dynamic_stack 0
		.amdhsa_enable_private_segment 0
		.amdhsa_system_sgpr_workgroup_id_x 1
		.amdhsa_system_sgpr_workgroup_id_y 0
		.amdhsa_system_sgpr_workgroup_id_z 0
		.amdhsa_system_sgpr_workgroup_info 0
		.amdhsa_system_vgpr_workitem_id 0
		.amdhsa_next_free_vgpr 1
		.amdhsa_next_free_sgpr 0
		.amdhsa_accum_offset 4
		.amdhsa_reserve_vcc 0
		.amdhsa_float_round_mode_32 0
		.amdhsa_float_round_mode_16_64 0
		.amdhsa_float_denorm_mode_32 3
		.amdhsa_float_denorm_mode_16_64 3
		.amdhsa_dx10_clamp 1
		.amdhsa_ieee_mode 1
		.amdhsa_fp16_overflow 0
		.amdhsa_tg_split 0
		.amdhsa_exception_fp_ieee_invalid_op 0
		.amdhsa_exception_fp_denorm_src 0
		.amdhsa_exception_fp_ieee_div_zero 0
		.amdhsa_exception_fp_ieee_overflow 0
		.amdhsa_exception_fp_ieee_underflow 0
		.amdhsa_exception_fp_ieee_inexact 0
		.amdhsa_exception_int_div_zero 0
	.end_amdhsa_kernel
	.section	.text._ZN7rocprim17ROCPRIM_400000_NS6detail17trampoline_kernelINS0_14default_configENS1_38merge_sort_block_merge_config_selectorIfNS0_10empty_typeEEEZZNS1_27merge_sort_block_merge_implIS3_N6thrust23THRUST_200600_302600_NS6detail15normal_iteratorINS9_10device_ptrIfEEEEPS5_jNS1_19radix_merge_compareILb0ELb0EfNS0_19identity_decomposerEEEEE10hipError_tT0_T1_T2_jT3_P12ihipStream_tbPNSt15iterator_traitsISK_E10value_typeEPNSQ_ISL_E10value_typeEPSM_NS1_7vsmem_tEENKUlT_SK_SL_SM_E_clIPfSE_SF_SF_EESJ_SZ_SK_SL_SM_EUlSZ_E0_NS1_11comp_targetILNS1_3genE3ELNS1_11target_archE908ELNS1_3gpuE7ELNS1_3repE0EEENS1_38merge_mergepath_config_static_selectorELNS0_4arch9wavefront6targetE1EEEvSL_,"axG",@progbits,_ZN7rocprim17ROCPRIM_400000_NS6detail17trampoline_kernelINS0_14default_configENS1_38merge_sort_block_merge_config_selectorIfNS0_10empty_typeEEEZZNS1_27merge_sort_block_merge_implIS3_N6thrust23THRUST_200600_302600_NS6detail15normal_iteratorINS9_10device_ptrIfEEEEPS5_jNS1_19radix_merge_compareILb0ELb0EfNS0_19identity_decomposerEEEEE10hipError_tT0_T1_T2_jT3_P12ihipStream_tbPNSt15iterator_traitsISK_E10value_typeEPNSQ_ISL_E10value_typeEPSM_NS1_7vsmem_tEENKUlT_SK_SL_SM_E_clIPfSE_SF_SF_EESJ_SZ_SK_SL_SM_EUlSZ_E0_NS1_11comp_targetILNS1_3genE3ELNS1_11target_archE908ELNS1_3gpuE7ELNS1_3repE0EEENS1_38merge_mergepath_config_static_selectorELNS0_4arch9wavefront6targetE1EEEvSL_,comdat
.Lfunc_end487:
	.size	_ZN7rocprim17ROCPRIM_400000_NS6detail17trampoline_kernelINS0_14default_configENS1_38merge_sort_block_merge_config_selectorIfNS0_10empty_typeEEEZZNS1_27merge_sort_block_merge_implIS3_N6thrust23THRUST_200600_302600_NS6detail15normal_iteratorINS9_10device_ptrIfEEEEPS5_jNS1_19radix_merge_compareILb0ELb0EfNS0_19identity_decomposerEEEEE10hipError_tT0_T1_T2_jT3_P12ihipStream_tbPNSt15iterator_traitsISK_E10value_typeEPNSQ_ISL_E10value_typeEPSM_NS1_7vsmem_tEENKUlT_SK_SL_SM_E_clIPfSE_SF_SF_EESJ_SZ_SK_SL_SM_EUlSZ_E0_NS1_11comp_targetILNS1_3genE3ELNS1_11target_archE908ELNS1_3gpuE7ELNS1_3repE0EEENS1_38merge_mergepath_config_static_selectorELNS0_4arch9wavefront6targetE1EEEvSL_, .Lfunc_end487-_ZN7rocprim17ROCPRIM_400000_NS6detail17trampoline_kernelINS0_14default_configENS1_38merge_sort_block_merge_config_selectorIfNS0_10empty_typeEEEZZNS1_27merge_sort_block_merge_implIS3_N6thrust23THRUST_200600_302600_NS6detail15normal_iteratorINS9_10device_ptrIfEEEEPS5_jNS1_19radix_merge_compareILb0ELb0EfNS0_19identity_decomposerEEEEE10hipError_tT0_T1_T2_jT3_P12ihipStream_tbPNSt15iterator_traitsISK_E10value_typeEPNSQ_ISL_E10value_typeEPSM_NS1_7vsmem_tEENKUlT_SK_SL_SM_E_clIPfSE_SF_SF_EESJ_SZ_SK_SL_SM_EUlSZ_E0_NS1_11comp_targetILNS1_3genE3ELNS1_11target_archE908ELNS1_3gpuE7ELNS1_3repE0EEENS1_38merge_mergepath_config_static_selectorELNS0_4arch9wavefront6targetE1EEEvSL_
                                        ; -- End function
	.set _ZN7rocprim17ROCPRIM_400000_NS6detail17trampoline_kernelINS0_14default_configENS1_38merge_sort_block_merge_config_selectorIfNS0_10empty_typeEEEZZNS1_27merge_sort_block_merge_implIS3_N6thrust23THRUST_200600_302600_NS6detail15normal_iteratorINS9_10device_ptrIfEEEEPS5_jNS1_19radix_merge_compareILb0ELb0EfNS0_19identity_decomposerEEEEE10hipError_tT0_T1_T2_jT3_P12ihipStream_tbPNSt15iterator_traitsISK_E10value_typeEPNSQ_ISL_E10value_typeEPSM_NS1_7vsmem_tEENKUlT_SK_SL_SM_E_clIPfSE_SF_SF_EESJ_SZ_SK_SL_SM_EUlSZ_E0_NS1_11comp_targetILNS1_3genE3ELNS1_11target_archE908ELNS1_3gpuE7ELNS1_3repE0EEENS1_38merge_mergepath_config_static_selectorELNS0_4arch9wavefront6targetE1EEEvSL_.num_vgpr, 0
	.set _ZN7rocprim17ROCPRIM_400000_NS6detail17trampoline_kernelINS0_14default_configENS1_38merge_sort_block_merge_config_selectorIfNS0_10empty_typeEEEZZNS1_27merge_sort_block_merge_implIS3_N6thrust23THRUST_200600_302600_NS6detail15normal_iteratorINS9_10device_ptrIfEEEEPS5_jNS1_19radix_merge_compareILb0ELb0EfNS0_19identity_decomposerEEEEE10hipError_tT0_T1_T2_jT3_P12ihipStream_tbPNSt15iterator_traitsISK_E10value_typeEPNSQ_ISL_E10value_typeEPSM_NS1_7vsmem_tEENKUlT_SK_SL_SM_E_clIPfSE_SF_SF_EESJ_SZ_SK_SL_SM_EUlSZ_E0_NS1_11comp_targetILNS1_3genE3ELNS1_11target_archE908ELNS1_3gpuE7ELNS1_3repE0EEENS1_38merge_mergepath_config_static_selectorELNS0_4arch9wavefront6targetE1EEEvSL_.num_agpr, 0
	.set _ZN7rocprim17ROCPRIM_400000_NS6detail17trampoline_kernelINS0_14default_configENS1_38merge_sort_block_merge_config_selectorIfNS0_10empty_typeEEEZZNS1_27merge_sort_block_merge_implIS3_N6thrust23THRUST_200600_302600_NS6detail15normal_iteratorINS9_10device_ptrIfEEEEPS5_jNS1_19radix_merge_compareILb0ELb0EfNS0_19identity_decomposerEEEEE10hipError_tT0_T1_T2_jT3_P12ihipStream_tbPNSt15iterator_traitsISK_E10value_typeEPNSQ_ISL_E10value_typeEPSM_NS1_7vsmem_tEENKUlT_SK_SL_SM_E_clIPfSE_SF_SF_EESJ_SZ_SK_SL_SM_EUlSZ_E0_NS1_11comp_targetILNS1_3genE3ELNS1_11target_archE908ELNS1_3gpuE7ELNS1_3repE0EEENS1_38merge_mergepath_config_static_selectorELNS0_4arch9wavefront6targetE1EEEvSL_.numbered_sgpr, 0
	.set _ZN7rocprim17ROCPRIM_400000_NS6detail17trampoline_kernelINS0_14default_configENS1_38merge_sort_block_merge_config_selectorIfNS0_10empty_typeEEEZZNS1_27merge_sort_block_merge_implIS3_N6thrust23THRUST_200600_302600_NS6detail15normal_iteratorINS9_10device_ptrIfEEEEPS5_jNS1_19radix_merge_compareILb0ELb0EfNS0_19identity_decomposerEEEEE10hipError_tT0_T1_T2_jT3_P12ihipStream_tbPNSt15iterator_traitsISK_E10value_typeEPNSQ_ISL_E10value_typeEPSM_NS1_7vsmem_tEENKUlT_SK_SL_SM_E_clIPfSE_SF_SF_EESJ_SZ_SK_SL_SM_EUlSZ_E0_NS1_11comp_targetILNS1_3genE3ELNS1_11target_archE908ELNS1_3gpuE7ELNS1_3repE0EEENS1_38merge_mergepath_config_static_selectorELNS0_4arch9wavefront6targetE1EEEvSL_.num_named_barrier, 0
	.set _ZN7rocprim17ROCPRIM_400000_NS6detail17trampoline_kernelINS0_14default_configENS1_38merge_sort_block_merge_config_selectorIfNS0_10empty_typeEEEZZNS1_27merge_sort_block_merge_implIS3_N6thrust23THRUST_200600_302600_NS6detail15normal_iteratorINS9_10device_ptrIfEEEEPS5_jNS1_19radix_merge_compareILb0ELb0EfNS0_19identity_decomposerEEEEE10hipError_tT0_T1_T2_jT3_P12ihipStream_tbPNSt15iterator_traitsISK_E10value_typeEPNSQ_ISL_E10value_typeEPSM_NS1_7vsmem_tEENKUlT_SK_SL_SM_E_clIPfSE_SF_SF_EESJ_SZ_SK_SL_SM_EUlSZ_E0_NS1_11comp_targetILNS1_3genE3ELNS1_11target_archE908ELNS1_3gpuE7ELNS1_3repE0EEENS1_38merge_mergepath_config_static_selectorELNS0_4arch9wavefront6targetE1EEEvSL_.private_seg_size, 0
	.set _ZN7rocprim17ROCPRIM_400000_NS6detail17trampoline_kernelINS0_14default_configENS1_38merge_sort_block_merge_config_selectorIfNS0_10empty_typeEEEZZNS1_27merge_sort_block_merge_implIS3_N6thrust23THRUST_200600_302600_NS6detail15normal_iteratorINS9_10device_ptrIfEEEEPS5_jNS1_19radix_merge_compareILb0ELb0EfNS0_19identity_decomposerEEEEE10hipError_tT0_T1_T2_jT3_P12ihipStream_tbPNSt15iterator_traitsISK_E10value_typeEPNSQ_ISL_E10value_typeEPSM_NS1_7vsmem_tEENKUlT_SK_SL_SM_E_clIPfSE_SF_SF_EESJ_SZ_SK_SL_SM_EUlSZ_E0_NS1_11comp_targetILNS1_3genE3ELNS1_11target_archE908ELNS1_3gpuE7ELNS1_3repE0EEENS1_38merge_mergepath_config_static_selectorELNS0_4arch9wavefront6targetE1EEEvSL_.uses_vcc, 0
	.set _ZN7rocprim17ROCPRIM_400000_NS6detail17trampoline_kernelINS0_14default_configENS1_38merge_sort_block_merge_config_selectorIfNS0_10empty_typeEEEZZNS1_27merge_sort_block_merge_implIS3_N6thrust23THRUST_200600_302600_NS6detail15normal_iteratorINS9_10device_ptrIfEEEEPS5_jNS1_19radix_merge_compareILb0ELb0EfNS0_19identity_decomposerEEEEE10hipError_tT0_T1_T2_jT3_P12ihipStream_tbPNSt15iterator_traitsISK_E10value_typeEPNSQ_ISL_E10value_typeEPSM_NS1_7vsmem_tEENKUlT_SK_SL_SM_E_clIPfSE_SF_SF_EESJ_SZ_SK_SL_SM_EUlSZ_E0_NS1_11comp_targetILNS1_3genE3ELNS1_11target_archE908ELNS1_3gpuE7ELNS1_3repE0EEENS1_38merge_mergepath_config_static_selectorELNS0_4arch9wavefront6targetE1EEEvSL_.uses_flat_scratch, 0
	.set _ZN7rocprim17ROCPRIM_400000_NS6detail17trampoline_kernelINS0_14default_configENS1_38merge_sort_block_merge_config_selectorIfNS0_10empty_typeEEEZZNS1_27merge_sort_block_merge_implIS3_N6thrust23THRUST_200600_302600_NS6detail15normal_iteratorINS9_10device_ptrIfEEEEPS5_jNS1_19radix_merge_compareILb0ELb0EfNS0_19identity_decomposerEEEEE10hipError_tT0_T1_T2_jT3_P12ihipStream_tbPNSt15iterator_traitsISK_E10value_typeEPNSQ_ISL_E10value_typeEPSM_NS1_7vsmem_tEENKUlT_SK_SL_SM_E_clIPfSE_SF_SF_EESJ_SZ_SK_SL_SM_EUlSZ_E0_NS1_11comp_targetILNS1_3genE3ELNS1_11target_archE908ELNS1_3gpuE7ELNS1_3repE0EEENS1_38merge_mergepath_config_static_selectorELNS0_4arch9wavefront6targetE1EEEvSL_.has_dyn_sized_stack, 0
	.set _ZN7rocprim17ROCPRIM_400000_NS6detail17trampoline_kernelINS0_14default_configENS1_38merge_sort_block_merge_config_selectorIfNS0_10empty_typeEEEZZNS1_27merge_sort_block_merge_implIS3_N6thrust23THRUST_200600_302600_NS6detail15normal_iteratorINS9_10device_ptrIfEEEEPS5_jNS1_19radix_merge_compareILb0ELb0EfNS0_19identity_decomposerEEEEE10hipError_tT0_T1_T2_jT3_P12ihipStream_tbPNSt15iterator_traitsISK_E10value_typeEPNSQ_ISL_E10value_typeEPSM_NS1_7vsmem_tEENKUlT_SK_SL_SM_E_clIPfSE_SF_SF_EESJ_SZ_SK_SL_SM_EUlSZ_E0_NS1_11comp_targetILNS1_3genE3ELNS1_11target_archE908ELNS1_3gpuE7ELNS1_3repE0EEENS1_38merge_mergepath_config_static_selectorELNS0_4arch9wavefront6targetE1EEEvSL_.has_recursion, 0
	.set _ZN7rocprim17ROCPRIM_400000_NS6detail17trampoline_kernelINS0_14default_configENS1_38merge_sort_block_merge_config_selectorIfNS0_10empty_typeEEEZZNS1_27merge_sort_block_merge_implIS3_N6thrust23THRUST_200600_302600_NS6detail15normal_iteratorINS9_10device_ptrIfEEEEPS5_jNS1_19radix_merge_compareILb0ELb0EfNS0_19identity_decomposerEEEEE10hipError_tT0_T1_T2_jT3_P12ihipStream_tbPNSt15iterator_traitsISK_E10value_typeEPNSQ_ISL_E10value_typeEPSM_NS1_7vsmem_tEENKUlT_SK_SL_SM_E_clIPfSE_SF_SF_EESJ_SZ_SK_SL_SM_EUlSZ_E0_NS1_11comp_targetILNS1_3genE3ELNS1_11target_archE908ELNS1_3gpuE7ELNS1_3repE0EEENS1_38merge_mergepath_config_static_selectorELNS0_4arch9wavefront6targetE1EEEvSL_.has_indirect_call, 0
	.section	.AMDGPU.csdata,"",@progbits
; Kernel info:
; codeLenInByte = 0
; TotalNumSgprs: 6
; NumVgprs: 0
; NumAgprs: 0
; TotalNumVgprs: 0
; ScratchSize: 0
; MemoryBound: 0
; FloatMode: 240
; IeeeMode: 1
; LDSByteSize: 0 bytes/workgroup (compile time only)
; SGPRBlocks: 0
; VGPRBlocks: 0
; NumSGPRsForWavesPerEU: 6
; NumVGPRsForWavesPerEU: 1
; AccumOffset: 4
; Occupancy: 8
; WaveLimiterHint : 0
; COMPUTE_PGM_RSRC2:SCRATCH_EN: 0
; COMPUTE_PGM_RSRC2:USER_SGPR: 2
; COMPUTE_PGM_RSRC2:TRAP_HANDLER: 0
; COMPUTE_PGM_RSRC2:TGID_X_EN: 1
; COMPUTE_PGM_RSRC2:TGID_Y_EN: 0
; COMPUTE_PGM_RSRC2:TGID_Z_EN: 0
; COMPUTE_PGM_RSRC2:TIDIG_COMP_CNT: 0
; COMPUTE_PGM_RSRC3_GFX90A:ACCUM_OFFSET: 0
; COMPUTE_PGM_RSRC3_GFX90A:TG_SPLIT: 0
	.section	.text._ZN7rocprim17ROCPRIM_400000_NS6detail17trampoline_kernelINS0_14default_configENS1_38merge_sort_block_merge_config_selectorIfNS0_10empty_typeEEEZZNS1_27merge_sort_block_merge_implIS3_N6thrust23THRUST_200600_302600_NS6detail15normal_iteratorINS9_10device_ptrIfEEEEPS5_jNS1_19radix_merge_compareILb0ELb0EfNS0_19identity_decomposerEEEEE10hipError_tT0_T1_T2_jT3_P12ihipStream_tbPNSt15iterator_traitsISK_E10value_typeEPNSQ_ISL_E10value_typeEPSM_NS1_7vsmem_tEENKUlT_SK_SL_SM_E_clIPfSE_SF_SF_EESJ_SZ_SK_SL_SM_EUlSZ_E0_NS1_11comp_targetILNS1_3genE2ELNS1_11target_archE906ELNS1_3gpuE6ELNS1_3repE0EEENS1_38merge_mergepath_config_static_selectorELNS0_4arch9wavefront6targetE1EEEvSL_,"axG",@progbits,_ZN7rocprim17ROCPRIM_400000_NS6detail17trampoline_kernelINS0_14default_configENS1_38merge_sort_block_merge_config_selectorIfNS0_10empty_typeEEEZZNS1_27merge_sort_block_merge_implIS3_N6thrust23THRUST_200600_302600_NS6detail15normal_iteratorINS9_10device_ptrIfEEEEPS5_jNS1_19radix_merge_compareILb0ELb0EfNS0_19identity_decomposerEEEEE10hipError_tT0_T1_T2_jT3_P12ihipStream_tbPNSt15iterator_traitsISK_E10value_typeEPNSQ_ISL_E10value_typeEPSM_NS1_7vsmem_tEENKUlT_SK_SL_SM_E_clIPfSE_SF_SF_EESJ_SZ_SK_SL_SM_EUlSZ_E0_NS1_11comp_targetILNS1_3genE2ELNS1_11target_archE906ELNS1_3gpuE6ELNS1_3repE0EEENS1_38merge_mergepath_config_static_selectorELNS0_4arch9wavefront6targetE1EEEvSL_,comdat
	.protected	_ZN7rocprim17ROCPRIM_400000_NS6detail17trampoline_kernelINS0_14default_configENS1_38merge_sort_block_merge_config_selectorIfNS0_10empty_typeEEEZZNS1_27merge_sort_block_merge_implIS3_N6thrust23THRUST_200600_302600_NS6detail15normal_iteratorINS9_10device_ptrIfEEEEPS5_jNS1_19radix_merge_compareILb0ELb0EfNS0_19identity_decomposerEEEEE10hipError_tT0_T1_T2_jT3_P12ihipStream_tbPNSt15iterator_traitsISK_E10value_typeEPNSQ_ISL_E10value_typeEPSM_NS1_7vsmem_tEENKUlT_SK_SL_SM_E_clIPfSE_SF_SF_EESJ_SZ_SK_SL_SM_EUlSZ_E0_NS1_11comp_targetILNS1_3genE2ELNS1_11target_archE906ELNS1_3gpuE6ELNS1_3repE0EEENS1_38merge_mergepath_config_static_selectorELNS0_4arch9wavefront6targetE1EEEvSL_ ; -- Begin function _ZN7rocprim17ROCPRIM_400000_NS6detail17trampoline_kernelINS0_14default_configENS1_38merge_sort_block_merge_config_selectorIfNS0_10empty_typeEEEZZNS1_27merge_sort_block_merge_implIS3_N6thrust23THRUST_200600_302600_NS6detail15normal_iteratorINS9_10device_ptrIfEEEEPS5_jNS1_19radix_merge_compareILb0ELb0EfNS0_19identity_decomposerEEEEE10hipError_tT0_T1_T2_jT3_P12ihipStream_tbPNSt15iterator_traitsISK_E10value_typeEPNSQ_ISL_E10value_typeEPSM_NS1_7vsmem_tEENKUlT_SK_SL_SM_E_clIPfSE_SF_SF_EESJ_SZ_SK_SL_SM_EUlSZ_E0_NS1_11comp_targetILNS1_3genE2ELNS1_11target_archE906ELNS1_3gpuE6ELNS1_3repE0EEENS1_38merge_mergepath_config_static_selectorELNS0_4arch9wavefront6targetE1EEEvSL_
	.globl	_ZN7rocprim17ROCPRIM_400000_NS6detail17trampoline_kernelINS0_14default_configENS1_38merge_sort_block_merge_config_selectorIfNS0_10empty_typeEEEZZNS1_27merge_sort_block_merge_implIS3_N6thrust23THRUST_200600_302600_NS6detail15normal_iteratorINS9_10device_ptrIfEEEEPS5_jNS1_19radix_merge_compareILb0ELb0EfNS0_19identity_decomposerEEEEE10hipError_tT0_T1_T2_jT3_P12ihipStream_tbPNSt15iterator_traitsISK_E10value_typeEPNSQ_ISL_E10value_typeEPSM_NS1_7vsmem_tEENKUlT_SK_SL_SM_E_clIPfSE_SF_SF_EESJ_SZ_SK_SL_SM_EUlSZ_E0_NS1_11comp_targetILNS1_3genE2ELNS1_11target_archE906ELNS1_3gpuE6ELNS1_3repE0EEENS1_38merge_mergepath_config_static_selectorELNS0_4arch9wavefront6targetE1EEEvSL_
	.p2align	8
	.type	_ZN7rocprim17ROCPRIM_400000_NS6detail17trampoline_kernelINS0_14default_configENS1_38merge_sort_block_merge_config_selectorIfNS0_10empty_typeEEEZZNS1_27merge_sort_block_merge_implIS3_N6thrust23THRUST_200600_302600_NS6detail15normal_iteratorINS9_10device_ptrIfEEEEPS5_jNS1_19radix_merge_compareILb0ELb0EfNS0_19identity_decomposerEEEEE10hipError_tT0_T1_T2_jT3_P12ihipStream_tbPNSt15iterator_traitsISK_E10value_typeEPNSQ_ISL_E10value_typeEPSM_NS1_7vsmem_tEENKUlT_SK_SL_SM_E_clIPfSE_SF_SF_EESJ_SZ_SK_SL_SM_EUlSZ_E0_NS1_11comp_targetILNS1_3genE2ELNS1_11target_archE906ELNS1_3gpuE6ELNS1_3repE0EEENS1_38merge_mergepath_config_static_selectorELNS0_4arch9wavefront6targetE1EEEvSL_,@function
_ZN7rocprim17ROCPRIM_400000_NS6detail17trampoline_kernelINS0_14default_configENS1_38merge_sort_block_merge_config_selectorIfNS0_10empty_typeEEEZZNS1_27merge_sort_block_merge_implIS3_N6thrust23THRUST_200600_302600_NS6detail15normal_iteratorINS9_10device_ptrIfEEEEPS5_jNS1_19radix_merge_compareILb0ELb0EfNS0_19identity_decomposerEEEEE10hipError_tT0_T1_T2_jT3_P12ihipStream_tbPNSt15iterator_traitsISK_E10value_typeEPNSQ_ISL_E10value_typeEPSM_NS1_7vsmem_tEENKUlT_SK_SL_SM_E_clIPfSE_SF_SF_EESJ_SZ_SK_SL_SM_EUlSZ_E0_NS1_11comp_targetILNS1_3genE2ELNS1_11target_archE906ELNS1_3gpuE6ELNS1_3repE0EEENS1_38merge_mergepath_config_static_selectorELNS0_4arch9wavefront6targetE1EEEvSL_: ; @_ZN7rocprim17ROCPRIM_400000_NS6detail17trampoline_kernelINS0_14default_configENS1_38merge_sort_block_merge_config_selectorIfNS0_10empty_typeEEEZZNS1_27merge_sort_block_merge_implIS3_N6thrust23THRUST_200600_302600_NS6detail15normal_iteratorINS9_10device_ptrIfEEEEPS5_jNS1_19radix_merge_compareILb0ELb0EfNS0_19identity_decomposerEEEEE10hipError_tT0_T1_T2_jT3_P12ihipStream_tbPNSt15iterator_traitsISK_E10value_typeEPNSQ_ISL_E10value_typeEPSM_NS1_7vsmem_tEENKUlT_SK_SL_SM_E_clIPfSE_SF_SF_EESJ_SZ_SK_SL_SM_EUlSZ_E0_NS1_11comp_targetILNS1_3genE2ELNS1_11target_archE906ELNS1_3gpuE6ELNS1_3repE0EEENS1_38merge_mergepath_config_static_selectorELNS0_4arch9wavefront6targetE1EEEvSL_
; %bb.0:
	.section	.rodata,"a",@progbits
	.p2align	6, 0x0
	.amdhsa_kernel _ZN7rocprim17ROCPRIM_400000_NS6detail17trampoline_kernelINS0_14default_configENS1_38merge_sort_block_merge_config_selectorIfNS0_10empty_typeEEEZZNS1_27merge_sort_block_merge_implIS3_N6thrust23THRUST_200600_302600_NS6detail15normal_iteratorINS9_10device_ptrIfEEEEPS5_jNS1_19radix_merge_compareILb0ELb0EfNS0_19identity_decomposerEEEEE10hipError_tT0_T1_T2_jT3_P12ihipStream_tbPNSt15iterator_traitsISK_E10value_typeEPNSQ_ISL_E10value_typeEPSM_NS1_7vsmem_tEENKUlT_SK_SL_SM_E_clIPfSE_SF_SF_EESJ_SZ_SK_SL_SM_EUlSZ_E0_NS1_11comp_targetILNS1_3genE2ELNS1_11target_archE906ELNS1_3gpuE6ELNS1_3repE0EEENS1_38merge_mergepath_config_static_selectorELNS0_4arch9wavefront6targetE1EEEvSL_
		.amdhsa_group_segment_fixed_size 0
		.amdhsa_private_segment_fixed_size 0
		.amdhsa_kernarg_size 64
		.amdhsa_user_sgpr_count 2
		.amdhsa_user_sgpr_dispatch_ptr 0
		.amdhsa_user_sgpr_queue_ptr 0
		.amdhsa_user_sgpr_kernarg_segment_ptr 1
		.amdhsa_user_sgpr_dispatch_id 0
		.amdhsa_user_sgpr_kernarg_preload_length 0
		.amdhsa_user_sgpr_kernarg_preload_offset 0
		.amdhsa_user_sgpr_private_segment_size 0
		.amdhsa_uses_dynamic_stack 0
		.amdhsa_enable_private_segment 0
		.amdhsa_system_sgpr_workgroup_id_x 1
		.amdhsa_system_sgpr_workgroup_id_y 0
		.amdhsa_system_sgpr_workgroup_id_z 0
		.amdhsa_system_sgpr_workgroup_info 0
		.amdhsa_system_vgpr_workitem_id 0
		.amdhsa_next_free_vgpr 1
		.amdhsa_next_free_sgpr 0
		.amdhsa_accum_offset 4
		.amdhsa_reserve_vcc 0
		.amdhsa_float_round_mode_32 0
		.amdhsa_float_round_mode_16_64 0
		.amdhsa_float_denorm_mode_32 3
		.amdhsa_float_denorm_mode_16_64 3
		.amdhsa_dx10_clamp 1
		.amdhsa_ieee_mode 1
		.amdhsa_fp16_overflow 0
		.amdhsa_tg_split 0
		.amdhsa_exception_fp_ieee_invalid_op 0
		.amdhsa_exception_fp_denorm_src 0
		.amdhsa_exception_fp_ieee_div_zero 0
		.amdhsa_exception_fp_ieee_overflow 0
		.amdhsa_exception_fp_ieee_underflow 0
		.amdhsa_exception_fp_ieee_inexact 0
		.amdhsa_exception_int_div_zero 0
	.end_amdhsa_kernel
	.section	.text._ZN7rocprim17ROCPRIM_400000_NS6detail17trampoline_kernelINS0_14default_configENS1_38merge_sort_block_merge_config_selectorIfNS0_10empty_typeEEEZZNS1_27merge_sort_block_merge_implIS3_N6thrust23THRUST_200600_302600_NS6detail15normal_iteratorINS9_10device_ptrIfEEEEPS5_jNS1_19radix_merge_compareILb0ELb0EfNS0_19identity_decomposerEEEEE10hipError_tT0_T1_T2_jT3_P12ihipStream_tbPNSt15iterator_traitsISK_E10value_typeEPNSQ_ISL_E10value_typeEPSM_NS1_7vsmem_tEENKUlT_SK_SL_SM_E_clIPfSE_SF_SF_EESJ_SZ_SK_SL_SM_EUlSZ_E0_NS1_11comp_targetILNS1_3genE2ELNS1_11target_archE906ELNS1_3gpuE6ELNS1_3repE0EEENS1_38merge_mergepath_config_static_selectorELNS0_4arch9wavefront6targetE1EEEvSL_,"axG",@progbits,_ZN7rocprim17ROCPRIM_400000_NS6detail17trampoline_kernelINS0_14default_configENS1_38merge_sort_block_merge_config_selectorIfNS0_10empty_typeEEEZZNS1_27merge_sort_block_merge_implIS3_N6thrust23THRUST_200600_302600_NS6detail15normal_iteratorINS9_10device_ptrIfEEEEPS5_jNS1_19radix_merge_compareILb0ELb0EfNS0_19identity_decomposerEEEEE10hipError_tT0_T1_T2_jT3_P12ihipStream_tbPNSt15iterator_traitsISK_E10value_typeEPNSQ_ISL_E10value_typeEPSM_NS1_7vsmem_tEENKUlT_SK_SL_SM_E_clIPfSE_SF_SF_EESJ_SZ_SK_SL_SM_EUlSZ_E0_NS1_11comp_targetILNS1_3genE2ELNS1_11target_archE906ELNS1_3gpuE6ELNS1_3repE0EEENS1_38merge_mergepath_config_static_selectorELNS0_4arch9wavefront6targetE1EEEvSL_,comdat
.Lfunc_end488:
	.size	_ZN7rocprim17ROCPRIM_400000_NS6detail17trampoline_kernelINS0_14default_configENS1_38merge_sort_block_merge_config_selectorIfNS0_10empty_typeEEEZZNS1_27merge_sort_block_merge_implIS3_N6thrust23THRUST_200600_302600_NS6detail15normal_iteratorINS9_10device_ptrIfEEEEPS5_jNS1_19radix_merge_compareILb0ELb0EfNS0_19identity_decomposerEEEEE10hipError_tT0_T1_T2_jT3_P12ihipStream_tbPNSt15iterator_traitsISK_E10value_typeEPNSQ_ISL_E10value_typeEPSM_NS1_7vsmem_tEENKUlT_SK_SL_SM_E_clIPfSE_SF_SF_EESJ_SZ_SK_SL_SM_EUlSZ_E0_NS1_11comp_targetILNS1_3genE2ELNS1_11target_archE906ELNS1_3gpuE6ELNS1_3repE0EEENS1_38merge_mergepath_config_static_selectorELNS0_4arch9wavefront6targetE1EEEvSL_, .Lfunc_end488-_ZN7rocprim17ROCPRIM_400000_NS6detail17trampoline_kernelINS0_14default_configENS1_38merge_sort_block_merge_config_selectorIfNS0_10empty_typeEEEZZNS1_27merge_sort_block_merge_implIS3_N6thrust23THRUST_200600_302600_NS6detail15normal_iteratorINS9_10device_ptrIfEEEEPS5_jNS1_19radix_merge_compareILb0ELb0EfNS0_19identity_decomposerEEEEE10hipError_tT0_T1_T2_jT3_P12ihipStream_tbPNSt15iterator_traitsISK_E10value_typeEPNSQ_ISL_E10value_typeEPSM_NS1_7vsmem_tEENKUlT_SK_SL_SM_E_clIPfSE_SF_SF_EESJ_SZ_SK_SL_SM_EUlSZ_E0_NS1_11comp_targetILNS1_3genE2ELNS1_11target_archE906ELNS1_3gpuE6ELNS1_3repE0EEENS1_38merge_mergepath_config_static_selectorELNS0_4arch9wavefront6targetE1EEEvSL_
                                        ; -- End function
	.set _ZN7rocprim17ROCPRIM_400000_NS6detail17trampoline_kernelINS0_14default_configENS1_38merge_sort_block_merge_config_selectorIfNS0_10empty_typeEEEZZNS1_27merge_sort_block_merge_implIS3_N6thrust23THRUST_200600_302600_NS6detail15normal_iteratorINS9_10device_ptrIfEEEEPS5_jNS1_19radix_merge_compareILb0ELb0EfNS0_19identity_decomposerEEEEE10hipError_tT0_T1_T2_jT3_P12ihipStream_tbPNSt15iterator_traitsISK_E10value_typeEPNSQ_ISL_E10value_typeEPSM_NS1_7vsmem_tEENKUlT_SK_SL_SM_E_clIPfSE_SF_SF_EESJ_SZ_SK_SL_SM_EUlSZ_E0_NS1_11comp_targetILNS1_3genE2ELNS1_11target_archE906ELNS1_3gpuE6ELNS1_3repE0EEENS1_38merge_mergepath_config_static_selectorELNS0_4arch9wavefront6targetE1EEEvSL_.num_vgpr, 0
	.set _ZN7rocprim17ROCPRIM_400000_NS6detail17trampoline_kernelINS0_14default_configENS1_38merge_sort_block_merge_config_selectorIfNS0_10empty_typeEEEZZNS1_27merge_sort_block_merge_implIS3_N6thrust23THRUST_200600_302600_NS6detail15normal_iteratorINS9_10device_ptrIfEEEEPS5_jNS1_19radix_merge_compareILb0ELb0EfNS0_19identity_decomposerEEEEE10hipError_tT0_T1_T2_jT3_P12ihipStream_tbPNSt15iterator_traitsISK_E10value_typeEPNSQ_ISL_E10value_typeEPSM_NS1_7vsmem_tEENKUlT_SK_SL_SM_E_clIPfSE_SF_SF_EESJ_SZ_SK_SL_SM_EUlSZ_E0_NS1_11comp_targetILNS1_3genE2ELNS1_11target_archE906ELNS1_3gpuE6ELNS1_3repE0EEENS1_38merge_mergepath_config_static_selectorELNS0_4arch9wavefront6targetE1EEEvSL_.num_agpr, 0
	.set _ZN7rocprim17ROCPRIM_400000_NS6detail17trampoline_kernelINS0_14default_configENS1_38merge_sort_block_merge_config_selectorIfNS0_10empty_typeEEEZZNS1_27merge_sort_block_merge_implIS3_N6thrust23THRUST_200600_302600_NS6detail15normal_iteratorINS9_10device_ptrIfEEEEPS5_jNS1_19radix_merge_compareILb0ELb0EfNS0_19identity_decomposerEEEEE10hipError_tT0_T1_T2_jT3_P12ihipStream_tbPNSt15iterator_traitsISK_E10value_typeEPNSQ_ISL_E10value_typeEPSM_NS1_7vsmem_tEENKUlT_SK_SL_SM_E_clIPfSE_SF_SF_EESJ_SZ_SK_SL_SM_EUlSZ_E0_NS1_11comp_targetILNS1_3genE2ELNS1_11target_archE906ELNS1_3gpuE6ELNS1_3repE0EEENS1_38merge_mergepath_config_static_selectorELNS0_4arch9wavefront6targetE1EEEvSL_.numbered_sgpr, 0
	.set _ZN7rocprim17ROCPRIM_400000_NS6detail17trampoline_kernelINS0_14default_configENS1_38merge_sort_block_merge_config_selectorIfNS0_10empty_typeEEEZZNS1_27merge_sort_block_merge_implIS3_N6thrust23THRUST_200600_302600_NS6detail15normal_iteratorINS9_10device_ptrIfEEEEPS5_jNS1_19radix_merge_compareILb0ELb0EfNS0_19identity_decomposerEEEEE10hipError_tT0_T1_T2_jT3_P12ihipStream_tbPNSt15iterator_traitsISK_E10value_typeEPNSQ_ISL_E10value_typeEPSM_NS1_7vsmem_tEENKUlT_SK_SL_SM_E_clIPfSE_SF_SF_EESJ_SZ_SK_SL_SM_EUlSZ_E0_NS1_11comp_targetILNS1_3genE2ELNS1_11target_archE906ELNS1_3gpuE6ELNS1_3repE0EEENS1_38merge_mergepath_config_static_selectorELNS0_4arch9wavefront6targetE1EEEvSL_.num_named_barrier, 0
	.set _ZN7rocprim17ROCPRIM_400000_NS6detail17trampoline_kernelINS0_14default_configENS1_38merge_sort_block_merge_config_selectorIfNS0_10empty_typeEEEZZNS1_27merge_sort_block_merge_implIS3_N6thrust23THRUST_200600_302600_NS6detail15normal_iteratorINS9_10device_ptrIfEEEEPS5_jNS1_19radix_merge_compareILb0ELb0EfNS0_19identity_decomposerEEEEE10hipError_tT0_T1_T2_jT3_P12ihipStream_tbPNSt15iterator_traitsISK_E10value_typeEPNSQ_ISL_E10value_typeEPSM_NS1_7vsmem_tEENKUlT_SK_SL_SM_E_clIPfSE_SF_SF_EESJ_SZ_SK_SL_SM_EUlSZ_E0_NS1_11comp_targetILNS1_3genE2ELNS1_11target_archE906ELNS1_3gpuE6ELNS1_3repE0EEENS1_38merge_mergepath_config_static_selectorELNS0_4arch9wavefront6targetE1EEEvSL_.private_seg_size, 0
	.set _ZN7rocprim17ROCPRIM_400000_NS6detail17trampoline_kernelINS0_14default_configENS1_38merge_sort_block_merge_config_selectorIfNS0_10empty_typeEEEZZNS1_27merge_sort_block_merge_implIS3_N6thrust23THRUST_200600_302600_NS6detail15normal_iteratorINS9_10device_ptrIfEEEEPS5_jNS1_19radix_merge_compareILb0ELb0EfNS0_19identity_decomposerEEEEE10hipError_tT0_T1_T2_jT3_P12ihipStream_tbPNSt15iterator_traitsISK_E10value_typeEPNSQ_ISL_E10value_typeEPSM_NS1_7vsmem_tEENKUlT_SK_SL_SM_E_clIPfSE_SF_SF_EESJ_SZ_SK_SL_SM_EUlSZ_E0_NS1_11comp_targetILNS1_3genE2ELNS1_11target_archE906ELNS1_3gpuE6ELNS1_3repE0EEENS1_38merge_mergepath_config_static_selectorELNS0_4arch9wavefront6targetE1EEEvSL_.uses_vcc, 0
	.set _ZN7rocprim17ROCPRIM_400000_NS6detail17trampoline_kernelINS0_14default_configENS1_38merge_sort_block_merge_config_selectorIfNS0_10empty_typeEEEZZNS1_27merge_sort_block_merge_implIS3_N6thrust23THRUST_200600_302600_NS6detail15normal_iteratorINS9_10device_ptrIfEEEEPS5_jNS1_19radix_merge_compareILb0ELb0EfNS0_19identity_decomposerEEEEE10hipError_tT0_T1_T2_jT3_P12ihipStream_tbPNSt15iterator_traitsISK_E10value_typeEPNSQ_ISL_E10value_typeEPSM_NS1_7vsmem_tEENKUlT_SK_SL_SM_E_clIPfSE_SF_SF_EESJ_SZ_SK_SL_SM_EUlSZ_E0_NS1_11comp_targetILNS1_3genE2ELNS1_11target_archE906ELNS1_3gpuE6ELNS1_3repE0EEENS1_38merge_mergepath_config_static_selectorELNS0_4arch9wavefront6targetE1EEEvSL_.uses_flat_scratch, 0
	.set _ZN7rocprim17ROCPRIM_400000_NS6detail17trampoline_kernelINS0_14default_configENS1_38merge_sort_block_merge_config_selectorIfNS0_10empty_typeEEEZZNS1_27merge_sort_block_merge_implIS3_N6thrust23THRUST_200600_302600_NS6detail15normal_iteratorINS9_10device_ptrIfEEEEPS5_jNS1_19radix_merge_compareILb0ELb0EfNS0_19identity_decomposerEEEEE10hipError_tT0_T1_T2_jT3_P12ihipStream_tbPNSt15iterator_traitsISK_E10value_typeEPNSQ_ISL_E10value_typeEPSM_NS1_7vsmem_tEENKUlT_SK_SL_SM_E_clIPfSE_SF_SF_EESJ_SZ_SK_SL_SM_EUlSZ_E0_NS1_11comp_targetILNS1_3genE2ELNS1_11target_archE906ELNS1_3gpuE6ELNS1_3repE0EEENS1_38merge_mergepath_config_static_selectorELNS0_4arch9wavefront6targetE1EEEvSL_.has_dyn_sized_stack, 0
	.set _ZN7rocprim17ROCPRIM_400000_NS6detail17trampoline_kernelINS0_14default_configENS1_38merge_sort_block_merge_config_selectorIfNS0_10empty_typeEEEZZNS1_27merge_sort_block_merge_implIS3_N6thrust23THRUST_200600_302600_NS6detail15normal_iteratorINS9_10device_ptrIfEEEEPS5_jNS1_19radix_merge_compareILb0ELb0EfNS0_19identity_decomposerEEEEE10hipError_tT0_T1_T2_jT3_P12ihipStream_tbPNSt15iterator_traitsISK_E10value_typeEPNSQ_ISL_E10value_typeEPSM_NS1_7vsmem_tEENKUlT_SK_SL_SM_E_clIPfSE_SF_SF_EESJ_SZ_SK_SL_SM_EUlSZ_E0_NS1_11comp_targetILNS1_3genE2ELNS1_11target_archE906ELNS1_3gpuE6ELNS1_3repE0EEENS1_38merge_mergepath_config_static_selectorELNS0_4arch9wavefront6targetE1EEEvSL_.has_recursion, 0
	.set _ZN7rocprim17ROCPRIM_400000_NS6detail17trampoline_kernelINS0_14default_configENS1_38merge_sort_block_merge_config_selectorIfNS0_10empty_typeEEEZZNS1_27merge_sort_block_merge_implIS3_N6thrust23THRUST_200600_302600_NS6detail15normal_iteratorINS9_10device_ptrIfEEEEPS5_jNS1_19radix_merge_compareILb0ELb0EfNS0_19identity_decomposerEEEEE10hipError_tT0_T1_T2_jT3_P12ihipStream_tbPNSt15iterator_traitsISK_E10value_typeEPNSQ_ISL_E10value_typeEPSM_NS1_7vsmem_tEENKUlT_SK_SL_SM_E_clIPfSE_SF_SF_EESJ_SZ_SK_SL_SM_EUlSZ_E0_NS1_11comp_targetILNS1_3genE2ELNS1_11target_archE906ELNS1_3gpuE6ELNS1_3repE0EEENS1_38merge_mergepath_config_static_selectorELNS0_4arch9wavefront6targetE1EEEvSL_.has_indirect_call, 0
	.section	.AMDGPU.csdata,"",@progbits
; Kernel info:
; codeLenInByte = 0
; TotalNumSgprs: 6
; NumVgprs: 0
; NumAgprs: 0
; TotalNumVgprs: 0
; ScratchSize: 0
; MemoryBound: 0
; FloatMode: 240
; IeeeMode: 1
; LDSByteSize: 0 bytes/workgroup (compile time only)
; SGPRBlocks: 0
; VGPRBlocks: 0
; NumSGPRsForWavesPerEU: 6
; NumVGPRsForWavesPerEU: 1
; AccumOffset: 4
; Occupancy: 8
; WaveLimiterHint : 0
; COMPUTE_PGM_RSRC2:SCRATCH_EN: 0
; COMPUTE_PGM_RSRC2:USER_SGPR: 2
; COMPUTE_PGM_RSRC2:TRAP_HANDLER: 0
; COMPUTE_PGM_RSRC2:TGID_X_EN: 1
; COMPUTE_PGM_RSRC2:TGID_Y_EN: 0
; COMPUTE_PGM_RSRC2:TGID_Z_EN: 0
; COMPUTE_PGM_RSRC2:TIDIG_COMP_CNT: 0
; COMPUTE_PGM_RSRC3_GFX90A:ACCUM_OFFSET: 0
; COMPUTE_PGM_RSRC3_GFX90A:TG_SPLIT: 0
	.section	.text._ZN7rocprim17ROCPRIM_400000_NS6detail17trampoline_kernelINS0_14default_configENS1_38merge_sort_block_merge_config_selectorIfNS0_10empty_typeEEEZZNS1_27merge_sort_block_merge_implIS3_N6thrust23THRUST_200600_302600_NS6detail15normal_iteratorINS9_10device_ptrIfEEEEPS5_jNS1_19radix_merge_compareILb0ELb0EfNS0_19identity_decomposerEEEEE10hipError_tT0_T1_T2_jT3_P12ihipStream_tbPNSt15iterator_traitsISK_E10value_typeEPNSQ_ISL_E10value_typeEPSM_NS1_7vsmem_tEENKUlT_SK_SL_SM_E_clIPfSE_SF_SF_EESJ_SZ_SK_SL_SM_EUlSZ_E0_NS1_11comp_targetILNS1_3genE9ELNS1_11target_archE1100ELNS1_3gpuE3ELNS1_3repE0EEENS1_38merge_mergepath_config_static_selectorELNS0_4arch9wavefront6targetE1EEEvSL_,"axG",@progbits,_ZN7rocprim17ROCPRIM_400000_NS6detail17trampoline_kernelINS0_14default_configENS1_38merge_sort_block_merge_config_selectorIfNS0_10empty_typeEEEZZNS1_27merge_sort_block_merge_implIS3_N6thrust23THRUST_200600_302600_NS6detail15normal_iteratorINS9_10device_ptrIfEEEEPS5_jNS1_19radix_merge_compareILb0ELb0EfNS0_19identity_decomposerEEEEE10hipError_tT0_T1_T2_jT3_P12ihipStream_tbPNSt15iterator_traitsISK_E10value_typeEPNSQ_ISL_E10value_typeEPSM_NS1_7vsmem_tEENKUlT_SK_SL_SM_E_clIPfSE_SF_SF_EESJ_SZ_SK_SL_SM_EUlSZ_E0_NS1_11comp_targetILNS1_3genE9ELNS1_11target_archE1100ELNS1_3gpuE3ELNS1_3repE0EEENS1_38merge_mergepath_config_static_selectorELNS0_4arch9wavefront6targetE1EEEvSL_,comdat
	.protected	_ZN7rocprim17ROCPRIM_400000_NS6detail17trampoline_kernelINS0_14default_configENS1_38merge_sort_block_merge_config_selectorIfNS0_10empty_typeEEEZZNS1_27merge_sort_block_merge_implIS3_N6thrust23THRUST_200600_302600_NS6detail15normal_iteratorINS9_10device_ptrIfEEEEPS5_jNS1_19radix_merge_compareILb0ELb0EfNS0_19identity_decomposerEEEEE10hipError_tT0_T1_T2_jT3_P12ihipStream_tbPNSt15iterator_traitsISK_E10value_typeEPNSQ_ISL_E10value_typeEPSM_NS1_7vsmem_tEENKUlT_SK_SL_SM_E_clIPfSE_SF_SF_EESJ_SZ_SK_SL_SM_EUlSZ_E0_NS1_11comp_targetILNS1_3genE9ELNS1_11target_archE1100ELNS1_3gpuE3ELNS1_3repE0EEENS1_38merge_mergepath_config_static_selectorELNS0_4arch9wavefront6targetE1EEEvSL_ ; -- Begin function _ZN7rocprim17ROCPRIM_400000_NS6detail17trampoline_kernelINS0_14default_configENS1_38merge_sort_block_merge_config_selectorIfNS0_10empty_typeEEEZZNS1_27merge_sort_block_merge_implIS3_N6thrust23THRUST_200600_302600_NS6detail15normal_iteratorINS9_10device_ptrIfEEEEPS5_jNS1_19radix_merge_compareILb0ELb0EfNS0_19identity_decomposerEEEEE10hipError_tT0_T1_T2_jT3_P12ihipStream_tbPNSt15iterator_traitsISK_E10value_typeEPNSQ_ISL_E10value_typeEPSM_NS1_7vsmem_tEENKUlT_SK_SL_SM_E_clIPfSE_SF_SF_EESJ_SZ_SK_SL_SM_EUlSZ_E0_NS1_11comp_targetILNS1_3genE9ELNS1_11target_archE1100ELNS1_3gpuE3ELNS1_3repE0EEENS1_38merge_mergepath_config_static_selectorELNS0_4arch9wavefront6targetE1EEEvSL_
	.globl	_ZN7rocprim17ROCPRIM_400000_NS6detail17trampoline_kernelINS0_14default_configENS1_38merge_sort_block_merge_config_selectorIfNS0_10empty_typeEEEZZNS1_27merge_sort_block_merge_implIS3_N6thrust23THRUST_200600_302600_NS6detail15normal_iteratorINS9_10device_ptrIfEEEEPS5_jNS1_19radix_merge_compareILb0ELb0EfNS0_19identity_decomposerEEEEE10hipError_tT0_T1_T2_jT3_P12ihipStream_tbPNSt15iterator_traitsISK_E10value_typeEPNSQ_ISL_E10value_typeEPSM_NS1_7vsmem_tEENKUlT_SK_SL_SM_E_clIPfSE_SF_SF_EESJ_SZ_SK_SL_SM_EUlSZ_E0_NS1_11comp_targetILNS1_3genE9ELNS1_11target_archE1100ELNS1_3gpuE3ELNS1_3repE0EEENS1_38merge_mergepath_config_static_selectorELNS0_4arch9wavefront6targetE1EEEvSL_
	.p2align	8
	.type	_ZN7rocprim17ROCPRIM_400000_NS6detail17trampoline_kernelINS0_14default_configENS1_38merge_sort_block_merge_config_selectorIfNS0_10empty_typeEEEZZNS1_27merge_sort_block_merge_implIS3_N6thrust23THRUST_200600_302600_NS6detail15normal_iteratorINS9_10device_ptrIfEEEEPS5_jNS1_19radix_merge_compareILb0ELb0EfNS0_19identity_decomposerEEEEE10hipError_tT0_T1_T2_jT3_P12ihipStream_tbPNSt15iterator_traitsISK_E10value_typeEPNSQ_ISL_E10value_typeEPSM_NS1_7vsmem_tEENKUlT_SK_SL_SM_E_clIPfSE_SF_SF_EESJ_SZ_SK_SL_SM_EUlSZ_E0_NS1_11comp_targetILNS1_3genE9ELNS1_11target_archE1100ELNS1_3gpuE3ELNS1_3repE0EEENS1_38merge_mergepath_config_static_selectorELNS0_4arch9wavefront6targetE1EEEvSL_,@function
_ZN7rocprim17ROCPRIM_400000_NS6detail17trampoline_kernelINS0_14default_configENS1_38merge_sort_block_merge_config_selectorIfNS0_10empty_typeEEEZZNS1_27merge_sort_block_merge_implIS3_N6thrust23THRUST_200600_302600_NS6detail15normal_iteratorINS9_10device_ptrIfEEEEPS5_jNS1_19radix_merge_compareILb0ELb0EfNS0_19identity_decomposerEEEEE10hipError_tT0_T1_T2_jT3_P12ihipStream_tbPNSt15iterator_traitsISK_E10value_typeEPNSQ_ISL_E10value_typeEPSM_NS1_7vsmem_tEENKUlT_SK_SL_SM_E_clIPfSE_SF_SF_EESJ_SZ_SK_SL_SM_EUlSZ_E0_NS1_11comp_targetILNS1_3genE9ELNS1_11target_archE1100ELNS1_3gpuE3ELNS1_3repE0EEENS1_38merge_mergepath_config_static_selectorELNS0_4arch9wavefront6targetE1EEEvSL_: ; @_ZN7rocprim17ROCPRIM_400000_NS6detail17trampoline_kernelINS0_14default_configENS1_38merge_sort_block_merge_config_selectorIfNS0_10empty_typeEEEZZNS1_27merge_sort_block_merge_implIS3_N6thrust23THRUST_200600_302600_NS6detail15normal_iteratorINS9_10device_ptrIfEEEEPS5_jNS1_19radix_merge_compareILb0ELb0EfNS0_19identity_decomposerEEEEE10hipError_tT0_T1_T2_jT3_P12ihipStream_tbPNSt15iterator_traitsISK_E10value_typeEPNSQ_ISL_E10value_typeEPSM_NS1_7vsmem_tEENKUlT_SK_SL_SM_E_clIPfSE_SF_SF_EESJ_SZ_SK_SL_SM_EUlSZ_E0_NS1_11comp_targetILNS1_3genE9ELNS1_11target_archE1100ELNS1_3gpuE3ELNS1_3repE0EEENS1_38merge_mergepath_config_static_selectorELNS0_4arch9wavefront6targetE1EEEvSL_
; %bb.0:
	.section	.rodata,"a",@progbits
	.p2align	6, 0x0
	.amdhsa_kernel _ZN7rocprim17ROCPRIM_400000_NS6detail17trampoline_kernelINS0_14default_configENS1_38merge_sort_block_merge_config_selectorIfNS0_10empty_typeEEEZZNS1_27merge_sort_block_merge_implIS3_N6thrust23THRUST_200600_302600_NS6detail15normal_iteratorINS9_10device_ptrIfEEEEPS5_jNS1_19radix_merge_compareILb0ELb0EfNS0_19identity_decomposerEEEEE10hipError_tT0_T1_T2_jT3_P12ihipStream_tbPNSt15iterator_traitsISK_E10value_typeEPNSQ_ISL_E10value_typeEPSM_NS1_7vsmem_tEENKUlT_SK_SL_SM_E_clIPfSE_SF_SF_EESJ_SZ_SK_SL_SM_EUlSZ_E0_NS1_11comp_targetILNS1_3genE9ELNS1_11target_archE1100ELNS1_3gpuE3ELNS1_3repE0EEENS1_38merge_mergepath_config_static_selectorELNS0_4arch9wavefront6targetE1EEEvSL_
		.amdhsa_group_segment_fixed_size 0
		.amdhsa_private_segment_fixed_size 0
		.amdhsa_kernarg_size 64
		.amdhsa_user_sgpr_count 2
		.amdhsa_user_sgpr_dispatch_ptr 0
		.amdhsa_user_sgpr_queue_ptr 0
		.amdhsa_user_sgpr_kernarg_segment_ptr 1
		.amdhsa_user_sgpr_dispatch_id 0
		.amdhsa_user_sgpr_kernarg_preload_length 0
		.amdhsa_user_sgpr_kernarg_preload_offset 0
		.amdhsa_user_sgpr_private_segment_size 0
		.amdhsa_uses_dynamic_stack 0
		.amdhsa_enable_private_segment 0
		.amdhsa_system_sgpr_workgroup_id_x 1
		.amdhsa_system_sgpr_workgroup_id_y 0
		.amdhsa_system_sgpr_workgroup_id_z 0
		.amdhsa_system_sgpr_workgroup_info 0
		.amdhsa_system_vgpr_workitem_id 0
		.amdhsa_next_free_vgpr 1
		.amdhsa_next_free_sgpr 0
		.amdhsa_accum_offset 4
		.amdhsa_reserve_vcc 0
		.amdhsa_float_round_mode_32 0
		.amdhsa_float_round_mode_16_64 0
		.amdhsa_float_denorm_mode_32 3
		.amdhsa_float_denorm_mode_16_64 3
		.amdhsa_dx10_clamp 1
		.amdhsa_ieee_mode 1
		.amdhsa_fp16_overflow 0
		.amdhsa_tg_split 0
		.amdhsa_exception_fp_ieee_invalid_op 0
		.amdhsa_exception_fp_denorm_src 0
		.amdhsa_exception_fp_ieee_div_zero 0
		.amdhsa_exception_fp_ieee_overflow 0
		.amdhsa_exception_fp_ieee_underflow 0
		.amdhsa_exception_fp_ieee_inexact 0
		.amdhsa_exception_int_div_zero 0
	.end_amdhsa_kernel
	.section	.text._ZN7rocprim17ROCPRIM_400000_NS6detail17trampoline_kernelINS0_14default_configENS1_38merge_sort_block_merge_config_selectorIfNS0_10empty_typeEEEZZNS1_27merge_sort_block_merge_implIS3_N6thrust23THRUST_200600_302600_NS6detail15normal_iteratorINS9_10device_ptrIfEEEEPS5_jNS1_19radix_merge_compareILb0ELb0EfNS0_19identity_decomposerEEEEE10hipError_tT0_T1_T2_jT3_P12ihipStream_tbPNSt15iterator_traitsISK_E10value_typeEPNSQ_ISL_E10value_typeEPSM_NS1_7vsmem_tEENKUlT_SK_SL_SM_E_clIPfSE_SF_SF_EESJ_SZ_SK_SL_SM_EUlSZ_E0_NS1_11comp_targetILNS1_3genE9ELNS1_11target_archE1100ELNS1_3gpuE3ELNS1_3repE0EEENS1_38merge_mergepath_config_static_selectorELNS0_4arch9wavefront6targetE1EEEvSL_,"axG",@progbits,_ZN7rocprim17ROCPRIM_400000_NS6detail17trampoline_kernelINS0_14default_configENS1_38merge_sort_block_merge_config_selectorIfNS0_10empty_typeEEEZZNS1_27merge_sort_block_merge_implIS3_N6thrust23THRUST_200600_302600_NS6detail15normal_iteratorINS9_10device_ptrIfEEEEPS5_jNS1_19radix_merge_compareILb0ELb0EfNS0_19identity_decomposerEEEEE10hipError_tT0_T1_T2_jT3_P12ihipStream_tbPNSt15iterator_traitsISK_E10value_typeEPNSQ_ISL_E10value_typeEPSM_NS1_7vsmem_tEENKUlT_SK_SL_SM_E_clIPfSE_SF_SF_EESJ_SZ_SK_SL_SM_EUlSZ_E0_NS1_11comp_targetILNS1_3genE9ELNS1_11target_archE1100ELNS1_3gpuE3ELNS1_3repE0EEENS1_38merge_mergepath_config_static_selectorELNS0_4arch9wavefront6targetE1EEEvSL_,comdat
.Lfunc_end489:
	.size	_ZN7rocprim17ROCPRIM_400000_NS6detail17trampoline_kernelINS0_14default_configENS1_38merge_sort_block_merge_config_selectorIfNS0_10empty_typeEEEZZNS1_27merge_sort_block_merge_implIS3_N6thrust23THRUST_200600_302600_NS6detail15normal_iteratorINS9_10device_ptrIfEEEEPS5_jNS1_19radix_merge_compareILb0ELb0EfNS0_19identity_decomposerEEEEE10hipError_tT0_T1_T2_jT3_P12ihipStream_tbPNSt15iterator_traitsISK_E10value_typeEPNSQ_ISL_E10value_typeEPSM_NS1_7vsmem_tEENKUlT_SK_SL_SM_E_clIPfSE_SF_SF_EESJ_SZ_SK_SL_SM_EUlSZ_E0_NS1_11comp_targetILNS1_3genE9ELNS1_11target_archE1100ELNS1_3gpuE3ELNS1_3repE0EEENS1_38merge_mergepath_config_static_selectorELNS0_4arch9wavefront6targetE1EEEvSL_, .Lfunc_end489-_ZN7rocprim17ROCPRIM_400000_NS6detail17trampoline_kernelINS0_14default_configENS1_38merge_sort_block_merge_config_selectorIfNS0_10empty_typeEEEZZNS1_27merge_sort_block_merge_implIS3_N6thrust23THRUST_200600_302600_NS6detail15normal_iteratorINS9_10device_ptrIfEEEEPS5_jNS1_19radix_merge_compareILb0ELb0EfNS0_19identity_decomposerEEEEE10hipError_tT0_T1_T2_jT3_P12ihipStream_tbPNSt15iterator_traitsISK_E10value_typeEPNSQ_ISL_E10value_typeEPSM_NS1_7vsmem_tEENKUlT_SK_SL_SM_E_clIPfSE_SF_SF_EESJ_SZ_SK_SL_SM_EUlSZ_E0_NS1_11comp_targetILNS1_3genE9ELNS1_11target_archE1100ELNS1_3gpuE3ELNS1_3repE0EEENS1_38merge_mergepath_config_static_selectorELNS0_4arch9wavefront6targetE1EEEvSL_
                                        ; -- End function
	.set _ZN7rocprim17ROCPRIM_400000_NS6detail17trampoline_kernelINS0_14default_configENS1_38merge_sort_block_merge_config_selectorIfNS0_10empty_typeEEEZZNS1_27merge_sort_block_merge_implIS3_N6thrust23THRUST_200600_302600_NS6detail15normal_iteratorINS9_10device_ptrIfEEEEPS5_jNS1_19radix_merge_compareILb0ELb0EfNS0_19identity_decomposerEEEEE10hipError_tT0_T1_T2_jT3_P12ihipStream_tbPNSt15iterator_traitsISK_E10value_typeEPNSQ_ISL_E10value_typeEPSM_NS1_7vsmem_tEENKUlT_SK_SL_SM_E_clIPfSE_SF_SF_EESJ_SZ_SK_SL_SM_EUlSZ_E0_NS1_11comp_targetILNS1_3genE9ELNS1_11target_archE1100ELNS1_3gpuE3ELNS1_3repE0EEENS1_38merge_mergepath_config_static_selectorELNS0_4arch9wavefront6targetE1EEEvSL_.num_vgpr, 0
	.set _ZN7rocprim17ROCPRIM_400000_NS6detail17trampoline_kernelINS0_14default_configENS1_38merge_sort_block_merge_config_selectorIfNS0_10empty_typeEEEZZNS1_27merge_sort_block_merge_implIS3_N6thrust23THRUST_200600_302600_NS6detail15normal_iteratorINS9_10device_ptrIfEEEEPS5_jNS1_19radix_merge_compareILb0ELb0EfNS0_19identity_decomposerEEEEE10hipError_tT0_T1_T2_jT3_P12ihipStream_tbPNSt15iterator_traitsISK_E10value_typeEPNSQ_ISL_E10value_typeEPSM_NS1_7vsmem_tEENKUlT_SK_SL_SM_E_clIPfSE_SF_SF_EESJ_SZ_SK_SL_SM_EUlSZ_E0_NS1_11comp_targetILNS1_3genE9ELNS1_11target_archE1100ELNS1_3gpuE3ELNS1_3repE0EEENS1_38merge_mergepath_config_static_selectorELNS0_4arch9wavefront6targetE1EEEvSL_.num_agpr, 0
	.set _ZN7rocprim17ROCPRIM_400000_NS6detail17trampoline_kernelINS0_14default_configENS1_38merge_sort_block_merge_config_selectorIfNS0_10empty_typeEEEZZNS1_27merge_sort_block_merge_implIS3_N6thrust23THRUST_200600_302600_NS6detail15normal_iteratorINS9_10device_ptrIfEEEEPS5_jNS1_19radix_merge_compareILb0ELb0EfNS0_19identity_decomposerEEEEE10hipError_tT0_T1_T2_jT3_P12ihipStream_tbPNSt15iterator_traitsISK_E10value_typeEPNSQ_ISL_E10value_typeEPSM_NS1_7vsmem_tEENKUlT_SK_SL_SM_E_clIPfSE_SF_SF_EESJ_SZ_SK_SL_SM_EUlSZ_E0_NS1_11comp_targetILNS1_3genE9ELNS1_11target_archE1100ELNS1_3gpuE3ELNS1_3repE0EEENS1_38merge_mergepath_config_static_selectorELNS0_4arch9wavefront6targetE1EEEvSL_.numbered_sgpr, 0
	.set _ZN7rocprim17ROCPRIM_400000_NS6detail17trampoline_kernelINS0_14default_configENS1_38merge_sort_block_merge_config_selectorIfNS0_10empty_typeEEEZZNS1_27merge_sort_block_merge_implIS3_N6thrust23THRUST_200600_302600_NS6detail15normal_iteratorINS9_10device_ptrIfEEEEPS5_jNS1_19radix_merge_compareILb0ELb0EfNS0_19identity_decomposerEEEEE10hipError_tT0_T1_T2_jT3_P12ihipStream_tbPNSt15iterator_traitsISK_E10value_typeEPNSQ_ISL_E10value_typeEPSM_NS1_7vsmem_tEENKUlT_SK_SL_SM_E_clIPfSE_SF_SF_EESJ_SZ_SK_SL_SM_EUlSZ_E0_NS1_11comp_targetILNS1_3genE9ELNS1_11target_archE1100ELNS1_3gpuE3ELNS1_3repE0EEENS1_38merge_mergepath_config_static_selectorELNS0_4arch9wavefront6targetE1EEEvSL_.num_named_barrier, 0
	.set _ZN7rocprim17ROCPRIM_400000_NS6detail17trampoline_kernelINS0_14default_configENS1_38merge_sort_block_merge_config_selectorIfNS0_10empty_typeEEEZZNS1_27merge_sort_block_merge_implIS3_N6thrust23THRUST_200600_302600_NS6detail15normal_iteratorINS9_10device_ptrIfEEEEPS5_jNS1_19radix_merge_compareILb0ELb0EfNS0_19identity_decomposerEEEEE10hipError_tT0_T1_T2_jT3_P12ihipStream_tbPNSt15iterator_traitsISK_E10value_typeEPNSQ_ISL_E10value_typeEPSM_NS1_7vsmem_tEENKUlT_SK_SL_SM_E_clIPfSE_SF_SF_EESJ_SZ_SK_SL_SM_EUlSZ_E0_NS1_11comp_targetILNS1_3genE9ELNS1_11target_archE1100ELNS1_3gpuE3ELNS1_3repE0EEENS1_38merge_mergepath_config_static_selectorELNS0_4arch9wavefront6targetE1EEEvSL_.private_seg_size, 0
	.set _ZN7rocprim17ROCPRIM_400000_NS6detail17trampoline_kernelINS0_14default_configENS1_38merge_sort_block_merge_config_selectorIfNS0_10empty_typeEEEZZNS1_27merge_sort_block_merge_implIS3_N6thrust23THRUST_200600_302600_NS6detail15normal_iteratorINS9_10device_ptrIfEEEEPS5_jNS1_19radix_merge_compareILb0ELb0EfNS0_19identity_decomposerEEEEE10hipError_tT0_T1_T2_jT3_P12ihipStream_tbPNSt15iterator_traitsISK_E10value_typeEPNSQ_ISL_E10value_typeEPSM_NS1_7vsmem_tEENKUlT_SK_SL_SM_E_clIPfSE_SF_SF_EESJ_SZ_SK_SL_SM_EUlSZ_E0_NS1_11comp_targetILNS1_3genE9ELNS1_11target_archE1100ELNS1_3gpuE3ELNS1_3repE0EEENS1_38merge_mergepath_config_static_selectorELNS0_4arch9wavefront6targetE1EEEvSL_.uses_vcc, 0
	.set _ZN7rocprim17ROCPRIM_400000_NS6detail17trampoline_kernelINS0_14default_configENS1_38merge_sort_block_merge_config_selectorIfNS0_10empty_typeEEEZZNS1_27merge_sort_block_merge_implIS3_N6thrust23THRUST_200600_302600_NS6detail15normal_iteratorINS9_10device_ptrIfEEEEPS5_jNS1_19radix_merge_compareILb0ELb0EfNS0_19identity_decomposerEEEEE10hipError_tT0_T1_T2_jT3_P12ihipStream_tbPNSt15iterator_traitsISK_E10value_typeEPNSQ_ISL_E10value_typeEPSM_NS1_7vsmem_tEENKUlT_SK_SL_SM_E_clIPfSE_SF_SF_EESJ_SZ_SK_SL_SM_EUlSZ_E0_NS1_11comp_targetILNS1_3genE9ELNS1_11target_archE1100ELNS1_3gpuE3ELNS1_3repE0EEENS1_38merge_mergepath_config_static_selectorELNS0_4arch9wavefront6targetE1EEEvSL_.uses_flat_scratch, 0
	.set _ZN7rocprim17ROCPRIM_400000_NS6detail17trampoline_kernelINS0_14default_configENS1_38merge_sort_block_merge_config_selectorIfNS0_10empty_typeEEEZZNS1_27merge_sort_block_merge_implIS3_N6thrust23THRUST_200600_302600_NS6detail15normal_iteratorINS9_10device_ptrIfEEEEPS5_jNS1_19radix_merge_compareILb0ELb0EfNS0_19identity_decomposerEEEEE10hipError_tT0_T1_T2_jT3_P12ihipStream_tbPNSt15iterator_traitsISK_E10value_typeEPNSQ_ISL_E10value_typeEPSM_NS1_7vsmem_tEENKUlT_SK_SL_SM_E_clIPfSE_SF_SF_EESJ_SZ_SK_SL_SM_EUlSZ_E0_NS1_11comp_targetILNS1_3genE9ELNS1_11target_archE1100ELNS1_3gpuE3ELNS1_3repE0EEENS1_38merge_mergepath_config_static_selectorELNS0_4arch9wavefront6targetE1EEEvSL_.has_dyn_sized_stack, 0
	.set _ZN7rocprim17ROCPRIM_400000_NS6detail17trampoline_kernelINS0_14default_configENS1_38merge_sort_block_merge_config_selectorIfNS0_10empty_typeEEEZZNS1_27merge_sort_block_merge_implIS3_N6thrust23THRUST_200600_302600_NS6detail15normal_iteratorINS9_10device_ptrIfEEEEPS5_jNS1_19radix_merge_compareILb0ELb0EfNS0_19identity_decomposerEEEEE10hipError_tT0_T1_T2_jT3_P12ihipStream_tbPNSt15iterator_traitsISK_E10value_typeEPNSQ_ISL_E10value_typeEPSM_NS1_7vsmem_tEENKUlT_SK_SL_SM_E_clIPfSE_SF_SF_EESJ_SZ_SK_SL_SM_EUlSZ_E0_NS1_11comp_targetILNS1_3genE9ELNS1_11target_archE1100ELNS1_3gpuE3ELNS1_3repE0EEENS1_38merge_mergepath_config_static_selectorELNS0_4arch9wavefront6targetE1EEEvSL_.has_recursion, 0
	.set _ZN7rocprim17ROCPRIM_400000_NS6detail17trampoline_kernelINS0_14default_configENS1_38merge_sort_block_merge_config_selectorIfNS0_10empty_typeEEEZZNS1_27merge_sort_block_merge_implIS3_N6thrust23THRUST_200600_302600_NS6detail15normal_iteratorINS9_10device_ptrIfEEEEPS5_jNS1_19radix_merge_compareILb0ELb0EfNS0_19identity_decomposerEEEEE10hipError_tT0_T1_T2_jT3_P12ihipStream_tbPNSt15iterator_traitsISK_E10value_typeEPNSQ_ISL_E10value_typeEPSM_NS1_7vsmem_tEENKUlT_SK_SL_SM_E_clIPfSE_SF_SF_EESJ_SZ_SK_SL_SM_EUlSZ_E0_NS1_11comp_targetILNS1_3genE9ELNS1_11target_archE1100ELNS1_3gpuE3ELNS1_3repE0EEENS1_38merge_mergepath_config_static_selectorELNS0_4arch9wavefront6targetE1EEEvSL_.has_indirect_call, 0
	.section	.AMDGPU.csdata,"",@progbits
; Kernel info:
; codeLenInByte = 0
; TotalNumSgprs: 6
; NumVgprs: 0
; NumAgprs: 0
; TotalNumVgprs: 0
; ScratchSize: 0
; MemoryBound: 0
; FloatMode: 240
; IeeeMode: 1
; LDSByteSize: 0 bytes/workgroup (compile time only)
; SGPRBlocks: 0
; VGPRBlocks: 0
; NumSGPRsForWavesPerEU: 6
; NumVGPRsForWavesPerEU: 1
; AccumOffset: 4
; Occupancy: 8
; WaveLimiterHint : 0
; COMPUTE_PGM_RSRC2:SCRATCH_EN: 0
; COMPUTE_PGM_RSRC2:USER_SGPR: 2
; COMPUTE_PGM_RSRC2:TRAP_HANDLER: 0
; COMPUTE_PGM_RSRC2:TGID_X_EN: 1
; COMPUTE_PGM_RSRC2:TGID_Y_EN: 0
; COMPUTE_PGM_RSRC2:TGID_Z_EN: 0
; COMPUTE_PGM_RSRC2:TIDIG_COMP_CNT: 0
; COMPUTE_PGM_RSRC3_GFX90A:ACCUM_OFFSET: 0
; COMPUTE_PGM_RSRC3_GFX90A:TG_SPLIT: 0
	.section	.text._ZN7rocprim17ROCPRIM_400000_NS6detail17trampoline_kernelINS0_14default_configENS1_38merge_sort_block_merge_config_selectorIfNS0_10empty_typeEEEZZNS1_27merge_sort_block_merge_implIS3_N6thrust23THRUST_200600_302600_NS6detail15normal_iteratorINS9_10device_ptrIfEEEEPS5_jNS1_19radix_merge_compareILb0ELb0EfNS0_19identity_decomposerEEEEE10hipError_tT0_T1_T2_jT3_P12ihipStream_tbPNSt15iterator_traitsISK_E10value_typeEPNSQ_ISL_E10value_typeEPSM_NS1_7vsmem_tEENKUlT_SK_SL_SM_E_clIPfSE_SF_SF_EESJ_SZ_SK_SL_SM_EUlSZ_E0_NS1_11comp_targetILNS1_3genE8ELNS1_11target_archE1030ELNS1_3gpuE2ELNS1_3repE0EEENS1_38merge_mergepath_config_static_selectorELNS0_4arch9wavefront6targetE1EEEvSL_,"axG",@progbits,_ZN7rocprim17ROCPRIM_400000_NS6detail17trampoline_kernelINS0_14default_configENS1_38merge_sort_block_merge_config_selectorIfNS0_10empty_typeEEEZZNS1_27merge_sort_block_merge_implIS3_N6thrust23THRUST_200600_302600_NS6detail15normal_iteratorINS9_10device_ptrIfEEEEPS5_jNS1_19radix_merge_compareILb0ELb0EfNS0_19identity_decomposerEEEEE10hipError_tT0_T1_T2_jT3_P12ihipStream_tbPNSt15iterator_traitsISK_E10value_typeEPNSQ_ISL_E10value_typeEPSM_NS1_7vsmem_tEENKUlT_SK_SL_SM_E_clIPfSE_SF_SF_EESJ_SZ_SK_SL_SM_EUlSZ_E0_NS1_11comp_targetILNS1_3genE8ELNS1_11target_archE1030ELNS1_3gpuE2ELNS1_3repE0EEENS1_38merge_mergepath_config_static_selectorELNS0_4arch9wavefront6targetE1EEEvSL_,comdat
	.protected	_ZN7rocprim17ROCPRIM_400000_NS6detail17trampoline_kernelINS0_14default_configENS1_38merge_sort_block_merge_config_selectorIfNS0_10empty_typeEEEZZNS1_27merge_sort_block_merge_implIS3_N6thrust23THRUST_200600_302600_NS6detail15normal_iteratorINS9_10device_ptrIfEEEEPS5_jNS1_19radix_merge_compareILb0ELb0EfNS0_19identity_decomposerEEEEE10hipError_tT0_T1_T2_jT3_P12ihipStream_tbPNSt15iterator_traitsISK_E10value_typeEPNSQ_ISL_E10value_typeEPSM_NS1_7vsmem_tEENKUlT_SK_SL_SM_E_clIPfSE_SF_SF_EESJ_SZ_SK_SL_SM_EUlSZ_E0_NS1_11comp_targetILNS1_3genE8ELNS1_11target_archE1030ELNS1_3gpuE2ELNS1_3repE0EEENS1_38merge_mergepath_config_static_selectorELNS0_4arch9wavefront6targetE1EEEvSL_ ; -- Begin function _ZN7rocprim17ROCPRIM_400000_NS6detail17trampoline_kernelINS0_14default_configENS1_38merge_sort_block_merge_config_selectorIfNS0_10empty_typeEEEZZNS1_27merge_sort_block_merge_implIS3_N6thrust23THRUST_200600_302600_NS6detail15normal_iteratorINS9_10device_ptrIfEEEEPS5_jNS1_19radix_merge_compareILb0ELb0EfNS0_19identity_decomposerEEEEE10hipError_tT0_T1_T2_jT3_P12ihipStream_tbPNSt15iterator_traitsISK_E10value_typeEPNSQ_ISL_E10value_typeEPSM_NS1_7vsmem_tEENKUlT_SK_SL_SM_E_clIPfSE_SF_SF_EESJ_SZ_SK_SL_SM_EUlSZ_E0_NS1_11comp_targetILNS1_3genE8ELNS1_11target_archE1030ELNS1_3gpuE2ELNS1_3repE0EEENS1_38merge_mergepath_config_static_selectorELNS0_4arch9wavefront6targetE1EEEvSL_
	.globl	_ZN7rocprim17ROCPRIM_400000_NS6detail17trampoline_kernelINS0_14default_configENS1_38merge_sort_block_merge_config_selectorIfNS0_10empty_typeEEEZZNS1_27merge_sort_block_merge_implIS3_N6thrust23THRUST_200600_302600_NS6detail15normal_iteratorINS9_10device_ptrIfEEEEPS5_jNS1_19radix_merge_compareILb0ELb0EfNS0_19identity_decomposerEEEEE10hipError_tT0_T1_T2_jT3_P12ihipStream_tbPNSt15iterator_traitsISK_E10value_typeEPNSQ_ISL_E10value_typeEPSM_NS1_7vsmem_tEENKUlT_SK_SL_SM_E_clIPfSE_SF_SF_EESJ_SZ_SK_SL_SM_EUlSZ_E0_NS1_11comp_targetILNS1_3genE8ELNS1_11target_archE1030ELNS1_3gpuE2ELNS1_3repE0EEENS1_38merge_mergepath_config_static_selectorELNS0_4arch9wavefront6targetE1EEEvSL_
	.p2align	8
	.type	_ZN7rocprim17ROCPRIM_400000_NS6detail17trampoline_kernelINS0_14default_configENS1_38merge_sort_block_merge_config_selectorIfNS0_10empty_typeEEEZZNS1_27merge_sort_block_merge_implIS3_N6thrust23THRUST_200600_302600_NS6detail15normal_iteratorINS9_10device_ptrIfEEEEPS5_jNS1_19radix_merge_compareILb0ELb0EfNS0_19identity_decomposerEEEEE10hipError_tT0_T1_T2_jT3_P12ihipStream_tbPNSt15iterator_traitsISK_E10value_typeEPNSQ_ISL_E10value_typeEPSM_NS1_7vsmem_tEENKUlT_SK_SL_SM_E_clIPfSE_SF_SF_EESJ_SZ_SK_SL_SM_EUlSZ_E0_NS1_11comp_targetILNS1_3genE8ELNS1_11target_archE1030ELNS1_3gpuE2ELNS1_3repE0EEENS1_38merge_mergepath_config_static_selectorELNS0_4arch9wavefront6targetE1EEEvSL_,@function
_ZN7rocprim17ROCPRIM_400000_NS6detail17trampoline_kernelINS0_14default_configENS1_38merge_sort_block_merge_config_selectorIfNS0_10empty_typeEEEZZNS1_27merge_sort_block_merge_implIS3_N6thrust23THRUST_200600_302600_NS6detail15normal_iteratorINS9_10device_ptrIfEEEEPS5_jNS1_19radix_merge_compareILb0ELb0EfNS0_19identity_decomposerEEEEE10hipError_tT0_T1_T2_jT3_P12ihipStream_tbPNSt15iterator_traitsISK_E10value_typeEPNSQ_ISL_E10value_typeEPSM_NS1_7vsmem_tEENKUlT_SK_SL_SM_E_clIPfSE_SF_SF_EESJ_SZ_SK_SL_SM_EUlSZ_E0_NS1_11comp_targetILNS1_3genE8ELNS1_11target_archE1030ELNS1_3gpuE2ELNS1_3repE0EEENS1_38merge_mergepath_config_static_selectorELNS0_4arch9wavefront6targetE1EEEvSL_: ; @_ZN7rocprim17ROCPRIM_400000_NS6detail17trampoline_kernelINS0_14default_configENS1_38merge_sort_block_merge_config_selectorIfNS0_10empty_typeEEEZZNS1_27merge_sort_block_merge_implIS3_N6thrust23THRUST_200600_302600_NS6detail15normal_iteratorINS9_10device_ptrIfEEEEPS5_jNS1_19radix_merge_compareILb0ELb0EfNS0_19identity_decomposerEEEEE10hipError_tT0_T1_T2_jT3_P12ihipStream_tbPNSt15iterator_traitsISK_E10value_typeEPNSQ_ISL_E10value_typeEPSM_NS1_7vsmem_tEENKUlT_SK_SL_SM_E_clIPfSE_SF_SF_EESJ_SZ_SK_SL_SM_EUlSZ_E0_NS1_11comp_targetILNS1_3genE8ELNS1_11target_archE1030ELNS1_3gpuE2ELNS1_3repE0EEENS1_38merge_mergepath_config_static_selectorELNS0_4arch9wavefront6targetE1EEEvSL_
; %bb.0:
	.section	.rodata,"a",@progbits
	.p2align	6, 0x0
	.amdhsa_kernel _ZN7rocprim17ROCPRIM_400000_NS6detail17trampoline_kernelINS0_14default_configENS1_38merge_sort_block_merge_config_selectorIfNS0_10empty_typeEEEZZNS1_27merge_sort_block_merge_implIS3_N6thrust23THRUST_200600_302600_NS6detail15normal_iteratorINS9_10device_ptrIfEEEEPS5_jNS1_19radix_merge_compareILb0ELb0EfNS0_19identity_decomposerEEEEE10hipError_tT0_T1_T2_jT3_P12ihipStream_tbPNSt15iterator_traitsISK_E10value_typeEPNSQ_ISL_E10value_typeEPSM_NS1_7vsmem_tEENKUlT_SK_SL_SM_E_clIPfSE_SF_SF_EESJ_SZ_SK_SL_SM_EUlSZ_E0_NS1_11comp_targetILNS1_3genE8ELNS1_11target_archE1030ELNS1_3gpuE2ELNS1_3repE0EEENS1_38merge_mergepath_config_static_selectorELNS0_4arch9wavefront6targetE1EEEvSL_
		.amdhsa_group_segment_fixed_size 0
		.amdhsa_private_segment_fixed_size 0
		.amdhsa_kernarg_size 64
		.amdhsa_user_sgpr_count 2
		.amdhsa_user_sgpr_dispatch_ptr 0
		.amdhsa_user_sgpr_queue_ptr 0
		.amdhsa_user_sgpr_kernarg_segment_ptr 1
		.amdhsa_user_sgpr_dispatch_id 0
		.amdhsa_user_sgpr_kernarg_preload_length 0
		.amdhsa_user_sgpr_kernarg_preload_offset 0
		.amdhsa_user_sgpr_private_segment_size 0
		.amdhsa_uses_dynamic_stack 0
		.amdhsa_enable_private_segment 0
		.amdhsa_system_sgpr_workgroup_id_x 1
		.amdhsa_system_sgpr_workgroup_id_y 0
		.amdhsa_system_sgpr_workgroup_id_z 0
		.amdhsa_system_sgpr_workgroup_info 0
		.amdhsa_system_vgpr_workitem_id 0
		.amdhsa_next_free_vgpr 1
		.amdhsa_next_free_sgpr 0
		.amdhsa_accum_offset 4
		.amdhsa_reserve_vcc 0
		.amdhsa_float_round_mode_32 0
		.amdhsa_float_round_mode_16_64 0
		.amdhsa_float_denorm_mode_32 3
		.amdhsa_float_denorm_mode_16_64 3
		.amdhsa_dx10_clamp 1
		.amdhsa_ieee_mode 1
		.amdhsa_fp16_overflow 0
		.amdhsa_tg_split 0
		.amdhsa_exception_fp_ieee_invalid_op 0
		.amdhsa_exception_fp_denorm_src 0
		.amdhsa_exception_fp_ieee_div_zero 0
		.amdhsa_exception_fp_ieee_overflow 0
		.amdhsa_exception_fp_ieee_underflow 0
		.amdhsa_exception_fp_ieee_inexact 0
		.amdhsa_exception_int_div_zero 0
	.end_amdhsa_kernel
	.section	.text._ZN7rocprim17ROCPRIM_400000_NS6detail17trampoline_kernelINS0_14default_configENS1_38merge_sort_block_merge_config_selectorIfNS0_10empty_typeEEEZZNS1_27merge_sort_block_merge_implIS3_N6thrust23THRUST_200600_302600_NS6detail15normal_iteratorINS9_10device_ptrIfEEEEPS5_jNS1_19radix_merge_compareILb0ELb0EfNS0_19identity_decomposerEEEEE10hipError_tT0_T1_T2_jT3_P12ihipStream_tbPNSt15iterator_traitsISK_E10value_typeEPNSQ_ISL_E10value_typeEPSM_NS1_7vsmem_tEENKUlT_SK_SL_SM_E_clIPfSE_SF_SF_EESJ_SZ_SK_SL_SM_EUlSZ_E0_NS1_11comp_targetILNS1_3genE8ELNS1_11target_archE1030ELNS1_3gpuE2ELNS1_3repE0EEENS1_38merge_mergepath_config_static_selectorELNS0_4arch9wavefront6targetE1EEEvSL_,"axG",@progbits,_ZN7rocprim17ROCPRIM_400000_NS6detail17trampoline_kernelINS0_14default_configENS1_38merge_sort_block_merge_config_selectorIfNS0_10empty_typeEEEZZNS1_27merge_sort_block_merge_implIS3_N6thrust23THRUST_200600_302600_NS6detail15normal_iteratorINS9_10device_ptrIfEEEEPS5_jNS1_19radix_merge_compareILb0ELb0EfNS0_19identity_decomposerEEEEE10hipError_tT0_T1_T2_jT3_P12ihipStream_tbPNSt15iterator_traitsISK_E10value_typeEPNSQ_ISL_E10value_typeEPSM_NS1_7vsmem_tEENKUlT_SK_SL_SM_E_clIPfSE_SF_SF_EESJ_SZ_SK_SL_SM_EUlSZ_E0_NS1_11comp_targetILNS1_3genE8ELNS1_11target_archE1030ELNS1_3gpuE2ELNS1_3repE0EEENS1_38merge_mergepath_config_static_selectorELNS0_4arch9wavefront6targetE1EEEvSL_,comdat
.Lfunc_end490:
	.size	_ZN7rocprim17ROCPRIM_400000_NS6detail17trampoline_kernelINS0_14default_configENS1_38merge_sort_block_merge_config_selectorIfNS0_10empty_typeEEEZZNS1_27merge_sort_block_merge_implIS3_N6thrust23THRUST_200600_302600_NS6detail15normal_iteratorINS9_10device_ptrIfEEEEPS5_jNS1_19radix_merge_compareILb0ELb0EfNS0_19identity_decomposerEEEEE10hipError_tT0_T1_T2_jT3_P12ihipStream_tbPNSt15iterator_traitsISK_E10value_typeEPNSQ_ISL_E10value_typeEPSM_NS1_7vsmem_tEENKUlT_SK_SL_SM_E_clIPfSE_SF_SF_EESJ_SZ_SK_SL_SM_EUlSZ_E0_NS1_11comp_targetILNS1_3genE8ELNS1_11target_archE1030ELNS1_3gpuE2ELNS1_3repE0EEENS1_38merge_mergepath_config_static_selectorELNS0_4arch9wavefront6targetE1EEEvSL_, .Lfunc_end490-_ZN7rocprim17ROCPRIM_400000_NS6detail17trampoline_kernelINS0_14default_configENS1_38merge_sort_block_merge_config_selectorIfNS0_10empty_typeEEEZZNS1_27merge_sort_block_merge_implIS3_N6thrust23THRUST_200600_302600_NS6detail15normal_iteratorINS9_10device_ptrIfEEEEPS5_jNS1_19radix_merge_compareILb0ELb0EfNS0_19identity_decomposerEEEEE10hipError_tT0_T1_T2_jT3_P12ihipStream_tbPNSt15iterator_traitsISK_E10value_typeEPNSQ_ISL_E10value_typeEPSM_NS1_7vsmem_tEENKUlT_SK_SL_SM_E_clIPfSE_SF_SF_EESJ_SZ_SK_SL_SM_EUlSZ_E0_NS1_11comp_targetILNS1_3genE8ELNS1_11target_archE1030ELNS1_3gpuE2ELNS1_3repE0EEENS1_38merge_mergepath_config_static_selectorELNS0_4arch9wavefront6targetE1EEEvSL_
                                        ; -- End function
	.set _ZN7rocprim17ROCPRIM_400000_NS6detail17trampoline_kernelINS0_14default_configENS1_38merge_sort_block_merge_config_selectorIfNS0_10empty_typeEEEZZNS1_27merge_sort_block_merge_implIS3_N6thrust23THRUST_200600_302600_NS6detail15normal_iteratorINS9_10device_ptrIfEEEEPS5_jNS1_19radix_merge_compareILb0ELb0EfNS0_19identity_decomposerEEEEE10hipError_tT0_T1_T2_jT3_P12ihipStream_tbPNSt15iterator_traitsISK_E10value_typeEPNSQ_ISL_E10value_typeEPSM_NS1_7vsmem_tEENKUlT_SK_SL_SM_E_clIPfSE_SF_SF_EESJ_SZ_SK_SL_SM_EUlSZ_E0_NS1_11comp_targetILNS1_3genE8ELNS1_11target_archE1030ELNS1_3gpuE2ELNS1_3repE0EEENS1_38merge_mergepath_config_static_selectorELNS0_4arch9wavefront6targetE1EEEvSL_.num_vgpr, 0
	.set _ZN7rocprim17ROCPRIM_400000_NS6detail17trampoline_kernelINS0_14default_configENS1_38merge_sort_block_merge_config_selectorIfNS0_10empty_typeEEEZZNS1_27merge_sort_block_merge_implIS3_N6thrust23THRUST_200600_302600_NS6detail15normal_iteratorINS9_10device_ptrIfEEEEPS5_jNS1_19radix_merge_compareILb0ELb0EfNS0_19identity_decomposerEEEEE10hipError_tT0_T1_T2_jT3_P12ihipStream_tbPNSt15iterator_traitsISK_E10value_typeEPNSQ_ISL_E10value_typeEPSM_NS1_7vsmem_tEENKUlT_SK_SL_SM_E_clIPfSE_SF_SF_EESJ_SZ_SK_SL_SM_EUlSZ_E0_NS1_11comp_targetILNS1_3genE8ELNS1_11target_archE1030ELNS1_3gpuE2ELNS1_3repE0EEENS1_38merge_mergepath_config_static_selectorELNS0_4arch9wavefront6targetE1EEEvSL_.num_agpr, 0
	.set _ZN7rocprim17ROCPRIM_400000_NS6detail17trampoline_kernelINS0_14default_configENS1_38merge_sort_block_merge_config_selectorIfNS0_10empty_typeEEEZZNS1_27merge_sort_block_merge_implIS3_N6thrust23THRUST_200600_302600_NS6detail15normal_iteratorINS9_10device_ptrIfEEEEPS5_jNS1_19radix_merge_compareILb0ELb0EfNS0_19identity_decomposerEEEEE10hipError_tT0_T1_T2_jT3_P12ihipStream_tbPNSt15iterator_traitsISK_E10value_typeEPNSQ_ISL_E10value_typeEPSM_NS1_7vsmem_tEENKUlT_SK_SL_SM_E_clIPfSE_SF_SF_EESJ_SZ_SK_SL_SM_EUlSZ_E0_NS1_11comp_targetILNS1_3genE8ELNS1_11target_archE1030ELNS1_3gpuE2ELNS1_3repE0EEENS1_38merge_mergepath_config_static_selectorELNS0_4arch9wavefront6targetE1EEEvSL_.numbered_sgpr, 0
	.set _ZN7rocprim17ROCPRIM_400000_NS6detail17trampoline_kernelINS0_14default_configENS1_38merge_sort_block_merge_config_selectorIfNS0_10empty_typeEEEZZNS1_27merge_sort_block_merge_implIS3_N6thrust23THRUST_200600_302600_NS6detail15normal_iteratorINS9_10device_ptrIfEEEEPS5_jNS1_19radix_merge_compareILb0ELb0EfNS0_19identity_decomposerEEEEE10hipError_tT0_T1_T2_jT3_P12ihipStream_tbPNSt15iterator_traitsISK_E10value_typeEPNSQ_ISL_E10value_typeEPSM_NS1_7vsmem_tEENKUlT_SK_SL_SM_E_clIPfSE_SF_SF_EESJ_SZ_SK_SL_SM_EUlSZ_E0_NS1_11comp_targetILNS1_3genE8ELNS1_11target_archE1030ELNS1_3gpuE2ELNS1_3repE0EEENS1_38merge_mergepath_config_static_selectorELNS0_4arch9wavefront6targetE1EEEvSL_.num_named_barrier, 0
	.set _ZN7rocprim17ROCPRIM_400000_NS6detail17trampoline_kernelINS0_14default_configENS1_38merge_sort_block_merge_config_selectorIfNS0_10empty_typeEEEZZNS1_27merge_sort_block_merge_implIS3_N6thrust23THRUST_200600_302600_NS6detail15normal_iteratorINS9_10device_ptrIfEEEEPS5_jNS1_19radix_merge_compareILb0ELb0EfNS0_19identity_decomposerEEEEE10hipError_tT0_T1_T2_jT3_P12ihipStream_tbPNSt15iterator_traitsISK_E10value_typeEPNSQ_ISL_E10value_typeEPSM_NS1_7vsmem_tEENKUlT_SK_SL_SM_E_clIPfSE_SF_SF_EESJ_SZ_SK_SL_SM_EUlSZ_E0_NS1_11comp_targetILNS1_3genE8ELNS1_11target_archE1030ELNS1_3gpuE2ELNS1_3repE0EEENS1_38merge_mergepath_config_static_selectorELNS0_4arch9wavefront6targetE1EEEvSL_.private_seg_size, 0
	.set _ZN7rocprim17ROCPRIM_400000_NS6detail17trampoline_kernelINS0_14default_configENS1_38merge_sort_block_merge_config_selectorIfNS0_10empty_typeEEEZZNS1_27merge_sort_block_merge_implIS3_N6thrust23THRUST_200600_302600_NS6detail15normal_iteratorINS9_10device_ptrIfEEEEPS5_jNS1_19radix_merge_compareILb0ELb0EfNS0_19identity_decomposerEEEEE10hipError_tT0_T1_T2_jT3_P12ihipStream_tbPNSt15iterator_traitsISK_E10value_typeEPNSQ_ISL_E10value_typeEPSM_NS1_7vsmem_tEENKUlT_SK_SL_SM_E_clIPfSE_SF_SF_EESJ_SZ_SK_SL_SM_EUlSZ_E0_NS1_11comp_targetILNS1_3genE8ELNS1_11target_archE1030ELNS1_3gpuE2ELNS1_3repE0EEENS1_38merge_mergepath_config_static_selectorELNS0_4arch9wavefront6targetE1EEEvSL_.uses_vcc, 0
	.set _ZN7rocprim17ROCPRIM_400000_NS6detail17trampoline_kernelINS0_14default_configENS1_38merge_sort_block_merge_config_selectorIfNS0_10empty_typeEEEZZNS1_27merge_sort_block_merge_implIS3_N6thrust23THRUST_200600_302600_NS6detail15normal_iteratorINS9_10device_ptrIfEEEEPS5_jNS1_19radix_merge_compareILb0ELb0EfNS0_19identity_decomposerEEEEE10hipError_tT0_T1_T2_jT3_P12ihipStream_tbPNSt15iterator_traitsISK_E10value_typeEPNSQ_ISL_E10value_typeEPSM_NS1_7vsmem_tEENKUlT_SK_SL_SM_E_clIPfSE_SF_SF_EESJ_SZ_SK_SL_SM_EUlSZ_E0_NS1_11comp_targetILNS1_3genE8ELNS1_11target_archE1030ELNS1_3gpuE2ELNS1_3repE0EEENS1_38merge_mergepath_config_static_selectorELNS0_4arch9wavefront6targetE1EEEvSL_.uses_flat_scratch, 0
	.set _ZN7rocprim17ROCPRIM_400000_NS6detail17trampoline_kernelINS0_14default_configENS1_38merge_sort_block_merge_config_selectorIfNS0_10empty_typeEEEZZNS1_27merge_sort_block_merge_implIS3_N6thrust23THRUST_200600_302600_NS6detail15normal_iteratorINS9_10device_ptrIfEEEEPS5_jNS1_19radix_merge_compareILb0ELb0EfNS0_19identity_decomposerEEEEE10hipError_tT0_T1_T2_jT3_P12ihipStream_tbPNSt15iterator_traitsISK_E10value_typeEPNSQ_ISL_E10value_typeEPSM_NS1_7vsmem_tEENKUlT_SK_SL_SM_E_clIPfSE_SF_SF_EESJ_SZ_SK_SL_SM_EUlSZ_E0_NS1_11comp_targetILNS1_3genE8ELNS1_11target_archE1030ELNS1_3gpuE2ELNS1_3repE0EEENS1_38merge_mergepath_config_static_selectorELNS0_4arch9wavefront6targetE1EEEvSL_.has_dyn_sized_stack, 0
	.set _ZN7rocprim17ROCPRIM_400000_NS6detail17trampoline_kernelINS0_14default_configENS1_38merge_sort_block_merge_config_selectorIfNS0_10empty_typeEEEZZNS1_27merge_sort_block_merge_implIS3_N6thrust23THRUST_200600_302600_NS6detail15normal_iteratorINS9_10device_ptrIfEEEEPS5_jNS1_19radix_merge_compareILb0ELb0EfNS0_19identity_decomposerEEEEE10hipError_tT0_T1_T2_jT3_P12ihipStream_tbPNSt15iterator_traitsISK_E10value_typeEPNSQ_ISL_E10value_typeEPSM_NS1_7vsmem_tEENKUlT_SK_SL_SM_E_clIPfSE_SF_SF_EESJ_SZ_SK_SL_SM_EUlSZ_E0_NS1_11comp_targetILNS1_3genE8ELNS1_11target_archE1030ELNS1_3gpuE2ELNS1_3repE0EEENS1_38merge_mergepath_config_static_selectorELNS0_4arch9wavefront6targetE1EEEvSL_.has_recursion, 0
	.set _ZN7rocprim17ROCPRIM_400000_NS6detail17trampoline_kernelINS0_14default_configENS1_38merge_sort_block_merge_config_selectorIfNS0_10empty_typeEEEZZNS1_27merge_sort_block_merge_implIS3_N6thrust23THRUST_200600_302600_NS6detail15normal_iteratorINS9_10device_ptrIfEEEEPS5_jNS1_19radix_merge_compareILb0ELb0EfNS0_19identity_decomposerEEEEE10hipError_tT0_T1_T2_jT3_P12ihipStream_tbPNSt15iterator_traitsISK_E10value_typeEPNSQ_ISL_E10value_typeEPSM_NS1_7vsmem_tEENKUlT_SK_SL_SM_E_clIPfSE_SF_SF_EESJ_SZ_SK_SL_SM_EUlSZ_E0_NS1_11comp_targetILNS1_3genE8ELNS1_11target_archE1030ELNS1_3gpuE2ELNS1_3repE0EEENS1_38merge_mergepath_config_static_selectorELNS0_4arch9wavefront6targetE1EEEvSL_.has_indirect_call, 0
	.section	.AMDGPU.csdata,"",@progbits
; Kernel info:
; codeLenInByte = 0
; TotalNumSgprs: 6
; NumVgprs: 0
; NumAgprs: 0
; TotalNumVgprs: 0
; ScratchSize: 0
; MemoryBound: 0
; FloatMode: 240
; IeeeMode: 1
; LDSByteSize: 0 bytes/workgroup (compile time only)
; SGPRBlocks: 0
; VGPRBlocks: 0
; NumSGPRsForWavesPerEU: 6
; NumVGPRsForWavesPerEU: 1
; AccumOffset: 4
; Occupancy: 8
; WaveLimiterHint : 0
; COMPUTE_PGM_RSRC2:SCRATCH_EN: 0
; COMPUTE_PGM_RSRC2:USER_SGPR: 2
; COMPUTE_PGM_RSRC2:TRAP_HANDLER: 0
; COMPUTE_PGM_RSRC2:TGID_X_EN: 1
; COMPUTE_PGM_RSRC2:TGID_Y_EN: 0
; COMPUTE_PGM_RSRC2:TGID_Z_EN: 0
; COMPUTE_PGM_RSRC2:TIDIG_COMP_CNT: 0
; COMPUTE_PGM_RSRC3_GFX90A:ACCUM_OFFSET: 0
; COMPUTE_PGM_RSRC3_GFX90A:TG_SPLIT: 0
	.section	.text._ZN7rocprim17ROCPRIM_400000_NS6detail17trampoline_kernelINS0_14default_configENS1_38merge_sort_block_merge_config_selectorIfNS0_10empty_typeEEEZZNS1_27merge_sort_block_merge_implIS3_N6thrust23THRUST_200600_302600_NS6detail15normal_iteratorINS9_10device_ptrIfEEEEPS5_jNS1_19radix_merge_compareILb0ELb0EfNS0_19identity_decomposerEEEEE10hipError_tT0_T1_T2_jT3_P12ihipStream_tbPNSt15iterator_traitsISK_E10value_typeEPNSQ_ISL_E10value_typeEPSM_NS1_7vsmem_tEENKUlT_SK_SL_SM_E_clIPfSE_SF_SF_EESJ_SZ_SK_SL_SM_EUlSZ_E1_NS1_11comp_targetILNS1_3genE0ELNS1_11target_archE4294967295ELNS1_3gpuE0ELNS1_3repE0EEENS1_36merge_oddeven_config_static_selectorELNS0_4arch9wavefront6targetE1EEEvSL_,"axG",@progbits,_ZN7rocprim17ROCPRIM_400000_NS6detail17trampoline_kernelINS0_14default_configENS1_38merge_sort_block_merge_config_selectorIfNS0_10empty_typeEEEZZNS1_27merge_sort_block_merge_implIS3_N6thrust23THRUST_200600_302600_NS6detail15normal_iteratorINS9_10device_ptrIfEEEEPS5_jNS1_19radix_merge_compareILb0ELb0EfNS0_19identity_decomposerEEEEE10hipError_tT0_T1_T2_jT3_P12ihipStream_tbPNSt15iterator_traitsISK_E10value_typeEPNSQ_ISL_E10value_typeEPSM_NS1_7vsmem_tEENKUlT_SK_SL_SM_E_clIPfSE_SF_SF_EESJ_SZ_SK_SL_SM_EUlSZ_E1_NS1_11comp_targetILNS1_3genE0ELNS1_11target_archE4294967295ELNS1_3gpuE0ELNS1_3repE0EEENS1_36merge_oddeven_config_static_selectorELNS0_4arch9wavefront6targetE1EEEvSL_,comdat
	.protected	_ZN7rocprim17ROCPRIM_400000_NS6detail17trampoline_kernelINS0_14default_configENS1_38merge_sort_block_merge_config_selectorIfNS0_10empty_typeEEEZZNS1_27merge_sort_block_merge_implIS3_N6thrust23THRUST_200600_302600_NS6detail15normal_iteratorINS9_10device_ptrIfEEEEPS5_jNS1_19radix_merge_compareILb0ELb0EfNS0_19identity_decomposerEEEEE10hipError_tT0_T1_T2_jT3_P12ihipStream_tbPNSt15iterator_traitsISK_E10value_typeEPNSQ_ISL_E10value_typeEPSM_NS1_7vsmem_tEENKUlT_SK_SL_SM_E_clIPfSE_SF_SF_EESJ_SZ_SK_SL_SM_EUlSZ_E1_NS1_11comp_targetILNS1_3genE0ELNS1_11target_archE4294967295ELNS1_3gpuE0ELNS1_3repE0EEENS1_36merge_oddeven_config_static_selectorELNS0_4arch9wavefront6targetE1EEEvSL_ ; -- Begin function _ZN7rocprim17ROCPRIM_400000_NS6detail17trampoline_kernelINS0_14default_configENS1_38merge_sort_block_merge_config_selectorIfNS0_10empty_typeEEEZZNS1_27merge_sort_block_merge_implIS3_N6thrust23THRUST_200600_302600_NS6detail15normal_iteratorINS9_10device_ptrIfEEEEPS5_jNS1_19radix_merge_compareILb0ELb0EfNS0_19identity_decomposerEEEEE10hipError_tT0_T1_T2_jT3_P12ihipStream_tbPNSt15iterator_traitsISK_E10value_typeEPNSQ_ISL_E10value_typeEPSM_NS1_7vsmem_tEENKUlT_SK_SL_SM_E_clIPfSE_SF_SF_EESJ_SZ_SK_SL_SM_EUlSZ_E1_NS1_11comp_targetILNS1_3genE0ELNS1_11target_archE4294967295ELNS1_3gpuE0ELNS1_3repE0EEENS1_36merge_oddeven_config_static_selectorELNS0_4arch9wavefront6targetE1EEEvSL_
	.globl	_ZN7rocprim17ROCPRIM_400000_NS6detail17trampoline_kernelINS0_14default_configENS1_38merge_sort_block_merge_config_selectorIfNS0_10empty_typeEEEZZNS1_27merge_sort_block_merge_implIS3_N6thrust23THRUST_200600_302600_NS6detail15normal_iteratorINS9_10device_ptrIfEEEEPS5_jNS1_19radix_merge_compareILb0ELb0EfNS0_19identity_decomposerEEEEE10hipError_tT0_T1_T2_jT3_P12ihipStream_tbPNSt15iterator_traitsISK_E10value_typeEPNSQ_ISL_E10value_typeEPSM_NS1_7vsmem_tEENKUlT_SK_SL_SM_E_clIPfSE_SF_SF_EESJ_SZ_SK_SL_SM_EUlSZ_E1_NS1_11comp_targetILNS1_3genE0ELNS1_11target_archE4294967295ELNS1_3gpuE0ELNS1_3repE0EEENS1_36merge_oddeven_config_static_selectorELNS0_4arch9wavefront6targetE1EEEvSL_
	.p2align	8
	.type	_ZN7rocprim17ROCPRIM_400000_NS6detail17trampoline_kernelINS0_14default_configENS1_38merge_sort_block_merge_config_selectorIfNS0_10empty_typeEEEZZNS1_27merge_sort_block_merge_implIS3_N6thrust23THRUST_200600_302600_NS6detail15normal_iteratorINS9_10device_ptrIfEEEEPS5_jNS1_19radix_merge_compareILb0ELb0EfNS0_19identity_decomposerEEEEE10hipError_tT0_T1_T2_jT3_P12ihipStream_tbPNSt15iterator_traitsISK_E10value_typeEPNSQ_ISL_E10value_typeEPSM_NS1_7vsmem_tEENKUlT_SK_SL_SM_E_clIPfSE_SF_SF_EESJ_SZ_SK_SL_SM_EUlSZ_E1_NS1_11comp_targetILNS1_3genE0ELNS1_11target_archE4294967295ELNS1_3gpuE0ELNS1_3repE0EEENS1_36merge_oddeven_config_static_selectorELNS0_4arch9wavefront6targetE1EEEvSL_,@function
_ZN7rocprim17ROCPRIM_400000_NS6detail17trampoline_kernelINS0_14default_configENS1_38merge_sort_block_merge_config_selectorIfNS0_10empty_typeEEEZZNS1_27merge_sort_block_merge_implIS3_N6thrust23THRUST_200600_302600_NS6detail15normal_iteratorINS9_10device_ptrIfEEEEPS5_jNS1_19radix_merge_compareILb0ELb0EfNS0_19identity_decomposerEEEEE10hipError_tT0_T1_T2_jT3_P12ihipStream_tbPNSt15iterator_traitsISK_E10value_typeEPNSQ_ISL_E10value_typeEPSM_NS1_7vsmem_tEENKUlT_SK_SL_SM_E_clIPfSE_SF_SF_EESJ_SZ_SK_SL_SM_EUlSZ_E1_NS1_11comp_targetILNS1_3genE0ELNS1_11target_archE4294967295ELNS1_3gpuE0ELNS1_3repE0EEENS1_36merge_oddeven_config_static_selectorELNS0_4arch9wavefront6targetE1EEEvSL_: ; @_ZN7rocprim17ROCPRIM_400000_NS6detail17trampoline_kernelINS0_14default_configENS1_38merge_sort_block_merge_config_selectorIfNS0_10empty_typeEEEZZNS1_27merge_sort_block_merge_implIS3_N6thrust23THRUST_200600_302600_NS6detail15normal_iteratorINS9_10device_ptrIfEEEEPS5_jNS1_19radix_merge_compareILb0ELb0EfNS0_19identity_decomposerEEEEE10hipError_tT0_T1_T2_jT3_P12ihipStream_tbPNSt15iterator_traitsISK_E10value_typeEPNSQ_ISL_E10value_typeEPSM_NS1_7vsmem_tEENKUlT_SK_SL_SM_E_clIPfSE_SF_SF_EESJ_SZ_SK_SL_SM_EUlSZ_E1_NS1_11comp_targetILNS1_3genE0ELNS1_11target_archE4294967295ELNS1_3gpuE0ELNS1_3repE0EEENS1_36merge_oddeven_config_static_selectorELNS0_4arch9wavefront6targetE1EEEvSL_
; %bb.0:
	s_load_dword s16, s[0:1], 0x20
	s_waitcnt lgkmcnt(0)
	s_lshr_b32 s3, s16, 8
	s_cmp_lg_u32 s2, s3
	s_cselect_b64 s[12:13], -1, 0
	s_cmp_eq_u32 s2, s3
	s_cselect_b64 s[6:7], -1, 0
	s_lshl_b32 s14, s2, 8
	s_sub_i32 s3, s16, s14
	v_cmp_gt_u32_e64 s[4:5], s3, v0
	s_or_b64 s[8:9], s[12:13], s[4:5]
	s_and_saveexec_b64 s[10:11], s[8:9]
	s_cbranch_execz .LBB491_20
; %bb.1:
	s_load_dwordx4 s[8:11], s[0:1], 0x0
	s_load_dword s17, s[0:1], 0x24
	s_mov_b32 s15, 0
	s_lshl_b64 s[0:1], s[14:15], 2
	v_lshlrev_b32_e32 v1, 2, v0
	s_waitcnt lgkmcnt(0)
	s_add_u32 s0, s8, s0
	s_addc_u32 s1, s9, s1
	global_load_dword v2, v1, s[0:1]
	s_lshr_b32 s0, s17, 8
	s_sub_i32 s1, 0, s0
	s_and_b32 s1, s2, s1
	s_and_b32 s0, s1, s0
	s_lshl_b32 s18, s1, 8
	s_sub_i32 s15, 0, s17
	s_cmp_eq_u32 s0, 0
	s_cselect_b64 s[0:1], -1, 0
	s_and_b64 s[2:3], s[0:1], exec
	s_cselect_b32 s15, s17, s15
	s_add_i32 s15, s15, s18
	s_cmp_gt_u32 s16, s15
	v_add_u32_e32 v0, s14, v0
	s_cbranch_scc1 .LBB491_3
; %bb.2:
	v_cmp_gt_u32_e32 vcc, s16, v0
	s_or_b64 s[2:3], vcc, s[12:13]
	s_and_b64 s[2:3], s[2:3], exec
	s_cbranch_execz .LBB491_4
	s_branch .LBB491_18
.LBB491_3:
	s_mov_b64 s[2:3], 0
.LBB491_4:
	s_min_u32 s12, s15, s16
	s_min_u32 s14, s18, s12
	s_add_i32 s18, s18, s12
	v_subrev_u32_e32 v0, s18, v0
	v_add_u32_e32 v3, s14, v0
	s_waitcnt vmcnt(0)
	v_add_f32_e32 v0, 0, v2
	s_add_i32 s13, s12, s17
	v_ashrrev_i32_e32 v1, 31, v0
	s_brev_b32 s14, 1
	s_min_u32 s13, s13, s16
	v_bitop3_b32 v4, v1, v0, s14 bitop3:0x36
	s_and_b64 vcc, exec, s[6:7]
	s_cbranch_vccz .LBB491_12
; %bb.5:
                                        ; implicit-def: $vgpr0
	s_and_saveexec_b64 s[6:7], s[4:5]
	s_cbranch_execz .LBB491_11
; %bb.6:
	s_cmp_ge_u32 s15, s13
	v_mov_b32_e32 v5, s12
	s_cbranch_scc1 .LBB491_10
; %bb.7:
	s_mov_b64 s[4:5], 0
	v_mov_b32_e32 v6, s13
	v_mov_b32_e32 v5, s12
	;; [unrolled: 1-line block ×3, first 2 shown]
.LBB491_8:                              ; =>This Inner Loop Header: Depth=1
	v_add_u32_e32 v0, v5, v6
	v_lshrrev_b32_e32 v0, 1, v0
	v_lshl_add_u64 v[8:9], v[0:1], 2, s[8:9]
	global_load_dword v7, v[8:9], off
	v_add_u32_e32 v8, 1, v0
	s_waitcnt vmcnt(0)
	v_add_f32_e32 v7, 0, v7
	v_ashrrev_i32_e32 v9, 31, v7
	v_bitop3_b32 v7, v9, v7, s14 bitop3:0x36
	v_cmp_gt_u32_e32 vcc, v4, v7
	s_nop 1
	v_cndmask_b32_e64 v9, 0, 1, vcc
	v_cmp_le_u32_e32 vcc, v7, v4
	s_nop 1
	v_cndmask_b32_e64 v7, 0, 1, vcc
	v_cndmask_b32_e64 v7, v7, v9, s[0:1]
	v_and_b32_e32 v7, 1, v7
	v_cmp_eq_u32_e32 vcc, 1, v7
	s_nop 1
	v_cndmask_b32_e32 v6, v0, v6, vcc
	v_cndmask_b32_e32 v5, v5, v8, vcc
	v_cmp_ge_u32_e32 vcc, v5, v6
	s_or_b64 s[4:5], vcc, s[4:5]
	s_andn2_b64 exec, exec, s[4:5]
	s_cbranch_execnz .LBB491_8
; %bb.9:
	s_or_b64 exec, exec, s[4:5]
.LBB491_10:
	v_add_u32_e32 v0, v5, v3
	s_or_b64 s[2:3], s[2:3], exec
.LBB491_11:
	s_or_b64 exec, exec, s[6:7]
	s_branch .LBB491_18
.LBB491_12:
                                        ; implicit-def: $vgpr0
	s_cbranch_execz .LBB491_18
; %bb.13:
	s_cmp_ge_u32 s15, s13
	v_mov_b32_e32 v5, s12
	s_cbranch_scc1 .LBB491_17
; %bb.14:
	s_mov_b64 s[2:3], 0
	v_mov_b32_e32 v6, s13
	v_mov_b32_e32 v5, s12
	;; [unrolled: 1-line block ×3, first 2 shown]
	s_brev_b32 s4, 1
.LBB491_15:                             ; =>This Inner Loop Header: Depth=1
	v_add_u32_e32 v0, v5, v6
	v_lshrrev_b32_e32 v0, 1, v0
	v_lshl_add_u64 v[8:9], v[0:1], 2, s[8:9]
	global_load_dword v7, v[8:9], off
	v_add_u32_e32 v8, 1, v0
	s_waitcnt vmcnt(0)
	v_add_f32_e32 v7, 0, v7
	v_ashrrev_i32_e32 v9, 31, v7
	v_bitop3_b32 v7, v9, v7, s4 bitop3:0x36
	v_cmp_gt_u32_e32 vcc, v4, v7
	s_nop 1
	v_cndmask_b32_e64 v9, 0, 1, vcc
	v_cmp_le_u32_e32 vcc, v7, v4
	s_nop 1
	v_cndmask_b32_e64 v7, 0, 1, vcc
	v_cndmask_b32_e64 v7, v7, v9, s[0:1]
	v_and_b32_e32 v7, 1, v7
	v_cmp_eq_u32_e32 vcc, 1, v7
	s_nop 1
	v_cndmask_b32_e32 v6, v0, v6, vcc
	v_cndmask_b32_e32 v5, v5, v8, vcc
	v_cmp_ge_u32_e32 vcc, v5, v6
	s_or_b64 s[2:3], vcc, s[2:3]
	s_andn2_b64 exec, exec, s[2:3]
	s_cbranch_execnz .LBB491_15
; %bb.16:
	s_or_b64 exec, exec, s[2:3]
.LBB491_17:
	v_add_u32_e32 v0, v5, v3
	s_mov_b64 s[2:3], -1
.LBB491_18:
	s_and_b64 exec, exec, s[2:3]
	s_cbranch_execz .LBB491_20
; %bb.19:
	v_mov_b32_e32 v4, s10
	v_mov_b32_e32 v5, s11
	;; [unrolled: 1-line block ×3, first 2 shown]
	v_lshl_add_u64 v[0:1], v[0:1], 2, v[4:5]
	s_waitcnt vmcnt(0)
	global_store_dword v[0:1], v2, off
.LBB491_20:
	s_endpgm
	.section	.rodata,"a",@progbits
	.p2align	6, 0x0
	.amdhsa_kernel _ZN7rocprim17ROCPRIM_400000_NS6detail17trampoline_kernelINS0_14default_configENS1_38merge_sort_block_merge_config_selectorIfNS0_10empty_typeEEEZZNS1_27merge_sort_block_merge_implIS3_N6thrust23THRUST_200600_302600_NS6detail15normal_iteratorINS9_10device_ptrIfEEEEPS5_jNS1_19radix_merge_compareILb0ELb0EfNS0_19identity_decomposerEEEEE10hipError_tT0_T1_T2_jT3_P12ihipStream_tbPNSt15iterator_traitsISK_E10value_typeEPNSQ_ISL_E10value_typeEPSM_NS1_7vsmem_tEENKUlT_SK_SL_SM_E_clIPfSE_SF_SF_EESJ_SZ_SK_SL_SM_EUlSZ_E1_NS1_11comp_targetILNS1_3genE0ELNS1_11target_archE4294967295ELNS1_3gpuE0ELNS1_3repE0EEENS1_36merge_oddeven_config_static_selectorELNS0_4arch9wavefront6targetE1EEEvSL_
		.amdhsa_group_segment_fixed_size 0
		.amdhsa_private_segment_fixed_size 0
		.amdhsa_kernarg_size 48
		.amdhsa_user_sgpr_count 2
		.amdhsa_user_sgpr_dispatch_ptr 0
		.amdhsa_user_sgpr_queue_ptr 0
		.amdhsa_user_sgpr_kernarg_segment_ptr 1
		.amdhsa_user_sgpr_dispatch_id 0
		.amdhsa_user_sgpr_kernarg_preload_length 0
		.amdhsa_user_sgpr_kernarg_preload_offset 0
		.amdhsa_user_sgpr_private_segment_size 0
		.amdhsa_uses_dynamic_stack 0
		.amdhsa_enable_private_segment 0
		.amdhsa_system_sgpr_workgroup_id_x 1
		.amdhsa_system_sgpr_workgroup_id_y 0
		.amdhsa_system_sgpr_workgroup_id_z 0
		.amdhsa_system_sgpr_workgroup_info 0
		.amdhsa_system_vgpr_workitem_id 0
		.amdhsa_next_free_vgpr 10
		.amdhsa_next_free_sgpr 19
		.amdhsa_accum_offset 12
		.amdhsa_reserve_vcc 1
		.amdhsa_float_round_mode_32 0
		.amdhsa_float_round_mode_16_64 0
		.amdhsa_float_denorm_mode_32 3
		.amdhsa_float_denorm_mode_16_64 3
		.amdhsa_dx10_clamp 1
		.amdhsa_ieee_mode 1
		.amdhsa_fp16_overflow 0
		.amdhsa_tg_split 0
		.amdhsa_exception_fp_ieee_invalid_op 0
		.amdhsa_exception_fp_denorm_src 0
		.amdhsa_exception_fp_ieee_div_zero 0
		.amdhsa_exception_fp_ieee_overflow 0
		.amdhsa_exception_fp_ieee_underflow 0
		.amdhsa_exception_fp_ieee_inexact 0
		.amdhsa_exception_int_div_zero 0
	.end_amdhsa_kernel
	.section	.text._ZN7rocprim17ROCPRIM_400000_NS6detail17trampoline_kernelINS0_14default_configENS1_38merge_sort_block_merge_config_selectorIfNS0_10empty_typeEEEZZNS1_27merge_sort_block_merge_implIS3_N6thrust23THRUST_200600_302600_NS6detail15normal_iteratorINS9_10device_ptrIfEEEEPS5_jNS1_19radix_merge_compareILb0ELb0EfNS0_19identity_decomposerEEEEE10hipError_tT0_T1_T2_jT3_P12ihipStream_tbPNSt15iterator_traitsISK_E10value_typeEPNSQ_ISL_E10value_typeEPSM_NS1_7vsmem_tEENKUlT_SK_SL_SM_E_clIPfSE_SF_SF_EESJ_SZ_SK_SL_SM_EUlSZ_E1_NS1_11comp_targetILNS1_3genE0ELNS1_11target_archE4294967295ELNS1_3gpuE0ELNS1_3repE0EEENS1_36merge_oddeven_config_static_selectorELNS0_4arch9wavefront6targetE1EEEvSL_,"axG",@progbits,_ZN7rocprim17ROCPRIM_400000_NS6detail17trampoline_kernelINS0_14default_configENS1_38merge_sort_block_merge_config_selectorIfNS0_10empty_typeEEEZZNS1_27merge_sort_block_merge_implIS3_N6thrust23THRUST_200600_302600_NS6detail15normal_iteratorINS9_10device_ptrIfEEEEPS5_jNS1_19radix_merge_compareILb0ELb0EfNS0_19identity_decomposerEEEEE10hipError_tT0_T1_T2_jT3_P12ihipStream_tbPNSt15iterator_traitsISK_E10value_typeEPNSQ_ISL_E10value_typeEPSM_NS1_7vsmem_tEENKUlT_SK_SL_SM_E_clIPfSE_SF_SF_EESJ_SZ_SK_SL_SM_EUlSZ_E1_NS1_11comp_targetILNS1_3genE0ELNS1_11target_archE4294967295ELNS1_3gpuE0ELNS1_3repE0EEENS1_36merge_oddeven_config_static_selectorELNS0_4arch9wavefront6targetE1EEEvSL_,comdat
.Lfunc_end491:
	.size	_ZN7rocprim17ROCPRIM_400000_NS6detail17trampoline_kernelINS0_14default_configENS1_38merge_sort_block_merge_config_selectorIfNS0_10empty_typeEEEZZNS1_27merge_sort_block_merge_implIS3_N6thrust23THRUST_200600_302600_NS6detail15normal_iteratorINS9_10device_ptrIfEEEEPS5_jNS1_19radix_merge_compareILb0ELb0EfNS0_19identity_decomposerEEEEE10hipError_tT0_T1_T2_jT3_P12ihipStream_tbPNSt15iterator_traitsISK_E10value_typeEPNSQ_ISL_E10value_typeEPSM_NS1_7vsmem_tEENKUlT_SK_SL_SM_E_clIPfSE_SF_SF_EESJ_SZ_SK_SL_SM_EUlSZ_E1_NS1_11comp_targetILNS1_3genE0ELNS1_11target_archE4294967295ELNS1_3gpuE0ELNS1_3repE0EEENS1_36merge_oddeven_config_static_selectorELNS0_4arch9wavefront6targetE1EEEvSL_, .Lfunc_end491-_ZN7rocprim17ROCPRIM_400000_NS6detail17trampoline_kernelINS0_14default_configENS1_38merge_sort_block_merge_config_selectorIfNS0_10empty_typeEEEZZNS1_27merge_sort_block_merge_implIS3_N6thrust23THRUST_200600_302600_NS6detail15normal_iteratorINS9_10device_ptrIfEEEEPS5_jNS1_19radix_merge_compareILb0ELb0EfNS0_19identity_decomposerEEEEE10hipError_tT0_T1_T2_jT3_P12ihipStream_tbPNSt15iterator_traitsISK_E10value_typeEPNSQ_ISL_E10value_typeEPSM_NS1_7vsmem_tEENKUlT_SK_SL_SM_E_clIPfSE_SF_SF_EESJ_SZ_SK_SL_SM_EUlSZ_E1_NS1_11comp_targetILNS1_3genE0ELNS1_11target_archE4294967295ELNS1_3gpuE0ELNS1_3repE0EEENS1_36merge_oddeven_config_static_selectorELNS0_4arch9wavefront6targetE1EEEvSL_
                                        ; -- End function
	.set _ZN7rocprim17ROCPRIM_400000_NS6detail17trampoline_kernelINS0_14default_configENS1_38merge_sort_block_merge_config_selectorIfNS0_10empty_typeEEEZZNS1_27merge_sort_block_merge_implIS3_N6thrust23THRUST_200600_302600_NS6detail15normal_iteratorINS9_10device_ptrIfEEEEPS5_jNS1_19radix_merge_compareILb0ELb0EfNS0_19identity_decomposerEEEEE10hipError_tT0_T1_T2_jT3_P12ihipStream_tbPNSt15iterator_traitsISK_E10value_typeEPNSQ_ISL_E10value_typeEPSM_NS1_7vsmem_tEENKUlT_SK_SL_SM_E_clIPfSE_SF_SF_EESJ_SZ_SK_SL_SM_EUlSZ_E1_NS1_11comp_targetILNS1_3genE0ELNS1_11target_archE4294967295ELNS1_3gpuE0ELNS1_3repE0EEENS1_36merge_oddeven_config_static_selectorELNS0_4arch9wavefront6targetE1EEEvSL_.num_vgpr, 10
	.set _ZN7rocprim17ROCPRIM_400000_NS6detail17trampoline_kernelINS0_14default_configENS1_38merge_sort_block_merge_config_selectorIfNS0_10empty_typeEEEZZNS1_27merge_sort_block_merge_implIS3_N6thrust23THRUST_200600_302600_NS6detail15normal_iteratorINS9_10device_ptrIfEEEEPS5_jNS1_19radix_merge_compareILb0ELb0EfNS0_19identity_decomposerEEEEE10hipError_tT0_T1_T2_jT3_P12ihipStream_tbPNSt15iterator_traitsISK_E10value_typeEPNSQ_ISL_E10value_typeEPSM_NS1_7vsmem_tEENKUlT_SK_SL_SM_E_clIPfSE_SF_SF_EESJ_SZ_SK_SL_SM_EUlSZ_E1_NS1_11comp_targetILNS1_3genE0ELNS1_11target_archE4294967295ELNS1_3gpuE0ELNS1_3repE0EEENS1_36merge_oddeven_config_static_selectorELNS0_4arch9wavefront6targetE1EEEvSL_.num_agpr, 0
	.set _ZN7rocprim17ROCPRIM_400000_NS6detail17trampoline_kernelINS0_14default_configENS1_38merge_sort_block_merge_config_selectorIfNS0_10empty_typeEEEZZNS1_27merge_sort_block_merge_implIS3_N6thrust23THRUST_200600_302600_NS6detail15normal_iteratorINS9_10device_ptrIfEEEEPS5_jNS1_19radix_merge_compareILb0ELb0EfNS0_19identity_decomposerEEEEE10hipError_tT0_T1_T2_jT3_P12ihipStream_tbPNSt15iterator_traitsISK_E10value_typeEPNSQ_ISL_E10value_typeEPSM_NS1_7vsmem_tEENKUlT_SK_SL_SM_E_clIPfSE_SF_SF_EESJ_SZ_SK_SL_SM_EUlSZ_E1_NS1_11comp_targetILNS1_3genE0ELNS1_11target_archE4294967295ELNS1_3gpuE0ELNS1_3repE0EEENS1_36merge_oddeven_config_static_selectorELNS0_4arch9wavefront6targetE1EEEvSL_.numbered_sgpr, 19
	.set _ZN7rocprim17ROCPRIM_400000_NS6detail17trampoline_kernelINS0_14default_configENS1_38merge_sort_block_merge_config_selectorIfNS0_10empty_typeEEEZZNS1_27merge_sort_block_merge_implIS3_N6thrust23THRUST_200600_302600_NS6detail15normal_iteratorINS9_10device_ptrIfEEEEPS5_jNS1_19radix_merge_compareILb0ELb0EfNS0_19identity_decomposerEEEEE10hipError_tT0_T1_T2_jT3_P12ihipStream_tbPNSt15iterator_traitsISK_E10value_typeEPNSQ_ISL_E10value_typeEPSM_NS1_7vsmem_tEENKUlT_SK_SL_SM_E_clIPfSE_SF_SF_EESJ_SZ_SK_SL_SM_EUlSZ_E1_NS1_11comp_targetILNS1_3genE0ELNS1_11target_archE4294967295ELNS1_3gpuE0ELNS1_3repE0EEENS1_36merge_oddeven_config_static_selectorELNS0_4arch9wavefront6targetE1EEEvSL_.num_named_barrier, 0
	.set _ZN7rocprim17ROCPRIM_400000_NS6detail17trampoline_kernelINS0_14default_configENS1_38merge_sort_block_merge_config_selectorIfNS0_10empty_typeEEEZZNS1_27merge_sort_block_merge_implIS3_N6thrust23THRUST_200600_302600_NS6detail15normal_iteratorINS9_10device_ptrIfEEEEPS5_jNS1_19radix_merge_compareILb0ELb0EfNS0_19identity_decomposerEEEEE10hipError_tT0_T1_T2_jT3_P12ihipStream_tbPNSt15iterator_traitsISK_E10value_typeEPNSQ_ISL_E10value_typeEPSM_NS1_7vsmem_tEENKUlT_SK_SL_SM_E_clIPfSE_SF_SF_EESJ_SZ_SK_SL_SM_EUlSZ_E1_NS1_11comp_targetILNS1_3genE0ELNS1_11target_archE4294967295ELNS1_3gpuE0ELNS1_3repE0EEENS1_36merge_oddeven_config_static_selectorELNS0_4arch9wavefront6targetE1EEEvSL_.private_seg_size, 0
	.set _ZN7rocprim17ROCPRIM_400000_NS6detail17trampoline_kernelINS0_14default_configENS1_38merge_sort_block_merge_config_selectorIfNS0_10empty_typeEEEZZNS1_27merge_sort_block_merge_implIS3_N6thrust23THRUST_200600_302600_NS6detail15normal_iteratorINS9_10device_ptrIfEEEEPS5_jNS1_19radix_merge_compareILb0ELb0EfNS0_19identity_decomposerEEEEE10hipError_tT0_T1_T2_jT3_P12ihipStream_tbPNSt15iterator_traitsISK_E10value_typeEPNSQ_ISL_E10value_typeEPSM_NS1_7vsmem_tEENKUlT_SK_SL_SM_E_clIPfSE_SF_SF_EESJ_SZ_SK_SL_SM_EUlSZ_E1_NS1_11comp_targetILNS1_3genE0ELNS1_11target_archE4294967295ELNS1_3gpuE0ELNS1_3repE0EEENS1_36merge_oddeven_config_static_selectorELNS0_4arch9wavefront6targetE1EEEvSL_.uses_vcc, 1
	.set _ZN7rocprim17ROCPRIM_400000_NS6detail17trampoline_kernelINS0_14default_configENS1_38merge_sort_block_merge_config_selectorIfNS0_10empty_typeEEEZZNS1_27merge_sort_block_merge_implIS3_N6thrust23THRUST_200600_302600_NS6detail15normal_iteratorINS9_10device_ptrIfEEEEPS5_jNS1_19radix_merge_compareILb0ELb0EfNS0_19identity_decomposerEEEEE10hipError_tT0_T1_T2_jT3_P12ihipStream_tbPNSt15iterator_traitsISK_E10value_typeEPNSQ_ISL_E10value_typeEPSM_NS1_7vsmem_tEENKUlT_SK_SL_SM_E_clIPfSE_SF_SF_EESJ_SZ_SK_SL_SM_EUlSZ_E1_NS1_11comp_targetILNS1_3genE0ELNS1_11target_archE4294967295ELNS1_3gpuE0ELNS1_3repE0EEENS1_36merge_oddeven_config_static_selectorELNS0_4arch9wavefront6targetE1EEEvSL_.uses_flat_scratch, 0
	.set _ZN7rocprim17ROCPRIM_400000_NS6detail17trampoline_kernelINS0_14default_configENS1_38merge_sort_block_merge_config_selectorIfNS0_10empty_typeEEEZZNS1_27merge_sort_block_merge_implIS3_N6thrust23THRUST_200600_302600_NS6detail15normal_iteratorINS9_10device_ptrIfEEEEPS5_jNS1_19radix_merge_compareILb0ELb0EfNS0_19identity_decomposerEEEEE10hipError_tT0_T1_T2_jT3_P12ihipStream_tbPNSt15iterator_traitsISK_E10value_typeEPNSQ_ISL_E10value_typeEPSM_NS1_7vsmem_tEENKUlT_SK_SL_SM_E_clIPfSE_SF_SF_EESJ_SZ_SK_SL_SM_EUlSZ_E1_NS1_11comp_targetILNS1_3genE0ELNS1_11target_archE4294967295ELNS1_3gpuE0ELNS1_3repE0EEENS1_36merge_oddeven_config_static_selectorELNS0_4arch9wavefront6targetE1EEEvSL_.has_dyn_sized_stack, 0
	.set _ZN7rocprim17ROCPRIM_400000_NS6detail17trampoline_kernelINS0_14default_configENS1_38merge_sort_block_merge_config_selectorIfNS0_10empty_typeEEEZZNS1_27merge_sort_block_merge_implIS3_N6thrust23THRUST_200600_302600_NS6detail15normal_iteratorINS9_10device_ptrIfEEEEPS5_jNS1_19radix_merge_compareILb0ELb0EfNS0_19identity_decomposerEEEEE10hipError_tT0_T1_T2_jT3_P12ihipStream_tbPNSt15iterator_traitsISK_E10value_typeEPNSQ_ISL_E10value_typeEPSM_NS1_7vsmem_tEENKUlT_SK_SL_SM_E_clIPfSE_SF_SF_EESJ_SZ_SK_SL_SM_EUlSZ_E1_NS1_11comp_targetILNS1_3genE0ELNS1_11target_archE4294967295ELNS1_3gpuE0ELNS1_3repE0EEENS1_36merge_oddeven_config_static_selectorELNS0_4arch9wavefront6targetE1EEEvSL_.has_recursion, 0
	.set _ZN7rocprim17ROCPRIM_400000_NS6detail17trampoline_kernelINS0_14default_configENS1_38merge_sort_block_merge_config_selectorIfNS0_10empty_typeEEEZZNS1_27merge_sort_block_merge_implIS3_N6thrust23THRUST_200600_302600_NS6detail15normal_iteratorINS9_10device_ptrIfEEEEPS5_jNS1_19radix_merge_compareILb0ELb0EfNS0_19identity_decomposerEEEEE10hipError_tT0_T1_T2_jT3_P12ihipStream_tbPNSt15iterator_traitsISK_E10value_typeEPNSQ_ISL_E10value_typeEPSM_NS1_7vsmem_tEENKUlT_SK_SL_SM_E_clIPfSE_SF_SF_EESJ_SZ_SK_SL_SM_EUlSZ_E1_NS1_11comp_targetILNS1_3genE0ELNS1_11target_archE4294967295ELNS1_3gpuE0ELNS1_3repE0EEENS1_36merge_oddeven_config_static_selectorELNS0_4arch9wavefront6targetE1EEEvSL_.has_indirect_call, 0
	.section	.AMDGPU.csdata,"",@progbits
; Kernel info:
; codeLenInByte = 644
; TotalNumSgprs: 25
; NumVgprs: 10
; NumAgprs: 0
; TotalNumVgprs: 10
; ScratchSize: 0
; MemoryBound: 0
; FloatMode: 240
; IeeeMode: 1
; LDSByteSize: 0 bytes/workgroup (compile time only)
; SGPRBlocks: 3
; VGPRBlocks: 1
; NumSGPRsForWavesPerEU: 25
; NumVGPRsForWavesPerEU: 10
; AccumOffset: 12
; Occupancy: 8
; WaveLimiterHint : 0
; COMPUTE_PGM_RSRC2:SCRATCH_EN: 0
; COMPUTE_PGM_RSRC2:USER_SGPR: 2
; COMPUTE_PGM_RSRC2:TRAP_HANDLER: 0
; COMPUTE_PGM_RSRC2:TGID_X_EN: 1
; COMPUTE_PGM_RSRC2:TGID_Y_EN: 0
; COMPUTE_PGM_RSRC2:TGID_Z_EN: 0
; COMPUTE_PGM_RSRC2:TIDIG_COMP_CNT: 0
; COMPUTE_PGM_RSRC3_GFX90A:ACCUM_OFFSET: 2
; COMPUTE_PGM_RSRC3_GFX90A:TG_SPLIT: 0
	.section	.text._ZN7rocprim17ROCPRIM_400000_NS6detail17trampoline_kernelINS0_14default_configENS1_38merge_sort_block_merge_config_selectorIfNS0_10empty_typeEEEZZNS1_27merge_sort_block_merge_implIS3_N6thrust23THRUST_200600_302600_NS6detail15normal_iteratorINS9_10device_ptrIfEEEEPS5_jNS1_19radix_merge_compareILb0ELb0EfNS0_19identity_decomposerEEEEE10hipError_tT0_T1_T2_jT3_P12ihipStream_tbPNSt15iterator_traitsISK_E10value_typeEPNSQ_ISL_E10value_typeEPSM_NS1_7vsmem_tEENKUlT_SK_SL_SM_E_clIPfSE_SF_SF_EESJ_SZ_SK_SL_SM_EUlSZ_E1_NS1_11comp_targetILNS1_3genE10ELNS1_11target_archE1201ELNS1_3gpuE5ELNS1_3repE0EEENS1_36merge_oddeven_config_static_selectorELNS0_4arch9wavefront6targetE1EEEvSL_,"axG",@progbits,_ZN7rocprim17ROCPRIM_400000_NS6detail17trampoline_kernelINS0_14default_configENS1_38merge_sort_block_merge_config_selectorIfNS0_10empty_typeEEEZZNS1_27merge_sort_block_merge_implIS3_N6thrust23THRUST_200600_302600_NS6detail15normal_iteratorINS9_10device_ptrIfEEEEPS5_jNS1_19radix_merge_compareILb0ELb0EfNS0_19identity_decomposerEEEEE10hipError_tT0_T1_T2_jT3_P12ihipStream_tbPNSt15iterator_traitsISK_E10value_typeEPNSQ_ISL_E10value_typeEPSM_NS1_7vsmem_tEENKUlT_SK_SL_SM_E_clIPfSE_SF_SF_EESJ_SZ_SK_SL_SM_EUlSZ_E1_NS1_11comp_targetILNS1_3genE10ELNS1_11target_archE1201ELNS1_3gpuE5ELNS1_3repE0EEENS1_36merge_oddeven_config_static_selectorELNS0_4arch9wavefront6targetE1EEEvSL_,comdat
	.protected	_ZN7rocprim17ROCPRIM_400000_NS6detail17trampoline_kernelINS0_14default_configENS1_38merge_sort_block_merge_config_selectorIfNS0_10empty_typeEEEZZNS1_27merge_sort_block_merge_implIS3_N6thrust23THRUST_200600_302600_NS6detail15normal_iteratorINS9_10device_ptrIfEEEEPS5_jNS1_19radix_merge_compareILb0ELb0EfNS0_19identity_decomposerEEEEE10hipError_tT0_T1_T2_jT3_P12ihipStream_tbPNSt15iterator_traitsISK_E10value_typeEPNSQ_ISL_E10value_typeEPSM_NS1_7vsmem_tEENKUlT_SK_SL_SM_E_clIPfSE_SF_SF_EESJ_SZ_SK_SL_SM_EUlSZ_E1_NS1_11comp_targetILNS1_3genE10ELNS1_11target_archE1201ELNS1_3gpuE5ELNS1_3repE0EEENS1_36merge_oddeven_config_static_selectorELNS0_4arch9wavefront6targetE1EEEvSL_ ; -- Begin function _ZN7rocprim17ROCPRIM_400000_NS6detail17trampoline_kernelINS0_14default_configENS1_38merge_sort_block_merge_config_selectorIfNS0_10empty_typeEEEZZNS1_27merge_sort_block_merge_implIS3_N6thrust23THRUST_200600_302600_NS6detail15normal_iteratorINS9_10device_ptrIfEEEEPS5_jNS1_19radix_merge_compareILb0ELb0EfNS0_19identity_decomposerEEEEE10hipError_tT0_T1_T2_jT3_P12ihipStream_tbPNSt15iterator_traitsISK_E10value_typeEPNSQ_ISL_E10value_typeEPSM_NS1_7vsmem_tEENKUlT_SK_SL_SM_E_clIPfSE_SF_SF_EESJ_SZ_SK_SL_SM_EUlSZ_E1_NS1_11comp_targetILNS1_3genE10ELNS1_11target_archE1201ELNS1_3gpuE5ELNS1_3repE0EEENS1_36merge_oddeven_config_static_selectorELNS0_4arch9wavefront6targetE1EEEvSL_
	.globl	_ZN7rocprim17ROCPRIM_400000_NS6detail17trampoline_kernelINS0_14default_configENS1_38merge_sort_block_merge_config_selectorIfNS0_10empty_typeEEEZZNS1_27merge_sort_block_merge_implIS3_N6thrust23THRUST_200600_302600_NS6detail15normal_iteratorINS9_10device_ptrIfEEEEPS5_jNS1_19radix_merge_compareILb0ELb0EfNS0_19identity_decomposerEEEEE10hipError_tT0_T1_T2_jT3_P12ihipStream_tbPNSt15iterator_traitsISK_E10value_typeEPNSQ_ISL_E10value_typeEPSM_NS1_7vsmem_tEENKUlT_SK_SL_SM_E_clIPfSE_SF_SF_EESJ_SZ_SK_SL_SM_EUlSZ_E1_NS1_11comp_targetILNS1_3genE10ELNS1_11target_archE1201ELNS1_3gpuE5ELNS1_3repE0EEENS1_36merge_oddeven_config_static_selectorELNS0_4arch9wavefront6targetE1EEEvSL_
	.p2align	8
	.type	_ZN7rocprim17ROCPRIM_400000_NS6detail17trampoline_kernelINS0_14default_configENS1_38merge_sort_block_merge_config_selectorIfNS0_10empty_typeEEEZZNS1_27merge_sort_block_merge_implIS3_N6thrust23THRUST_200600_302600_NS6detail15normal_iteratorINS9_10device_ptrIfEEEEPS5_jNS1_19radix_merge_compareILb0ELb0EfNS0_19identity_decomposerEEEEE10hipError_tT0_T1_T2_jT3_P12ihipStream_tbPNSt15iterator_traitsISK_E10value_typeEPNSQ_ISL_E10value_typeEPSM_NS1_7vsmem_tEENKUlT_SK_SL_SM_E_clIPfSE_SF_SF_EESJ_SZ_SK_SL_SM_EUlSZ_E1_NS1_11comp_targetILNS1_3genE10ELNS1_11target_archE1201ELNS1_3gpuE5ELNS1_3repE0EEENS1_36merge_oddeven_config_static_selectorELNS0_4arch9wavefront6targetE1EEEvSL_,@function
_ZN7rocprim17ROCPRIM_400000_NS6detail17trampoline_kernelINS0_14default_configENS1_38merge_sort_block_merge_config_selectorIfNS0_10empty_typeEEEZZNS1_27merge_sort_block_merge_implIS3_N6thrust23THRUST_200600_302600_NS6detail15normal_iteratorINS9_10device_ptrIfEEEEPS5_jNS1_19radix_merge_compareILb0ELb0EfNS0_19identity_decomposerEEEEE10hipError_tT0_T1_T2_jT3_P12ihipStream_tbPNSt15iterator_traitsISK_E10value_typeEPNSQ_ISL_E10value_typeEPSM_NS1_7vsmem_tEENKUlT_SK_SL_SM_E_clIPfSE_SF_SF_EESJ_SZ_SK_SL_SM_EUlSZ_E1_NS1_11comp_targetILNS1_3genE10ELNS1_11target_archE1201ELNS1_3gpuE5ELNS1_3repE0EEENS1_36merge_oddeven_config_static_selectorELNS0_4arch9wavefront6targetE1EEEvSL_: ; @_ZN7rocprim17ROCPRIM_400000_NS6detail17trampoline_kernelINS0_14default_configENS1_38merge_sort_block_merge_config_selectorIfNS0_10empty_typeEEEZZNS1_27merge_sort_block_merge_implIS3_N6thrust23THRUST_200600_302600_NS6detail15normal_iteratorINS9_10device_ptrIfEEEEPS5_jNS1_19radix_merge_compareILb0ELb0EfNS0_19identity_decomposerEEEEE10hipError_tT0_T1_T2_jT3_P12ihipStream_tbPNSt15iterator_traitsISK_E10value_typeEPNSQ_ISL_E10value_typeEPSM_NS1_7vsmem_tEENKUlT_SK_SL_SM_E_clIPfSE_SF_SF_EESJ_SZ_SK_SL_SM_EUlSZ_E1_NS1_11comp_targetILNS1_3genE10ELNS1_11target_archE1201ELNS1_3gpuE5ELNS1_3repE0EEENS1_36merge_oddeven_config_static_selectorELNS0_4arch9wavefront6targetE1EEEvSL_
; %bb.0:
	.section	.rodata,"a",@progbits
	.p2align	6, 0x0
	.amdhsa_kernel _ZN7rocprim17ROCPRIM_400000_NS6detail17trampoline_kernelINS0_14default_configENS1_38merge_sort_block_merge_config_selectorIfNS0_10empty_typeEEEZZNS1_27merge_sort_block_merge_implIS3_N6thrust23THRUST_200600_302600_NS6detail15normal_iteratorINS9_10device_ptrIfEEEEPS5_jNS1_19radix_merge_compareILb0ELb0EfNS0_19identity_decomposerEEEEE10hipError_tT0_T1_T2_jT3_P12ihipStream_tbPNSt15iterator_traitsISK_E10value_typeEPNSQ_ISL_E10value_typeEPSM_NS1_7vsmem_tEENKUlT_SK_SL_SM_E_clIPfSE_SF_SF_EESJ_SZ_SK_SL_SM_EUlSZ_E1_NS1_11comp_targetILNS1_3genE10ELNS1_11target_archE1201ELNS1_3gpuE5ELNS1_3repE0EEENS1_36merge_oddeven_config_static_selectorELNS0_4arch9wavefront6targetE1EEEvSL_
		.amdhsa_group_segment_fixed_size 0
		.amdhsa_private_segment_fixed_size 0
		.amdhsa_kernarg_size 48
		.amdhsa_user_sgpr_count 2
		.amdhsa_user_sgpr_dispatch_ptr 0
		.amdhsa_user_sgpr_queue_ptr 0
		.amdhsa_user_sgpr_kernarg_segment_ptr 1
		.amdhsa_user_sgpr_dispatch_id 0
		.amdhsa_user_sgpr_kernarg_preload_length 0
		.amdhsa_user_sgpr_kernarg_preload_offset 0
		.amdhsa_user_sgpr_private_segment_size 0
		.amdhsa_uses_dynamic_stack 0
		.amdhsa_enable_private_segment 0
		.amdhsa_system_sgpr_workgroup_id_x 1
		.amdhsa_system_sgpr_workgroup_id_y 0
		.amdhsa_system_sgpr_workgroup_id_z 0
		.amdhsa_system_sgpr_workgroup_info 0
		.amdhsa_system_vgpr_workitem_id 0
		.amdhsa_next_free_vgpr 1
		.amdhsa_next_free_sgpr 0
		.amdhsa_accum_offset 4
		.amdhsa_reserve_vcc 0
		.amdhsa_float_round_mode_32 0
		.amdhsa_float_round_mode_16_64 0
		.amdhsa_float_denorm_mode_32 3
		.amdhsa_float_denorm_mode_16_64 3
		.amdhsa_dx10_clamp 1
		.amdhsa_ieee_mode 1
		.amdhsa_fp16_overflow 0
		.amdhsa_tg_split 0
		.amdhsa_exception_fp_ieee_invalid_op 0
		.amdhsa_exception_fp_denorm_src 0
		.amdhsa_exception_fp_ieee_div_zero 0
		.amdhsa_exception_fp_ieee_overflow 0
		.amdhsa_exception_fp_ieee_underflow 0
		.amdhsa_exception_fp_ieee_inexact 0
		.amdhsa_exception_int_div_zero 0
	.end_amdhsa_kernel
	.section	.text._ZN7rocprim17ROCPRIM_400000_NS6detail17trampoline_kernelINS0_14default_configENS1_38merge_sort_block_merge_config_selectorIfNS0_10empty_typeEEEZZNS1_27merge_sort_block_merge_implIS3_N6thrust23THRUST_200600_302600_NS6detail15normal_iteratorINS9_10device_ptrIfEEEEPS5_jNS1_19radix_merge_compareILb0ELb0EfNS0_19identity_decomposerEEEEE10hipError_tT0_T1_T2_jT3_P12ihipStream_tbPNSt15iterator_traitsISK_E10value_typeEPNSQ_ISL_E10value_typeEPSM_NS1_7vsmem_tEENKUlT_SK_SL_SM_E_clIPfSE_SF_SF_EESJ_SZ_SK_SL_SM_EUlSZ_E1_NS1_11comp_targetILNS1_3genE10ELNS1_11target_archE1201ELNS1_3gpuE5ELNS1_3repE0EEENS1_36merge_oddeven_config_static_selectorELNS0_4arch9wavefront6targetE1EEEvSL_,"axG",@progbits,_ZN7rocprim17ROCPRIM_400000_NS6detail17trampoline_kernelINS0_14default_configENS1_38merge_sort_block_merge_config_selectorIfNS0_10empty_typeEEEZZNS1_27merge_sort_block_merge_implIS3_N6thrust23THRUST_200600_302600_NS6detail15normal_iteratorINS9_10device_ptrIfEEEEPS5_jNS1_19radix_merge_compareILb0ELb0EfNS0_19identity_decomposerEEEEE10hipError_tT0_T1_T2_jT3_P12ihipStream_tbPNSt15iterator_traitsISK_E10value_typeEPNSQ_ISL_E10value_typeEPSM_NS1_7vsmem_tEENKUlT_SK_SL_SM_E_clIPfSE_SF_SF_EESJ_SZ_SK_SL_SM_EUlSZ_E1_NS1_11comp_targetILNS1_3genE10ELNS1_11target_archE1201ELNS1_3gpuE5ELNS1_3repE0EEENS1_36merge_oddeven_config_static_selectorELNS0_4arch9wavefront6targetE1EEEvSL_,comdat
.Lfunc_end492:
	.size	_ZN7rocprim17ROCPRIM_400000_NS6detail17trampoline_kernelINS0_14default_configENS1_38merge_sort_block_merge_config_selectorIfNS0_10empty_typeEEEZZNS1_27merge_sort_block_merge_implIS3_N6thrust23THRUST_200600_302600_NS6detail15normal_iteratorINS9_10device_ptrIfEEEEPS5_jNS1_19radix_merge_compareILb0ELb0EfNS0_19identity_decomposerEEEEE10hipError_tT0_T1_T2_jT3_P12ihipStream_tbPNSt15iterator_traitsISK_E10value_typeEPNSQ_ISL_E10value_typeEPSM_NS1_7vsmem_tEENKUlT_SK_SL_SM_E_clIPfSE_SF_SF_EESJ_SZ_SK_SL_SM_EUlSZ_E1_NS1_11comp_targetILNS1_3genE10ELNS1_11target_archE1201ELNS1_3gpuE5ELNS1_3repE0EEENS1_36merge_oddeven_config_static_selectorELNS0_4arch9wavefront6targetE1EEEvSL_, .Lfunc_end492-_ZN7rocprim17ROCPRIM_400000_NS6detail17trampoline_kernelINS0_14default_configENS1_38merge_sort_block_merge_config_selectorIfNS0_10empty_typeEEEZZNS1_27merge_sort_block_merge_implIS3_N6thrust23THRUST_200600_302600_NS6detail15normal_iteratorINS9_10device_ptrIfEEEEPS5_jNS1_19radix_merge_compareILb0ELb0EfNS0_19identity_decomposerEEEEE10hipError_tT0_T1_T2_jT3_P12ihipStream_tbPNSt15iterator_traitsISK_E10value_typeEPNSQ_ISL_E10value_typeEPSM_NS1_7vsmem_tEENKUlT_SK_SL_SM_E_clIPfSE_SF_SF_EESJ_SZ_SK_SL_SM_EUlSZ_E1_NS1_11comp_targetILNS1_3genE10ELNS1_11target_archE1201ELNS1_3gpuE5ELNS1_3repE0EEENS1_36merge_oddeven_config_static_selectorELNS0_4arch9wavefront6targetE1EEEvSL_
                                        ; -- End function
	.set _ZN7rocprim17ROCPRIM_400000_NS6detail17trampoline_kernelINS0_14default_configENS1_38merge_sort_block_merge_config_selectorIfNS0_10empty_typeEEEZZNS1_27merge_sort_block_merge_implIS3_N6thrust23THRUST_200600_302600_NS6detail15normal_iteratorINS9_10device_ptrIfEEEEPS5_jNS1_19radix_merge_compareILb0ELb0EfNS0_19identity_decomposerEEEEE10hipError_tT0_T1_T2_jT3_P12ihipStream_tbPNSt15iterator_traitsISK_E10value_typeEPNSQ_ISL_E10value_typeEPSM_NS1_7vsmem_tEENKUlT_SK_SL_SM_E_clIPfSE_SF_SF_EESJ_SZ_SK_SL_SM_EUlSZ_E1_NS1_11comp_targetILNS1_3genE10ELNS1_11target_archE1201ELNS1_3gpuE5ELNS1_3repE0EEENS1_36merge_oddeven_config_static_selectorELNS0_4arch9wavefront6targetE1EEEvSL_.num_vgpr, 0
	.set _ZN7rocprim17ROCPRIM_400000_NS6detail17trampoline_kernelINS0_14default_configENS1_38merge_sort_block_merge_config_selectorIfNS0_10empty_typeEEEZZNS1_27merge_sort_block_merge_implIS3_N6thrust23THRUST_200600_302600_NS6detail15normal_iteratorINS9_10device_ptrIfEEEEPS5_jNS1_19radix_merge_compareILb0ELb0EfNS0_19identity_decomposerEEEEE10hipError_tT0_T1_T2_jT3_P12ihipStream_tbPNSt15iterator_traitsISK_E10value_typeEPNSQ_ISL_E10value_typeEPSM_NS1_7vsmem_tEENKUlT_SK_SL_SM_E_clIPfSE_SF_SF_EESJ_SZ_SK_SL_SM_EUlSZ_E1_NS1_11comp_targetILNS1_3genE10ELNS1_11target_archE1201ELNS1_3gpuE5ELNS1_3repE0EEENS1_36merge_oddeven_config_static_selectorELNS0_4arch9wavefront6targetE1EEEvSL_.num_agpr, 0
	.set _ZN7rocprim17ROCPRIM_400000_NS6detail17trampoline_kernelINS0_14default_configENS1_38merge_sort_block_merge_config_selectorIfNS0_10empty_typeEEEZZNS1_27merge_sort_block_merge_implIS3_N6thrust23THRUST_200600_302600_NS6detail15normal_iteratorINS9_10device_ptrIfEEEEPS5_jNS1_19radix_merge_compareILb0ELb0EfNS0_19identity_decomposerEEEEE10hipError_tT0_T1_T2_jT3_P12ihipStream_tbPNSt15iterator_traitsISK_E10value_typeEPNSQ_ISL_E10value_typeEPSM_NS1_7vsmem_tEENKUlT_SK_SL_SM_E_clIPfSE_SF_SF_EESJ_SZ_SK_SL_SM_EUlSZ_E1_NS1_11comp_targetILNS1_3genE10ELNS1_11target_archE1201ELNS1_3gpuE5ELNS1_3repE0EEENS1_36merge_oddeven_config_static_selectorELNS0_4arch9wavefront6targetE1EEEvSL_.numbered_sgpr, 0
	.set _ZN7rocprim17ROCPRIM_400000_NS6detail17trampoline_kernelINS0_14default_configENS1_38merge_sort_block_merge_config_selectorIfNS0_10empty_typeEEEZZNS1_27merge_sort_block_merge_implIS3_N6thrust23THRUST_200600_302600_NS6detail15normal_iteratorINS9_10device_ptrIfEEEEPS5_jNS1_19radix_merge_compareILb0ELb0EfNS0_19identity_decomposerEEEEE10hipError_tT0_T1_T2_jT3_P12ihipStream_tbPNSt15iterator_traitsISK_E10value_typeEPNSQ_ISL_E10value_typeEPSM_NS1_7vsmem_tEENKUlT_SK_SL_SM_E_clIPfSE_SF_SF_EESJ_SZ_SK_SL_SM_EUlSZ_E1_NS1_11comp_targetILNS1_3genE10ELNS1_11target_archE1201ELNS1_3gpuE5ELNS1_3repE0EEENS1_36merge_oddeven_config_static_selectorELNS0_4arch9wavefront6targetE1EEEvSL_.num_named_barrier, 0
	.set _ZN7rocprim17ROCPRIM_400000_NS6detail17trampoline_kernelINS0_14default_configENS1_38merge_sort_block_merge_config_selectorIfNS0_10empty_typeEEEZZNS1_27merge_sort_block_merge_implIS3_N6thrust23THRUST_200600_302600_NS6detail15normal_iteratorINS9_10device_ptrIfEEEEPS5_jNS1_19radix_merge_compareILb0ELb0EfNS0_19identity_decomposerEEEEE10hipError_tT0_T1_T2_jT3_P12ihipStream_tbPNSt15iterator_traitsISK_E10value_typeEPNSQ_ISL_E10value_typeEPSM_NS1_7vsmem_tEENKUlT_SK_SL_SM_E_clIPfSE_SF_SF_EESJ_SZ_SK_SL_SM_EUlSZ_E1_NS1_11comp_targetILNS1_3genE10ELNS1_11target_archE1201ELNS1_3gpuE5ELNS1_3repE0EEENS1_36merge_oddeven_config_static_selectorELNS0_4arch9wavefront6targetE1EEEvSL_.private_seg_size, 0
	.set _ZN7rocprim17ROCPRIM_400000_NS6detail17trampoline_kernelINS0_14default_configENS1_38merge_sort_block_merge_config_selectorIfNS0_10empty_typeEEEZZNS1_27merge_sort_block_merge_implIS3_N6thrust23THRUST_200600_302600_NS6detail15normal_iteratorINS9_10device_ptrIfEEEEPS5_jNS1_19radix_merge_compareILb0ELb0EfNS0_19identity_decomposerEEEEE10hipError_tT0_T1_T2_jT3_P12ihipStream_tbPNSt15iterator_traitsISK_E10value_typeEPNSQ_ISL_E10value_typeEPSM_NS1_7vsmem_tEENKUlT_SK_SL_SM_E_clIPfSE_SF_SF_EESJ_SZ_SK_SL_SM_EUlSZ_E1_NS1_11comp_targetILNS1_3genE10ELNS1_11target_archE1201ELNS1_3gpuE5ELNS1_3repE0EEENS1_36merge_oddeven_config_static_selectorELNS0_4arch9wavefront6targetE1EEEvSL_.uses_vcc, 0
	.set _ZN7rocprim17ROCPRIM_400000_NS6detail17trampoline_kernelINS0_14default_configENS1_38merge_sort_block_merge_config_selectorIfNS0_10empty_typeEEEZZNS1_27merge_sort_block_merge_implIS3_N6thrust23THRUST_200600_302600_NS6detail15normal_iteratorINS9_10device_ptrIfEEEEPS5_jNS1_19radix_merge_compareILb0ELb0EfNS0_19identity_decomposerEEEEE10hipError_tT0_T1_T2_jT3_P12ihipStream_tbPNSt15iterator_traitsISK_E10value_typeEPNSQ_ISL_E10value_typeEPSM_NS1_7vsmem_tEENKUlT_SK_SL_SM_E_clIPfSE_SF_SF_EESJ_SZ_SK_SL_SM_EUlSZ_E1_NS1_11comp_targetILNS1_3genE10ELNS1_11target_archE1201ELNS1_3gpuE5ELNS1_3repE0EEENS1_36merge_oddeven_config_static_selectorELNS0_4arch9wavefront6targetE1EEEvSL_.uses_flat_scratch, 0
	.set _ZN7rocprim17ROCPRIM_400000_NS6detail17trampoline_kernelINS0_14default_configENS1_38merge_sort_block_merge_config_selectorIfNS0_10empty_typeEEEZZNS1_27merge_sort_block_merge_implIS3_N6thrust23THRUST_200600_302600_NS6detail15normal_iteratorINS9_10device_ptrIfEEEEPS5_jNS1_19radix_merge_compareILb0ELb0EfNS0_19identity_decomposerEEEEE10hipError_tT0_T1_T2_jT3_P12ihipStream_tbPNSt15iterator_traitsISK_E10value_typeEPNSQ_ISL_E10value_typeEPSM_NS1_7vsmem_tEENKUlT_SK_SL_SM_E_clIPfSE_SF_SF_EESJ_SZ_SK_SL_SM_EUlSZ_E1_NS1_11comp_targetILNS1_3genE10ELNS1_11target_archE1201ELNS1_3gpuE5ELNS1_3repE0EEENS1_36merge_oddeven_config_static_selectorELNS0_4arch9wavefront6targetE1EEEvSL_.has_dyn_sized_stack, 0
	.set _ZN7rocprim17ROCPRIM_400000_NS6detail17trampoline_kernelINS0_14default_configENS1_38merge_sort_block_merge_config_selectorIfNS0_10empty_typeEEEZZNS1_27merge_sort_block_merge_implIS3_N6thrust23THRUST_200600_302600_NS6detail15normal_iteratorINS9_10device_ptrIfEEEEPS5_jNS1_19radix_merge_compareILb0ELb0EfNS0_19identity_decomposerEEEEE10hipError_tT0_T1_T2_jT3_P12ihipStream_tbPNSt15iterator_traitsISK_E10value_typeEPNSQ_ISL_E10value_typeEPSM_NS1_7vsmem_tEENKUlT_SK_SL_SM_E_clIPfSE_SF_SF_EESJ_SZ_SK_SL_SM_EUlSZ_E1_NS1_11comp_targetILNS1_3genE10ELNS1_11target_archE1201ELNS1_3gpuE5ELNS1_3repE0EEENS1_36merge_oddeven_config_static_selectorELNS0_4arch9wavefront6targetE1EEEvSL_.has_recursion, 0
	.set _ZN7rocprim17ROCPRIM_400000_NS6detail17trampoline_kernelINS0_14default_configENS1_38merge_sort_block_merge_config_selectorIfNS0_10empty_typeEEEZZNS1_27merge_sort_block_merge_implIS3_N6thrust23THRUST_200600_302600_NS6detail15normal_iteratorINS9_10device_ptrIfEEEEPS5_jNS1_19radix_merge_compareILb0ELb0EfNS0_19identity_decomposerEEEEE10hipError_tT0_T1_T2_jT3_P12ihipStream_tbPNSt15iterator_traitsISK_E10value_typeEPNSQ_ISL_E10value_typeEPSM_NS1_7vsmem_tEENKUlT_SK_SL_SM_E_clIPfSE_SF_SF_EESJ_SZ_SK_SL_SM_EUlSZ_E1_NS1_11comp_targetILNS1_3genE10ELNS1_11target_archE1201ELNS1_3gpuE5ELNS1_3repE0EEENS1_36merge_oddeven_config_static_selectorELNS0_4arch9wavefront6targetE1EEEvSL_.has_indirect_call, 0
	.section	.AMDGPU.csdata,"",@progbits
; Kernel info:
; codeLenInByte = 0
; TotalNumSgprs: 6
; NumVgprs: 0
; NumAgprs: 0
; TotalNumVgprs: 0
; ScratchSize: 0
; MemoryBound: 0
; FloatMode: 240
; IeeeMode: 1
; LDSByteSize: 0 bytes/workgroup (compile time only)
; SGPRBlocks: 0
; VGPRBlocks: 0
; NumSGPRsForWavesPerEU: 6
; NumVGPRsForWavesPerEU: 1
; AccumOffset: 4
; Occupancy: 8
; WaveLimiterHint : 0
; COMPUTE_PGM_RSRC2:SCRATCH_EN: 0
; COMPUTE_PGM_RSRC2:USER_SGPR: 2
; COMPUTE_PGM_RSRC2:TRAP_HANDLER: 0
; COMPUTE_PGM_RSRC2:TGID_X_EN: 1
; COMPUTE_PGM_RSRC2:TGID_Y_EN: 0
; COMPUTE_PGM_RSRC2:TGID_Z_EN: 0
; COMPUTE_PGM_RSRC2:TIDIG_COMP_CNT: 0
; COMPUTE_PGM_RSRC3_GFX90A:ACCUM_OFFSET: 0
; COMPUTE_PGM_RSRC3_GFX90A:TG_SPLIT: 0
	.section	.text._ZN7rocprim17ROCPRIM_400000_NS6detail17trampoline_kernelINS0_14default_configENS1_38merge_sort_block_merge_config_selectorIfNS0_10empty_typeEEEZZNS1_27merge_sort_block_merge_implIS3_N6thrust23THRUST_200600_302600_NS6detail15normal_iteratorINS9_10device_ptrIfEEEEPS5_jNS1_19radix_merge_compareILb0ELb0EfNS0_19identity_decomposerEEEEE10hipError_tT0_T1_T2_jT3_P12ihipStream_tbPNSt15iterator_traitsISK_E10value_typeEPNSQ_ISL_E10value_typeEPSM_NS1_7vsmem_tEENKUlT_SK_SL_SM_E_clIPfSE_SF_SF_EESJ_SZ_SK_SL_SM_EUlSZ_E1_NS1_11comp_targetILNS1_3genE5ELNS1_11target_archE942ELNS1_3gpuE9ELNS1_3repE0EEENS1_36merge_oddeven_config_static_selectorELNS0_4arch9wavefront6targetE1EEEvSL_,"axG",@progbits,_ZN7rocprim17ROCPRIM_400000_NS6detail17trampoline_kernelINS0_14default_configENS1_38merge_sort_block_merge_config_selectorIfNS0_10empty_typeEEEZZNS1_27merge_sort_block_merge_implIS3_N6thrust23THRUST_200600_302600_NS6detail15normal_iteratorINS9_10device_ptrIfEEEEPS5_jNS1_19radix_merge_compareILb0ELb0EfNS0_19identity_decomposerEEEEE10hipError_tT0_T1_T2_jT3_P12ihipStream_tbPNSt15iterator_traitsISK_E10value_typeEPNSQ_ISL_E10value_typeEPSM_NS1_7vsmem_tEENKUlT_SK_SL_SM_E_clIPfSE_SF_SF_EESJ_SZ_SK_SL_SM_EUlSZ_E1_NS1_11comp_targetILNS1_3genE5ELNS1_11target_archE942ELNS1_3gpuE9ELNS1_3repE0EEENS1_36merge_oddeven_config_static_selectorELNS0_4arch9wavefront6targetE1EEEvSL_,comdat
	.protected	_ZN7rocprim17ROCPRIM_400000_NS6detail17trampoline_kernelINS0_14default_configENS1_38merge_sort_block_merge_config_selectorIfNS0_10empty_typeEEEZZNS1_27merge_sort_block_merge_implIS3_N6thrust23THRUST_200600_302600_NS6detail15normal_iteratorINS9_10device_ptrIfEEEEPS5_jNS1_19radix_merge_compareILb0ELb0EfNS0_19identity_decomposerEEEEE10hipError_tT0_T1_T2_jT3_P12ihipStream_tbPNSt15iterator_traitsISK_E10value_typeEPNSQ_ISL_E10value_typeEPSM_NS1_7vsmem_tEENKUlT_SK_SL_SM_E_clIPfSE_SF_SF_EESJ_SZ_SK_SL_SM_EUlSZ_E1_NS1_11comp_targetILNS1_3genE5ELNS1_11target_archE942ELNS1_3gpuE9ELNS1_3repE0EEENS1_36merge_oddeven_config_static_selectorELNS0_4arch9wavefront6targetE1EEEvSL_ ; -- Begin function _ZN7rocprim17ROCPRIM_400000_NS6detail17trampoline_kernelINS0_14default_configENS1_38merge_sort_block_merge_config_selectorIfNS0_10empty_typeEEEZZNS1_27merge_sort_block_merge_implIS3_N6thrust23THRUST_200600_302600_NS6detail15normal_iteratorINS9_10device_ptrIfEEEEPS5_jNS1_19radix_merge_compareILb0ELb0EfNS0_19identity_decomposerEEEEE10hipError_tT0_T1_T2_jT3_P12ihipStream_tbPNSt15iterator_traitsISK_E10value_typeEPNSQ_ISL_E10value_typeEPSM_NS1_7vsmem_tEENKUlT_SK_SL_SM_E_clIPfSE_SF_SF_EESJ_SZ_SK_SL_SM_EUlSZ_E1_NS1_11comp_targetILNS1_3genE5ELNS1_11target_archE942ELNS1_3gpuE9ELNS1_3repE0EEENS1_36merge_oddeven_config_static_selectorELNS0_4arch9wavefront6targetE1EEEvSL_
	.globl	_ZN7rocprim17ROCPRIM_400000_NS6detail17trampoline_kernelINS0_14default_configENS1_38merge_sort_block_merge_config_selectorIfNS0_10empty_typeEEEZZNS1_27merge_sort_block_merge_implIS3_N6thrust23THRUST_200600_302600_NS6detail15normal_iteratorINS9_10device_ptrIfEEEEPS5_jNS1_19radix_merge_compareILb0ELb0EfNS0_19identity_decomposerEEEEE10hipError_tT0_T1_T2_jT3_P12ihipStream_tbPNSt15iterator_traitsISK_E10value_typeEPNSQ_ISL_E10value_typeEPSM_NS1_7vsmem_tEENKUlT_SK_SL_SM_E_clIPfSE_SF_SF_EESJ_SZ_SK_SL_SM_EUlSZ_E1_NS1_11comp_targetILNS1_3genE5ELNS1_11target_archE942ELNS1_3gpuE9ELNS1_3repE0EEENS1_36merge_oddeven_config_static_selectorELNS0_4arch9wavefront6targetE1EEEvSL_
	.p2align	8
	.type	_ZN7rocprim17ROCPRIM_400000_NS6detail17trampoline_kernelINS0_14default_configENS1_38merge_sort_block_merge_config_selectorIfNS0_10empty_typeEEEZZNS1_27merge_sort_block_merge_implIS3_N6thrust23THRUST_200600_302600_NS6detail15normal_iteratorINS9_10device_ptrIfEEEEPS5_jNS1_19radix_merge_compareILb0ELb0EfNS0_19identity_decomposerEEEEE10hipError_tT0_T1_T2_jT3_P12ihipStream_tbPNSt15iterator_traitsISK_E10value_typeEPNSQ_ISL_E10value_typeEPSM_NS1_7vsmem_tEENKUlT_SK_SL_SM_E_clIPfSE_SF_SF_EESJ_SZ_SK_SL_SM_EUlSZ_E1_NS1_11comp_targetILNS1_3genE5ELNS1_11target_archE942ELNS1_3gpuE9ELNS1_3repE0EEENS1_36merge_oddeven_config_static_selectorELNS0_4arch9wavefront6targetE1EEEvSL_,@function
_ZN7rocprim17ROCPRIM_400000_NS6detail17trampoline_kernelINS0_14default_configENS1_38merge_sort_block_merge_config_selectorIfNS0_10empty_typeEEEZZNS1_27merge_sort_block_merge_implIS3_N6thrust23THRUST_200600_302600_NS6detail15normal_iteratorINS9_10device_ptrIfEEEEPS5_jNS1_19radix_merge_compareILb0ELb0EfNS0_19identity_decomposerEEEEE10hipError_tT0_T1_T2_jT3_P12ihipStream_tbPNSt15iterator_traitsISK_E10value_typeEPNSQ_ISL_E10value_typeEPSM_NS1_7vsmem_tEENKUlT_SK_SL_SM_E_clIPfSE_SF_SF_EESJ_SZ_SK_SL_SM_EUlSZ_E1_NS1_11comp_targetILNS1_3genE5ELNS1_11target_archE942ELNS1_3gpuE9ELNS1_3repE0EEENS1_36merge_oddeven_config_static_selectorELNS0_4arch9wavefront6targetE1EEEvSL_: ; @_ZN7rocprim17ROCPRIM_400000_NS6detail17trampoline_kernelINS0_14default_configENS1_38merge_sort_block_merge_config_selectorIfNS0_10empty_typeEEEZZNS1_27merge_sort_block_merge_implIS3_N6thrust23THRUST_200600_302600_NS6detail15normal_iteratorINS9_10device_ptrIfEEEEPS5_jNS1_19radix_merge_compareILb0ELb0EfNS0_19identity_decomposerEEEEE10hipError_tT0_T1_T2_jT3_P12ihipStream_tbPNSt15iterator_traitsISK_E10value_typeEPNSQ_ISL_E10value_typeEPSM_NS1_7vsmem_tEENKUlT_SK_SL_SM_E_clIPfSE_SF_SF_EESJ_SZ_SK_SL_SM_EUlSZ_E1_NS1_11comp_targetILNS1_3genE5ELNS1_11target_archE942ELNS1_3gpuE9ELNS1_3repE0EEENS1_36merge_oddeven_config_static_selectorELNS0_4arch9wavefront6targetE1EEEvSL_
; %bb.0:
	.section	.rodata,"a",@progbits
	.p2align	6, 0x0
	.amdhsa_kernel _ZN7rocprim17ROCPRIM_400000_NS6detail17trampoline_kernelINS0_14default_configENS1_38merge_sort_block_merge_config_selectorIfNS0_10empty_typeEEEZZNS1_27merge_sort_block_merge_implIS3_N6thrust23THRUST_200600_302600_NS6detail15normal_iteratorINS9_10device_ptrIfEEEEPS5_jNS1_19radix_merge_compareILb0ELb0EfNS0_19identity_decomposerEEEEE10hipError_tT0_T1_T2_jT3_P12ihipStream_tbPNSt15iterator_traitsISK_E10value_typeEPNSQ_ISL_E10value_typeEPSM_NS1_7vsmem_tEENKUlT_SK_SL_SM_E_clIPfSE_SF_SF_EESJ_SZ_SK_SL_SM_EUlSZ_E1_NS1_11comp_targetILNS1_3genE5ELNS1_11target_archE942ELNS1_3gpuE9ELNS1_3repE0EEENS1_36merge_oddeven_config_static_selectorELNS0_4arch9wavefront6targetE1EEEvSL_
		.amdhsa_group_segment_fixed_size 0
		.amdhsa_private_segment_fixed_size 0
		.amdhsa_kernarg_size 48
		.amdhsa_user_sgpr_count 2
		.amdhsa_user_sgpr_dispatch_ptr 0
		.amdhsa_user_sgpr_queue_ptr 0
		.amdhsa_user_sgpr_kernarg_segment_ptr 1
		.amdhsa_user_sgpr_dispatch_id 0
		.amdhsa_user_sgpr_kernarg_preload_length 0
		.amdhsa_user_sgpr_kernarg_preload_offset 0
		.amdhsa_user_sgpr_private_segment_size 0
		.amdhsa_uses_dynamic_stack 0
		.amdhsa_enable_private_segment 0
		.amdhsa_system_sgpr_workgroup_id_x 1
		.amdhsa_system_sgpr_workgroup_id_y 0
		.amdhsa_system_sgpr_workgroup_id_z 0
		.amdhsa_system_sgpr_workgroup_info 0
		.amdhsa_system_vgpr_workitem_id 0
		.amdhsa_next_free_vgpr 1
		.amdhsa_next_free_sgpr 0
		.amdhsa_accum_offset 4
		.amdhsa_reserve_vcc 0
		.amdhsa_float_round_mode_32 0
		.amdhsa_float_round_mode_16_64 0
		.amdhsa_float_denorm_mode_32 3
		.amdhsa_float_denorm_mode_16_64 3
		.amdhsa_dx10_clamp 1
		.amdhsa_ieee_mode 1
		.amdhsa_fp16_overflow 0
		.amdhsa_tg_split 0
		.amdhsa_exception_fp_ieee_invalid_op 0
		.amdhsa_exception_fp_denorm_src 0
		.amdhsa_exception_fp_ieee_div_zero 0
		.amdhsa_exception_fp_ieee_overflow 0
		.amdhsa_exception_fp_ieee_underflow 0
		.amdhsa_exception_fp_ieee_inexact 0
		.amdhsa_exception_int_div_zero 0
	.end_amdhsa_kernel
	.section	.text._ZN7rocprim17ROCPRIM_400000_NS6detail17trampoline_kernelINS0_14default_configENS1_38merge_sort_block_merge_config_selectorIfNS0_10empty_typeEEEZZNS1_27merge_sort_block_merge_implIS3_N6thrust23THRUST_200600_302600_NS6detail15normal_iteratorINS9_10device_ptrIfEEEEPS5_jNS1_19radix_merge_compareILb0ELb0EfNS0_19identity_decomposerEEEEE10hipError_tT0_T1_T2_jT3_P12ihipStream_tbPNSt15iterator_traitsISK_E10value_typeEPNSQ_ISL_E10value_typeEPSM_NS1_7vsmem_tEENKUlT_SK_SL_SM_E_clIPfSE_SF_SF_EESJ_SZ_SK_SL_SM_EUlSZ_E1_NS1_11comp_targetILNS1_3genE5ELNS1_11target_archE942ELNS1_3gpuE9ELNS1_3repE0EEENS1_36merge_oddeven_config_static_selectorELNS0_4arch9wavefront6targetE1EEEvSL_,"axG",@progbits,_ZN7rocprim17ROCPRIM_400000_NS6detail17trampoline_kernelINS0_14default_configENS1_38merge_sort_block_merge_config_selectorIfNS0_10empty_typeEEEZZNS1_27merge_sort_block_merge_implIS3_N6thrust23THRUST_200600_302600_NS6detail15normal_iteratorINS9_10device_ptrIfEEEEPS5_jNS1_19radix_merge_compareILb0ELb0EfNS0_19identity_decomposerEEEEE10hipError_tT0_T1_T2_jT3_P12ihipStream_tbPNSt15iterator_traitsISK_E10value_typeEPNSQ_ISL_E10value_typeEPSM_NS1_7vsmem_tEENKUlT_SK_SL_SM_E_clIPfSE_SF_SF_EESJ_SZ_SK_SL_SM_EUlSZ_E1_NS1_11comp_targetILNS1_3genE5ELNS1_11target_archE942ELNS1_3gpuE9ELNS1_3repE0EEENS1_36merge_oddeven_config_static_selectorELNS0_4arch9wavefront6targetE1EEEvSL_,comdat
.Lfunc_end493:
	.size	_ZN7rocprim17ROCPRIM_400000_NS6detail17trampoline_kernelINS0_14default_configENS1_38merge_sort_block_merge_config_selectorIfNS0_10empty_typeEEEZZNS1_27merge_sort_block_merge_implIS3_N6thrust23THRUST_200600_302600_NS6detail15normal_iteratorINS9_10device_ptrIfEEEEPS5_jNS1_19radix_merge_compareILb0ELb0EfNS0_19identity_decomposerEEEEE10hipError_tT0_T1_T2_jT3_P12ihipStream_tbPNSt15iterator_traitsISK_E10value_typeEPNSQ_ISL_E10value_typeEPSM_NS1_7vsmem_tEENKUlT_SK_SL_SM_E_clIPfSE_SF_SF_EESJ_SZ_SK_SL_SM_EUlSZ_E1_NS1_11comp_targetILNS1_3genE5ELNS1_11target_archE942ELNS1_3gpuE9ELNS1_3repE0EEENS1_36merge_oddeven_config_static_selectorELNS0_4arch9wavefront6targetE1EEEvSL_, .Lfunc_end493-_ZN7rocprim17ROCPRIM_400000_NS6detail17trampoline_kernelINS0_14default_configENS1_38merge_sort_block_merge_config_selectorIfNS0_10empty_typeEEEZZNS1_27merge_sort_block_merge_implIS3_N6thrust23THRUST_200600_302600_NS6detail15normal_iteratorINS9_10device_ptrIfEEEEPS5_jNS1_19radix_merge_compareILb0ELb0EfNS0_19identity_decomposerEEEEE10hipError_tT0_T1_T2_jT3_P12ihipStream_tbPNSt15iterator_traitsISK_E10value_typeEPNSQ_ISL_E10value_typeEPSM_NS1_7vsmem_tEENKUlT_SK_SL_SM_E_clIPfSE_SF_SF_EESJ_SZ_SK_SL_SM_EUlSZ_E1_NS1_11comp_targetILNS1_3genE5ELNS1_11target_archE942ELNS1_3gpuE9ELNS1_3repE0EEENS1_36merge_oddeven_config_static_selectorELNS0_4arch9wavefront6targetE1EEEvSL_
                                        ; -- End function
	.set _ZN7rocprim17ROCPRIM_400000_NS6detail17trampoline_kernelINS0_14default_configENS1_38merge_sort_block_merge_config_selectorIfNS0_10empty_typeEEEZZNS1_27merge_sort_block_merge_implIS3_N6thrust23THRUST_200600_302600_NS6detail15normal_iteratorINS9_10device_ptrIfEEEEPS5_jNS1_19radix_merge_compareILb0ELb0EfNS0_19identity_decomposerEEEEE10hipError_tT0_T1_T2_jT3_P12ihipStream_tbPNSt15iterator_traitsISK_E10value_typeEPNSQ_ISL_E10value_typeEPSM_NS1_7vsmem_tEENKUlT_SK_SL_SM_E_clIPfSE_SF_SF_EESJ_SZ_SK_SL_SM_EUlSZ_E1_NS1_11comp_targetILNS1_3genE5ELNS1_11target_archE942ELNS1_3gpuE9ELNS1_3repE0EEENS1_36merge_oddeven_config_static_selectorELNS0_4arch9wavefront6targetE1EEEvSL_.num_vgpr, 0
	.set _ZN7rocprim17ROCPRIM_400000_NS6detail17trampoline_kernelINS0_14default_configENS1_38merge_sort_block_merge_config_selectorIfNS0_10empty_typeEEEZZNS1_27merge_sort_block_merge_implIS3_N6thrust23THRUST_200600_302600_NS6detail15normal_iteratorINS9_10device_ptrIfEEEEPS5_jNS1_19radix_merge_compareILb0ELb0EfNS0_19identity_decomposerEEEEE10hipError_tT0_T1_T2_jT3_P12ihipStream_tbPNSt15iterator_traitsISK_E10value_typeEPNSQ_ISL_E10value_typeEPSM_NS1_7vsmem_tEENKUlT_SK_SL_SM_E_clIPfSE_SF_SF_EESJ_SZ_SK_SL_SM_EUlSZ_E1_NS1_11comp_targetILNS1_3genE5ELNS1_11target_archE942ELNS1_3gpuE9ELNS1_3repE0EEENS1_36merge_oddeven_config_static_selectorELNS0_4arch9wavefront6targetE1EEEvSL_.num_agpr, 0
	.set _ZN7rocprim17ROCPRIM_400000_NS6detail17trampoline_kernelINS0_14default_configENS1_38merge_sort_block_merge_config_selectorIfNS0_10empty_typeEEEZZNS1_27merge_sort_block_merge_implIS3_N6thrust23THRUST_200600_302600_NS6detail15normal_iteratorINS9_10device_ptrIfEEEEPS5_jNS1_19radix_merge_compareILb0ELb0EfNS0_19identity_decomposerEEEEE10hipError_tT0_T1_T2_jT3_P12ihipStream_tbPNSt15iterator_traitsISK_E10value_typeEPNSQ_ISL_E10value_typeEPSM_NS1_7vsmem_tEENKUlT_SK_SL_SM_E_clIPfSE_SF_SF_EESJ_SZ_SK_SL_SM_EUlSZ_E1_NS1_11comp_targetILNS1_3genE5ELNS1_11target_archE942ELNS1_3gpuE9ELNS1_3repE0EEENS1_36merge_oddeven_config_static_selectorELNS0_4arch9wavefront6targetE1EEEvSL_.numbered_sgpr, 0
	.set _ZN7rocprim17ROCPRIM_400000_NS6detail17trampoline_kernelINS0_14default_configENS1_38merge_sort_block_merge_config_selectorIfNS0_10empty_typeEEEZZNS1_27merge_sort_block_merge_implIS3_N6thrust23THRUST_200600_302600_NS6detail15normal_iteratorINS9_10device_ptrIfEEEEPS5_jNS1_19radix_merge_compareILb0ELb0EfNS0_19identity_decomposerEEEEE10hipError_tT0_T1_T2_jT3_P12ihipStream_tbPNSt15iterator_traitsISK_E10value_typeEPNSQ_ISL_E10value_typeEPSM_NS1_7vsmem_tEENKUlT_SK_SL_SM_E_clIPfSE_SF_SF_EESJ_SZ_SK_SL_SM_EUlSZ_E1_NS1_11comp_targetILNS1_3genE5ELNS1_11target_archE942ELNS1_3gpuE9ELNS1_3repE0EEENS1_36merge_oddeven_config_static_selectorELNS0_4arch9wavefront6targetE1EEEvSL_.num_named_barrier, 0
	.set _ZN7rocprim17ROCPRIM_400000_NS6detail17trampoline_kernelINS0_14default_configENS1_38merge_sort_block_merge_config_selectorIfNS0_10empty_typeEEEZZNS1_27merge_sort_block_merge_implIS3_N6thrust23THRUST_200600_302600_NS6detail15normal_iteratorINS9_10device_ptrIfEEEEPS5_jNS1_19radix_merge_compareILb0ELb0EfNS0_19identity_decomposerEEEEE10hipError_tT0_T1_T2_jT3_P12ihipStream_tbPNSt15iterator_traitsISK_E10value_typeEPNSQ_ISL_E10value_typeEPSM_NS1_7vsmem_tEENKUlT_SK_SL_SM_E_clIPfSE_SF_SF_EESJ_SZ_SK_SL_SM_EUlSZ_E1_NS1_11comp_targetILNS1_3genE5ELNS1_11target_archE942ELNS1_3gpuE9ELNS1_3repE0EEENS1_36merge_oddeven_config_static_selectorELNS0_4arch9wavefront6targetE1EEEvSL_.private_seg_size, 0
	.set _ZN7rocprim17ROCPRIM_400000_NS6detail17trampoline_kernelINS0_14default_configENS1_38merge_sort_block_merge_config_selectorIfNS0_10empty_typeEEEZZNS1_27merge_sort_block_merge_implIS3_N6thrust23THRUST_200600_302600_NS6detail15normal_iteratorINS9_10device_ptrIfEEEEPS5_jNS1_19radix_merge_compareILb0ELb0EfNS0_19identity_decomposerEEEEE10hipError_tT0_T1_T2_jT3_P12ihipStream_tbPNSt15iterator_traitsISK_E10value_typeEPNSQ_ISL_E10value_typeEPSM_NS1_7vsmem_tEENKUlT_SK_SL_SM_E_clIPfSE_SF_SF_EESJ_SZ_SK_SL_SM_EUlSZ_E1_NS1_11comp_targetILNS1_3genE5ELNS1_11target_archE942ELNS1_3gpuE9ELNS1_3repE0EEENS1_36merge_oddeven_config_static_selectorELNS0_4arch9wavefront6targetE1EEEvSL_.uses_vcc, 0
	.set _ZN7rocprim17ROCPRIM_400000_NS6detail17trampoline_kernelINS0_14default_configENS1_38merge_sort_block_merge_config_selectorIfNS0_10empty_typeEEEZZNS1_27merge_sort_block_merge_implIS3_N6thrust23THRUST_200600_302600_NS6detail15normal_iteratorINS9_10device_ptrIfEEEEPS5_jNS1_19radix_merge_compareILb0ELb0EfNS0_19identity_decomposerEEEEE10hipError_tT0_T1_T2_jT3_P12ihipStream_tbPNSt15iterator_traitsISK_E10value_typeEPNSQ_ISL_E10value_typeEPSM_NS1_7vsmem_tEENKUlT_SK_SL_SM_E_clIPfSE_SF_SF_EESJ_SZ_SK_SL_SM_EUlSZ_E1_NS1_11comp_targetILNS1_3genE5ELNS1_11target_archE942ELNS1_3gpuE9ELNS1_3repE0EEENS1_36merge_oddeven_config_static_selectorELNS0_4arch9wavefront6targetE1EEEvSL_.uses_flat_scratch, 0
	.set _ZN7rocprim17ROCPRIM_400000_NS6detail17trampoline_kernelINS0_14default_configENS1_38merge_sort_block_merge_config_selectorIfNS0_10empty_typeEEEZZNS1_27merge_sort_block_merge_implIS3_N6thrust23THRUST_200600_302600_NS6detail15normal_iteratorINS9_10device_ptrIfEEEEPS5_jNS1_19radix_merge_compareILb0ELb0EfNS0_19identity_decomposerEEEEE10hipError_tT0_T1_T2_jT3_P12ihipStream_tbPNSt15iterator_traitsISK_E10value_typeEPNSQ_ISL_E10value_typeEPSM_NS1_7vsmem_tEENKUlT_SK_SL_SM_E_clIPfSE_SF_SF_EESJ_SZ_SK_SL_SM_EUlSZ_E1_NS1_11comp_targetILNS1_3genE5ELNS1_11target_archE942ELNS1_3gpuE9ELNS1_3repE0EEENS1_36merge_oddeven_config_static_selectorELNS0_4arch9wavefront6targetE1EEEvSL_.has_dyn_sized_stack, 0
	.set _ZN7rocprim17ROCPRIM_400000_NS6detail17trampoline_kernelINS0_14default_configENS1_38merge_sort_block_merge_config_selectorIfNS0_10empty_typeEEEZZNS1_27merge_sort_block_merge_implIS3_N6thrust23THRUST_200600_302600_NS6detail15normal_iteratorINS9_10device_ptrIfEEEEPS5_jNS1_19radix_merge_compareILb0ELb0EfNS0_19identity_decomposerEEEEE10hipError_tT0_T1_T2_jT3_P12ihipStream_tbPNSt15iterator_traitsISK_E10value_typeEPNSQ_ISL_E10value_typeEPSM_NS1_7vsmem_tEENKUlT_SK_SL_SM_E_clIPfSE_SF_SF_EESJ_SZ_SK_SL_SM_EUlSZ_E1_NS1_11comp_targetILNS1_3genE5ELNS1_11target_archE942ELNS1_3gpuE9ELNS1_3repE0EEENS1_36merge_oddeven_config_static_selectorELNS0_4arch9wavefront6targetE1EEEvSL_.has_recursion, 0
	.set _ZN7rocprim17ROCPRIM_400000_NS6detail17trampoline_kernelINS0_14default_configENS1_38merge_sort_block_merge_config_selectorIfNS0_10empty_typeEEEZZNS1_27merge_sort_block_merge_implIS3_N6thrust23THRUST_200600_302600_NS6detail15normal_iteratorINS9_10device_ptrIfEEEEPS5_jNS1_19radix_merge_compareILb0ELb0EfNS0_19identity_decomposerEEEEE10hipError_tT0_T1_T2_jT3_P12ihipStream_tbPNSt15iterator_traitsISK_E10value_typeEPNSQ_ISL_E10value_typeEPSM_NS1_7vsmem_tEENKUlT_SK_SL_SM_E_clIPfSE_SF_SF_EESJ_SZ_SK_SL_SM_EUlSZ_E1_NS1_11comp_targetILNS1_3genE5ELNS1_11target_archE942ELNS1_3gpuE9ELNS1_3repE0EEENS1_36merge_oddeven_config_static_selectorELNS0_4arch9wavefront6targetE1EEEvSL_.has_indirect_call, 0
	.section	.AMDGPU.csdata,"",@progbits
; Kernel info:
; codeLenInByte = 0
; TotalNumSgprs: 6
; NumVgprs: 0
; NumAgprs: 0
; TotalNumVgprs: 0
; ScratchSize: 0
; MemoryBound: 0
; FloatMode: 240
; IeeeMode: 1
; LDSByteSize: 0 bytes/workgroup (compile time only)
; SGPRBlocks: 0
; VGPRBlocks: 0
; NumSGPRsForWavesPerEU: 6
; NumVGPRsForWavesPerEU: 1
; AccumOffset: 4
; Occupancy: 8
; WaveLimiterHint : 0
; COMPUTE_PGM_RSRC2:SCRATCH_EN: 0
; COMPUTE_PGM_RSRC2:USER_SGPR: 2
; COMPUTE_PGM_RSRC2:TRAP_HANDLER: 0
; COMPUTE_PGM_RSRC2:TGID_X_EN: 1
; COMPUTE_PGM_RSRC2:TGID_Y_EN: 0
; COMPUTE_PGM_RSRC2:TGID_Z_EN: 0
; COMPUTE_PGM_RSRC2:TIDIG_COMP_CNT: 0
; COMPUTE_PGM_RSRC3_GFX90A:ACCUM_OFFSET: 0
; COMPUTE_PGM_RSRC3_GFX90A:TG_SPLIT: 0
	.section	.text._ZN7rocprim17ROCPRIM_400000_NS6detail17trampoline_kernelINS0_14default_configENS1_38merge_sort_block_merge_config_selectorIfNS0_10empty_typeEEEZZNS1_27merge_sort_block_merge_implIS3_N6thrust23THRUST_200600_302600_NS6detail15normal_iteratorINS9_10device_ptrIfEEEEPS5_jNS1_19radix_merge_compareILb0ELb0EfNS0_19identity_decomposerEEEEE10hipError_tT0_T1_T2_jT3_P12ihipStream_tbPNSt15iterator_traitsISK_E10value_typeEPNSQ_ISL_E10value_typeEPSM_NS1_7vsmem_tEENKUlT_SK_SL_SM_E_clIPfSE_SF_SF_EESJ_SZ_SK_SL_SM_EUlSZ_E1_NS1_11comp_targetILNS1_3genE4ELNS1_11target_archE910ELNS1_3gpuE8ELNS1_3repE0EEENS1_36merge_oddeven_config_static_selectorELNS0_4arch9wavefront6targetE1EEEvSL_,"axG",@progbits,_ZN7rocprim17ROCPRIM_400000_NS6detail17trampoline_kernelINS0_14default_configENS1_38merge_sort_block_merge_config_selectorIfNS0_10empty_typeEEEZZNS1_27merge_sort_block_merge_implIS3_N6thrust23THRUST_200600_302600_NS6detail15normal_iteratorINS9_10device_ptrIfEEEEPS5_jNS1_19radix_merge_compareILb0ELb0EfNS0_19identity_decomposerEEEEE10hipError_tT0_T1_T2_jT3_P12ihipStream_tbPNSt15iterator_traitsISK_E10value_typeEPNSQ_ISL_E10value_typeEPSM_NS1_7vsmem_tEENKUlT_SK_SL_SM_E_clIPfSE_SF_SF_EESJ_SZ_SK_SL_SM_EUlSZ_E1_NS1_11comp_targetILNS1_3genE4ELNS1_11target_archE910ELNS1_3gpuE8ELNS1_3repE0EEENS1_36merge_oddeven_config_static_selectorELNS0_4arch9wavefront6targetE1EEEvSL_,comdat
	.protected	_ZN7rocprim17ROCPRIM_400000_NS6detail17trampoline_kernelINS0_14default_configENS1_38merge_sort_block_merge_config_selectorIfNS0_10empty_typeEEEZZNS1_27merge_sort_block_merge_implIS3_N6thrust23THRUST_200600_302600_NS6detail15normal_iteratorINS9_10device_ptrIfEEEEPS5_jNS1_19radix_merge_compareILb0ELb0EfNS0_19identity_decomposerEEEEE10hipError_tT0_T1_T2_jT3_P12ihipStream_tbPNSt15iterator_traitsISK_E10value_typeEPNSQ_ISL_E10value_typeEPSM_NS1_7vsmem_tEENKUlT_SK_SL_SM_E_clIPfSE_SF_SF_EESJ_SZ_SK_SL_SM_EUlSZ_E1_NS1_11comp_targetILNS1_3genE4ELNS1_11target_archE910ELNS1_3gpuE8ELNS1_3repE0EEENS1_36merge_oddeven_config_static_selectorELNS0_4arch9wavefront6targetE1EEEvSL_ ; -- Begin function _ZN7rocprim17ROCPRIM_400000_NS6detail17trampoline_kernelINS0_14default_configENS1_38merge_sort_block_merge_config_selectorIfNS0_10empty_typeEEEZZNS1_27merge_sort_block_merge_implIS3_N6thrust23THRUST_200600_302600_NS6detail15normal_iteratorINS9_10device_ptrIfEEEEPS5_jNS1_19radix_merge_compareILb0ELb0EfNS0_19identity_decomposerEEEEE10hipError_tT0_T1_T2_jT3_P12ihipStream_tbPNSt15iterator_traitsISK_E10value_typeEPNSQ_ISL_E10value_typeEPSM_NS1_7vsmem_tEENKUlT_SK_SL_SM_E_clIPfSE_SF_SF_EESJ_SZ_SK_SL_SM_EUlSZ_E1_NS1_11comp_targetILNS1_3genE4ELNS1_11target_archE910ELNS1_3gpuE8ELNS1_3repE0EEENS1_36merge_oddeven_config_static_selectorELNS0_4arch9wavefront6targetE1EEEvSL_
	.globl	_ZN7rocprim17ROCPRIM_400000_NS6detail17trampoline_kernelINS0_14default_configENS1_38merge_sort_block_merge_config_selectorIfNS0_10empty_typeEEEZZNS1_27merge_sort_block_merge_implIS3_N6thrust23THRUST_200600_302600_NS6detail15normal_iteratorINS9_10device_ptrIfEEEEPS5_jNS1_19radix_merge_compareILb0ELb0EfNS0_19identity_decomposerEEEEE10hipError_tT0_T1_T2_jT3_P12ihipStream_tbPNSt15iterator_traitsISK_E10value_typeEPNSQ_ISL_E10value_typeEPSM_NS1_7vsmem_tEENKUlT_SK_SL_SM_E_clIPfSE_SF_SF_EESJ_SZ_SK_SL_SM_EUlSZ_E1_NS1_11comp_targetILNS1_3genE4ELNS1_11target_archE910ELNS1_3gpuE8ELNS1_3repE0EEENS1_36merge_oddeven_config_static_selectorELNS0_4arch9wavefront6targetE1EEEvSL_
	.p2align	8
	.type	_ZN7rocprim17ROCPRIM_400000_NS6detail17trampoline_kernelINS0_14default_configENS1_38merge_sort_block_merge_config_selectorIfNS0_10empty_typeEEEZZNS1_27merge_sort_block_merge_implIS3_N6thrust23THRUST_200600_302600_NS6detail15normal_iteratorINS9_10device_ptrIfEEEEPS5_jNS1_19radix_merge_compareILb0ELb0EfNS0_19identity_decomposerEEEEE10hipError_tT0_T1_T2_jT3_P12ihipStream_tbPNSt15iterator_traitsISK_E10value_typeEPNSQ_ISL_E10value_typeEPSM_NS1_7vsmem_tEENKUlT_SK_SL_SM_E_clIPfSE_SF_SF_EESJ_SZ_SK_SL_SM_EUlSZ_E1_NS1_11comp_targetILNS1_3genE4ELNS1_11target_archE910ELNS1_3gpuE8ELNS1_3repE0EEENS1_36merge_oddeven_config_static_selectorELNS0_4arch9wavefront6targetE1EEEvSL_,@function
_ZN7rocprim17ROCPRIM_400000_NS6detail17trampoline_kernelINS0_14default_configENS1_38merge_sort_block_merge_config_selectorIfNS0_10empty_typeEEEZZNS1_27merge_sort_block_merge_implIS3_N6thrust23THRUST_200600_302600_NS6detail15normal_iteratorINS9_10device_ptrIfEEEEPS5_jNS1_19radix_merge_compareILb0ELb0EfNS0_19identity_decomposerEEEEE10hipError_tT0_T1_T2_jT3_P12ihipStream_tbPNSt15iterator_traitsISK_E10value_typeEPNSQ_ISL_E10value_typeEPSM_NS1_7vsmem_tEENKUlT_SK_SL_SM_E_clIPfSE_SF_SF_EESJ_SZ_SK_SL_SM_EUlSZ_E1_NS1_11comp_targetILNS1_3genE4ELNS1_11target_archE910ELNS1_3gpuE8ELNS1_3repE0EEENS1_36merge_oddeven_config_static_selectorELNS0_4arch9wavefront6targetE1EEEvSL_: ; @_ZN7rocprim17ROCPRIM_400000_NS6detail17trampoline_kernelINS0_14default_configENS1_38merge_sort_block_merge_config_selectorIfNS0_10empty_typeEEEZZNS1_27merge_sort_block_merge_implIS3_N6thrust23THRUST_200600_302600_NS6detail15normal_iteratorINS9_10device_ptrIfEEEEPS5_jNS1_19radix_merge_compareILb0ELb0EfNS0_19identity_decomposerEEEEE10hipError_tT0_T1_T2_jT3_P12ihipStream_tbPNSt15iterator_traitsISK_E10value_typeEPNSQ_ISL_E10value_typeEPSM_NS1_7vsmem_tEENKUlT_SK_SL_SM_E_clIPfSE_SF_SF_EESJ_SZ_SK_SL_SM_EUlSZ_E1_NS1_11comp_targetILNS1_3genE4ELNS1_11target_archE910ELNS1_3gpuE8ELNS1_3repE0EEENS1_36merge_oddeven_config_static_selectorELNS0_4arch9wavefront6targetE1EEEvSL_
; %bb.0:
	.section	.rodata,"a",@progbits
	.p2align	6, 0x0
	.amdhsa_kernel _ZN7rocprim17ROCPRIM_400000_NS6detail17trampoline_kernelINS0_14default_configENS1_38merge_sort_block_merge_config_selectorIfNS0_10empty_typeEEEZZNS1_27merge_sort_block_merge_implIS3_N6thrust23THRUST_200600_302600_NS6detail15normal_iteratorINS9_10device_ptrIfEEEEPS5_jNS1_19radix_merge_compareILb0ELb0EfNS0_19identity_decomposerEEEEE10hipError_tT0_T1_T2_jT3_P12ihipStream_tbPNSt15iterator_traitsISK_E10value_typeEPNSQ_ISL_E10value_typeEPSM_NS1_7vsmem_tEENKUlT_SK_SL_SM_E_clIPfSE_SF_SF_EESJ_SZ_SK_SL_SM_EUlSZ_E1_NS1_11comp_targetILNS1_3genE4ELNS1_11target_archE910ELNS1_3gpuE8ELNS1_3repE0EEENS1_36merge_oddeven_config_static_selectorELNS0_4arch9wavefront6targetE1EEEvSL_
		.amdhsa_group_segment_fixed_size 0
		.amdhsa_private_segment_fixed_size 0
		.amdhsa_kernarg_size 48
		.amdhsa_user_sgpr_count 2
		.amdhsa_user_sgpr_dispatch_ptr 0
		.amdhsa_user_sgpr_queue_ptr 0
		.amdhsa_user_sgpr_kernarg_segment_ptr 1
		.amdhsa_user_sgpr_dispatch_id 0
		.amdhsa_user_sgpr_kernarg_preload_length 0
		.amdhsa_user_sgpr_kernarg_preload_offset 0
		.amdhsa_user_sgpr_private_segment_size 0
		.amdhsa_uses_dynamic_stack 0
		.amdhsa_enable_private_segment 0
		.amdhsa_system_sgpr_workgroup_id_x 1
		.amdhsa_system_sgpr_workgroup_id_y 0
		.amdhsa_system_sgpr_workgroup_id_z 0
		.amdhsa_system_sgpr_workgroup_info 0
		.amdhsa_system_vgpr_workitem_id 0
		.amdhsa_next_free_vgpr 1
		.amdhsa_next_free_sgpr 0
		.amdhsa_accum_offset 4
		.amdhsa_reserve_vcc 0
		.amdhsa_float_round_mode_32 0
		.amdhsa_float_round_mode_16_64 0
		.amdhsa_float_denorm_mode_32 3
		.amdhsa_float_denorm_mode_16_64 3
		.amdhsa_dx10_clamp 1
		.amdhsa_ieee_mode 1
		.amdhsa_fp16_overflow 0
		.amdhsa_tg_split 0
		.amdhsa_exception_fp_ieee_invalid_op 0
		.amdhsa_exception_fp_denorm_src 0
		.amdhsa_exception_fp_ieee_div_zero 0
		.amdhsa_exception_fp_ieee_overflow 0
		.amdhsa_exception_fp_ieee_underflow 0
		.amdhsa_exception_fp_ieee_inexact 0
		.amdhsa_exception_int_div_zero 0
	.end_amdhsa_kernel
	.section	.text._ZN7rocprim17ROCPRIM_400000_NS6detail17trampoline_kernelINS0_14default_configENS1_38merge_sort_block_merge_config_selectorIfNS0_10empty_typeEEEZZNS1_27merge_sort_block_merge_implIS3_N6thrust23THRUST_200600_302600_NS6detail15normal_iteratorINS9_10device_ptrIfEEEEPS5_jNS1_19radix_merge_compareILb0ELb0EfNS0_19identity_decomposerEEEEE10hipError_tT0_T1_T2_jT3_P12ihipStream_tbPNSt15iterator_traitsISK_E10value_typeEPNSQ_ISL_E10value_typeEPSM_NS1_7vsmem_tEENKUlT_SK_SL_SM_E_clIPfSE_SF_SF_EESJ_SZ_SK_SL_SM_EUlSZ_E1_NS1_11comp_targetILNS1_3genE4ELNS1_11target_archE910ELNS1_3gpuE8ELNS1_3repE0EEENS1_36merge_oddeven_config_static_selectorELNS0_4arch9wavefront6targetE1EEEvSL_,"axG",@progbits,_ZN7rocprim17ROCPRIM_400000_NS6detail17trampoline_kernelINS0_14default_configENS1_38merge_sort_block_merge_config_selectorIfNS0_10empty_typeEEEZZNS1_27merge_sort_block_merge_implIS3_N6thrust23THRUST_200600_302600_NS6detail15normal_iteratorINS9_10device_ptrIfEEEEPS5_jNS1_19radix_merge_compareILb0ELb0EfNS0_19identity_decomposerEEEEE10hipError_tT0_T1_T2_jT3_P12ihipStream_tbPNSt15iterator_traitsISK_E10value_typeEPNSQ_ISL_E10value_typeEPSM_NS1_7vsmem_tEENKUlT_SK_SL_SM_E_clIPfSE_SF_SF_EESJ_SZ_SK_SL_SM_EUlSZ_E1_NS1_11comp_targetILNS1_3genE4ELNS1_11target_archE910ELNS1_3gpuE8ELNS1_3repE0EEENS1_36merge_oddeven_config_static_selectorELNS0_4arch9wavefront6targetE1EEEvSL_,comdat
.Lfunc_end494:
	.size	_ZN7rocprim17ROCPRIM_400000_NS6detail17trampoline_kernelINS0_14default_configENS1_38merge_sort_block_merge_config_selectorIfNS0_10empty_typeEEEZZNS1_27merge_sort_block_merge_implIS3_N6thrust23THRUST_200600_302600_NS6detail15normal_iteratorINS9_10device_ptrIfEEEEPS5_jNS1_19radix_merge_compareILb0ELb0EfNS0_19identity_decomposerEEEEE10hipError_tT0_T1_T2_jT3_P12ihipStream_tbPNSt15iterator_traitsISK_E10value_typeEPNSQ_ISL_E10value_typeEPSM_NS1_7vsmem_tEENKUlT_SK_SL_SM_E_clIPfSE_SF_SF_EESJ_SZ_SK_SL_SM_EUlSZ_E1_NS1_11comp_targetILNS1_3genE4ELNS1_11target_archE910ELNS1_3gpuE8ELNS1_3repE0EEENS1_36merge_oddeven_config_static_selectorELNS0_4arch9wavefront6targetE1EEEvSL_, .Lfunc_end494-_ZN7rocprim17ROCPRIM_400000_NS6detail17trampoline_kernelINS0_14default_configENS1_38merge_sort_block_merge_config_selectorIfNS0_10empty_typeEEEZZNS1_27merge_sort_block_merge_implIS3_N6thrust23THRUST_200600_302600_NS6detail15normal_iteratorINS9_10device_ptrIfEEEEPS5_jNS1_19radix_merge_compareILb0ELb0EfNS0_19identity_decomposerEEEEE10hipError_tT0_T1_T2_jT3_P12ihipStream_tbPNSt15iterator_traitsISK_E10value_typeEPNSQ_ISL_E10value_typeEPSM_NS1_7vsmem_tEENKUlT_SK_SL_SM_E_clIPfSE_SF_SF_EESJ_SZ_SK_SL_SM_EUlSZ_E1_NS1_11comp_targetILNS1_3genE4ELNS1_11target_archE910ELNS1_3gpuE8ELNS1_3repE0EEENS1_36merge_oddeven_config_static_selectorELNS0_4arch9wavefront6targetE1EEEvSL_
                                        ; -- End function
	.set _ZN7rocprim17ROCPRIM_400000_NS6detail17trampoline_kernelINS0_14default_configENS1_38merge_sort_block_merge_config_selectorIfNS0_10empty_typeEEEZZNS1_27merge_sort_block_merge_implIS3_N6thrust23THRUST_200600_302600_NS6detail15normal_iteratorINS9_10device_ptrIfEEEEPS5_jNS1_19radix_merge_compareILb0ELb0EfNS0_19identity_decomposerEEEEE10hipError_tT0_T1_T2_jT3_P12ihipStream_tbPNSt15iterator_traitsISK_E10value_typeEPNSQ_ISL_E10value_typeEPSM_NS1_7vsmem_tEENKUlT_SK_SL_SM_E_clIPfSE_SF_SF_EESJ_SZ_SK_SL_SM_EUlSZ_E1_NS1_11comp_targetILNS1_3genE4ELNS1_11target_archE910ELNS1_3gpuE8ELNS1_3repE0EEENS1_36merge_oddeven_config_static_selectorELNS0_4arch9wavefront6targetE1EEEvSL_.num_vgpr, 0
	.set _ZN7rocprim17ROCPRIM_400000_NS6detail17trampoline_kernelINS0_14default_configENS1_38merge_sort_block_merge_config_selectorIfNS0_10empty_typeEEEZZNS1_27merge_sort_block_merge_implIS3_N6thrust23THRUST_200600_302600_NS6detail15normal_iteratorINS9_10device_ptrIfEEEEPS5_jNS1_19radix_merge_compareILb0ELb0EfNS0_19identity_decomposerEEEEE10hipError_tT0_T1_T2_jT3_P12ihipStream_tbPNSt15iterator_traitsISK_E10value_typeEPNSQ_ISL_E10value_typeEPSM_NS1_7vsmem_tEENKUlT_SK_SL_SM_E_clIPfSE_SF_SF_EESJ_SZ_SK_SL_SM_EUlSZ_E1_NS1_11comp_targetILNS1_3genE4ELNS1_11target_archE910ELNS1_3gpuE8ELNS1_3repE0EEENS1_36merge_oddeven_config_static_selectorELNS0_4arch9wavefront6targetE1EEEvSL_.num_agpr, 0
	.set _ZN7rocprim17ROCPRIM_400000_NS6detail17trampoline_kernelINS0_14default_configENS1_38merge_sort_block_merge_config_selectorIfNS0_10empty_typeEEEZZNS1_27merge_sort_block_merge_implIS3_N6thrust23THRUST_200600_302600_NS6detail15normal_iteratorINS9_10device_ptrIfEEEEPS5_jNS1_19radix_merge_compareILb0ELb0EfNS0_19identity_decomposerEEEEE10hipError_tT0_T1_T2_jT3_P12ihipStream_tbPNSt15iterator_traitsISK_E10value_typeEPNSQ_ISL_E10value_typeEPSM_NS1_7vsmem_tEENKUlT_SK_SL_SM_E_clIPfSE_SF_SF_EESJ_SZ_SK_SL_SM_EUlSZ_E1_NS1_11comp_targetILNS1_3genE4ELNS1_11target_archE910ELNS1_3gpuE8ELNS1_3repE0EEENS1_36merge_oddeven_config_static_selectorELNS0_4arch9wavefront6targetE1EEEvSL_.numbered_sgpr, 0
	.set _ZN7rocprim17ROCPRIM_400000_NS6detail17trampoline_kernelINS0_14default_configENS1_38merge_sort_block_merge_config_selectorIfNS0_10empty_typeEEEZZNS1_27merge_sort_block_merge_implIS3_N6thrust23THRUST_200600_302600_NS6detail15normal_iteratorINS9_10device_ptrIfEEEEPS5_jNS1_19radix_merge_compareILb0ELb0EfNS0_19identity_decomposerEEEEE10hipError_tT0_T1_T2_jT3_P12ihipStream_tbPNSt15iterator_traitsISK_E10value_typeEPNSQ_ISL_E10value_typeEPSM_NS1_7vsmem_tEENKUlT_SK_SL_SM_E_clIPfSE_SF_SF_EESJ_SZ_SK_SL_SM_EUlSZ_E1_NS1_11comp_targetILNS1_3genE4ELNS1_11target_archE910ELNS1_3gpuE8ELNS1_3repE0EEENS1_36merge_oddeven_config_static_selectorELNS0_4arch9wavefront6targetE1EEEvSL_.num_named_barrier, 0
	.set _ZN7rocprim17ROCPRIM_400000_NS6detail17trampoline_kernelINS0_14default_configENS1_38merge_sort_block_merge_config_selectorIfNS0_10empty_typeEEEZZNS1_27merge_sort_block_merge_implIS3_N6thrust23THRUST_200600_302600_NS6detail15normal_iteratorINS9_10device_ptrIfEEEEPS5_jNS1_19radix_merge_compareILb0ELb0EfNS0_19identity_decomposerEEEEE10hipError_tT0_T1_T2_jT3_P12ihipStream_tbPNSt15iterator_traitsISK_E10value_typeEPNSQ_ISL_E10value_typeEPSM_NS1_7vsmem_tEENKUlT_SK_SL_SM_E_clIPfSE_SF_SF_EESJ_SZ_SK_SL_SM_EUlSZ_E1_NS1_11comp_targetILNS1_3genE4ELNS1_11target_archE910ELNS1_3gpuE8ELNS1_3repE0EEENS1_36merge_oddeven_config_static_selectorELNS0_4arch9wavefront6targetE1EEEvSL_.private_seg_size, 0
	.set _ZN7rocprim17ROCPRIM_400000_NS6detail17trampoline_kernelINS0_14default_configENS1_38merge_sort_block_merge_config_selectorIfNS0_10empty_typeEEEZZNS1_27merge_sort_block_merge_implIS3_N6thrust23THRUST_200600_302600_NS6detail15normal_iteratorINS9_10device_ptrIfEEEEPS5_jNS1_19radix_merge_compareILb0ELb0EfNS0_19identity_decomposerEEEEE10hipError_tT0_T1_T2_jT3_P12ihipStream_tbPNSt15iterator_traitsISK_E10value_typeEPNSQ_ISL_E10value_typeEPSM_NS1_7vsmem_tEENKUlT_SK_SL_SM_E_clIPfSE_SF_SF_EESJ_SZ_SK_SL_SM_EUlSZ_E1_NS1_11comp_targetILNS1_3genE4ELNS1_11target_archE910ELNS1_3gpuE8ELNS1_3repE0EEENS1_36merge_oddeven_config_static_selectorELNS0_4arch9wavefront6targetE1EEEvSL_.uses_vcc, 0
	.set _ZN7rocprim17ROCPRIM_400000_NS6detail17trampoline_kernelINS0_14default_configENS1_38merge_sort_block_merge_config_selectorIfNS0_10empty_typeEEEZZNS1_27merge_sort_block_merge_implIS3_N6thrust23THRUST_200600_302600_NS6detail15normal_iteratorINS9_10device_ptrIfEEEEPS5_jNS1_19radix_merge_compareILb0ELb0EfNS0_19identity_decomposerEEEEE10hipError_tT0_T1_T2_jT3_P12ihipStream_tbPNSt15iterator_traitsISK_E10value_typeEPNSQ_ISL_E10value_typeEPSM_NS1_7vsmem_tEENKUlT_SK_SL_SM_E_clIPfSE_SF_SF_EESJ_SZ_SK_SL_SM_EUlSZ_E1_NS1_11comp_targetILNS1_3genE4ELNS1_11target_archE910ELNS1_3gpuE8ELNS1_3repE0EEENS1_36merge_oddeven_config_static_selectorELNS0_4arch9wavefront6targetE1EEEvSL_.uses_flat_scratch, 0
	.set _ZN7rocprim17ROCPRIM_400000_NS6detail17trampoline_kernelINS0_14default_configENS1_38merge_sort_block_merge_config_selectorIfNS0_10empty_typeEEEZZNS1_27merge_sort_block_merge_implIS3_N6thrust23THRUST_200600_302600_NS6detail15normal_iteratorINS9_10device_ptrIfEEEEPS5_jNS1_19radix_merge_compareILb0ELb0EfNS0_19identity_decomposerEEEEE10hipError_tT0_T1_T2_jT3_P12ihipStream_tbPNSt15iterator_traitsISK_E10value_typeEPNSQ_ISL_E10value_typeEPSM_NS1_7vsmem_tEENKUlT_SK_SL_SM_E_clIPfSE_SF_SF_EESJ_SZ_SK_SL_SM_EUlSZ_E1_NS1_11comp_targetILNS1_3genE4ELNS1_11target_archE910ELNS1_3gpuE8ELNS1_3repE0EEENS1_36merge_oddeven_config_static_selectorELNS0_4arch9wavefront6targetE1EEEvSL_.has_dyn_sized_stack, 0
	.set _ZN7rocprim17ROCPRIM_400000_NS6detail17trampoline_kernelINS0_14default_configENS1_38merge_sort_block_merge_config_selectorIfNS0_10empty_typeEEEZZNS1_27merge_sort_block_merge_implIS3_N6thrust23THRUST_200600_302600_NS6detail15normal_iteratorINS9_10device_ptrIfEEEEPS5_jNS1_19radix_merge_compareILb0ELb0EfNS0_19identity_decomposerEEEEE10hipError_tT0_T1_T2_jT3_P12ihipStream_tbPNSt15iterator_traitsISK_E10value_typeEPNSQ_ISL_E10value_typeEPSM_NS1_7vsmem_tEENKUlT_SK_SL_SM_E_clIPfSE_SF_SF_EESJ_SZ_SK_SL_SM_EUlSZ_E1_NS1_11comp_targetILNS1_3genE4ELNS1_11target_archE910ELNS1_3gpuE8ELNS1_3repE0EEENS1_36merge_oddeven_config_static_selectorELNS0_4arch9wavefront6targetE1EEEvSL_.has_recursion, 0
	.set _ZN7rocprim17ROCPRIM_400000_NS6detail17trampoline_kernelINS0_14default_configENS1_38merge_sort_block_merge_config_selectorIfNS0_10empty_typeEEEZZNS1_27merge_sort_block_merge_implIS3_N6thrust23THRUST_200600_302600_NS6detail15normal_iteratorINS9_10device_ptrIfEEEEPS5_jNS1_19radix_merge_compareILb0ELb0EfNS0_19identity_decomposerEEEEE10hipError_tT0_T1_T2_jT3_P12ihipStream_tbPNSt15iterator_traitsISK_E10value_typeEPNSQ_ISL_E10value_typeEPSM_NS1_7vsmem_tEENKUlT_SK_SL_SM_E_clIPfSE_SF_SF_EESJ_SZ_SK_SL_SM_EUlSZ_E1_NS1_11comp_targetILNS1_3genE4ELNS1_11target_archE910ELNS1_3gpuE8ELNS1_3repE0EEENS1_36merge_oddeven_config_static_selectorELNS0_4arch9wavefront6targetE1EEEvSL_.has_indirect_call, 0
	.section	.AMDGPU.csdata,"",@progbits
; Kernel info:
; codeLenInByte = 0
; TotalNumSgprs: 6
; NumVgprs: 0
; NumAgprs: 0
; TotalNumVgprs: 0
; ScratchSize: 0
; MemoryBound: 0
; FloatMode: 240
; IeeeMode: 1
; LDSByteSize: 0 bytes/workgroup (compile time only)
; SGPRBlocks: 0
; VGPRBlocks: 0
; NumSGPRsForWavesPerEU: 6
; NumVGPRsForWavesPerEU: 1
; AccumOffset: 4
; Occupancy: 8
; WaveLimiterHint : 0
; COMPUTE_PGM_RSRC2:SCRATCH_EN: 0
; COMPUTE_PGM_RSRC2:USER_SGPR: 2
; COMPUTE_PGM_RSRC2:TRAP_HANDLER: 0
; COMPUTE_PGM_RSRC2:TGID_X_EN: 1
; COMPUTE_PGM_RSRC2:TGID_Y_EN: 0
; COMPUTE_PGM_RSRC2:TGID_Z_EN: 0
; COMPUTE_PGM_RSRC2:TIDIG_COMP_CNT: 0
; COMPUTE_PGM_RSRC3_GFX90A:ACCUM_OFFSET: 0
; COMPUTE_PGM_RSRC3_GFX90A:TG_SPLIT: 0
	.section	.text._ZN7rocprim17ROCPRIM_400000_NS6detail17trampoline_kernelINS0_14default_configENS1_38merge_sort_block_merge_config_selectorIfNS0_10empty_typeEEEZZNS1_27merge_sort_block_merge_implIS3_N6thrust23THRUST_200600_302600_NS6detail15normal_iteratorINS9_10device_ptrIfEEEEPS5_jNS1_19radix_merge_compareILb0ELb0EfNS0_19identity_decomposerEEEEE10hipError_tT0_T1_T2_jT3_P12ihipStream_tbPNSt15iterator_traitsISK_E10value_typeEPNSQ_ISL_E10value_typeEPSM_NS1_7vsmem_tEENKUlT_SK_SL_SM_E_clIPfSE_SF_SF_EESJ_SZ_SK_SL_SM_EUlSZ_E1_NS1_11comp_targetILNS1_3genE3ELNS1_11target_archE908ELNS1_3gpuE7ELNS1_3repE0EEENS1_36merge_oddeven_config_static_selectorELNS0_4arch9wavefront6targetE1EEEvSL_,"axG",@progbits,_ZN7rocprim17ROCPRIM_400000_NS6detail17trampoline_kernelINS0_14default_configENS1_38merge_sort_block_merge_config_selectorIfNS0_10empty_typeEEEZZNS1_27merge_sort_block_merge_implIS3_N6thrust23THRUST_200600_302600_NS6detail15normal_iteratorINS9_10device_ptrIfEEEEPS5_jNS1_19radix_merge_compareILb0ELb0EfNS0_19identity_decomposerEEEEE10hipError_tT0_T1_T2_jT3_P12ihipStream_tbPNSt15iterator_traitsISK_E10value_typeEPNSQ_ISL_E10value_typeEPSM_NS1_7vsmem_tEENKUlT_SK_SL_SM_E_clIPfSE_SF_SF_EESJ_SZ_SK_SL_SM_EUlSZ_E1_NS1_11comp_targetILNS1_3genE3ELNS1_11target_archE908ELNS1_3gpuE7ELNS1_3repE0EEENS1_36merge_oddeven_config_static_selectorELNS0_4arch9wavefront6targetE1EEEvSL_,comdat
	.protected	_ZN7rocprim17ROCPRIM_400000_NS6detail17trampoline_kernelINS0_14default_configENS1_38merge_sort_block_merge_config_selectorIfNS0_10empty_typeEEEZZNS1_27merge_sort_block_merge_implIS3_N6thrust23THRUST_200600_302600_NS6detail15normal_iteratorINS9_10device_ptrIfEEEEPS5_jNS1_19radix_merge_compareILb0ELb0EfNS0_19identity_decomposerEEEEE10hipError_tT0_T1_T2_jT3_P12ihipStream_tbPNSt15iterator_traitsISK_E10value_typeEPNSQ_ISL_E10value_typeEPSM_NS1_7vsmem_tEENKUlT_SK_SL_SM_E_clIPfSE_SF_SF_EESJ_SZ_SK_SL_SM_EUlSZ_E1_NS1_11comp_targetILNS1_3genE3ELNS1_11target_archE908ELNS1_3gpuE7ELNS1_3repE0EEENS1_36merge_oddeven_config_static_selectorELNS0_4arch9wavefront6targetE1EEEvSL_ ; -- Begin function _ZN7rocprim17ROCPRIM_400000_NS6detail17trampoline_kernelINS0_14default_configENS1_38merge_sort_block_merge_config_selectorIfNS0_10empty_typeEEEZZNS1_27merge_sort_block_merge_implIS3_N6thrust23THRUST_200600_302600_NS6detail15normal_iteratorINS9_10device_ptrIfEEEEPS5_jNS1_19radix_merge_compareILb0ELb0EfNS0_19identity_decomposerEEEEE10hipError_tT0_T1_T2_jT3_P12ihipStream_tbPNSt15iterator_traitsISK_E10value_typeEPNSQ_ISL_E10value_typeEPSM_NS1_7vsmem_tEENKUlT_SK_SL_SM_E_clIPfSE_SF_SF_EESJ_SZ_SK_SL_SM_EUlSZ_E1_NS1_11comp_targetILNS1_3genE3ELNS1_11target_archE908ELNS1_3gpuE7ELNS1_3repE0EEENS1_36merge_oddeven_config_static_selectorELNS0_4arch9wavefront6targetE1EEEvSL_
	.globl	_ZN7rocprim17ROCPRIM_400000_NS6detail17trampoline_kernelINS0_14default_configENS1_38merge_sort_block_merge_config_selectorIfNS0_10empty_typeEEEZZNS1_27merge_sort_block_merge_implIS3_N6thrust23THRUST_200600_302600_NS6detail15normal_iteratorINS9_10device_ptrIfEEEEPS5_jNS1_19radix_merge_compareILb0ELb0EfNS0_19identity_decomposerEEEEE10hipError_tT0_T1_T2_jT3_P12ihipStream_tbPNSt15iterator_traitsISK_E10value_typeEPNSQ_ISL_E10value_typeEPSM_NS1_7vsmem_tEENKUlT_SK_SL_SM_E_clIPfSE_SF_SF_EESJ_SZ_SK_SL_SM_EUlSZ_E1_NS1_11comp_targetILNS1_3genE3ELNS1_11target_archE908ELNS1_3gpuE7ELNS1_3repE0EEENS1_36merge_oddeven_config_static_selectorELNS0_4arch9wavefront6targetE1EEEvSL_
	.p2align	8
	.type	_ZN7rocprim17ROCPRIM_400000_NS6detail17trampoline_kernelINS0_14default_configENS1_38merge_sort_block_merge_config_selectorIfNS0_10empty_typeEEEZZNS1_27merge_sort_block_merge_implIS3_N6thrust23THRUST_200600_302600_NS6detail15normal_iteratorINS9_10device_ptrIfEEEEPS5_jNS1_19radix_merge_compareILb0ELb0EfNS0_19identity_decomposerEEEEE10hipError_tT0_T1_T2_jT3_P12ihipStream_tbPNSt15iterator_traitsISK_E10value_typeEPNSQ_ISL_E10value_typeEPSM_NS1_7vsmem_tEENKUlT_SK_SL_SM_E_clIPfSE_SF_SF_EESJ_SZ_SK_SL_SM_EUlSZ_E1_NS1_11comp_targetILNS1_3genE3ELNS1_11target_archE908ELNS1_3gpuE7ELNS1_3repE0EEENS1_36merge_oddeven_config_static_selectorELNS0_4arch9wavefront6targetE1EEEvSL_,@function
_ZN7rocprim17ROCPRIM_400000_NS6detail17trampoline_kernelINS0_14default_configENS1_38merge_sort_block_merge_config_selectorIfNS0_10empty_typeEEEZZNS1_27merge_sort_block_merge_implIS3_N6thrust23THRUST_200600_302600_NS6detail15normal_iteratorINS9_10device_ptrIfEEEEPS5_jNS1_19radix_merge_compareILb0ELb0EfNS0_19identity_decomposerEEEEE10hipError_tT0_T1_T2_jT3_P12ihipStream_tbPNSt15iterator_traitsISK_E10value_typeEPNSQ_ISL_E10value_typeEPSM_NS1_7vsmem_tEENKUlT_SK_SL_SM_E_clIPfSE_SF_SF_EESJ_SZ_SK_SL_SM_EUlSZ_E1_NS1_11comp_targetILNS1_3genE3ELNS1_11target_archE908ELNS1_3gpuE7ELNS1_3repE0EEENS1_36merge_oddeven_config_static_selectorELNS0_4arch9wavefront6targetE1EEEvSL_: ; @_ZN7rocprim17ROCPRIM_400000_NS6detail17trampoline_kernelINS0_14default_configENS1_38merge_sort_block_merge_config_selectorIfNS0_10empty_typeEEEZZNS1_27merge_sort_block_merge_implIS3_N6thrust23THRUST_200600_302600_NS6detail15normal_iteratorINS9_10device_ptrIfEEEEPS5_jNS1_19radix_merge_compareILb0ELb0EfNS0_19identity_decomposerEEEEE10hipError_tT0_T1_T2_jT3_P12ihipStream_tbPNSt15iterator_traitsISK_E10value_typeEPNSQ_ISL_E10value_typeEPSM_NS1_7vsmem_tEENKUlT_SK_SL_SM_E_clIPfSE_SF_SF_EESJ_SZ_SK_SL_SM_EUlSZ_E1_NS1_11comp_targetILNS1_3genE3ELNS1_11target_archE908ELNS1_3gpuE7ELNS1_3repE0EEENS1_36merge_oddeven_config_static_selectorELNS0_4arch9wavefront6targetE1EEEvSL_
; %bb.0:
	.section	.rodata,"a",@progbits
	.p2align	6, 0x0
	.amdhsa_kernel _ZN7rocprim17ROCPRIM_400000_NS6detail17trampoline_kernelINS0_14default_configENS1_38merge_sort_block_merge_config_selectorIfNS0_10empty_typeEEEZZNS1_27merge_sort_block_merge_implIS3_N6thrust23THRUST_200600_302600_NS6detail15normal_iteratorINS9_10device_ptrIfEEEEPS5_jNS1_19radix_merge_compareILb0ELb0EfNS0_19identity_decomposerEEEEE10hipError_tT0_T1_T2_jT3_P12ihipStream_tbPNSt15iterator_traitsISK_E10value_typeEPNSQ_ISL_E10value_typeEPSM_NS1_7vsmem_tEENKUlT_SK_SL_SM_E_clIPfSE_SF_SF_EESJ_SZ_SK_SL_SM_EUlSZ_E1_NS1_11comp_targetILNS1_3genE3ELNS1_11target_archE908ELNS1_3gpuE7ELNS1_3repE0EEENS1_36merge_oddeven_config_static_selectorELNS0_4arch9wavefront6targetE1EEEvSL_
		.amdhsa_group_segment_fixed_size 0
		.amdhsa_private_segment_fixed_size 0
		.amdhsa_kernarg_size 48
		.amdhsa_user_sgpr_count 2
		.amdhsa_user_sgpr_dispatch_ptr 0
		.amdhsa_user_sgpr_queue_ptr 0
		.amdhsa_user_sgpr_kernarg_segment_ptr 1
		.amdhsa_user_sgpr_dispatch_id 0
		.amdhsa_user_sgpr_kernarg_preload_length 0
		.amdhsa_user_sgpr_kernarg_preload_offset 0
		.amdhsa_user_sgpr_private_segment_size 0
		.amdhsa_uses_dynamic_stack 0
		.amdhsa_enable_private_segment 0
		.amdhsa_system_sgpr_workgroup_id_x 1
		.amdhsa_system_sgpr_workgroup_id_y 0
		.amdhsa_system_sgpr_workgroup_id_z 0
		.amdhsa_system_sgpr_workgroup_info 0
		.amdhsa_system_vgpr_workitem_id 0
		.amdhsa_next_free_vgpr 1
		.amdhsa_next_free_sgpr 0
		.amdhsa_accum_offset 4
		.amdhsa_reserve_vcc 0
		.amdhsa_float_round_mode_32 0
		.amdhsa_float_round_mode_16_64 0
		.amdhsa_float_denorm_mode_32 3
		.amdhsa_float_denorm_mode_16_64 3
		.amdhsa_dx10_clamp 1
		.amdhsa_ieee_mode 1
		.amdhsa_fp16_overflow 0
		.amdhsa_tg_split 0
		.amdhsa_exception_fp_ieee_invalid_op 0
		.amdhsa_exception_fp_denorm_src 0
		.amdhsa_exception_fp_ieee_div_zero 0
		.amdhsa_exception_fp_ieee_overflow 0
		.amdhsa_exception_fp_ieee_underflow 0
		.amdhsa_exception_fp_ieee_inexact 0
		.amdhsa_exception_int_div_zero 0
	.end_amdhsa_kernel
	.section	.text._ZN7rocprim17ROCPRIM_400000_NS6detail17trampoline_kernelINS0_14default_configENS1_38merge_sort_block_merge_config_selectorIfNS0_10empty_typeEEEZZNS1_27merge_sort_block_merge_implIS3_N6thrust23THRUST_200600_302600_NS6detail15normal_iteratorINS9_10device_ptrIfEEEEPS5_jNS1_19radix_merge_compareILb0ELb0EfNS0_19identity_decomposerEEEEE10hipError_tT0_T1_T2_jT3_P12ihipStream_tbPNSt15iterator_traitsISK_E10value_typeEPNSQ_ISL_E10value_typeEPSM_NS1_7vsmem_tEENKUlT_SK_SL_SM_E_clIPfSE_SF_SF_EESJ_SZ_SK_SL_SM_EUlSZ_E1_NS1_11comp_targetILNS1_3genE3ELNS1_11target_archE908ELNS1_3gpuE7ELNS1_3repE0EEENS1_36merge_oddeven_config_static_selectorELNS0_4arch9wavefront6targetE1EEEvSL_,"axG",@progbits,_ZN7rocprim17ROCPRIM_400000_NS6detail17trampoline_kernelINS0_14default_configENS1_38merge_sort_block_merge_config_selectorIfNS0_10empty_typeEEEZZNS1_27merge_sort_block_merge_implIS3_N6thrust23THRUST_200600_302600_NS6detail15normal_iteratorINS9_10device_ptrIfEEEEPS5_jNS1_19radix_merge_compareILb0ELb0EfNS0_19identity_decomposerEEEEE10hipError_tT0_T1_T2_jT3_P12ihipStream_tbPNSt15iterator_traitsISK_E10value_typeEPNSQ_ISL_E10value_typeEPSM_NS1_7vsmem_tEENKUlT_SK_SL_SM_E_clIPfSE_SF_SF_EESJ_SZ_SK_SL_SM_EUlSZ_E1_NS1_11comp_targetILNS1_3genE3ELNS1_11target_archE908ELNS1_3gpuE7ELNS1_3repE0EEENS1_36merge_oddeven_config_static_selectorELNS0_4arch9wavefront6targetE1EEEvSL_,comdat
.Lfunc_end495:
	.size	_ZN7rocprim17ROCPRIM_400000_NS6detail17trampoline_kernelINS0_14default_configENS1_38merge_sort_block_merge_config_selectorIfNS0_10empty_typeEEEZZNS1_27merge_sort_block_merge_implIS3_N6thrust23THRUST_200600_302600_NS6detail15normal_iteratorINS9_10device_ptrIfEEEEPS5_jNS1_19radix_merge_compareILb0ELb0EfNS0_19identity_decomposerEEEEE10hipError_tT0_T1_T2_jT3_P12ihipStream_tbPNSt15iterator_traitsISK_E10value_typeEPNSQ_ISL_E10value_typeEPSM_NS1_7vsmem_tEENKUlT_SK_SL_SM_E_clIPfSE_SF_SF_EESJ_SZ_SK_SL_SM_EUlSZ_E1_NS1_11comp_targetILNS1_3genE3ELNS1_11target_archE908ELNS1_3gpuE7ELNS1_3repE0EEENS1_36merge_oddeven_config_static_selectorELNS0_4arch9wavefront6targetE1EEEvSL_, .Lfunc_end495-_ZN7rocprim17ROCPRIM_400000_NS6detail17trampoline_kernelINS0_14default_configENS1_38merge_sort_block_merge_config_selectorIfNS0_10empty_typeEEEZZNS1_27merge_sort_block_merge_implIS3_N6thrust23THRUST_200600_302600_NS6detail15normal_iteratorINS9_10device_ptrIfEEEEPS5_jNS1_19radix_merge_compareILb0ELb0EfNS0_19identity_decomposerEEEEE10hipError_tT0_T1_T2_jT3_P12ihipStream_tbPNSt15iterator_traitsISK_E10value_typeEPNSQ_ISL_E10value_typeEPSM_NS1_7vsmem_tEENKUlT_SK_SL_SM_E_clIPfSE_SF_SF_EESJ_SZ_SK_SL_SM_EUlSZ_E1_NS1_11comp_targetILNS1_3genE3ELNS1_11target_archE908ELNS1_3gpuE7ELNS1_3repE0EEENS1_36merge_oddeven_config_static_selectorELNS0_4arch9wavefront6targetE1EEEvSL_
                                        ; -- End function
	.set _ZN7rocprim17ROCPRIM_400000_NS6detail17trampoline_kernelINS0_14default_configENS1_38merge_sort_block_merge_config_selectorIfNS0_10empty_typeEEEZZNS1_27merge_sort_block_merge_implIS3_N6thrust23THRUST_200600_302600_NS6detail15normal_iteratorINS9_10device_ptrIfEEEEPS5_jNS1_19radix_merge_compareILb0ELb0EfNS0_19identity_decomposerEEEEE10hipError_tT0_T1_T2_jT3_P12ihipStream_tbPNSt15iterator_traitsISK_E10value_typeEPNSQ_ISL_E10value_typeEPSM_NS1_7vsmem_tEENKUlT_SK_SL_SM_E_clIPfSE_SF_SF_EESJ_SZ_SK_SL_SM_EUlSZ_E1_NS1_11comp_targetILNS1_3genE3ELNS1_11target_archE908ELNS1_3gpuE7ELNS1_3repE0EEENS1_36merge_oddeven_config_static_selectorELNS0_4arch9wavefront6targetE1EEEvSL_.num_vgpr, 0
	.set _ZN7rocprim17ROCPRIM_400000_NS6detail17trampoline_kernelINS0_14default_configENS1_38merge_sort_block_merge_config_selectorIfNS0_10empty_typeEEEZZNS1_27merge_sort_block_merge_implIS3_N6thrust23THRUST_200600_302600_NS6detail15normal_iteratorINS9_10device_ptrIfEEEEPS5_jNS1_19radix_merge_compareILb0ELb0EfNS0_19identity_decomposerEEEEE10hipError_tT0_T1_T2_jT3_P12ihipStream_tbPNSt15iterator_traitsISK_E10value_typeEPNSQ_ISL_E10value_typeEPSM_NS1_7vsmem_tEENKUlT_SK_SL_SM_E_clIPfSE_SF_SF_EESJ_SZ_SK_SL_SM_EUlSZ_E1_NS1_11comp_targetILNS1_3genE3ELNS1_11target_archE908ELNS1_3gpuE7ELNS1_3repE0EEENS1_36merge_oddeven_config_static_selectorELNS0_4arch9wavefront6targetE1EEEvSL_.num_agpr, 0
	.set _ZN7rocprim17ROCPRIM_400000_NS6detail17trampoline_kernelINS0_14default_configENS1_38merge_sort_block_merge_config_selectorIfNS0_10empty_typeEEEZZNS1_27merge_sort_block_merge_implIS3_N6thrust23THRUST_200600_302600_NS6detail15normal_iteratorINS9_10device_ptrIfEEEEPS5_jNS1_19radix_merge_compareILb0ELb0EfNS0_19identity_decomposerEEEEE10hipError_tT0_T1_T2_jT3_P12ihipStream_tbPNSt15iterator_traitsISK_E10value_typeEPNSQ_ISL_E10value_typeEPSM_NS1_7vsmem_tEENKUlT_SK_SL_SM_E_clIPfSE_SF_SF_EESJ_SZ_SK_SL_SM_EUlSZ_E1_NS1_11comp_targetILNS1_3genE3ELNS1_11target_archE908ELNS1_3gpuE7ELNS1_3repE0EEENS1_36merge_oddeven_config_static_selectorELNS0_4arch9wavefront6targetE1EEEvSL_.numbered_sgpr, 0
	.set _ZN7rocprim17ROCPRIM_400000_NS6detail17trampoline_kernelINS0_14default_configENS1_38merge_sort_block_merge_config_selectorIfNS0_10empty_typeEEEZZNS1_27merge_sort_block_merge_implIS3_N6thrust23THRUST_200600_302600_NS6detail15normal_iteratorINS9_10device_ptrIfEEEEPS5_jNS1_19radix_merge_compareILb0ELb0EfNS0_19identity_decomposerEEEEE10hipError_tT0_T1_T2_jT3_P12ihipStream_tbPNSt15iterator_traitsISK_E10value_typeEPNSQ_ISL_E10value_typeEPSM_NS1_7vsmem_tEENKUlT_SK_SL_SM_E_clIPfSE_SF_SF_EESJ_SZ_SK_SL_SM_EUlSZ_E1_NS1_11comp_targetILNS1_3genE3ELNS1_11target_archE908ELNS1_3gpuE7ELNS1_3repE0EEENS1_36merge_oddeven_config_static_selectorELNS0_4arch9wavefront6targetE1EEEvSL_.num_named_barrier, 0
	.set _ZN7rocprim17ROCPRIM_400000_NS6detail17trampoline_kernelINS0_14default_configENS1_38merge_sort_block_merge_config_selectorIfNS0_10empty_typeEEEZZNS1_27merge_sort_block_merge_implIS3_N6thrust23THRUST_200600_302600_NS6detail15normal_iteratorINS9_10device_ptrIfEEEEPS5_jNS1_19radix_merge_compareILb0ELb0EfNS0_19identity_decomposerEEEEE10hipError_tT0_T1_T2_jT3_P12ihipStream_tbPNSt15iterator_traitsISK_E10value_typeEPNSQ_ISL_E10value_typeEPSM_NS1_7vsmem_tEENKUlT_SK_SL_SM_E_clIPfSE_SF_SF_EESJ_SZ_SK_SL_SM_EUlSZ_E1_NS1_11comp_targetILNS1_3genE3ELNS1_11target_archE908ELNS1_3gpuE7ELNS1_3repE0EEENS1_36merge_oddeven_config_static_selectorELNS0_4arch9wavefront6targetE1EEEvSL_.private_seg_size, 0
	.set _ZN7rocprim17ROCPRIM_400000_NS6detail17trampoline_kernelINS0_14default_configENS1_38merge_sort_block_merge_config_selectorIfNS0_10empty_typeEEEZZNS1_27merge_sort_block_merge_implIS3_N6thrust23THRUST_200600_302600_NS6detail15normal_iteratorINS9_10device_ptrIfEEEEPS5_jNS1_19radix_merge_compareILb0ELb0EfNS0_19identity_decomposerEEEEE10hipError_tT0_T1_T2_jT3_P12ihipStream_tbPNSt15iterator_traitsISK_E10value_typeEPNSQ_ISL_E10value_typeEPSM_NS1_7vsmem_tEENKUlT_SK_SL_SM_E_clIPfSE_SF_SF_EESJ_SZ_SK_SL_SM_EUlSZ_E1_NS1_11comp_targetILNS1_3genE3ELNS1_11target_archE908ELNS1_3gpuE7ELNS1_3repE0EEENS1_36merge_oddeven_config_static_selectorELNS0_4arch9wavefront6targetE1EEEvSL_.uses_vcc, 0
	.set _ZN7rocprim17ROCPRIM_400000_NS6detail17trampoline_kernelINS0_14default_configENS1_38merge_sort_block_merge_config_selectorIfNS0_10empty_typeEEEZZNS1_27merge_sort_block_merge_implIS3_N6thrust23THRUST_200600_302600_NS6detail15normal_iteratorINS9_10device_ptrIfEEEEPS5_jNS1_19radix_merge_compareILb0ELb0EfNS0_19identity_decomposerEEEEE10hipError_tT0_T1_T2_jT3_P12ihipStream_tbPNSt15iterator_traitsISK_E10value_typeEPNSQ_ISL_E10value_typeEPSM_NS1_7vsmem_tEENKUlT_SK_SL_SM_E_clIPfSE_SF_SF_EESJ_SZ_SK_SL_SM_EUlSZ_E1_NS1_11comp_targetILNS1_3genE3ELNS1_11target_archE908ELNS1_3gpuE7ELNS1_3repE0EEENS1_36merge_oddeven_config_static_selectorELNS0_4arch9wavefront6targetE1EEEvSL_.uses_flat_scratch, 0
	.set _ZN7rocprim17ROCPRIM_400000_NS6detail17trampoline_kernelINS0_14default_configENS1_38merge_sort_block_merge_config_selectorIfNS0_10empty_typeEEEZZNS1_27merge_sort_block_merge_implIS3_N6thrust23THRUST_200600_302600_NS6detail15normal_iteratorINS9_10device_ptrIfEEEEPS5_jNS1_19radix_merge_compareILb0ELb0EfNS0_19identity_decomposerEEEEE10hipError_tT0_T1_T2_jT3_P12ihipStream_tbPNSt15iterator_traitsISK_E10value_typeEPNSQ_ISL_E10value_typeEPSM_NS1_7vsmem_tEENKUlT_SK_SL_SM_E_clIPfSE_SF_SF_EESJ_SZ_SK_SL_SM_EUlSZ_E1_NS1_11comp_targetILNS1_3genE3ELNS1_11target_archE908ELNS1_3gpuE7ELNS1_3repE0EEENS1_36merge_oddeven_config_static_selectorELNS0_4arch9wavefront6targetE1EEEvSL_.has_dyn_sized_stack, 0
	.set _ZN7rocprim17ROCPRIM_400000_NS6detail17trampoline_kernelINS0_14default_configENS1_38merge_sort_block_merge_config_selectorIfNS0_10empty_typeEEEZZNS1_27merge_sort_block_merge_implIS3_N6thrust23THRUST_200600_302600_NS6detail15normal_iteratorINS9_10device_ptrIfEEEEPS5_jNS1_19radix_merge_compareILb0ELb0EfNS0_19identity_decomposerEEEEE10hipError_tT0_T1_T2_jT3_P12ihipStream_tbPNSt15iterator_traitsISK_E10value_typeEPNSQ_ISL_E10value_typeEPSM_NS1_7vsmem_tEENKUlT_SK_SL_SM_E_clIPfSE_SF_SF_EESJ_SZ_SK_SL_SM_EUlSZ_E1_NS1_11comp_targetILNS1_3genE3ELNS1_11target_archE908ELNS1_3gpuE7ELNS1_3repE0EEENS1_36merge_oddeven_config_static_selectorELNS0_4arch9wavefront6targetE1EEEvSL_.has_recursion, 0
	.set _ZN7rocprim17ROCPRIM_400000_NS6detail17trampoline_kernelINS0_14default_configENS1_38merge_sort_block_merge_config_selectorIfNS0_10empty_typeEEEZZNS1_27merge_sort_block_merge_implIS3_N6thrust23THRUST_200600_302600_NS6detail15normal_iteratorINS9_10device_ptrIfEEEEPS5_jNS1_19radix_merge_compareILb0ELb0EfNS0_19identity_decomposerEEEEE10hipError_tT0_T1_T2_jT3_P12ihipStream_tbPNSt15iterator_traitsISK_E10value_typeEPNSQ_ISL_E10value_typeEPSM_NS1_7vsmem_tEENKUlT_SK_SL_SM_E_clIPfSE_SF_SF_EESJ_SZ_SK_SL_SM_EUlSZ_E1_NS1_11comp_targetILNS1_3genE3ELNS1_11target_archE908ELNS1_3gpuE7ELNS1_3repE0EEENS1_36merge_oddeven_config_static_selectorELNS0_4arch9wavefront6targetE1EEEvSL_.has_indirect_call, 0
	.section	.AMDGPU.csdata,"",@progbits
; Kernel info:
; codeLenInByte = 0
; TotalNumSgprs: 6
; NumVgprs: 0
; NumAgprs: 0
; TotalNumVgprs: 0
; ScratchSize: 0
; MemoryBound: 0
; FloatMode: 240
; IeeeMode: 1
; LDSByteSize: 0 bytes/workgroup (compile time only)
; SGPRBlocks: 0
; VGPRBlocks: 0
; NumSGPRsForWavesPerEU: 6
; NumVGPRsForWavesPerEU: 1
; AccumOffset: 4
; Occupancy: 8
; WaveLimiterHint : 0
; COMPUTE_PGM_RSRC2:SCRATCH_EN: 0
; COMPUTE_PGM_RSRC2:USER_SGPR: 2
; COMPUTE_PGM_RSRC2:TRAP_HANDLER: 0
; COMPUTE_PGM_RSRC2:TGID_X_EN: 1
; COMPUTE_PGM_RSRC2:TGID_Y_EN: 0
; COMPUTE_PGM_RSRC2:TGID_Z_EN: 0
; COMPUTE_PGM_RSRC2:TIDIG_COMP_CNT: 0
; COMPUTE_PGM_RSRC3_GFX90A:ACCUM_OFFSET: 0
; COMPUTE_PGM_RSRC3_GFX90A:TG_SPLIT: 0
	.section	.text._ZN7rocprim17ROCPRIM_400000_NS6detail17trampoline_kernelINS0_14default_configENS1_38merge_sort_block_merge_config_selectorIfNS0_10empty_typeEEEZZNS1_27merge_sort_block_merge_implIS3_N6thrust23THRUST_200600_302600_NS6detail15normal_iteratorINS9_10device_ptrIfEEEEPS5_jNS1_19radix_merge_compareILb0ELb0EfNS0_19identity_decomposerEEEEE10hipError_tT0_T1_T2_jT3_P12ihipStream_tbPNSt15iterator_traitsISK_E10value_typeEPNSQ_ISL_E10value_typeEPSM_NS1_7vsmem_tEENKUlT_SK_SL_SM_E_clIPfSE_SF_SF_EESJ_SZ_SK_SL_SM_EUlSZ_E1_NS1_11comp_targetILNS1_3genE2ELNS1_11target_archE906ELNS1_3gpuE6ELNS1_3repE0EEENS1_36merge_oddeven_config_static_selectorELNS0_4arch9wavefront6targetE1EEEvSL_,"axG",@progbits,_ZN7rocprim17ROCPRIM_400000_NS6detail17trampoline_kernelINS0_14default_configENS1_38merge_sort_block_merge_config_selectorIfNS0_10empty_typeEEEZZNS1_27merge_sort_block_merge_implIS3_N6thrust23THRUST_200600_302600_NS6detail15normal_iteratorINS9_10device_ptrIfEEEEPS5_jNS1_19radix_merge_compareILb0ELb0EfNS0_19identity_decomposerEEEEE10hipError_tT0_T1_T2_jT3_P12ihipStream_tbPNSt15iterator_traitsISK_E10value_typeEPNSQ_ISL_E10value_typeEPSM_NS1_7vsmem_tEENKUlT_SK_SL_SM_E_clIPfSE_SF_SF_EESJ_SZ_SK_SL_SM_EUlSZ_E1_NS1_11comp_targetILNS1_3genE2ELNS1_11target_archE906ELNS1_3gpuE6ELNS1_3repE0EEENS1_36merge_oddeven_config_static_selectorELNS0_4arch9wavefront6targetE1EEEvSL_,comdat
	.protected	_ZN7rocprim17ROCPRIM_400000_NS6detail17trampoline_kernelINS0_14default_configENS1_38merge_sort_block_merge_config_selectorIfNS0_10empty_typeEEEZZNS1_27merge_sort_block_merge_implIS3_N6thrust23THRUST_200600_302600_NS6detail15normal_iteratorINS9_10device_ptrIfEEEEPS5_jNS1_19radix_merge_compareILb0ELb0EfNS0_19identity_decomposerEEEEE10hipError_tT0_T1_T2_jT3_P12ihipStream_tbPNSt15iterator_traitsISK_E10value_typeEPNSQ_ISL_E10value_typeEPSM_NS1_7vsmem_tEENKUlT_SK_SL_SM_E_clIPfSE_SF_SF_EESJ_SZ_SK_SL_SM_EUlSZ_E1_NS1_11comp_targetILNS1_3genE2ELNS1_11target_archE906ELNS1_3gpuE6ELNS1_3repE0EEENS1_36merge_oddeven_config_static_selectorELNS0_4arch9wavefront6targetE1EEEvSL_ ; -- Begin function _ZN7rocprim17ROCPRIM_400000_NS6detail17trampoline_kernelINS0_14default_configENS1_38merge_sort_block_merge_config_selectorIfNS0_10empty_typeEEEZZNS1_27merge_sort_block_merge_implIS3_N6thrust23THRUST_200600_302600_NS6detail15normal_iteratorINS9_10device_ptrIfEEEEPS5_jNS1_19radix_merge_compareILb0ELb0EfNS0_19identity_decomposerEEEEE10hipError_tT0_T1_T2_jT3_P12ihipStream_tbPNSt15iterator_traitsISK_E10value_typeEPNSQ_ISL_E10value_typeEPSM_NS1_7vsmem_tEENKUlT_SK_SL_SM_E_clIPfSE_SF_SF_EESJ_SZ_SK_SL_SM_EUlSZ_E1_NS1_11comp_targetILNS1_3genE2ELNS1_11target_archE906ELNS1_3gpuE6ELNS1_3repE0EEENS1_36merge_oddeven_config_static_selectorELNS0_4arch9wavefront6targetE1EEEvSL_
	.globl	_ZN7rocprim17ROCPRIM_400000_NS6detail17trampoline_kernelINS0_14default_configENS1_38merge_sort_block_merge_config_selectorIfNS0_10empty_typeEEEZZNS1_27merge_sort_block_merge_implIS3_N6thrust23THRUST_200600_302600_NS6detail15normal_iteratorINS9_10device_ptrIfEEEEPS5_jNS1_19radix_merge_compareILb0ELb0EfNS0_19identity_decomposerEEEEE10hipError_tT0_T1_T2_jT3_P12ihipStream_tbPNSt15iterator_traitsISK_E10value_typeEPNSQ_ISL_E10value_typeEPSM_NS1_7vsmem_tEENKUlT_SK_SL_SM_E_clIPfSE_SF_SF_EESJ_SZ_SK_SL_SM_EUlSZ_E1_NS1_11comp_targetILNS1_3genE2ELNS1_11target_archE906ELNS1_3gpuE6ELNS1_3repE0EEENS1_36merge_oddeven_config_static_selectorELNS0_4arch9wavefront6targetE1EEEvSL_
	.p2align	8
	.type	_ZN7rocprim17ROCPRIM_400000_NS6detail17trampoline_kernelINS0_14default_configENS1_38merge_sort_block_merge_config_selectorIfNS0_10empty_typeEEEZZNS1_27merge_sort_block_merge_implIS3_N6thrust23THRUST_200600_302600_NS6detail15normal_iteratorINS9_10device_ptrIfEEEEPS5_jNS1_19radix_merge_compareILb0ELb0EfNS0_19identity_decomposerEEEEE10hipError_tT0_T1_T2_jT3_P12ihipStream_tbPNSt15iterator_traitsISK_E10value_typeEPNSQ_ISL_E10value_typeEPSM_NS1_7vsmem_tEENKUlT_SK_SL_SM_E_clIPfSE_SF_SF_EESJ_SZ_SK_SL_SM_EUlSZ_E1_NS1_11comp_targetILNS1_3genE2ELNS1_11target_archE906ELNS1_3gpuE6ELNS1_3repE0EEENS1_36merge_oddeven_config_static_selectorELNS0_4arch9wavefront6targetE1EEEvSL_,@function
_ZN7rocprim17ROCPRIM_400000_NS6detail17trampoline_kernelINS0_14default_configENS1_38merge_sort_block_merge_config_selectorIfNS0_10empty_typeEEEZZNS1_27merge_sort_block_merge_implIS3_N6thrust23THRUST_200600_302600_NS6detail15normal_iteratorINS9_10device_ptrIfEEEEPS5_jNS1_19radix_merge_compareILb0ELb0EfNS0_19identity_decomposerEEEEE10hipError_tT0_T1_T2_jT3_P12ihipStream_tbPNSt15iterator_traitsISK_E10value_typeEPNSQ_ISL_E10value_typeEPSM_NS1_7vsmem_tEENKUlT_SK_SL_SM_E_clIPfSE_SF_SF_EESJ_SZ_SK_SL_SM_EUlSZ_E1_NS1_11comp_targetILNS1_3genE2ELNS1_11target_archE906ELNS1_3gpuE6ELNS1_3repE0EEENS1_36merge_oddeven_config_static_selectorELNS0_4arch9wavefront6targetE1EEEvSL_: ; @_ZN7rocprim17ROCPRIM_400000_NS6detail17trampoline_kernelINS0_14default_configENS1_38merge_sort_block_merge_config_selectorIfNS0_10empty_typeEEEZZNS1_27merge_sort_block_merge_implIS3_N6thrust23THRUST_200600_302600_NS6detail15normal_iteratorINS9_10device_ptrIfEEEEPS5_jNS1_19radix_merge_compareILb0ELb0EfNS0_19identity_decomposerEEEEE10hipError_tT0_T1_T2_jT3_P12ihipStream_tbPNSt15iterator_traitsISK_E10value_typeEPNSQ_ISL_E10value_typeEPSM_NS1_7vsmem_tEENKUlT_SK_SL_SM_E_clIPfSE_SF_SF_EESJ_SZ_SK_SL_SM_EUlSZ_E1_NS1_11comp_targetILNS1_3genE2ELNS1_11target_archE906ELNS1_3gpuE6ELNS1_3repE0EEENS1_36merge_oddeven_config_static_selectorELNS0_4arch9wavefront6targetE1EEEvSL_
; %bb.0:
	.section	.rodata,"a",@progbits
	.p2align	6, 0x0
	.amdhsa_kernel _ZN7rocprim17ROCPRIM_400000_NS6detail17trampoline_kernelINS0_14default_configENS1_38merge_sort_block_merge_config_selectorIfNS0_10empty_typeEEEZZNS1_27merge_sort_block_merge_implIS3_N6thrust23THRUST_200600_302600_NS6detail15normal_iteratorINS9_10device_ptrIfEEEEPS5_jNS1_19radix_merge_compareILb0ELb0EfNS0_19identity_decomposerEEEEE10hipError_tT0_T1_T2_jT3_P12ihipStream_tbPNSt15iterator_traitsISK_E10value_typeEPNSQ_ISL_E10value_typeEPSM_NS1_7vsmem_tEENKUlT_SK_SL_SM_E_clIPfSE_SF_SF_EESJ_SZ_SK_SL_SM_EUlSZ_E1_NS1_11comp_targetILNS1_3genE2ELNS1_11target_archE906ELNS1_3gpuE6ELNS1_3repE0EEENS1_36merge_oddeven_config_static_selectorELNS0_4arch9wavefront6targetE1EEEvSL_
		.amdhsa_group_segment_fixed_size 0
		.amdhsa_private_segment_fixed_size 0
		.amdhsa_kernarg_size 48
		.amdhsa_user_sgpr_count 2
		.amdhsa_user_sgpr_dispatch_ptr 0
		.amdhsa_user_sgpr_queue_ptr 0
		.amdhsa_user_sgpr_kernarg_segment_ptr 1
		.amdhsa_user_sgpr_dispatch_id 0
		.amdhsa_user_sgpr_kernarg_preload_length 0
		.amdhsa_user_sgpr_kernarg_preload_offset 0
		.amdhsa_user_sgpr_private_segment_size 0
		.amdhsa_uses_dynamic_stack 0
		.amdhsa_enable_private_segment 0
		.amdhsa_system_sgpr_workgroup_id_x 1
		.amdhsa_system_sgpr_workgroup_id_y 0
		.amdhsa_system_sgpr_workgroup_id_z 0
		.amdhsa_system_sgpr_workgroup_info 0
		.amdhsa_system_vgpr_workitem_id 0
		.amdhsa_next_free_vgpr 1
		.amdhsa_next_free_sgpr 0
		.amdhsa_accum_offset 4
		.amdhsa_reserve_vcc 0
		.amdhsa_float_round_mode_32 0
		.amdhsa_float_round_mode_16_64 0
		.amdhsa_float_denorm_mode_32 3
		.amdhsa_float_denorm_mode_16_64 3
		.amdhsa_dx10_clamp 1
		.amdhsa_ieee_mode 1
		.amdhsa_fp16_overflow 0
		.amdhsa_tg_split 0
		.amdhsa_exception_fp_ieee_invalid_op 0
		.amdhsa_exception_fp_denorm_src 0
		.amdhsa_exception_fp_ieee_div_zero 0
		.amdhsa_exception_fp_ieee_overflow 0
		.amdhsa_exception_fp_ieee_underflow 0
		.amdhsa_exception_fp_ieee_inexact 0
		.amdhsa_exception_int_div_zero 0
	.end_amdhsa_kernel
	.section	.text._ZN7rocprim17ROCPRIM_400000_NS6detail17trampoline_kernelINS0_14default_configENS1_38merge_sort_block_merge_config_selectorIfNS0_10empty_typeEEEZZNS1_27merge_sort_block_merge_implIS3_N6thrust23THRUST_200600_302600_NS6detail15normal_iteratorINS9_10device_ptrIfEEEEPS5_jNS1_19radix_merge_compareILb0ELb0EfNS0_19identity_decomposerEEEEE10hipError_tT0_T1_T2_jT3_P12ihipStream_tbPNSt15iterator_traitsISK_E10value_typeEPNSQ_ISL_E10value_typeEPSM_NS1_7vsmem_tEENKUlT_SK_SL_SM_E_clIPfSE_SF_SF_EESJ_SZ_SK_SL_SM_EUlSZ_E1_NS1_11comp_targetILNS1_3genE2ELNS1_11target_archE906ELNS1_3gpuE6ELNS1_3repE0EEENS1_36merge_oddeven_config_static_selectorELNS0_4arch9wavefront6targetE1EEEvSL_,"axG",@progbits,_ZN7rocprim17ROCPRIM_400000_NS6detail17trampoline_kernelINS0_14default_configENS1_38merge_sort_block_merge_config_selectorIfNS0_10empty_typeEEEZZNS1_27merge_sort_block_merge_implIS3_N6thrust23THRUST_200600_302600_NS6detail15normal_iteratorINS9_10device_ptrIfEEEEPS5_jNS1_19radix_merge_compareILb0ELb0EfNS0_19identity_decomposerEEEEE10hipError_tT0_T1_T2_jT3_P12ihipStream_tbPNSt15iterator_traitsISK_E10value_typeEPNSQ_ISL_E10value_typeEPSM_NS1_7vsmem_tEENKUlT_SK_SL_SM_E_clIPfSE_SF_SF_EESJ_SZ_SK_SL_SM_EUlSZ_E1_NS1_11comp_targetILNS1_3genE2ELNS1_11target_archE906ELNS1_3gpuE6ELNS1_3repE0EEENS1_36merge_oddeven_config_static_selectorELNS0_4arch9wavefront6targetE1EEEvSL_,comdat
.Lfunc_end496:
	.size	_ZN7rocprim17ROCPRIM_400000_NS6detail17trampoline_kernelINS0_14default_configENS1_38merge_sort_block_merge_config_selectorIfNS0_10empty_typeEEEZZNS1_27merge_sort_block_merge_implIS3_N6thrust23THRUST_200600_302600_NS6detail15normal_iteratorINS9_10device_ptrIfEEEEPS5_jNS1_19radix_merge_compareILb0ELb0EfNS0_19identity_decomposerEEEEE10hipError_tT0_T1_T2_jT3_P12ihipStream_tbPNSt15iterator_traitsISK_E10value_typeEPNSQ_ISL_E10value_typeEPSM_NS1_7vsmem_tEENKUlT_SK_SL_SM_E_clIPfSE_SF_SF_EESJ_SZ_SK_SL_SM_EUlSZ_E1_NS1_11comp_targetILNS1_3genE2ELNS1_11target_archE906ELNS1_3gpuE6ELNS1_3repE0EEENS1_36merge_oddeven_config_static_selectorELNS0_4arch9wavefront6targetE1EEEvSL_, .Lfunc_end496-_ZN7rocprim17ROCPRIM_400000_NS6detail17trampoline_kernelINS0_14default_configENS1_38merge_sort_block_merge_config_selectorIfNS0_10empty_typeEEEZZNS1_27merge_sort_block_merge_implIS3_N6thrust23THRUST_200600_302600_NS6detail15normal_iteratorINS9_10device_ptrIfEEEEPS5_jNS1_19radix_merge_compareILb0ELb0EfNS0_19identity_decomposerEEEEE10hipError_tT0_T1_T2_jT3_P12ihipStream_tbPNSt15iterator_traitsISK_E10value_typeEPNSQ_ISL_E10value_typeEPSM_NS1_7vsmem_tEENKUlT_SK_SL_SM_E_clIPfSE_SF_SF_EESJ_SZ_SK_SL_SM_EUlSZ_E1_NS1_11comp_targetILNS1_3genE2ELNS1_11target_archE906ELNS1_3gpuE6ELNS1_3repE0EEENS1_36merge_oddeven_config_static_selectorELNS0_4arch9wavefront6targetE1EEEvSL_
                                        ; -- End function
	.set _ZN7rocprim17ROCPRIM_400000_NS6detail17trampoline_kernelINS0_14default_configENS1_38merge_sort_block_merge_config_selectorIfNS0_10empty_typeEEEZZNS1_27merge_sort_block_merge_implIS3_N6thrust23THRUST_200600_302600_NS6detail15normal_iteratorINS9_10device_ptrIfEEEEPS5_jNS1_19radix_merge_compareILb0ELb0EfNS0_19identity_decomposerEEEEE10hipError_tT0_T1_T2_jT3_P12ihipStream_tbPNSt15iterator_traitsISK_E10value_typeEPNSQ_ISL_E10value_typeEPSM_NS1_7vsmem_tEENKUlT_SK_SL_SM_E_clIPfSE_SF_SF_EESJ_SZ_SK_SL_SM_EUlSZ_E1_NS1_11comp_targetILNS1_3genE2ELNS1_11target_archE906ELNS1_3gpuE6ELNS1_3repE0EEENS1_36merge_oddeven_config_static_selectorELNS0_4arch9wavefront6targetE1EEEvSL_.num_vgpr, 0
	.set _ZN7rocprim17ROCPRIM_400000_NS6detail17trampoline_kernelINS0_14default_configENS1_38merge_sort_block_merge_config_selectorIfNS0_10empty_typeEEEZZNS1_27merge_sort_block_merge_implIS3_N6thrust23THRUST_200600_302600_NS6detail15normal_iteratorINS9_10device_ptrIfEEEEPS5_jNS1_19radix_merge_compareILb0ELb0EfNS0_19identity_decomposerEEEEE10hipError_tT0_T1_T2_jT3_P12ihipStream_tbPNSt15iterator_traitsISK_E10value_typeEPNSQ_ISL_E10value_typeEPSM_NS1_7vsmem_tEENKUlT_SK_SL_SM_E_clIPfSE_SF_SF_EESJ_SZ_SK_SL_SM_EUlSZ_E1_NS1_11comp_targetILNS1_3genE2ELNS1_11target_archE906ELNS1_3gpuE6ELNS1_3repE0EEENS1_36merge_oddeven_config_static_selectorELNS0_4arch9wavefront6targetE1EEEvSL_.num_agpr, 0
	.set _ZN7rocprim17ROCPRIM_400000_NS6detail17trampoline_kernelINS0_14default_configENS1_38merge_sort_block_merge_config_selectorIfNS0_10empty_typeEEEZZNS1_27merge_sort_block_merge_implIS3_N6thrust23THRUST_200600_302600_NS6detail15normal_iteratorINS9_10device_ptrIfEEEEPS5_jNS1_19radix_merge_compareILb0ELb0EfNS0_19identity_decomposerEEEEE10hipError_tT0_T1_T2_jT3_P12ihipStream_tbPNSt15iterator_traitsISK_E10value_typeEPNSQ_ISL_E10value_typeEPSM_NS1_7vsmem_tEENKUlT_SK_SL_SM_E_clIPfSE_SF_SF_EESJ_SZ_SK_SL_SM_EUlSZ_E1_NS1_11comp_targetILNS1_3genE2ELNS1_11target_archE906ELNS1_3gpuE6ELNS1_3repE0EEENS1_36merge_oddeven_config_static_selectorELNS0_4arch9wavefront6targetE1EEEvSL_.numbered_sgpr, 0
	.set _ZN7rocprim17ROCPRIM_400000_NS6detail17trampoline_kernelINS0_14default_configENS1_38merge_sort_block_merge_config_selectorIfNS0_10empty_typeEEEZZNS1_27merge_sort_block_merge_implIS3_N6thrust23THRUST_200600_302600_NS6detail15normal_iteratorINS9_10device_ptrIfEEEEPS5_jNS1_19radix_merge_compareILb0ELb0EfNS0_19identity_decomposerEEEEE10hipError_tT0_T1_T2_jT3_P12ihipStream_tbPNSt15iterator_traitsISK_E10value_typeEPNSQ_ISL_E10value_typeEPSM_NS1_7vsmem_tEENKUlT_SK_SL_SM_E_clIPfSE_SF_SF_EESJ_SZ_SK_SL_SM_EUlSZ_E1_NS1_11comp_targetILNS1_3genE2ELNS1_11target_archE906ELNS1_3gpuE6ELNS1_3repE0EEENS1_36merge_oddeven_config_static_selectorELNS0_4arch9wavefront6targetE1EEEvSL_.num_named_barrier, 0
	.set _ZN7rocprim17ROCPRIM_400000_NS6detail17trampoline_kernelINS0_14default_configENS1_38merge_sort_block_merge_config_selectorIfNS0_10empty_typeEEEZZNS1_27merge_sort_block_merge_implIS3_N6thrust23THRUST_200600_302600_NS6detail15normal_iteratorINS9_10device_ptrIfEEEEPS5_jNS1_19radix_merge_compareILb0ELb0EfNS0_19identity_decomposerEEEEE10hipError_tT0_T1_T2_jT3_P12ihipStream_tbPNSt15iterator_traitsISK_E10value_typeEPNSQ_ISL_E10value_typeEPSM_NS1_7vsmem_tEENKUlT_SK_SL_SM_E_clIPfSE_SF_SF_EESJ_SZ_SK_SL_SM_EUlSZ_E1_NS1_11comp_targetILNS1_3genE2ELNS1_11target_archE906ELNS1_3gpuE6ELNS1_3repE0EEENS1_36merge_oddeven_config_static_selectorELNS0_4arch9wavefront6targetE1EEEvSL_.private_seg_size, 0
	.set _ZN7rocprim17ROCPRIM_400000_NS6detail17trampoline_kernelINS0_14default_configENS1_38merge_sort_block_merge_config_selectorIfNS0_10empty_typeEEEZZNS1_27merge_sort_block_merge_implIS3_N6thrust23THRUST_200600_302600_NS6detail15normal_iteratorINS9_10device_ptrIfEEEEPS5_jNS1_19radix_merge_compareILb0ELb0EfNS0_19identity_decomposerEEEEE10hipError_tT0_T1_T2_jT3_P12ihipStream_tbPNSt15iterator_traitsISK_E10value_typeEPNSQ_ISL_E10value_typeEPSM_NS1_7vsmem_tEENKUlT_SK_SL_SM_E_clIPfSE_SF_SF_EESJ_SZ_SK_SL_SM_EUlSZ_E1_NS1_11comp_targetILNS1_3genE2ELNS1_11target_archE906ELNS1_3gpuE6ELNS1_3repE0EEENS1_36merge_oddeven_config_static_selectorELNS0_4arch9wavefront6targetE1EEEvSL_.uses_vcc, 0
	.set _ZN7rocprim17ROCPRIM_400000_NS6detail17trampoline_kernelINS0_14default_configENS1_38merge_sort_block_merge_config_selectorIfNS0_10empty_typeEEEZZNS1_27merge_sort_block_merge_implIS3_N6thrust23THRUST_200600_302600_NS6detail15normal_iteratorINS9_10device_ptrIfEEEEPS5_jNS1_19radix_merge_compareILb0ELb0EfNS0_19identity_decomposerEEEEE10hipError_tT0_T1_T2_jT3_P12ihipStream_tbPNSt15iterator_traitsISK_E10value_typeEPNSQ_ISL_E10value_typeEPSM_NS1_7vsmem_tEENKUlT_SK_SL_SM_E_clIPfSE_SF_SF_EESJ_SZ_SK_SL_SM_EUlSZ_E1_NS1_11comp_targetILNS1_3genE2ELNS1_11target_archE906ELNS1_3gpuE6ELNS1_3repE0EEENS1_36merge_oddeven_config_static_selectorELNS0_4arch9wavefront6targetE1EEEvSL_.uses_flat_scratch, 0
	.set _ZN7rocprim17ROCPRIM_400000_NS6detail17trampoline_kernelINS0_14default_configENS1_38merge_sort_block_merge_config_selectorIfNS0_10empty_typeEEEZZNS1_27merge_sort_block_merge_implIS3_N6thrust23THRUST_200600_302600_NS6detail15normal_iteratorINS9_10device_ptrIfEEEEPS5_jNS1_19radix_merge_compareILb0ELb0EfNS0_19identity_decomposerEEEEE10hipError_tT0_T1_T2_jT3_P12ihipStream_tbPNSt15iterator_traitsISK_E10value_typeEPNSQ_ISL_E10value_typeEPSM_NS1_7vsmem_tEENKUlT_SK_SL_SM_E_clIPfSE_SF_SF_EESJ_SZ_SK_SL_SM_EUlSZ_E1_NS1_11comp_targetILNS1_3genE2ELNS1_11target_archE906ELNS1_3gpuE6ELNS1_3repE0EEENS1_36merge_oddeven_config_static_selectorELNS0_4arch9wavefront6targetE1EEEvSL_.has_dyn_sized_stack, 0
	.set _ZN7rocprim17ROCPRIM_400000_NS6detail17trampoline_kernelINS0_14default_configENS1_38merge_sort_block_merge_config_selectorIfNS0_10empty_typeEEEZZNS1_27merge_sort_block_merge_implIS3_N6thrust23THRUST_200600_302600_NS6detail15normal_iteratorINS9_10device_ptrIfEEEEPS5_jNS1_19radix_merge_compareILb0ELb0EfNS0_19identity_decomposerEEEEE10hipError_tT0_T1_T2_jT3_P12ihipStream_tbPNSt15iterator_traitsISK_E10value_typeEPNSQ_ISL_E10value_typeEPSM_NS1_7vsmem_tEENKUlT_SK_SL_SM_E_clIPfSE_SF_SF_EESJ_SZ_SK_SL_SM_EUlSZ_E1_NS1_11comp_targetILNS1_3genE2ELNS1_11target_archE906ELNS1_3gpuE6ELNS1_3repE0EEENS1_36merge_oddeven_config_static_selectorELNS0_4arch9wavefront6targetE1EEEvSL_.has_recursion, 0
	.set _ZN7rocprim17ROCPRIM_400000_NS6detail17trampoline_kernelINS0_14default_configENS1_38merge_sort_block_merge_config_selectorIfNS0_10empty_typeEEEZZNS1_27merge_sort_block_merge_implIS3_N6thrust23THRUST_200600_302600_NS6detail15normal_iteratorINS9_10device_ptrIfEEEEPS5_jNS1_19radix_merge_compareILb0ELb0EfNS0_19identity_decomposerEEEEE10hipError_tT0_T1_T2_jT3_P12ihipStream_tbPNSt15iterator_traitsISK_E10value_typeEPNSQ_ISL_E10value_typeEPSM_NS1_7vsmem_tEENKUlT_SK_SL_SM_E_clIPfSE_SF_SF_EESJ_SZ_SK_SL_SM_EUlSZ_E1_NS1_11comp_targetILNS1_3genE2ELNS1_11target_archE906ELNS1_3gpuE6ELNS1_3repE0EEENS1_36merge_oddeven_config_static_selectorELNS0_4arch9wavefront6targetE1EEEvSL_.has_indirect_call, 0
	.section	.AMDGPU.csdata,"",@progbits
; Kernel info:
; codeLenInByte = 0
; TotalNumSgprs: 6
; NumVgprs: 0
; NumAgprs: 0
; TotalNumVgprs: 0
; ScratchSize: 0
; MemoryBound: 0
; FloatMode: 240
; IeeeMode: 1
; LDSByteSize: 0 bytes/workgroup (compile time only)
; SGPRBlocks: 0
; VGPRBlocks: 0
; NumSGPRsForWavesPerEU: 6
; NumVGPRsForWavesPerEU: 1
; AccumOffset: 4
; Occupancy: 8
; WaveLimiterHint : 0
; COMPUTE_PGM_RSRC2:SCRATCH_EN: 0
; COMPUTE_PGM_RSRC2:USER_SGPR: 2
; COMPUTE_PGM_RSRC2:TRAP_HANDLER: 0
; COMPUTE_PGM_RSRC2:TGID_X_EN: 1
; COMPUTE_PGM_RSRC2:TGID_Y_EN: 0
; COMPUTE_PGM_RSRC2:TGID_Z_EN: 0
; COMPUTE_PGM_RSRC2:TIDIG_COMP_CNT: 0
; COMPUTE_PGM_RSRC3_GFX90A:ACCUM_OFFSET: 0
; COMPUTE_PGM_RSRC3_GFX90A:TG_SPLIT: 0
	.section	.text._ZN7rocprim17ROCPRIM_400000_NS6detail17trampoline_kernelINS0_14default_configENS1_38merge_sort_block_merge_config_selectorIfNS0_10empty_typeEEEZZNS1_27merge_sort_block_merge_implIS3_N6thrust23THRUST_200600_302600_NS6detail15normal_iteratorINS9_10device_ptrIfEEEEPS5_jNS1_19radix_merge_compareILb0ELb0EfNS0_19identity_decomposerEEEEE10hipError_tT0_T1_T2_jT3_P12ihipStream_tbPNSt15iterator_traitsISK_E10value_typeEPNSQ_ISL_E10value_typeEPSM_NS1_7vsmem_tEENKUlT_SK_SL_SM_E_clIPfSE_SF_SF_EESJ_SZ_SK_SL_SM_EUlSZ_E1_NS1_11comp_targetILNS1_3genE9ELNS1_11target_archE1100ELNS1_3gpuE3ELNS1_3repE0EEENS1_36merge_oddeven_config_static_selectorELNS0_4arch9wavefront6targetE1EEEvSL_,"axG",@progbits,_ZN7rocprim17ROCPRIM_400000_NS6detail17trampoline_kernelINS0_14default_configENS1_38merge_sort_block_merge_config_selectorIfNS0_10empty_typeEEEZZNS1_27merge_sort_block_merge_implIS3_N6thrust23THRUST_200600_302600_NS6detail15normal_iteratorINS9_10device_ptrIfEEEEPS5_jNS1_19radix_merge_compareILb0ELb0EfNS0_19identity_decomposerEEEEE10hipError_tT0_T1_T2_jT3_P12ihipStream_tbPNSt15iterator_traitsISK_E10value_typeEPNSQ_ISL_E10value_typeEPSM_NS1_7vsmem_tEENKUlT_SK_SL_SM_E_clIPfSE_SF_SF_EESJ_SZ_SK_SL_SM_EUlSZ_E1_NS1_11comp_targetILNS1_3genE9ELNS1_11target_archE1100ELNS1_3gpuE3ELNS1_3repE0EEENS1_36merge_oddeven_config_static_selectorELNS0_4arch9wavefront6targetE1EEEvSL_,comdat
	.protected	_ZN7rocprim17ROCPRIM_400000_NS6detail17trampoline_kernelINS0_14default_configENS1_38merge_sort_block_merge_config_selectorIfNS0_10empty_typeEEEZZNS1_27merge_sort_block_merge_implIS3_N6thrust23THRUST_200600_302600_NS6detail15normal_iteratorINS9_10device_ptrIfEEEEPS5_jNS1_19radix_merge_compareILb0ELb0EfNS0_19identity_decomposerEEEEE10hipError_tT0_T1_T2_jT3_P12ihipStream_tbPNSt15iterator_traitsISK_E10value_typeEPNSQ_ISL_E10value_typeEPSM_NS1_7vsmem_tEENKUlT_SK_SL_SM_E_clIPfSE_SF_SF_EESJ_SZ_SK_SL_SM_EUlSZ_E1_NS1_11comp_targetILNS1_3genE9ELNS1_11target_archE1100ELNS1_3gpuE3ELNS1_3repE0EEENS1_36merge_oddeven_config_static_selectorELNS0_4arch9wavefront6targetE1EEEvSL_ ; -- Begin function _ZN7rocprim17ROCPRIM_400000_NS6detail17trampoline_kernelINS0_14default_configENS1_38merge_sort_block_merge_config_selectorIfNS0_10empty_typeEEEZZNS1_27merge_sort_block_merge_implIS3_N6thrust23THRUST_200600_302600_NS6detail15normal_iteratorINS9_10device_ptrIfEEEEPS5_jNS1_19radix_merge_compareILb0ELb0EfNS0_19identity_decomposerEEEEE10hipError_tT0_T1_T2_jT3_P12ihipStream_tbPNSt15iterator_traitsISK_E10value_typeEPNSQ_ISL_E10value_typeEPSM_NS1_7vsmem_tEENKUlT_SK_SL_SM_E_clIPfSE_SF_SF_EESJ_SZ_SK_SL_SM_EUlSZ_E1_NS1_11comp_targetILNS1_3genE9ELNS1_11target_archE1100ELNS1_3gpuE3ELNS1_3repE0EEENS1_36merge_oddeven_config_static_selectorELNS0_4arch9wavefront6targetE1EEEvSL_
	.globl	_ZN7rocprim17ROCPRIM_400000_NS6detail17trampoline_kernelINS0_14default_configENS1_38merge_sort_block_merge_config_selectorIfNS0_10empty_typeEEEZZNS1_27merge_sort_block_merge_implIS3_N6thrust23THRUST_200600_302600_NS6detail15normal_iteratorINS9_10device_ptrIfEEEEPS5_jNS1_19radix_merge_compareILb0ELb0EfNS0_19identity_decomposerEEEEE10hipError_tT0_T1_T2_jT3_P12ihipStream_tbPNSt15iterator_traitsISK_E10value_typeEPNSQ_ISL_E10value_typeEPSM_NS1_7vsmem_tEENKUlT_SK_SL_SM_E_clIPfSE_SF_SF_EESJ_SZ_SK_SL_SM_EUlSZ_E1_NS1_11comp_targetILNS1_3genE9ELNS1_11target_archE1100ELNS1_3gpuE3ELNS1_3repE0EEENS1_36merge_oddeven_config_static_selectorELNS0_4arch9wavefront6targetE1EEEvSL_
	.p2align	8
	.type	_ZN7rocprim17ROCPRIM_400000_NS6detail17trampoline_kernelINS0_14default_configENS1_38merge_sort_block_merge_config_selectorIfNS0_10empty_typeEEEZZNS1_27merge_sort_block_merge_implIS3_N6thrust23THRUST_200600_302600_NS6detail15normal_iteratorINS9_10device_ptrIfEEEEPS5_jNS1_19radix_merge_compareILb0ELb0EfNS0_19identity_decomposerEEEEE10hipError_tT0_T1_T2_jT3_P12ihipStream_tbPNSt15iterator_traitsISK_E10value_typeEPNSQ_ISL_E10value_typeEPSM_NS1_7vsmem_tEENKUlT_SK_SL_SM_E_clIPfSE_SF_SF_EESJ_SZ_SK_SL_SM_EUlSZ_E1_NS1_11comp_targetILNS1_3genE9ELNS1_11target_archE1100ELNS1_3gpuE3ELNS1_3repE0EEENS1_36merge_oddeven_config_static_selectorELNS0_4arch9wavefront6targetE1EEEvSL_,@function
_ZN7rocprim17ROCPRIM_400000_NS6detail17trampoline_kernelINS0_14default_configENS1_38merge_sort_block_merge_config_selectorIfNS0_10empty_typeEEEZZNS1_27merge_sort_block_merge_implIS3_N6thrust23THRUST_200600_302600_NS6detail15normal_iteratorINS9_10device_ptrIfEEEEPS5_jNS1_19radix_merge_compareILb0ELb0EfNS0_19identity_decomposerEEEEE10hipError_tT0_T1_T2_jT3_P12ihipStream_tbPNSt15iterator_traitsISK_E10value_typeEPNSQ_ISL_E10value_typeEPSM_NS1_7vsmem_tEENKUlT_SK_SL_SM_E_clIPfSE_SF_SF_EESJ_SZ_SK_SL_SM_EUlSZ_E1_NS1_11comp_targetILNS1_3genE9ELNS1_11target_archE1100ELNS1_3gpuE3ELNS1_3repE0EEENS1_36merge_oddeven_config_static_selectorELNS0_4arch9wavefront6targetE1EEEvSL_: ; @_ZN7rocprim17ROCPRIM_400000_NS6detail17trampoline_kernelINS0_14default_configENS1_38merge_sort_block_merge_config_selectorIfNS0_10empty_typeEEEZZNS1_27merge_sort_block_merge_implIS3_N6thrust23THRUST_200600_302600_NS6detail15normal_iteratorINS9_10device_ptrIfEEEEPS5_jNS1_19radix_merge_compareILb0ELb0EfNS0_19identity_decomposerEEEEE10hipError_tT0_T1_T2_jT3_P12ihipStream_tbPNSt15iterator_traitsISK_E10value_typeEPNSQ_ISL_E10value_typeEPSM_NS1_7vsmem_tEENKUlT_SK_SL_SM_E_clIPfSE_SF_SF_EESJ_SZ_SK_SL_SM_EUlSZ_E1_NS1_11comp_targetILNS1_3genE9ELNS1_11target_archE1100ELNS1_3gpuE3ELNS1_3repE0EEENS1_36merge_oddeven_config_static_selectorELNS0_4arch9wavefront6targetE1EEEvSL_
; %bb.0:
	.section	.rodata,"a",@progbits
	.p2align	6, 0x0
	.amdhsa_kernel _ZN7rocprim17ROCPRIM_400000_NS6detail17trampoline_kernelINS0_14default_configENS1_38merge_sort_block_merge_config_selectorIfNS0_10empty_typeEEEZZNS1_27merge_sort_block_merge_implIS3_N6thrust23THRUST_200600_302600_NS6detail15normal_iteratorINS9_10device_ptrIfEEEEPS5_jNS1_19radix_merge_compareILb0ELb0EfNS0_19identity_decomposerEEEEE10hipError_tT0_T1_T2_jT3_P12ihipStream_tbPNSt15iterator_traitsISK_E10value_typeEPNSQ_ISL_E10value_typeEPSM_NS1_7vsmem_tEENKUlT_SK_SL_SM_E_clIPfSE_SF_SF_EESJ_SZ_SK_SL_SM_EUlSZ_E1_NS1_11comp_targetILNS1_3genE9ELNS1_11target_archE1100ELNS1_3gpuE3ELNS1_3repE0EEENS1_36merge_oddeven_config_static_selectorELNS0_4arch9wavefront6targetE1EEEvSL_
		.amdhsa_group_segment_fixed_size 0
		.amdhsa_private_segment_fixed_size 0
		.amdhsa_kernarg_size 48
		.amdhsa_user_sgpr_count 2
		.amdhsa_user_sgpr_dispatch_ptr 0
		.amdhsa_user_sgpr_queue_ptr 0
		.amdhsa_user_sgpr_kernarg_segment_ptr 1
		.amdhsa_user_sgpr_dispatch_id 0
		.amdhsa_user_sgpr_kernarg_preload_length 0
		.amdhsa_user_sgpr_kernarg_preload_offset 0
		.amdhsa_user_sgpr_private_segment_size 0
		.amdhsa_uses_dynamic_stack 0
		.amdhsa_enable_private_segment 0
		.amdhsa_system_sgpr_workgroup_id_x 1
		.amdhsa_system_sgpr_workgroup_id_y 0
		.amdhsa_system_sgpr_workgroup_id_z 0
		.amdhsa_system_sgpr_workgroup_info 0
		.amdhsa_system_vgpr_workitem_id 0
		.amdhsa_next_free_vgpr 1
		.amdhsa_next_free_sgpr 0
		.amdhsa_accum_offset 4
		.amdhsa_reserve_vcc 0
		.amdhsa_float_round_mode_32 0
		.amdhsa_float_round_mode_16_64 0
		.amdhsa_float_denorm_mode_32 3
		.amdhsa_float_denorm_mode_16_64 3
		.amdhsa_dx10_clamp 1
		.amdhsa_ieee_mode 1
		.amdhsa_fp16_overflow 0
		.amdhsa_tg_split 0
		.amdhsa_exception_fp_ieee_invalid_op 0
		.amdhsa_exception_fp_denorm_src 0
		.amdhsa_exception_fp_ieee_div_zero 0
		.amdhsa_exception_fp_ieee_overflow 0
		.amdhsa_exception_fp_ieee_underflow 0
		.amdhsa_exception_fp_ieee_inexact 0
		.amdhsa_exception_int_div_zero 0
	.end_amdhsa_kernel
	.section	.text._ZN7rocprim17ROCPRIM_400000_NS6detail17trampoline_kernelINS0_14default_configENS1_38merge_sort_block_merge_config_selectorIfNS0_10empty_typeEEEZZNS1_27merge_sort_block_merge_implIS3_N6thrust23THRUST_200600_302600_NS6detail15normal_iteratorINS9_10device_ptrIfEEEEPS5_jNS1_19radix_merge_compareILb0ELb0EfNS0_19identity_decomposerEEEEE10hipError_tT0_T1_T2_jT3_P12ihipStream_tbPNSt15iterator_traitsISK_E10value_typeEPNSQ_ISL_E10value_typeEPSM_NS1_7vsmem_tEENKUlT_SK_SL_SM_E_clIPfSE_SF_SF_EESJ_SZ_SK_SL_SM_EUlSZ_E1_NS1_11comp_targetILNS1_3genE9ELNS1_11target_archE1100ELNS1_3gpuE3ELNS1_3repE0EEENS1_36merge_oddeven_config_static_selectorELNS0_4arch9wavefront6targetE1EEEvSL_,"axG",@progbits,_ZN7rocprim17ROCPRIM_400000_NS6detail17trampoline_kernelINS0_14default_configENS1_38merge_sort_block_merge_config_selectorIfNS0_10empty_typeEEEZZNS1_27merge_sort_block_merge_implIS3_N6thrust23THRUST_200600_302600_NS6detail15normal_iteratorINS9_10device_ptrIfEEEEPS5_jNS1_19radix_merge_compareILb0ELb0EfNS0_19identity_decomposerEEEEE10hipError_tT0_T1_T2_jT3_P12ihipStream_tbPNSt15iterator_traitsISK_E10value_typeEPNSQ_ISL_E10value_typeEPSM_NS1_7vsmem_tEENKUlT_SK_SL_SM_E_clIPfSE_SF_SF_EESJ_SZ_SK_SL_SM_EUlSZ_E1_NS1_11comp_targetILNS1_3genE9ELNS1_11target_archE1100ELNS1_3gpuE3ELNS1_3repE0EEENS1_36merge_oddeven_config_static_selectorELNS0_4arch9wavefront6targetE1EEEvSL_,comdat
.Lfunc_end497:
	.size	_ZN7rocprim17ROCPRIM_400000_NS6detail17trampoline_kernelINS0_14default_configENS1_38merge_sort_block_merge_config_selectorIfNS0_10empty_typeEEEZZNS1_27merge_sort_block_merge_implIS3_N6thrust23THRUST_200600_302600_NS6detail15normal_iteratorINS9_10device_ptrIfEEEEPS5_jNS1_19radix_merge_compareILb0ELb0EfNS0_19identity_decomposerEEEEE10hipError_tT0_T1_T2_jT3_P12ihipStream_tbPNSt15iterator_traitsISK_E10value_typeEPNSQ_ISL_E10value_typeEPSM_NS1_7vsmem_tEENKUlT_SK_SL_SM_E_clIPfSE_SF_SF_EESJ_SZ_SK_SL_SM_EUlSZ_E1_NS1_11comp_targetILNS1_3genE9ELNS1_11target_archE1100ELNS1_3gpuE3ELNS1_3repE0EEENS1_36merge_oddeven_config_static_selectorELNS0_4arch9wavefront6targetE1EEEvSL_, .Lfunc_end497-_ZN7rocprim17ROCPRIM_400000_NS6detail17trampoline_kernelINS0_14default_configENS1_38merge_sort_block_merge_config_selectorIfNS0_10empty_typeEEEZZNS1_27merge_sort_block_merge_implIS3_N6thrust23THRUST_200600_302600_NS6detail15normal_iteratorINS9_10device_ptrIfEEEEPS5_jNS1_19radix_merge_compareILb0ELb0EfNS0_19identity_decomposerEEEEE10hipError_tT0_T1_T2_jT3_P12ihipStream_tbPNSt15iterator_traitsISK_E10value_typeEPNSQ_ISL_E10value_typeEPSM_NS1_7vsmem_tEENKUlT_SK_SL_SM_E_clIPfSE_SF_SF_EESJ_SZ_SK_SL_SM_EUlSZ_E1_NS1_11comp_targetILNS1_3genE9ELNS1_11target_archE1100ELNS1_3gpuE3ELNS1_3repE0EEENS1_36merge_oddeven_config_static_selectorELNS0_4arch9wavefront6targetE1EEEvSL_
                                        ; -- End function
	.set _ZN7rocprim17ROCPRIM_400000_NS6detail17trampoline_kernelINS0_14default_configENS1_38merge_sort_block_merge_config_selectorIfNS0_10empty_typeEEEZZNS1_27merge_sort_block_merge_implIS3_N6thrust23THRUST_200600_302600_NS6detail15normal_iteratorINS9_10device_ptrIfEEEEPS5_jNS1_19radix_merge_compareILb0ELb0EfNS0_19identity_decomposerEEEEE10hipError_tT0_T1_T2_jT3_P12ihipStream_tbPNSt15iterator_traitsISK_E10value_typeEPNSQ_ISL_E10value_typeEPSM_NS1_7vsmem_tEENKUlT_SK_SL_SM_E_clIPfSE_SF_SF_EESJ_SZ_SK_SL_SM_EUlSZ_E1_NS1_11comp_targetILNS1_3genE9ELNS1_11target_archE1100ELNS1_3gpuE3ELNS1_3repE0EEENS1_36merge_oddeven_config_static_selectorELNS0_4arch9wavefront6targetE1EEEvSL_.num_vgpr, 0
	.set _ZN7rocprim17ROCPRIM_400000_NS6detail17trampoline_kernelINS0_14default_configENS1_38merge_sort_block_merge_config_selectorIfNS0_10empty_typeEEEZZNS1_27merge_sort_block_merge_implIS3_N6thrust23THRUST_200600_302600_NS6detail15normal_iteratorINS9_10device_ptrIfEEEEPS5_jNS1_19radix_merge_compareILb0ELb0EfNS0_19identity_decomposerEEEEE10hipError_tT0_T1_T2_jT3_P12ihipStream_tbPNSt15iterator_traitsISK_E10value_typeEPNSQ_ISL_E10value_typeEPSM_NS1_7vsmem_tEENKUlT_SK_SL_SM_E_clIPfSE_SF_SF_EESJ_SZ_SK_SL_SM_EUlSZ_E1_NS1_11comp_targetILNS1_3genE9ELNS1_11target_archE1100ELNS1_3gpuE3ELNS1_3repE0EEENS1_36merge_oddeven_config_static_selectorELNS0_4arch9wavefront6targetE1EEEvSL_.num_agpr, 0
	.set _ZN7rocprim17ROCPRIM_400000_NS6detail17trampoline_kernelINS0_14default_configENS1_38merge_sort_block_merge_config_selectorIfNS0_10empty_typeEEEZZNS1_27merge_sort_block_merge_implIS3_N6thrust23THRUST_200600_302600_NS6detail15normal_iteratorINS9_10device_ptrIfEEEEPS5_jNS1_19radix_merge_compareILb0ELb0EfNS0_19identity_decomposerEEEEE10hipError_tT0_T1_T2_jT3_P12ihipStream_tbPNSt15iterator_traitsISK_E10value_typeEPNSQ_ISL_E10value_typeEPSM_NS1_7vsmem_tEENKUlT_SK_SL_SM_E_clIPfSE_SF_SF_EESJ_SZ_SK_SL_SM_EUlSZ_E1_NS1_11comp_targetILNS1_3genE9ELNS1_11target_archE1100ELNS1_3gpuE3ELNS1_3repE0EEENS1_36merge_oddeven_config_static_selectorELNS0_4arch9wavefront6targetE1EEEvSL_.numbered_sgpr, 0
	.set _ZN7rocprim17ROCPRIM_400000_NS6detail17trampoline_kernelINS0_14default_configENS1_38merge_sort_block_merge_config_selectorIfNS0_10empty_typeEEEZZNS1_27merge_sort_block_merge_implIS3_N6thrust23THRUST_200600_302600_NS6detail15normal_iteratorINS9_10device_ptrIfEEEEPS5_jNS1_19radix_merge_compareILb0ELb0EfNS0_19identity_decomposerEEEEE10hipError_tT0_T1_T2_jT3_P12ihipStream_tbPNSt15iterator_traitsISK_E10value_typeEPNSQ_ISL_E10value_typeEPSM_NS1_7vsmem_tEENKUlT_SK_SL_SM_E_clIPfSE_SF_SF_EESJ_SZ_SK_SL_SM_EUlSZ_E1_NS1_11comp_targetILNS1_3genE9ELNS1_11target_archE1100ELNS1_3gpuE3ELNS1_3repE0EEENS1_36merge_oddeven_config_static_selectorELNS0_4arch9wavefront6targetE1EEEvSL_.num_named_barrier, 0
	.set _ZN7rocprim17ROCPRIM_400000_NS6detail17trampoline_kernelINS0_14default_configENS1_38merge_sort_block_merge_config_selectorIfNS0_10empty_typeEEEZZNS1_27merge_sort_block_merge_implIS3_N6thrust23THRUST_200600_302600_NS6detail15normal_iteratorINS9_10device_ptrIfEEEEPS5_jNS1_19radix_merge_compareILb0ELb0EfNS0_19identity_decomposerEEEEE10hipError_tT0_T1_T2_jT3_P12ihipStream_tbPNSt15iterator_traitsISK_E10value_typeEPNSQ_ISL_E10value_typeEPSM_NS1_7vsmem_tEENKUlT_SK_SL_SM_E_clIPfSE_SF_SF_EESJ_SZ_SK_SL_SM_EUlSZ_E1_NS1_11comp_targetILNS1_3genE9ELNS1_11target_archE1100ELNS1_3gpuE3ELNS1_3repE0EEENS1_36merge_oddeven_config_static_selectorELNS0_4arch9wavefront6targetE1EEEvSL_.private_seg_size, 0
	.set _ZN7rocprim17ROCPRIM_400000_NS6detail17trampoline_kernelINS0_14default_configENS1_38merge_sort_block_merge_config_selectorIfNS0_10empty_typeEEEZZNS1_27merge_sort_block_merge_implIS3_N6thrust23THRUST_200600_302600_NS6detail15normal_iteratorINS9_10device_ptrIfEEEEPS5_jNS1_19radix_merge_compareILb0ELb0EfNS0_19identity_decomposerEEEEE10hipError_tT0_T1_T2_jT3_P12ihipStream_tbPNSt15iterator_traitsISK_E10value_typeEPNSQ_ISL_E10value_typeEPSM_NS1_7vsmem_tEENKUlT_SK_SL_SM_E_clIPfSE_SF_SF_EESJ_SZ_SK_SL_SM_EUlSZ_E1_NS1_11comp_targetILNS1_3genE9ELNS1_11target_archE1100ELNS1_3gpuE3ELNS1_3repE0EEENS1_36merge_oddeven_config_static_selectorELNS0_4arch9wavefront6targetE1EEEvSL_.uses_vcc, 0
	.set _ZN7rocprim17ROCPRIM_400000_NS6detail17trampoline_kernelINS0_14default_configENS1_38merge_sort_block_merge_config_selectorIfNS0_10empty_typeEEEZZNS1_27merge_sort_block_merge_implIS3_N6thrust23THRUST_200600_302600_NS6detail15normal_iteratorINS9_10device_ptrIfEEEEPS5_jNS1_19radix_merge_compareILb0ELb0EfNS0_19identity_decomposerEEEEE10hipError_tT0_T1_T2_jT3_P12ihipStream_tbPNSt15iterator_traitsISK_E10value_typeEPNSQ_ISL_E10value_typeEPSM_NS1_7vsmem_tEENKUlT_SK_SL_SM_E_clIPfSE_SF_SF_EESJ_SZ_SK_SL_SM_EUlSZ_E1_NS1_11comp_targetILNS1_3genE9ELNS1_11target_archE1100ELNS1_3gpuE3ELNS1_3repE0EEENS1_36merge_oddeven_config_static_selectorELNS0_4arch9wavefront6targetE1EEEvSL_.uses_flat_scratch, 0
	.set _ZN7rocprim17ROCPRIM_400000_NS6detail17trampoline_kernelINS0_14default_configENS1_38merge_sort_block_merge_config_selectorIfNS0_10empty_typeEEEZZNS1_27merge_sort_block_merge_implIS3_N6thrust23THRUST_200600_302600_NS6detail15normal_iteratorINS9_10device_ptrIfEEEEPS5_jNS1_19radix_merge_compareILb0ELb0EfNS0_19identity_decomposerEEEEE10hipError_tT0_T1_T2_jT3_P12ihipStream_tbPNSt15iterator_traitsISK_E10value_typeEPNSQ_ISL_E10value_typeEPSM_NS1_7vsmem_tEENKUlT_SK_SL_SM_E_clIPfSE_SF_SF_EESJ_SZ_SK_SL_SM_EUlSZ_E1_NS1_11comp_targetILNS1_3genE9ELNS1_11target_archE1100ELNS1_3gpuE3ELNS1_3repE0EEENS1_36merge_oddeven_config_static_selectorELNS0_4arch9wavefront6targetE1EEEvSL_.has_dyn_sized_stack, 0
	.set _ZN7rocprim17ROCPRIM_400000_NS6detail17trampoline_kernelINS0_14default_configENS1_38merge_sort_block_merge_config_selectorIfNS0_10empty_typeEEEZZNS1_27merge_sort_block_merge_implIS3_N6thrust23THRUST_200600_302600_NS6detail15normal_iteratorINS9_10device_ptrIfEEEEPS5_jNS1_19radix_merge_compareILb0ELb0EfNS0_19identity_decomposerEEEEE10hipError_tT0_T1_T2_jT3_P12ihipStream_tbPNSt15iterator_traitsISK_E10value_typeEPNSQ_ISL_E10value_typeEPSM_NS1_7vsmem_tEENKUlT_SK_SL_SM_E_clIPfSE_SF_SF_EESJ_SZ_SK_SL_SM_EUlSZ_E1_NS1_11comp_targetILNS1_3genE9ELNS1_11target_archE1100ELNS1_3gpuE3ELNS1_3repE0EEENS1_36merge_oddeven_config_static_selectorELNS0_4arch9wavefront6targetE1EEEvSL_.has_recursion, 0
	.set _ZN7rocprim17ROCPRIM_400000_NS6detail17trampoline_kernelINS0_14default_configENS1_38merge_sort_block_merge_config_selectorIfNS0_10empty_typeEEEZZNS1_27merge_sort_block_merge_implIS3_N6thrust23THRUST_200600_302600_NS6detail15normal_iteratorINS9_10device_ptrIfEEEEPS5_jNS1_19radix_merge_compareILb0ELb0EfNS0_19identity_decomposerEEEEE10hipError_tT0_T1_T2_jT3_P12ihipStream_tbPNSt15iterator_traitsISK_E10value_typeEPNSQ_ISL_E10value_typeEPSM_NS1_7vsmem_tEENKUlT_SK_SL_SM_E_clIPfSE_SF_SF_EESJ_SZ_SK_SL_SM_EUlSZ_E1_NS1_11comp_targetILNS1_3genE9ELNS1_11target_archE1100ELNS1_3gpuE3ELNS1_3repE0EEENS1_36merge_oddeven_config_static_selectorELNS0_4arch9wavefront6targetE1EEEvSL_.has_indirect_call, 0
	.section	.AMDGPU.csdata,"",@progbits
; Kernel info:
; codeLenInByte = 0
; TotalNumSgprs: 6
; NumVgprs: 0
; NumAgprs: 0
; TotalNumVgprs: 0
; ScratchSize: 0
; MemoryBound: 0
; FloatMode: 240
; IeeeMode: 1
; LDSByteSize: 0 bytes/workgroup (compile time only)
; SGPRBlocks: 0
; VGPRBlocks: 0
; NumSGPRsForWavesPerEU: 6
; NumVGPRsForWavesPerEU: 1
; AccumOffset: 4
; Occupancy: 8
; WaveLimiterHint : 0
; COMPUTE_PGM_RSRC2:SCRATCH_EN: 0
; COMPUTE_PGM_RSRC2:USER_SGPR: 2
; COMPUTE_PGM_RSRC2:TRAP_HANDLER: 0
; COMPUTE_PGM_RSRC2:TGID_X_EN: 1
; COMPUTE_PGM_RSRC2:TGID_Y_EN: 0
; COMPUTE_PGM_RSRC2:TGID_Z_EN: 0
; COMPUTE_PGM_RSRC2:TIDIG_COMP_CNT: 0
; COMPUTE_PGM_RSRC3_GFX90A:ACCUM_OFFSET: 0
; COMPUTE_PGM_RSRC3_GFX90A:TG_SPLIT: 0
	.section	.text._ZN7rocprim17ROCPRIM_400000_NS6detail17trampoline_kernelINS0_14default_configENS1_38merge_sort_block_merge_config_selectorIfNS0_10empty_typeEEEZZNS1_27merge_sort_block_merge_implIS3_N6thrust23THRUST_200600_302600_NS6detail15normal_iteratorINS9_10device_ptrIfEEEEPS5_jNS1_19radix_merge_compareILb0ELb0EfNS0_19identity_decomposerEEEEE10hipError_tT0_T1_T2_jT3_P12ihipStream_tbPNSt15iterator_traitsISK_E10value_typeEPNSQ_ISL_E10value_typeEPSM_NS1_7vsmem_tEENKUlT_SK_SL_SM_E_clIPfSE_SF_SF_EESJ_SZ_SK_SL_SM_EUlSZ_E1_NS1_11comp_targetILNS1_3genE8ELNS1_11target_archE1030ELNS1_3gpuE2ELNS1_3repE0EEENS1_36merge_oddeven_config_static_selectorELNS0_4arch9wavefront6targetE1EEEvSL_,"axG",@progbits,_ZN7rocprim17ROCPRIM_400000_NS6detail17trampoline_kernelINS0_14default_configENS1_38merge_sort_block_merge_config_selectorIfNS0_10empty_typeEEEZZNS1_27merge_sort_block_merge_implIS3_N6thrust23THRUST_200600_302600_NS6detail15normal_iteratorINS9_10device_ptrIfEEEEPS5_jNS1_19radix_merge_compareILb0ELb0EfNS0_19identity_decomposerEEEEE10hipError_tT0_T1_T2_jT3_P12ihipStream_tbPNSt15iterator_traitsISK_E10value_typeEPNSQ_ISL_E10value_typeEPSM_NS1_7vsmem_tEENKUlT_SK_SL_SM_E_clIPfSE_SF_SF_EESJ_SZ_SK_SL_SM_EUlSZ_E1_NS1_11comp_targetILNS1_3genE8ELNS1_11target_archE1030ELNS1_3gpuE2ELNS1_3repE0EEENS1_36merge_oddeven_config_static_selectorELNS0_4arch9wavefront6targetE1EEEvSL_,comdat
	.protected	_ZN7rocprim17ROCPRIM_400000_NS6detail17trampoline_kernelINS0_14default_configENS1_38merge_sort_block_merge_config_selectorIfNS0_10empty_typeEEEZZNS1_27merge_sort_block_merge_implIS3_N6thrust23THRUST_200600_302600_NS6detail15normal_iteratorINS9_10device_ptrIfEEEEPS5_jNS1_19radix_merge_compareILb0ELb0EfNS0_19identity_decomposerEEEEE10hipError_tT0_T1_T2_jT3_P12ihipStream_tbPNSt15iterator_traitsISK_E10value_typeEPNSQ_ISL_E10value_typeEPSM_NS1_7vsmem_tEENKUlT_SK_SL_SM_E_clIPfSE_SF_SF_EESJ_SZ_SK_SL_SM_EUlSZ_E1_NS1_11comp_targetILNS1_3genE8ELNS1_11target_archE1030ELNS1_3gpuE2ELNS1_3repE0EEENS1_36merge_oddeven_config_static_selectorELNS0_4arch9wavefront6targetE1EEEvSL_ ; -- Begin function _ZN7rocprim17ROCPRIM_400000_NS6detail17trampoline_kernelINS0_14default_configENS1_38merge_sort_block_merge_config_selectorIfNS0_10empty_typeEEEZZNS1_27merge_sort_block_merge_implIS3_N6thrust23THRUST_200600_302600_NS6detail15normal_iteratorINS9_10device_ptrIfEEEEPS5_jNS1_19radix_merge_compareILb0ELb0EfNS0_19identity_decomposerEEEEE10hipError_tT0_T1_T2_jT3_P12ihipStream_tbPNSt15iterator_traitsISK_E10value_typeEPNSQ_ISL_E10value_typeEPSM_NS1_7vsmem_tEENKUlT_SK_SL_SM_E_clIPfSE_SF_SF_EESJ_SZ_SK_SL_SM_EUlSZ_E1_NS1_11comp_targetILNS1_3genE8ELNS1_11target_archE1030ELNS1_3gpuE2ELNS1_3repE0EEENS1_36merge_oddeven_config_static_selectorELNS0_4arch9wavefront6targetE1EEEvSL_
	.globl	_ZN7rocprim17ROCPRIM_400000_NS6detail17trampoline_kernelINS0_14default_configENS1_38merge_sort_block_merge_config_selectorIfNS0_10empty_typeEEEZZNS1_27merge_sort_block_merge_implIS3_N6thrust23THRUST_200600_302600_NS6detail15normal_iteratorINS9_10device_ptrIfEEEEPS5_jNS1_19radix_merge_compareILb0ELb0EfNS0_19identity_decomposerEEEEE10hipError_tT0_T1_T2_jT3_P12ihipStream_tbPNSt15iterator_traitsISK_E10value_typeEPNSQ_ISL_E10value_typeEPSM_NS1_7vsmem_tEENKUlT_SK_SL_SM_E_clIPfSE_SF_SF_EESJ_SZ_SK_SL_SM_EUlSZ_E1_NS1_11comp_targetILNS1_3genE8ELNS1_11target_archE1030ELNS1_3gpuE2ELNS1_3repE0EEENS1_36merge_oddeven_config_static_selectorELNS0_4arch9wavefront6targetE1EEEvSL_
	.p2align	8
	.type	_ZN7rocprim17ROCPRIM_400000_NS6detail17trampoline_kernelINS0_14default_configENS1_38merge_sort_block_merge_config_selectorIfNS0_10empty_typeEEEZZNS1_27merge_sort_block_merge_implIS3_N6thrust23THRUST_200600_302600_NS6detail15normal_iteratorINS9_10device_ptrIfEEEEPS5_jNS1_19radix_merge_compareILb0ELb0EfNS0_19identity_decomposerEEEEE10hipError_tT0_T1_T2_jT3_P12ihipStream_tbPNSt15iterator_traitsISK_E10value_typeEPNSQ_ISL_E10value_typeEPSM_NS1_7vsmem_tEENKUlT_SK_SL_SM_E_clIPfSE_SF_SF_EESJ_SZ_SK_SL_SM_EUlSZ_E1_NS1_11comp_targetILNS1_3genE8ELNS1_11target_archE1030ELNS1_3gpuE2ELNS1_3repE0EEENS1_36merge_oddeven_config_static_selectorELNS0_4arch9wavefront6targetE1EEEvSL_,@function
_ZN7rocprim17ROCPRIM_400000_NS6detail17trampoline_kernelINS0_14default_configENS1_38merge_sort_block_merge_config_selectorIfNS0_10empty_typeEEEZZNS1_27merge_sort_block_merge_implIS3_N6thrust23THRUST_200600_302600_NS6detail15normal_iteratorINS9_10device_ptrIfEEEEPS5_jNS1_19radix_merge_compareILb0ELb0EfNS0_19identity_decomposerEEEEE10hipError_tT0_T1_T2_jT3_P12ihipStream_tbPNSt15iterator_traitsISK_E10value_typeEPNSQ_ISL_E10value_typeEPSM_NS1_7vsmem_tEENKUlT_SK_SL_SM_E_clIPfSE_SF_SF_EESJ_SZ_SK_SL_SM_EUlSZ_E1_NS1_11comp_targetILNS1_3genE8ELNS1_11target_archE1030ELNS1_3gpuE2ELNS1_3repE0EEENS1_36merge_oddeven_config_static_selectorELNS0_4arch9wavefront6targetE1EEEvSL_: ; @_ZN7rocprim17ROCPRIM_400000_NS6detail17trampoline_kernelINS0_14default_configENS1_38merge_sort_block_merge_config_selectorIfNS0_10empty_typeEEEZZNS1_27merge_sort_block_merge_implIS3_N6thrust23THRUST_200600_302600_NS6detail15normal_iteratorINS9_10device_ptrIfEEEEPS5_jNS1_19radix_merge_compareILb0ELb0EfNS0_19identity_decomposerEEEEE10hipError_tT0_T1_T2_jT3_P12ihipStream_tbPNSt15iterator_traitsISK_E10value_typeEPNSQ_ISL_E10value_typeEPSM_NS1_7vsmem_tEENKUlT_SK_SL_SM_E_clIPfSE_SF_SF_EESJ_SZ_SK_SL_SM_EUlSZ_E1_NS1_11comp_targetILNS1_3genE8ELNS1_11target_archE1030ELNS1_3gpuE2ELNS1_3repE0EEENS1_36merge_oddeven_config_static_selectorELNS0_4arch9wavefront6targetE1EEEvSL_
; %bb.0:
	.section	.rodata,"a",@progbits
	.p2align	6, 0x0
	.amdhsa_kernel _ZN7rocprim17ROCPRIM_400000_NS6detail17trampoline_kernelINS0_14default_configENS1_38merge_sort_block_merge_config_selectorIfNS0_10empty_typeEEEZZNS1_27merge_sort_block_merge_implIS3_N6thrust23THRUST_200600_302600_NS6detail15normal_iteratorINS9_10device_ptrIfEEEEPS5_jNS1_19radix_merge_compareILb0ELb0EfNS0_19identity_decomposerEEEEE10hipError_tT0_T1_T2_jT3_P12ihipStream_tbPNSt15iterator_traitsISK_E10value_typeEPNSQ_ISL_E10value_typeEPSM_NS1_7vsmem_tEENKUlT_SK_SL_SM_E_clIPfSE_SF_SF_EESJ_SZ_SK_SL_SM_EUlSZ_E1_NS1_11comp_targetILNS1_3genE8ELNS1_11target_archE1030ELNS1_3gpuE2ELNS1_3repE0EEENS1_36merge_oddeven_config_static_selectorELNS0_4arch9wavefront6targetE1EEEvSL_
		.amdhsa_group_segment_fixed_size 0
		.amdhsa_private_segment_fixed_size 0
		.amdhsa_kernarg_size 48
		.amdhsa_user_sgpr_count 2
		.amdhsa_user_sgpr_dispatch_ptr 0
		.amdhsa_user_sgpr_queue_ptr 0
		.amdhsa_user_sgpr_kernarg_segment_ptr 1
		.amdhsa_user_sgpr_dispatch_id 0
		.amdhsa_user_sgpr_kernarg_preload_length 0
		.amdhsa_user_sgpr_kernarg_preload_offset 0
		.amdhsa_user_sgpr_private_segment_size 0
		.amdhsa_uses_dynamic_stack 0
		.amdhsa_enable_private_segment 0
		.amdhsa_system_sgpr_workgroup_id_x 1
		.amdhsa_system_sgpr_workgroup_id_y 0
		.amdhsa_system_sgpr_workgroup_id_z 0
		.amdhsa_system_sgpr_workgroup_info 0
		.amdhsa_system_vgpr_workitem_id 0
		.amdhsa_next_free_vgpr 1
		.amdhsa_next_free_sgpr 0
		.amdhsa_accum_offset 4
		.amdhsa_reserve_vcc 0
		.amdhsa_float_round_mode_32 0
		.amdhsa_float_round_mode_16_64 0
		.amdhsa_float_denorm_mode_32 3
		.amdhsa_float_denorm_mode_16_64 3
		.amdhsa_dx10_clamp 1
		.amdhsa_ieee_mode 1
		.amdhsa_fp16_overflow 0
		.amdhsa_tg_split 0
		.amdhsa_exception_fp_ieee_invalid_op 0
		.amdhsa_exception_fp_denorm_src 0
		.amdhsa_exception_fp_ieee_div_zero 0
		.amdhsa_exception_fp_ieee_overflow 0
		.amdhsa_exception_fp_ieee_underflow 0
		.amdhsa_exception_fp_ieee_inexact 0
		.amdhsa_exception_int_div_zero 0
	.end_amdhsa_kernel
	.section	.text._ZN7rocprim17ROCPRIM_400000_NS6detail17trampoline_kernelINS0_14default_configENS1_38merge_sort_block_merge_config_selectorIfNS0_10empty_typeEEEZZNS1_27merge_sort_block_merge_implIS3_N6thrust23THRUST_200600_302600_NS6detail15normal_iteratorINS9_10device_ptrIfEEEEPS5_jNS1_19radix_merge_compareILb0ELb0EfNS0_19identity_decomposerEEEEE10hipError_tT0_T1_T2_jT3_P12ihipStream_tbPNSt15iterator_traitsISK_E10value_typeEPNSQ_ISL_E10value_typeEPSM_NS1_7vsmem_tEENKUlT_SK_SL_SM_E_clIPfSE_SF_SF_EESJ_SZ_SK_SL_SM_EUlSZ_E1_NS1_11comp_targetILNS1_3genE8ELNS1_11target_archE1030ELNS1_3gpuE2ELNS1_3repE0EEENS1_36merge_oddeven_config_static_selectorELNS0_4arch9wavefront6targetE1EEEvSL_,"axG",@progbits,_ZN7rocprim17ROCPRIM_400000_NS6detail17trampoline_kernelINS0_14default_configENS1_38merge_sort_block_merge_config_selectorIfNS0_10empty_typeEEEZZNS1_27merge_sort_block_merge_implIS3_N6thrust23THRUST_200600_302600_NS6detail15normal_iteratorINS9_10device_ptrIfEEEEPS5_jNS1_19radix_merge_compareILb0ELb0EfNS0_19identity_decomposerEEEEE10hipError_tT0_T1_T2_jT3_P12ihipStream_tbPNSt15iterator_traitsISK_E10value_typeEPNSQ_ISL_E10value_typeEPSM_NS1_7vsmem_tEENKUlT_SK_SL_SM_E_clIPfSE_SF_SF_EESJ_SZ_SK_SL_SM_EUlSZ_E1_NS1_11comp_targetILNS1_3genE8ELNS1_11target_archE1030ELNS1_3gpuE2ELNS1_3repE0EEENS1_36merge_oddeven_config_static_selectorELNS0_4arch9wavefront6targetE1EEEvSL_,comdat
.Lfunc_end498:
	.size	_ZN7rocprim17ROCPRIM_400000_NS6detail17trampoline_kernelINS0_14default_configENS1_38merge_sort_block_merge_config_selectorIfNS0_10empty_typeEEEZZNS1_27merge_sort_block_merge_implIS3_N6thrust23THRUST_200600_302600_NS6detail15normal_iteratorINS9_10device_ptrIfEEEEPS5_jNS1_19radix_merge_compareILb0ELb0EfNS0_19identity_decomposerEEEEE10hipError_tT0_T1_T2_jT3_P12ihipStream_tbPNSt15iterator_traitsISK_E10value_typeEPNSQ_ISL_E10value_typeEPSM_NS1_7vsmem_tEENKUlT_SK_SL_SM_E_clIPfSE_SF_SF_EESJ_SZ_SK_SL_SM_EUlSZ_E1_NS1_11comp_targetILNS1_3genE8ELNS1_11target_archE1030ELNS1_3gpuE2ELNS1_3repE0EEENS1_36merge_oddeven_config_static_selectorELNS0_4arch9wavefront6targetE1EEEvSL_, .Lfunc_end498-_ZN7rocprim17ROCPRIM_400000_NS6detail17trampoline_kernelINS0_14default_configENS1_38merge_sort_block_merge_config_selectorIfNS0_10empty_typeEEEZZNS1_27merge_sort_block_merge_implIS3_N6thrust23THRUST_200600_302600_NS6detail15normal_iteratorINS9_10device_ptrIfEEEEPS5_jNS1_19radix_merge_compareILb0ELb0EfNS0_19identity_decomposerEEEEE10hipError_tT0_T1_T2_jT3_P12ihipStream_tbPNSt15iterator_traitsISK_E10value_typeEPNSQ_ISL_E10value_typeEPSM_NS1_7vsmem_tEENKUlT_SK_SL_SM_E_clIPfSE_SF_SF_EESJ_SZ_SK_SL_SM_EUlSZ_E1_NS1_11comp_targetILNS1_3genE8ELNS1_11target_archE1030ELNS1_3gpuE2ELNS1_3repE0EEENS1_36merge_oddeven_config_static_selectorELNS0_4arch9wavefront6targetE1EEEvSL_
                                        ; -- End function
	.set _ZN7rocprim17ROCPRIM_400000_NS6detail17trampoline_kernelINS0_14default_configENS1_38merge_sort_block_merge_config_selectorIfNS0_10empty_typeEEEZZNS1_27merge_sort_block_merge_implIS3_N6thrust23THRUST_200600_302600_NS6detail15normal_iteratorINS9_10device_ptrIfEEEEPS5_jNS1_19radix_merge_compareILb0ELb0EfNS0_19identity_decomposerEEEEE10hipError_tT0_T1_T2_jT3_P12ihipStream_tbPNSt15iterator_traitsISK_E10value_typeEPNSQ_ISL_E10value_typeEPSM_NS1_7vsmem_tEENKUlT_SK_SL_SM_E_clIPfSE_SF_SF_EESJ_SZ_SK_SL_SM_EUlSZ_E1_NS1_11comp_targetILNS1_3genE8ELNS1_11target_archE1030ELNS1_3gpuE2ELNS1_3repE0EEENS1_36merge_oddeven_config_static_selectorELNS0_4arch9wavefront6targetE1EEEvSL_.num_vgpr, 0
	.set _ZN7rocprim17ROCPRIM_400000_NS6detail17trampoline_kernelINS0_14default_configENS1_38merge_sort_block_merge_config_selectorIfNS0_10empty_typeEEEZZNS1_27merge_sort_block_merge_implIS3_N6thrust23THRUST_200600_302600_NS6detail15normal_iteratorINS9_10device_ptrIfEEEEPS5_jNS1_19radix_merge_compareILb0ELb0EfNS0_19identity_decomposerEEEEE10hipError_tT0_T1_T2_jT3_P12ihipStream_tbPNSt15iterator_traitsISK_E10value_typeEPNSQ_ISL_E10value_typeEPSM_NS1_7vsmem_tEENKUlT_SK_SL_SM_E_clIPfSE_SF_SF_EESJ_SZ_SK_SL_SM_EUlSZ_E1_NS1_11comp_targetILNS1_3genE8ELNS1_11target_archE1030ELNS1_3gpuE2ELNS1_3repE0EEENS1_36merge_oddeven_config_static_selectorELNS0_4arch9wavefront6targetE1EEEvSL_.num_agpr, 0
	.set _ZN7rocprim17ROCPRIM_400000_NS6detail17trampoline_kernelINS0_14default_configENS1_38merge_sort_block_merge_config_selectorIfNS0_10empty_typeEEEZZNS1_27merge_sort_block_merge_implIS3_N6thrust23THRUST_200600_302600_NS6detail15normal_iteratorINS9_10device_ptrIfEEEEPS5_jNS1_19radix_merge_compareILb0ELb0EfNS0_19identity_decomposerEEEEE10hipError_tT0_T1_T2_jT3_P12ihipStream_tbPNSt15iterator_traitsISK_E10value_typeEPNSQ_ISL_E10value_typeEPSM_NS1_7vsmem_tEENKUlT_SK_SL_SM_E_clIPfSE_SF_SF_EESJ_SZ_SK_SL_SM_EUlSZ_E1_NS1_11comp_targetILNS1_3genE8ELNS1_11target_archE1030ELNS1_3gpuE2ELNS1_3repE0EEENS1_36merge_oddeven_config_static_selectorELNS0_4arch9wavefront6targetE1EEEvSL_.numbered_sgpr, 0
	.set _ZN7rocprim17ROCPRIM_400000_NS6detail17trampoline_kernelINS0_14default_configENS1_38merge_sort_block_merge_config_selectorIfNS0_10empty_typeEEEZZNS1_27merge_sort_block_merge_implIS3_N6thrust23THRUST_200600_302600_NS6detail15normal_iteratorINS9_10device_ptrIfEEEEPS5_jNS1_19radix_merge_compareILb0ELb0EfNS0_19identity_decomposerEEEEE10hipError_tT0_T1_T2_jT3_P12ihipStream_tbPNSt15iterator_traitsISK_E10value_typeEPNSQ_ISL_E10value_typeEPSM_NS1_7vsmem_tEENKUlT_SK_SL_SM_E_clIPfSE_SF_SF_EESJ_SZ_SK_SL_SM_EUlSZ_E1_NS1_11comp_targetILNS1_3genE8ELNS1_11target_archE1030ELNS1_3gpuE2ELNS1_3repE0EEENS1_36merge_oddeven_config_static_selectorELNS0_4arch9wavefront6targetE1EEEvSL_.num_named_barrier, 0
	.set _ZN7rocprim17ROCPRIM_400000_NS6detail17trampoline_kernelINS0_14default_configENS1_38merge_sort_block_merge_config_selectorIfNS0_10empty_typeEEEZZNS1_27merge_sort_block_merge_implIS3_N6thrust23THRUST_200600_302600_NS6detail15normal_iteratorINS9_10device_ptrIfEEEEPS5_jNS1_19radix_merge_compareILb0ELb0EfNS0_19identity_decomposerEEEEE10hipError_tT0_T1_T2_jT3_P12ihipStream_tbPNSt15iterator_traitsISK_E10value_typeEPNSQ_ISL_E10value_typeEPSM_NS1_7vsmem_tEENKUlT_SK_SL_SM_E_clIPfSE_SF_SF_EESJ_SZ_SK_SL_SM_EUlSZ_E1_NS1_11comp_targetILNS1_3genE8ELNS1_11target_archE1030ELNS1_3gpuE2ELNS1_3repE0EEENS1_36merge_oddeven_config_static_selectorELNS0_4arch9wavefront6targetE1EEEvSL_.private_seg_size, 0
	.set _ZN7rocprim17ROCPRIM_400000_NS6detail17trampoline_kernelINS0_14default_configENS1_38merge_sort_block_merge_config_selectorIfNS0_10empty_typeEEEZZNS1_27merge_sort_block_merge_implIS3_N6thrust23THRUST_200600_302600_NS6detail15normal_iteratorINS9_10device_ptrIfEEEEPS5_jNS1_19radix_merge_compareILb0ELb0EfNS0_19identity_decomposerEEEEE10hipError_tT0_T1_T2_jT3_P12ihipStream_tbPNSt15iterator_traitsISK_E10value_typeEPNSQ_ISL_E10value_typeEPSM_NS1_7vsmem_tEENKUlT_SK_SL_SM_E_clIPfSE_SF_SF_EESJ_SZ_SK_SL_SM_EUlSZ_E1_NS1_11comp_targetILNS1_3genE8ELNS1_11target_archE1030ELNS1_3gpuE2ELNS1_3repE0EEENS1_36merge_oddeven_config_static_selectorELNS0_4arch9wavefront6targetE1EEEvSL_.uses_vcc, 0
	.set _ZN7rocprim17ROCPRIM_400000_NS6detail17trampoline_kernelINS0_14default_configENS1_38merge_sort_block_merge_config_selectorIfNS0_10empty_typeEEEZZNS1_27merge_sort_block_merge_implIS3_N6thrust23THRUST_200600_302600_NS6detail15normal_iteratorINS9_10device_ptrIfEEEEPS5_jNS1_19radix_merge_compareILb0ELb0EfNS0_19identity_decomposerEEEEE10hipError_tT0_T1_T2_jT3_P12ihipStream_tbPNSt15iterator_traitsISK_E10value_typeEPNSQ_ISL_E10value_typeEPSM_NS1_7vsmem_tEENKUlT_SK_SL_SM_E_clIPfSE_SF_SF_EESJ_SZ_SK_SL_SM_EUlSZ_E1_NS1_11comp_targetILNS1_3genE8ELNS1_11target_archE1030ELNS1_3gpuE2ELNS1_3repE0EEENS1_36merge_oddeven_config_static_selectorELNS0_4arch9wavefront6targetE1EEEvSL_.uses_flat_scratch, 0
	.set _ZN7rocprim17ROCPRIM_400000_NS6detail17trampoline_kernelINS0_14default_configENS1_38merge_sort_block_merge_config_selectorIfNS0_10empty_typeEEEZZNS1_27merge_sort_block_merge_implIS3_N6thrust23THRUST_200600_302600_NS6detail15normal_iteratorINS9_10device_ptrIfEEEEPS5_jNS1_19radix_merge_compareILb0ELb0EfNS0_19identity_decomposerEEEEE10hipError_tT0_T1_T2_jT3_P12ihipStream_tbPNSt15iterator_traitsISK_E10value_typeEPNSQ_ISL_E10value_typeEPSM_NS1_7vsmem_tEENKUlT_SK_SL_SM_E_clIPfSE_SF_SF_EESJ_SZ_SK_SL_SM_EUlSZ_E1_NS1_11comp_targetILNS1_3genE8ELNS1_11target_archE1030ELNS1_3gpuE2ELNS1_3repE0EEENS1_36merge_oddeven_config_static_selectorELNS0_4arch9wavefront6targetE1EEEvSL_.has_dyn_sized_stack, 0
	.set _ZN7rocprim17ROCPRIM_400000_NS6detail17trampoline_kernelINS0_14default_configENS1_38merge_sort_block_merge_config_selectorIfNS0_10empty_typeEEEZZNS1_27merge_sort_block_merge_implIS3_N6thrust23THRUST_200600_302600_NS6detail15normal_iteratorINS9_10device_ptrIfEEEEPS5_jNS1_19radix_merge_compareILb0ELb0EfNS0_19identity_decomposerEEEEE10hipError_tT0_T1_T2_jT3_P12ihipStream_tbPNSt15iterator_traitsISK_E10value_typeEPNSQ_ISL_E10value_typeEPSM_NS1_7vsmem_tEENKUlT_SK_SL_SM_E_clIPfSE_SF_SF_EESJ_SZ_SK_SL_SM_EUlSZ_E1_NS1_11comp_targetILNS1_3genE8ELNS1_11target_archE1030ELNS1_3gpuE2ELNS1_3repE0EEENS1_36merge_oddeven_config_static_selectorELNS0_4arch9wavefront6targetE1EEEvSL_.has_recursion, 0
	.set _ZN7rocprim17ROCPRIM_400000_NS6detail17trampoline_kernelINS0_14default_configENS1_38merge_sort_block_merge_config_selectorIfNS0_10empty_typeEEEZZNS1_27merge_sort_block_merge_implIS3_N6thrust23THRUST_200600_302600_NS6detail15normal_iteratorINS9_10device_ptrIfEEEEPS5_jNS1_19radix_merge_compareILb0ELb0EfNS0_19identity_decomposerEEEEE10hipError_tT0_T1_T2_jT3_P12ihipStream_tbPNSt15iterator_traitsISK_E10value_typeEPNSQ_ISL_E10value_typeEPSM_NS1_7vsmem_tEENKUlT_SK_SL_SM_E_clIPfSE_SF_SF_EESJ_SZ_SK_SL_SM_EUlSZ_E1_NS1_11comp_targetILNS1_3genE8ELNS1_11target_archE1030ELNS1_3gpuE2ELNS1_3repE0EEENS1_36merge_oddeven_config_static_selectorELNS0_4arch9wavefront6targetE1EEEvSL_.has_indirect_call, 0
	.section	.AMDGPU.csdata,"",@progbits
; Kernel info:
; codeLenInByte = 0
; TotalNumSgprs: 6
; NumVgprs: 0
; NumAgprs: 0
; TotalNumVgprs: 0
; ScratchSize: 0
; MemoryBound: 0
; FloatMode: 240
; IeeeMode: 1
; LDSByteSize: 0 bytes/workgroup (compile time only)
; SGPRBlocks: 0
; VGPRBlocks: 0
; NumSGPRsForWavesPerEU: 6
; NumVGPRsForWavesPerEU: 1
; AccumOffset: 4
; Occupancy: 8
; WaveLimiterHint : 0
; COMPUTE_PGM_RSRC2:SCRATCH_EN: 0
; COMPUTE_PGM_RSRC2:USER_SGPR: 2
; COMPUTE_PGM_RSRC2:TRAP_HANDLER: 0
; COMPUTE_PGM_RSRC2:TGID_X_EN: 1
; COMPUTE_PGM_RSRC2:TGID_Y_EN: 0
; COMPUTE_PGM_RSRC2:TGID_Z_EN: 0
; COMPUTE_PGM_RSRC2:TIDIG_COMP_CNT: 0
; COMPUTE_PGM_RSRC3_GFX90A:ACCUM_OFFSET: 0
; COMPUTE_PGM_RSRC3_GFX90A:TG_SPLIT: 0
	.section	.text._ZN7rocprim17ROCPRIM_400000_NS6detail17trampoline_kernelINS0_14default_configENS1_38merge_sort_block_merge_config_selectorIfNS0_10empty_typeEEEZZNS1_27merge_sort_block_merge_implIS3_N6thrust23THRUST_200600_302600_NS6detail15normal_iteratorINS9_10device_ptrIfEEEEPS5_jNS1_19radix_merge_compareILb0ELb0EfNS0_19identity_decomposerEEEEE10hipError_tT0_T1_T2_jT3_P12ihipStream_tbPNSt15iterator_traitsISK_E10value_typeEPNSQ_ISL_E10value_typeEPSM_NS1_7vsmem_tEENKUlT_SK_SL_SM_E_clISE_PfSF_SF_EESJ_SZ_SK_SL_SM_EUlSZ_E_NS1_11comp_targetILNS1_3genE0ELNS1_11target_archE4294967295ELNS1_3gpuE0ELNS1_3repE0EEENS1_48merge_mergepath_partition_config_static_selectorELNS0_4arch9wavefront6targetE1EEEvSL_,"axG",@progbits,_ZN7rocprim17ROCPRIM_400000_NS6detail17trampoline_kernelINS0_14default_configENS1_38merge_sort_block_merge_config_selectorIfNS0_10empty_typeEEEZZNS1_27merge_sort_block_merge_implIS3_N6thrust23THRUST_200600_302600_NS6detail15normal_iteratorINS9_10device_ptrIfEEEEPS5_jNS1_19radix_merge_compareILb0ELb0EfNS0_19identity_decomposerEEEEE10hipError_tT0_T1_T2_jT3_P12ihipStream_tbPNSt15iterator_traitsISK_E10value_typeEPNSQ_ISL_E10value_typeEPSM_NS1_7vsmem_tEENKUlT_SK_SL_SM_E_clISE_PfSF_SF_EESJ_SZ_SK_SL_SM_EUlSZ_E_NS1_11comp_targetILNS1_3genE0ELNS1_11target_archE4294967295ELNS1_3gpuE0ELNS1_3repE0EEENS1_48merge_mergepath_partition_config_static_selectorELNS0_4arch9wavefront6targetE1EEEvSL_,comdat
	.protected	_ZN7rocprim17ROCPRIM_400000_NS6detail17trampoline_kernelINS0_14default_configENS1_38merge_sort_block_merge_config_selectorIfNS0_10empty_typeEEEZZNS1_27merge_sort_block_merge_implIS3_N6thrust23THRUST_200600_302600_NS6detail15normal_iteratorINS9_10device_ptrIfEEEEPS5_jNS1_19radix_merge_compareILb0ELb0EfNS0_19identity_decomposerEEEEE10hipError_tT0_T1_T2_jT3_P12ihipStream_tbPNSt15iterator_traitsISK_E10value_typeEPNSQ_ISL_E10value_typeEPSM_NS1_7vsmem_tEENKUlT_SK_SL_SM_E_clISE_PfSF_SF_EESJ_SZ_SK_SL_SM_EUlSZ_E_NS1_11comp_targetILNS1_3genE0ELNS1_11target_archE4294967295ELNS1_3gpuE0ELNS1_3repE0EEENS1_48merge_mergepath_partition_config_static_selectorELNS0_4arch9wavefront6targetE1EEEvSL_ ; -- Begin function _ZN7rocprim17ROCPRIM_400000_NS6detail17trampoline_kernelINS0_14default_configENS1_38merge_sort_block_merge_config_selectorIfNS0_10empty_typeEEEZZNS1_27merge_sort_block_merge_implIS3_N6thrust23THRUST_200600_302600_NS6detail15normal_iteratorINS9_10device_ptrIfEEEEPS5_jNS1_19radix_merge_compareILb0ELb0EfNS0_19identity_decomposerEEEEE10hipError_tT0_T1_T2_jT3_P12ihipStream_tbPNSt15iterator_traitsISK_E10value_typeEPNSQ_ISL_E10value_typeEPSM_NS1_7vsmem_tEENKUlT_SK_SL_SM_E_clISE_PfSF_SF_EESJ_SZ_SK_SL_SM_EUlSZ_E_NS1_11comp_targetILNS1_3genE0ELNS1_11target_archE4294967295ELNS1_3gpuE0ELNS1_3repE0EEENS1_48merge_mergepath_partition_config_static_selectorELNS0_4arch9wavefront6targetE1EEEvSL_
	.globl	_ZN7rocprim17ROCPRIM_400000_NS6detail17trampoline_kernelINS0_14default_configENS1_38merge_sort_block_merge_config_selectorIfNS0_10empty_typeEEEZZNS1_27merge_sort_block_merge_implIS3_N6thrust23THRUST_200600_302600_NS6detail15normal_iteratorINS9_10device_ptrIfEEEEPS5_jNS1_19radix_merge_compareILb0ELb0EfNS0_19identity_decomposerEEEEE10hipError_tT0_T1_T2_jT3_P12ihipStream_tbPNSt15iterator_traitsISK_E10value_typeEPNSQ_ISL_E10value_typeEPSM_NS1_7vsmem_tEENKUlT_SK_SL_SM_E_clISE_PfSF_SF_EESJ_SZ_SK_SL_SM_EUlSZ_E_NS1_11comp_targetILNS1_3genE0ELNS1_11target_archE4294967295ELNS1_3gpuE0ELNS1_3repE0EEENS1_48merge_mergepath_partition_config_static_selectorELNS0_4arch9wavefront6targetE1EEEvSL_
	.p2align	8
	.type	_ZN7rocprim17ROCPRIM_400000_NS6detail17trampoline_kernelINS0_14default_configENS1_38merge_sort_block_merge_config_selectorIfNS0_10empty_typeEEEZZNS1_27merge_sort_block_merge_implIS3_N6thrust23THRUST_200600_302600_NS6detail15normal_iteratorINS9_10device_ptrIfEEEEPS5_jNS1_19radix_merge_compareILb0ELb0EfNS0_19identity_decomposerEEEEE10hipError_tT0_T1_T2_jT3_P12ihipStream_tbPNSt15iterator_traitsISK_E10value_typeEPNSQ_ISL_E10value_typeEPSM_NS1_7vsmem_tEENKUlT_SK_SL_SM_E_clISE_PfSF_SF_EESJ_SZ_SK_SL_SM_EUlSZ_E_NS1_11comp_targetILNS1_3genE0ELNS1_11target_archE4294967295ELNS1_3gpuE0ELNS1_3repE0EEENS1_48merge_mergepath_partition_config_static_selectorELNS0_4arch9wavefront6targetE1EEEvSL_,@function
_ZN7rocprim17ROCPRIM_400000_NS6detail17trampoline_kernelINS0_14default_configENS1_38merge_sort_block_merge_config_selectorIfNS0_10empty_typeEEEZZNS1_27merge_sort_block_merge_implIS3_N6thrust23THRUST_200600_302600_NS6detail15normal_iteratorINS9_10device_ptrIfEEEEPS5_jNS1_19radix_merge_compareILb0ELb0EfNS0_19identity_decomposerEEEEE10hipError_tT0_T1_T2_jT3_P12ihipStream_tbPNSt15iterator_traitsISK_E10value_typeEPNSQ_ISL_E10value_typeEPSM_NS1_7vsmem_tEENKUlT_SK_SL_SM_E_clISE_PfSF_SF_EESJ_SZ_SK_SL_SM_EUlSZ_E_NS1_11comp_targetILNS1_3genE0ELNS1_11target_archE4294967295ELNS1_3gpuE0ELNS1_3repE0EEENS1_48merge_mergepath_partition_config_static_selectorELNS0_4arch9wavefront6targetE1EEEvSL_: ; @_ZN7rocprim17ROCPRIM_400000_NS6detail17trampoline_kernelINS0_14default_configENS1_38merge_sort_block_merge_config_selectorIfNS0_10empty_typeEEEZZNS1_27merge_sort_block_merge_implIS3_N6thrust23THRUST_200600_302600_NS6detail15normal_iteratorINS9_10device_ptrIfEEEEPS5_jNS1_19radix_merge_compareILb0ELb0EfNS0_19identity_decomposerEEEEE10hipError_tT0_T1_T2_jT3_P12ihipStream_tbPNSt15iterator_traitsISK_E10value_typeEPNSQ_ISL_E10value_typeEPSM_NS1_7vsmem_tEENKUlT_SK_SL_SM_E_clISE_PfSF_SF_EESJ_SZ_SK_SL_SM_EUlSZ_E_NS1_11comp_targetILNS1_3genE0ELNS1_11target_archE4294967295ELNS1_3gpuE0ELNS1_3repE0EEENS1_48merge_mergepath_partition_config_static_selectorELNS0_4arch9wavefront6targetE1EEEvSL_
; %bb.0:
	s_load_dword s3, s[0:1], 0x0
	v_lshl_or_b32 v0, s2, 7, v0
	s_waitcnt lgkmcnt(0)
	v_cmp_gt_u32_e32 vcc, s3, v0
	s_and_saveexec_b64 s[2:3], vcc
	s_cbranch_execz .LBB499_6
; %bb.1:
	s_load_dwordx2 s[4:5], s[0:1], 0x4
	s_load_dwordx2 s[2:3], s[0:1], 0x20
	s_waitcnt lgkmcnt(0)
	s_lshr_b32 s6, s4, 9
	s_and_b32 s6, s6, 0x7ffffe
	s_add_i32 s7, s6, -1
	s_sub_i32 s6, 0, s6
	v_and_b32_e32 v1, s6, v0
	v_lshlrev_b32_e32 v1, 10, v1
	v_min_u32_e32 v2, s5, v1
	v_add_u32_e32 v1, s4, v1
	v_min_u32_e32 v4, s5, v1
	v_add_u32_e32 v1, s4, v4
	v_and_b32_e32 v3, s7, v0
	v_min_u32_e32 v1, s5, v1
	v_sub_u32_e32 v5, v1, v2
	v_lshlrev_b32_e32 v3, 10, v3
	v_min_u32_e32 v10, v5, v3
	v_sub_u32_e32 v3, v4, v2
	v_sub_u32_e32 v1, v1, v4
	v_sub_u32_e64 v1, v10, v1 clamp
	v_min_u32_e32 v11, v10, v3
	v_cmp_lt_u32_e32 vcc, v1, v11
	s_and_saveexec_b64 s[4:5], vcc
	s_cbranch_execz .LBB499_5
; %bb.2:
	s_load_dwordx2 s[0:1], s[0:1], 0x10
	v_mov_b32_e32 v5, 0
	v_mov_b32_e32 v3, v5
	s_waitcnt lgkmcnt(0)
	v_lshl_add_u64 v[6:7], v[2:3], 2, s[0:1]
	v_lshl_add_u64 v[8:9], v[4:5], 2, s[0:1]
	s_mov_b64 s[0:1], 0
.LBB499_3:                              ; =>This Inner Loop Header: Depth=1
	v_add_u32_e32 v3, v11, v1
	v_lshrrev_b32_e32 v4, 1, v3
	v_mov_b32_e32 v13, v5
	v_xad_u32 v12, v4, -1, v10
	v_lshl_add_u64 v[14:15], v[4:5], 2, v[6:7]
	v_lshl_add_u64 v[12:13], v[12:13], 2, v[8:9]
	flat_load_dword v16, v[14:15]
	flat_load_dword v17, v[12:13]
	v_add_u32_e32 v3, 1, v4
	s_waitcnt vmcnt(0) lgkmcnt(0)
	v_pk_add_f32 v[12:13], v[16:17], 0 op_sel_hi:[1,0]
	s_nop 0
	v_ashrrev_i32_e32 v14, 31, v13
	v_ashrrev_i32_e32 v15, 31, v12
	v_or_b32_e32 v14, 0x80000000, v14
	v_or_b32_e32 v15, 0x80000000, v15
	v_xor_b32_e32 v13, v14, v13
	v_xor_b32_e32 v12, v15, v12
	v_cmp_gt_u32_e32 vcc, v12, v13
	s_nop 1
	v_cndmask_b32_e32 v11, v11, v4, vcc
	v_cndmask_b32_e32 v1, v3, v1, vcc
	v_cmp_ge_u32_e32 vcc, v1, v11
	s_or_b64 s[0:1], vcc, s[0:1]
	s_andn2_b64 exec, exec, s[0:1]
	s_cbranch_execnz .LBB499_3
; %bb.4:
	s_or_b64 exec, exec, s[0:1]
.LBB499_5:
	s_or_b64 exec, exec, s[4:5]
	v_add_u32_e32 v2, v1, v2
	v_mov_b32_e32 v1, 0
	v_lshl_add_u64 v[0:1], v[0:1], 2, s[2:3]
	global_store_dword v[0:1], v2, off
.LBB499_6:
	s_endpgm
	.section	.rodata,"a",@progbits
	.p2align	6, 0x0
	.amdhsa_kernel _ZN7rocprim17ROCPRIM_400000_NS6detail17trampoline_kernelINS0_14default_configENS1_38merge_sort_block_merge_config_selectorIfNS0_10empty_typeEEEZZNS1_27merge_sort_block_merge_implIS3_N6thrust23THRUST_200600_302600_NS6detail15normal_iteratorINS9_10device_ptrIfEEEEPS5_jNS1_19radix_merge_compareILb0ELb0EfNS0_19identity_decomposerEEEEE10hipError_tT0_T1_T2_jT3_P12ihipStream_tbPNSt15iterator_traitsISK_E10value_typeEPNSQ_ISL_E10value_typeEPSM_NS1_7vsmem_tEENKUlT_SK_SL_SM_E_clISE_PfSF_SF_EESJ_SZ_SK_SL_SM_EUlSZ_E_NS1_11comp_targetILNS1_3genE0ELNS1_11target_archE4294967295ELNS1_3gpuE0ELNS1_3repE0EEENS1_48merge_mergepath_partition_config_static_selectorELNS0_4arch9wavefront6targetE1EEEvSL_
		.amdhsa_group_segment_fixed_size 0
		.amdhsa_private_segment_fixed_size 0
		.amdhsa_kernarg_size 40
		.amdhsa_user_sgpr_count 2
		.amdhsa_user_sgpr_dispatch_ptr 0
		.amdhsa_user_sgpr_queue_ptr 0
		.amdhsa_user_sgpr_kernarg_segment_ptr 1
		.amdhsa_user_sgpr_dispatch_id 0
		.amdhsa_user_sgpr_kernarg_preload_length 0
		.amdhsa_user_sgpr_kernarg_preload_offset 0
		.amdhsa_user_sgpr_private_segment_size 0
		.amdhsa_uses_dynamic_stack 0
		.amdhsa_enable_private_segment 0
		.amdhsa_system_sgpr_workgroup_id_x 1
		.amdhsa_system_sgpr_workgroup_id_y 0
		.amdhsa_system_sgpr_workgroup_id_z 0
		.amdhsa_system_sgpr_workgroup_info 0
		.amdhsa_system_vgpr_workitem_id 0
		.amdhsa_next_free_vgpr 18
		.amdhsa_next_free_sgpr 8
		.amdhsa_accum_offset 20
		.amdhsa_reserve_vcc 1
		.amdhsa_float_round_mode_32 0
		.amdhsa_float_round_mode_16_64 0
		.amdhsa_float_denorm_mode_32 3
		.amdhsa_float_denorm_mode_16_64 3
		.amdhsa_dx10_clamp 1
		.amdhsa_ieee_mode 1
		.amdhsa_fp16_overflow 0
		.amdhsa_tg_split 0
		.amdhsa_exception_fp_ieee_invalid_op 0
		.amdhsa_exception_fp_denorm_src 0
		.amdhsa_exception_fp_ieee_div_zero 0
		.amdhsa_exception_fp_ieee_overflow 0
		.amdhsa_exception_fp_ieee_underflow 0
		.amdhsa_exception_fp_ieee_inexact 0
		.amdhsa_exception_int_div_zero 0
	.end_amdhsa_kernel
	.section	.text._ZN7rocprim17ROCPRIM_400000_NS6detail17trampoline_kernelINS0_14default_configENS1_38merge_sort_block_merge_config_selectorIfNS0_10empty_typeEEEZZNS1_27merge_sort_block_merge_implIS3_N6thrust23THRUST_200600_302600_NS6detail15normal_iteratorINS9_10device_ptrIfEEEEPS5_jNS1_19radix_merge_compareILb0ELb0EfNS0_19identity_decomposerEEEEE10hipError_tT0_T1_T2_jT3_P12ihipStream_tbPNSt15iterator_traitsISK_E10value_typeEPNSQ_ISL_E10value_typeEPSM_NS1_7vsmem_tEENKUlT_SK_SL_SM_E_clISE_PfSF_SF_EESJ_SZ_SK_SL_SM_EUlSZ_E_NS1_11comp_targetILNS1_3genE0ELNS1_11target_archE4294967295ELNS1_3gpuE0ELNS1_3repE0EEENS1_48merge_mergepath_partition_config_static_selectorELNS0_4arch9wavefront6targetE1EEEvSL_,"axG",@progbits,_ZN7rocprim17ROCPRIM_400000_NS6detail17trampoline_kernelINS0_14default_configENS1_38merge_sort_block_merge_config_selectorIfNS0_10empty_typeEEEZZNS1_27merge_sort_block_merge_implIS3_N6thrust23THRUST_200600_302600_NS6detail15normal_iteratorINS9_10device_ptrIfEEEEPS5_jNS1_19radix_merge_compareILb0ELb0EfNS0_19identity_decomposerEEEEE10hipError_tT0_T1_T2_jT3_P12ihipStream_tbPNSt15iterator_traitsISK_E10value_typeEPNSQ_ISL_E10value_typeEPSM_NS1_7vsmem_tEENKUlT_SK_SL_SM_E_clISE_PfSF_SF_EESJ_SZ_SK_SL_SM_EUlSZ_E_NS1_11comp_targetILNS1_3genE0ELNS1_11target_archE4294967295ELNS1_3gpuE0ELNS1_3repE0EEENS1_48merge_mergepath_partition_config_static_selectorELNS0_4arch9wavefront6targetE1EEEvSL_,comdat
.Lfunc_end499:
	.size	_ZN7rocprim17ROCPRIM_400000_NS6detail17trampoline_kernelINS0_14default_configENS1_38merge_sort_block_merge_config_selectorIfNS0_10empty_typeEEEZZNS1_27merge_sort_block_merge_implIS3_N6thrust23THRUST_200600_302600_NS6detail15normal_iteratorINS9_10device_ptrIfEEEEPS5_jNS1_19radix_merge_compareILb0ELb0EfNS0_19identity_decomposerEEEEE10hipError_tT0_T1_T2_jT3_P12ihipStream_tbPNSt15iterator_traitsISK_E10value_typeEPNSQ_ISL_E10value_typeEPSM_NS1_7vsmem_tEENKUlT_SK_SL_SM_E_clISE_PfSF_SF_EESJ_SZ_SK_SL_SM_EUlSZ_E_NS1_11comp_targetILNS1_3genE0ELNS1_11target_archE4294967295ELNS1_3gpuE0ELNS1_3repE0EEENS1_48merge_mergepath_partition_config_static_selectorELNS0_4arch9wavefront6targetE1EEEvSL_, .Lfunc_end499-_ZN7rocprim17ROCPRIM_400000_NS6detail17trampoline_kernelINS0_14default_configENS1_38merge_sort_block_merge_config_selectorIfNS0_10empty_typeEEEZZNS1_27merge_sort_block_merge_implIS3_N6thrust23THRUST_200600_302600_NS6detail15normal_iteratorINS9_10device_ptrIfEEEEPS5_jNS1_19radix_merge_compareILb0ELb0EfNS0_19identity_decomposerEEEEE10hipError_tT0_T1_T2_jT3_P12ihipStream_tbPNSt15iterator_traitsISK_E10value_typeEPNSQ_ISL_E10value_typeEPSM_NS1_7vsmem_tEENKUlT_SK_SL_SM_E_clISE_PfSF_SF_EESJ_SZ_SK_SL_SM_EUlSZ_E_NS1_11comp_targetILNS1_3genE0ELNS1_11target_archE4294967295ELNS1_3gpuE0ELNS1_3repE0EEENS1_48merge_mergepath_partition_config_static_selectorELNS0_4arch9wavefront6targetE1EEEvSL_
                                        ; -- End function
	.set _ZN7rocprim17ROCPRIM_400000_NS6detail17trampoline_kernelINS0_14default_configENS1_38merge_sort_block_merge_config_selectorIfNS0_10empty_typeEEEZZNS1_27merge_sort_block_merge_implIS3_N6thrust23THRUST_200600_302600_NS6detail15normal_iteratorINS9_10device_ptrIfEEEEPS5_jNS1_19radix_merge_compareILb0ELb0EfNS0_19identity_decomposerEEEEE10hipError_tT0_T1_T2_jT3_P12ihipStream_tbPNSt15iterator_traitsISK_E10value_typeEPNSQ_ISL_E10value_typeEPSM_NS1_7vsmem_tEENKUlT_SK_SL_SM_E_clISE_PfSF_SF_EESJ_SZ_SK_SL_SM_EUlSZ_E_NS1_11comp_targetILNS1_3genE0ELNS1_11target_archE4294967295ELNS1_3gpuE0ELNS1_3repE0EEENS1_48merge_mergepath_partition_config_static_selectorELNS0_4arch9wavefront6targetE1EEEvSL_.num_vgpr, 18
	.set _ZN7rocprim17ROCPRIM_400000_NS6detail17trampoline_kernelINS0_14default_configENS1_38merge_sort_block_merge_config_selectorIfNS0_10empty_typeEEEZZNS1_27merge_sort_block_merge_implIS3_N6thrust23THRUST_200600_302600_NS6detail15normal_iteratorINS9_10device_ptrIfEEEEPS5_jNS1_19radix_merge_compareILb0ELb0EfNS0_19identity_decomposerEEEEE10hipError_tT0_T1_T2_jT3_P12ihipStream_tbPNSt15iterator_traitsISK_E10value_typeEPNSQ_ISL_E10value_typeEPSM_NS1_7vsmem_tEENKUlT_SK_SL_SM_E_clISE_PfSF_SF_EESJ_SZ_SK_SL_SM_EUlSZ_E_NS1_11comp_targetILNS1_3genE0ELNS1_11target_archE4294967295ELNS1_3gpuE0ELNS1_3repE0EEENS1_48merge_mergepath_partition_config_static_selectorELNS0_4arch9wavefront6targetE1EEEvSL_.num_agpr, 0
	.set _ZN7rocprim17ROCPRIM_400000_NS6detail17trampoline_kernelINS0_14default_configENS1_38merge_sort_block_merge_config_selectorIfNS0_10empty_typeEEEZZNS1_27merge_sort_block_merge_implIS3_N6thrust23THRUST_200600_302600_NS6detail15normal_iteratorINS9_10device_ptrIfEEEEPS5_jNS1_19radix_merge_compareILb0ELb0EfNS0_19identity_decomposerEEEEE10hipError_tT0_T1_T2_jT3_P12ihipStream_tbPNSt15iterator_traitsISK_E10value_typeEPNSQ_ISL_E10value_typeEPSM_NS1_7vsmem_tEENKUlT_SK_SL_SM_E_clISE_PfSF_SF_EESJ_SZ_SK_SL_SM_EUlSZ_E_NS1_11comp_targetILNS1_3genE0ELNS1_11target_archE4294967295ELNS1_3gpuE0ELNS1_3repE0EEENS1_48merge_mergepath_partition_config_static_selectorELNS0_4arch9wavefront6targetE1EEEvSL_.numbered_sgpr, 8
	.set _ZN7rocprim17ROCPRIM_400000_NS6detail17trampoline_kernelINS0_14default_configENS1_38merge_sort_block_merge_config_selectorIfNS0_10empty_typeEEEZZNS1_27merge_sort_block_merge_implIS3_N6thrust23THRUST_200600_302600_NS6detail15normal_iteratorINS9_10device_ptrIfEEEEPS5_jNS1_19radix_merge_compareILb0ELb0EfNS0_19identity_decomposerEEEEE10hipError_tT0_T1_T2_jT3_P12ihipStream_tbPNSt15iterator_traitsISK_E10value_typeEPNSQ_ISL_E10value_typeEPSM_NS1_7vsmem_tEENKUlT_SK_SL_SM_E_clISE_PfSF_SF_EESJ_SZ_SK_SL_SM_EUlSZ_E_NS1_11comp_targetILNS1_3genE0ELNS1_11target_archE4294967295ELNS1_3gpuE0ELNS1_3repE0EEENS1_48merge_mergepath_partition_config_static_selectorELNS0_4arch9wavefront6targetE1EEEvSL_.num_named_barrier, 0
	.set _ZN7rocprim17ROCPRIM_400000_NS6detail17trampoline_kernelINS0_14default_configENS1_38merge_sort_block_merge_config_selectorIfNS0_10empty_typeEEEZZNS1_27merge_sort_block_merge_implIS3_N6thrust23THRUST_200600_302600_NS6detail15normal_iteratorINS9_10device_ptrIfEEEEPS5_jNS1_19radix_merge_compareILb0ELb0EfNS0_19identity_decomposerEEEEE10hipError_tT0_T1_T2_jT3_P12ihipStream_tbPNSt15iterator_traitsISK_E10value_typeEPNSQ_ISL_E10value_typeEPSM_NS1_7vsmem_tEENKUlT_SK_SL_SM_E_clISE_PfSF_SF_EESJ_SZ_SK_SL_SM_EUlSZ_E_NS1_11comp_targetILNS1_3genE0ELNS1_11target_archE4294967295ELNS1_3gpuE0ELNS1_3repE0EEENS1_48merge_mergepath_partition_config_static_selectorELNS0_4arch9wavefront6targetE1EEEvSL_.private_seg_size, 0
	.set _ZN7rocprim17ROCPRIM_400000_NS6detail17trampoline_kernelINS0_14default_configENS1_38merge_sort_block_merge_config_selectorIfNS0_10empty_typeEEEZZNS1_27merge_sort_block_merge_implIS3_N6thrust23THRUST_200600_302600_NS6detail15normal_iteratorINS9_10device_ptrIfEEEEPS5_jNS1_19radix_merge_compareILb0ELb0EfNS0_19identity_decomposerEEEEE10hipError_tT0_T1_T2_jT3_P12ihipStream_tbPNSt15iterator_traitsISK_E10value_typeEPNSQ_ISL_E10value_typeEPSM_NS1_7vsmem_tEENKUlT_SK_SL_SM_E_clISE_PfSF_SF_EESJ_SZ_SK_SL_SM_EUlSZ_E_NS1_11comp_targetILNS1_3genE0ELNS1_11target_archE4294967295ELNS1_3gpuE0ELNS1_3repE0EEENS1_48merge_mergepath_partition_config_static_selectorELNS0_4arch9wavefront6targetE1EEEvSL_.uses_vcc, 1
	.set _ZN7rocprim17ROCPRIM_400000_NS6detail17trampoline_kernelINS0_14default_configENS1_38merge_sort_block_merge_config_selectorIfNS0_10empty_typeEEEZZNS1_27merge_sort_block_merge_implIS3_N6thrust23THRUST_200600_302600_NS6detail15normal_iteratorINS9_10device_ptrIfEEEEPS5_jNS1_19radix_merge_compareILb0ELb0EfNS0_19identity_decomposerEEEEE10hipError_tT0_T1_T2_jT3_P12ihipStream_tbPNSt15iterator_traitsISK_E10value_typeEPNSQ_ISL_E10value_typeEPSM_NS1_7vsmem_tEENKUlT_SK_SL_SM_E_clISE_PfSF_SF_EESJ_SZ_SK_SL_SM_EUlSZ_E_NS1_11comp_targetILNS1_3genE0ELNS1_11target_archE4294967295ELNS1_3gpuE0ELNS1_3repE0EEENS1_48merge_mergepath_partition_config_static_selectorELNS0_4arch9wavefront6targetE1EEEvSL_.uses_flat_scratch, 0
	.set _ZN7rocprim17ROCPRIM_400000_NS6detail17trampoline_kernelINS0_14default_configENS1_38merge_sort_block_merge_config_selectorIfNS0_10empty_typeEEEZZNS1_27merge_sort_block_merge_implIS3_N6thrust23THRUST_200600_302600_NS6detail15normal_iteratorINS9_10device_ptrIfEEEEPS5_jNS1_19radix_merge_compareILb0ELb0EfNS0_19identity_decomposerEEEEE10hipError_tT0_T1_T2_jT3_P12ihipStream_tbPNSt15iterator_traitsISK_E10value_typeEPNSQ_ISL_E10value_typeEPSM_NS1_7vsmem_tEENKUlT_SK_SL_SM_E_clISE_PfSF_SF_EESJ_SZ_SK_SL_SM_EUlSZ_E_NS1_11comp_targetILNS1_3genE0ELNS1_11target_archE4294967295ELNS1_3gpuE0ELNS1_3repE0EEENS1_48merge_mergepath_partition_config_static_selectorELNS0_4arch9wavefront6targetE1EEEvSL_.has_dyn_sized_stack, 0
	.set _ZN7rocprim17ROCPRIM_400000_NS6detail17trampoline_kernelINS0_14default_configENS1_38merge_sort_block_merge_config_selectorIfNS0_10empty_typeEEEZZNS1_27merge_sort_block_merge_implIS3_N6thrust23THRUST_200600_302600_NS6detail15normal_iteratorINS9_10device_ptrIfEEEEPS5_jNS1_19radix_merge_compareILb0ELb0EfNS0_19identity_decomposerEEEEE10hipError_tT0_T1_T2_jT3_P12ihipStream_tbPNSt15iterator_traitsISK_E10value_typeEPNSQ_ISL_E10value_typeEPSM_NS1_7vsmem_tEENKUlT_SK_SL_SM_E_clISE_PfSF_SF_EESJ_SZ_SK_SL_SM_EUlSZ_E_NS1_11comp_targetILNS1_3genE0ELNS1_11target_archE4294967295ELNS1_3gpuE0ELNS1_3repE0EEENS1_48merge_mergepath_partition_config_static_selectorELNS0_4arch9wavefront6targetE1EEEvSL_.has_recursion, 0
	.set _ZN7rocprim17ROCPRIM_400000_NS6detail17trampoline_kernelINS0_14default_configENS1_38merge_sort_block_merge_config_selectorIfNS0_10empty_typeEEEZZNS1_27merge_sort_block_merge_implIS3_N6thrust23THRUST_200600_302600_NS6detail15normal_iteratorINS9_10device_ptrIfEEEEPS5_jNS1_19radix_merge_compareILb0ELb0EfNS0_19identity_decomposerEEEEE10hipError_tT0_T1_T2_jT3_P12ihipStream_tbPNSt15iterator_traitsISK_E10value_typeEPNSQ_ISL_E10value_typeEPSM_NS1_7vsmem_tEENKUlT_SK_SL_SM_E_clISE_PfSF_SF_EESJ_SZ_SK_SL_SM_EUlSZ_E_NS1_11comp_targetILNS1_3genE0ELNS1_11target_archE4294967295ELNS1_3gpuE0ELNS1_3repE0EEENS1_48merge_mergepath_partition_config_static_selectorELNS0_4arch9wavefront6targetE1EEEvSL_.has_indirect_call, 0
	.section	.AMDGPU.csdata,"",@progbits
; Kernel info:
; codeLenInByte = 360
; TotalNumSgprs: 14
; NumVgprs: 18
; NumAgprs: 0
; TotalNumVgprs: 18
; ScratchSize: 0
; MemoryBound: 0
; FloatMode: 240
; IeeeMode: 1
; LDSByteSize: 0 bytes/workgroup (compile time only)
; SGPRBlocks: 1
; VGPRBlocks: 2
; NumSGPRsForWavesPerEU: 14
; NumVGPRsForWavesPerEU: 18
; AccumOffset: 20
; Occupancy: 8
; WaveLimiterHint : 0
; COMPUTE_PGM_RSRC2:SCRATCH_EN: 0
; COMPUTE_PGM_RSRC2:USER_SGPR: 2
; COMPUTE_PGM_RSRC2:TRAP_HANDLER: 0
; COMPUTE_PGM_RSRC2:TGID_X_EN: 1
; COMPUTE_PGM_RSRC2:TGID_Y_EN: 0
; COMPUTE_PGM_RSRC2:TGID_Z_EN: 0
; COMPUTE_PGM_RSRC2:TIDIG_COMP_CNT: 0
; COMPUTE_PGM_RSRC3_GFX90A:ACCUM_OFFSET: 4
; COMPUTE_PGM_RSRC3_GFX90A:TG_SPLIT: 0
	.section	.text._ZN7rocprim17ROCPRIM_400000_NS6detail17trampoline_kernelINS0_14default_configENS1_38merge_sort_block_merge_config_selectorIfNS0_10empty_typeEEEZZNS1_27merge_sort_block_merge_implIS3_N6thrust23THRUST_200600_302600_NS6detail15normal_iteratorINS9_10device_ptrIfEEEEPS5_jNS1_19radix_merge_compareILb0ELb0EfNS0_19identity_decomposerEEEEE10hipError_tT0_T1_T2_jT3_P12ihipStream_tbPNSt15iterator_traitsISK_E10value_typeEPNSQ_ISL_E10value_typeEPSM_NS1_7vsmem_tEENKUlT_SK_SL_SM_E_clISE_PfSF_SF_EESJ_SZ_SK_SL_SM_EUlSZ_E_NS1_11comp_targetILNS1_3genE10ELNS1_11target_archE1201ELNS1_3gpuE5ELNS1_3repE0EEENS1_48merge_mergepath_partition_config_static_selectorELNS0_4arch9wavefront6targetE1EEEvSL_,"axG",@progbits,_ZN7rocprim17ROCPRIM_400000_NS6detail17trampoline_kernelINS0_14default_configENS1_38merge_sort_block_merge_config_selectorIfNS0_10empty_typeEEEZZNS1_27merge_sort_block_merge_implIS3_N6thrust23THRUST_200600_302600_NS6detail15normal_iteratorINS9_10device_ptrIfEEEEPS5_jNS1_19radix_merge_compareILb0ELb0EfNS0_19identity_decomposerEEEEE10hipError_tT0_T1_T2_jT3_P12ihipStream_tbPNSt15iterator_traitsISK_E10value_typeEPNSQ_ISL_E10value_typeEPSM_NS1_7vsmem_tEENKUlT_SK_SL_SM_E_clISE_PfSF_SF_EESJ_SZ_SK_SL_SM_EUlSZ_E_NS1_11comp_targetILNS1_3genE10ELNS1_11target_archE1201ELNS1_3gpuE5ELNS1_3repE0EEENS1_48merge_mergepath_partition_config_static_selectorELNS0_4arch9wavefront6targetE1EEEvSL_,comdat
	.protected	_ZN7rocprim17ROCPRIM_400000_NS6detail17trampoline_kernelINS0_14default_configENS1_38merge_sort_block_merge_config_selectorIfNS0_10empty_typeEEEZZNS1_27merge_sort_block_merge_implIS3_N6thrust23THRUST_200600_302600_NS6detail15normal_iteratorINS9_10device_ptrIfEEEEPS5_jNS1_19radix_merge_compareILb0ELb0EfNS0_19identity_decomposerEEEEE10hipError_tT0_T1_T2_jT3_P12ihipStream_tbPNSt15iterator_traitsISK_E10value_typeEPNSQ_ISL_E10value_typeEPSM_NS1_7vsmem_tEENKUlT_SK_SL_SM_E_clISE_PfSF_SF_EESJ_SZ_SK_SL_SM_EUlSZ_E_NS1_11comp_targetILNS1_3genE10ELNS1_11target_archE1201ELNS1_3gpuE5ELNS1_3repE0EEENS1_48merge_mergepath_partition_config_static_selectorELNS0_4arch9wavefront6targetE1EEEvSL_ ; -- Begin function _ZN7rocprim17ROCPRIM_400000_NS6detail17trampoline_kernelINS0_14default_configENS1_38merge_sort_block_merge_config_selectorIfNS0_10empty_typeEEEZZNS1_27merge_sort_block_merge_implIS3_N6thrust23THRUST_200600_302600_NS6detail15normal_iteratorINS9_10device_ptrIfEEEEPS5_jNS1_19radix_merge_compareILb0ELb0EfNS0_19identity_decomposerEEEEE10hipError_tT0_T1_T2_jT3_P12ihipStream_tbPNSt15iterator_traitsISK_E10value_typeEPNSQ_ISL_E10value_typeEPSM_NS1_7vsmem_tEENKUlT_SK_SL_SM_E_clISE_PfSF_SF_EESJ_SZ_SK_SL_SM_EUlSZ_E_NS1_11comp_targetILNS1_3genE10ELNS1_11target_archE1201ELNS1_3gpuE5ELNS1_3repE0EEENS1_48merge_mergepath_partition_config_static_selectorELNS0_4arch9wavefront6targetE1EEEvSL_
	.globl	_ZN7rocprim17ROCPRIM_400000_NS6detail17trampoline_kernelINS0_14default_configENS1_38merge_sort_block_merge_config_selectorIfNS0_10empty_typeEEEZZNS1_27merge_sort_block_merge_implIS3_N6thrust23THRUST_200600_302600_NS6detail15normal_iteratorINS9_10device_ptrIfEEEEPS5_jNS1_19radix_merge_compareILb0ELb0EfNS0_19identity_decomposerEEEEE10hipError_tT0_T1_T2_jT3_P12ihipStream_tbPNSt15iterator_traitsISK_E10value_typeEPNSQ_ISL_E10value_typeEPSM_NS1_7vsmem_tEENKUlT_SK_SL_SM_E_clISE_PfSF_SF_EESJ_SZ_SK_SL_SM_EUlSZ_E_NS1_11comp_targetILNS1_3genE10ELNS1_11target_archE1201ELNS1_3gpuE5ELNS1_3repE0EEENS1_48merge_mergepath_partition_config_static_selectorELNS0_4arch9wavefront6targetE1EEEvSL_
	.p2align	8
	.type	_ZN7rocprim17ROCPRIM_400000_NS6detail17trampoline_kernelINS0_14default_configENS1_38merge_sort_block_merge_config_selectorIfNS0_10empty_typeEEEZZNS1_27merge_sort_block_merge_implIS3_N6thrust23THRUST_200600_302600_NS6detail15normal_iteratorINS9_10device_ptrIfEEEEPS5_jNS1_19radix_merge_compareILb0ELb0EfNS0_19identity_decomposerEEEEE10hipError_tT0_T1_T2_jT3_P12ihipStream_tbPNSt15iterator_traitsISK_E10value_typeEPNSQ_ISL_E10value_typeEPSM_NS1_7vsmem_tEENKUlT_SK_SL_SM_E_clISE_PfSF_SF_EESJ_SZ_SK_SL_SM_EUlSZ_E_NS1_11comp_targetILNS1_3genE10ELNS1_11target_archE1201ELNS1_3gpuE5ELNS1_3repE0EEENS1_48merge_mergepath_partition_config_static_selectorELNS0_4arch9wavefront6targetE1EEEvSL_,@function
_ZN7rocprim17ROCPRIM_400000_NS6detail17trampoline_kernelINS0_14default_configENS1_38merge_sort_block_merge_config_selectorIfNS0_10empty_typeEEEZZNS1_27merge_sort_block_merge_implIS3_N6thrust23THRUST_200600_302600_NS6detail15normal_iteratorINS9_10device_ptrIfEEEEPS5_jNS1_19radix_merge_compareILb0ELb0EfNS0_19identity_decomposerEEEEE10hipError_tT0_T1_T2_jT3_P12ihipStream_tbPNSt15iterator_traitsISK_E10value_typeEPNSQ_ISL_E10value_typeEPSM_NS1_7vsmem_tEENKUlT_SK_SL_SM_E_clISE_PfSF_SF_EESJ_SZ_SK_SL_SM_EUlSZ_E_NS1_11comp_targetILNS1_3genE10ELNS1_11target_archE1201ELNS1_3gpuE5ELNS1_3repE0EEENS1_48merge_mergepath_partition_config_static_selectorELNS0_4arch9wavefront6targetE1EEEvSL_: ; @_ZN7rocprim17ROCPRIM_400000_NS6detail17trampoline_kernelINS0_14default_configENS1_38merge_sort_block_merge_config_selectorIfNS0_10empty_typeEEEZZNS1_27merge_sort_block_merge_implIS3_N6thrust23THRUST_200600_302600_NS6detail15normal_iteratorINS9_10device_ptrIfEEEEPS5_jNS1_19radix_merge_compareILb0ELb0EfNS0_19identity_decomposerEEEEE10hipError_tT0_T1_T2_jT3_P12ihipStream_tbPNSt15iterator_traitsISK_E10value_typeEPNSQ_ISL_E10value_typeEPSM_NS1_7vsmem_tEENKUlT_SK_SL_SM_E_clISE_PfSF_SF_EESJ_SZ_SK_SL_SM_EUlSZ_E_NS1_11comp_targetILNS1_3genE10ELNS1_11target_archE1201ELNS1_3gpuE5ELNS1_3repE0EEENS1_48merge_mergepath_partition_config_static_selectorELNS0_4arch9wavefront6targetE1EEEvSL_
; %bb.0:
	.section	.rodata,"a",@progbits
	.p2align	6, 0x0
	.amdhsa_kernel _ZN7rocprim17ROCPRIM_400000_NS6detail17trampoline_kernelINS0_14default_configENS1_38merge_sort_block_merge_config_selectorIfNS0_10empty_typeEEEZZNS1_27merge_sort_block_merge_implIS3_N6thrust23THRUST_200600_302600_NS6detail15normal_iteratorINS9_10device_ptrIfEEEEPS5_jNS1_19radix_merge_compareILb0ELb0EfNS0_19identity_decomposerEEEEE10hipError_tT0_T1_T2_jT3_P12ihipStream_tbPNSt15iterator_traitsISK_E10value_typeEPNSQ_ISL_E10value_typeEPSM_NS1_7vsmem_tEENKUlT_SK_SL_SM_E_clISE_PfSF_SF_EESJ_SZ_SK_SL_SM_EUlSZ_E_NS1_11comp_targetILNS1_3genE10ELNS1_11target_archE1201ELNS1_3gpuE5ELNS1_3repE0EEENS1_48merge_mergepath_partition_config_static_selectorELNS0_4arch9wavefront6targetE1EEEvSL_
		.amdhsa_group_segment_fixed_size 0
		.amdhsa_private_segment_fixed_size 0
		.amdhsa_kernarg_size 40
		.amdhsa_user_sgpr_count 2
		.amdhsa_user_sgpr_dispatch_ptr 0
		.amdhsa_user_sgpr_queue_ptr 0
		.amdhsa_user_sgpr_kernarg_segment_ptr 1
		.amdhsa_user_sgpr_dispatch_id 0
		.amdhsa_user_sgpr_kernarg_preload_length 0
		.amdhsa_user_sgpr_kernarg_preload_offset 0
		.amdhsa_user_sgpr_private_segment_size 0
		.amdhsa_uses_dynamic_stack 0
		.amdhsa_enable_private_segment 0
		.amdhsa_system_sgpr_workgroup_id_x 1
		.amdhsa_system_sgpr_workgroup_id_y 0
		.amdhsa_system_sgpr_workgroup_id_z 0
		.amdhsa_system_sgpr_workgroup_info 0
		.amdhsa_system_vgpr_workitem_id 0
		.amdhsa_next_free_vgpr 1
		.amdhsa_next_free_sgpr 0
		.amdhsa_accum_offset 4
		.amdhsa_reserve_vcc 0
		.amdhsa_float_round_mode_32 0
		.amdhsa_float_round_mode_16_64 0
		.amdhsa_float_denorm_mode_32 3
		.amdhsa_float_denorm_mode_16_64 3
		.amdhsa_dx10_clamp 1
		.amdhsa_ieee_mode 1
		.amdhsa_fp16_overflow 0
		.amdhsa_tg_split 0
		.amdhsa_exception_fp_ieee_invalid_op 0
		.amdhsa_exception_fp_denorm_src 0
		.amdhsa_exception_fp_ieee_div_zero 0
		.amdhsa_exception_fp_ieee_overflow 0
		.amdhsa_exception_fp_ieee_underflow 0
		.amdhsa_exception_fp_ieee_inexact 0
		.amdhsa_exception_int_div_zero 0
	.end_amdhsa_kernel
	.section	.text._ZN7rocprim17ROCPRIM_400000_NS6detail17trampoline_kernelINS0_14default_configENS1_38merge_sort_block_merge_config_selectorIfNS0_10empty_typeEEEZZNS1_27merge_sort_block_merge_implIS3_N6thrust23THRUST_200600_302600_NS6detail15normal_iteratorINS9_10device_ptrIfEEEEPS5_jNS1_19radix_merge_compareILb0ELb0EfNS0_19identity_decomposerEEEEE10hipError_tT0_T1_T2_jT3_P12ihipStream_tbPNSt15iterator_traitsISK_E10value_typeEPNSQ_ISL_E10value_typeEPSM_NS1_7vsmem_tEENKUlT_SK_SL_SM_E_clISE_PfSF_SF_EESJ_SZ_SK_SL_SM_EUlSZ_E_NS1_11comp_targetILNS1_3genE10ELNS1_11target_archE1201ELNS1_3gpuE5ELNS1_3repE0EEENS1_48merge_mergepath_partition_config_static_selectorELNS0_4arch9wavefront6targetE1EEEvSL_,"axG",@progbits,_ZN7rocprim17ROCPRIM_400000_NS6detail17trampoline_kernelINS0_14default_configENS1_38merge_sort_block_merge_config_selectorIfNS0_10empty_typeEEEZZNS1_27merge_sort_block_merge_implIS3_N6thrust23THRUST_200600_302600_NS6detail15normal_iteratorINS9_10device_ptrIfEEEEPS5_jNS1_19radix_merge_compareILb0ELb0EfNS0_19identity_decomposerEEEEE10hipError_tT0_T1_T2_jT3_P12ihipStream_tbPNSt15iterator_traitsISK_E10value_typeEPNSQ_ISL_E10value_typeEPSM_NS1_7vsmem_tEENKUlT_SK_SL_SM_E_clISE_PfSF_SF_EESJ_SZ_SK_SL_SM_EUlSZ_E_NS1_11comp_targetILNS1_3genE10ELNS1_11target_archE1201ELNS1_3gpuE5ELNS1_3repE0EEENS1_48merge_mergepath_partition_config_static_selectorELNS0_4arch9wavefront6targetE1EEEvSL_,comdat
.Lfunc_end500:
	.size	_ZN7rocprim17ROCPRIM_400000_NS6detail17trampoline_kernelINS0_14default_configENS1_38merge_sort_block_merge_config_selectorIfNS0_10empty_typeEEEZZNS1_27merge_sort_block_merge_implIS3_N6thrust23THRUST_200600_302600_NS6detail15normal_iteratorINS9_10device_ptrIfEEEEPS5_jNS1_19radix_merge_compareILb0ELb0EfNS0_19identity_decomposerEEEEE10hipError_tT0_T1_T2_jT3_P12ihipStream_tbPNSt15iterator_traitsISK_E10value_typeEPNSQ_ISL_E10value_typeEPSM_NS1_7vsmem_tEENKUlT_SK_SL_SM_E_clISE_PfSF_SF_EESJ_SZ_SK_SL_SM_EUlSZ_E_NS1_11comp_targetILNS1_3genE10ELNS1_11target_archE1201ELNS1_3gpuE5ELNS1_3repE0EEENS1_48merge_mergepath_partition_config_static_selectorELNS0_4arch9wavefront6targetE1EEEvSL_, .Lfunc_end500-_ZN7rocprim17ROCPRIM_400000_NS6detail17trampoline_kernelINS0_14default_configENS1_38merge_sort_block_merge_config_selectorIfNS0_10empty_typeEEEZZNS1_27merge_sort_block_merge_implIS3_N6thrust23THRUST_200600_302600_NS6detail15normal_iteratorINS9_10device_ptrIfEEEEPS5_jNS1_19radix_merge_compareILb0ELb0EfNS0_19identity_decomposerEEEEE10hipError_tT0_T1_T2_jT3_P12ihipStream_tbPNSt15iterator_traitsISK_E10value_typeEPNSQ_ISL_E10value_typeEPSM_NS1_7vsmem_tEENKUlT_SK_SL_SM_E_clISE_PfSF_SF_EESJ_SZ_SK_SL_SM_EUlSZ_E_NS1_11comp_targetILNS1_3genE10ELNS1_11target_archE1201ELNS1_3gpuE5ELNS1_3repE0EEENS1_48merge_mergepath_partition_config_static_selectorELNS0_4arch9wavefront6targetE1EEEvSL_
                                        ; -- End function
	.set _ZN7rocprim17ROCPRIM_400000_NS6detail17trampoline_kernelINS0_14default_configENS1_38merge_sort_block_merge_config_selectorIfNS0_10empty_typeEEEZZNS1_27merge_sort_block_merge_implIS3_N6thrust23THRUST_200600_302600_NS6detail15normal_iteratorINS9_10device_ptrIfEEEEPS5_jNS1_19radix_merge_compareILb0ELb0EfNS0_19identity_decomposerEEEEE10hipError_tT0_T1_T2_jT3_P12ihipStream_tbPNSt15iterator_traitsISK_E10value_typeEPNSQ_ISL_E10value_typeEPSM_NS1_7vsmem_tEENKUlT_SK_SL_SM_E_clISE_PfSF_SF_EESJ_SZ_SK_SL_SM_EUlSZ_E_NS1_11comp_targetILNS1_3genE10ELNS1_11target_archE1201ELNS1_3gpuE5ELNS1_3repE0EEENS1_48merge_mergepath_partition_config_static_selectorELNS0_4arch9wavefront6targetE1EEEvSL_.num_vgpr, 0
	.set _ZN7rocprim17ROCPRIM_400000_NS6detail17trampoline_kernelINS0_14default_configENS1_38merge_sort_block_merge_config_selectorIfNS0_10empty_typeEEEZZNS1_27merge_sort_block_merge_implIS3_N6thrust23THRUST_200600_302600_NS6detail15normal_iteratorINS9_10device_ptrIfEEEEPS5_jNS1_19radix_merge_compareILb0ELb0EfNS0_19identity_decomposerEEEEE10hipError_tT0_T1_T2_jT3_P12ihipStream_tbPNSt15iterator_traitsISK_E10value_typeEPNSQ_ISL_E10value_typeEPSM_NS1_7vsmem_tEENKUlT_SK_SL_SM_E_clISE_PfSF_SF_EESJ_SZ_SK_SL_SM_EUlSZ_E_NS1_11comp_targetILNS1_3genE10ELNS1_11target_archE1201ELNS1_3gpuE5ELNS1_3repE0EEENS1_48merge_mergepath_partition_config_static_selectorELNS0_4arch9wavefront6targetE1EEEvSL_.num_agpr, 0
	.set _ZN7rocprim17ROCPRIM_400000_NS6detail17trampoline_kernelINS0_14default_configENS1_38merge_sort_block_merge_config_selectorIfNS0_10empty_typeEEEZZNS1_27merge_sort_block_merge_implIS3_N6thrust23THRUST_200600_302600_NS6detail15normal_iteratorINS9_10device_ptrIfEEEEPS5_jNS1_19radix_merge_compareILb0ELb0EfNS0_19identity_decomposerEEEEE10hipError_tT0_T1_T2_jT3_P12ihipStream_tbPNSt15iterator_traitsISK_E10value_typeEPNSQ_ISL_E10value_typeEPSM_NS1_7vsmem_tEENKUlT_SK_SL_SM_E_clISE_PfSF_SF_EESJ_SZ_SK_SL_SM_EUlSZ_E_NS1_11comp_targetILNS1_3genE10ELNS1_11target_archE1201ELNS1_3gpuE5ELNS1_3repE0EEENS1_48merge_mergepath_partition_config_static_selectorELNS0_4arch9wavefront6targetE1EEEvSL_.numbered_sgpr, 0
	.set _ZN7rocprim17ROCPRIM_400000_NS6detail17trampoline_kernelINS0_14default_configENS1_38merge_sort_block_merge_config_selectorIfNS0_10empty_typeEEEZZNS1_27merge_sort_block_merge_implIS3_N6thrust23THRUST_200600_302600_NS6detail15normal_iteratorINS9_10device_ptrIfEEEEPS5_jNS1_19radix_merge_compareILb0ELb0EfNS0_19identity_decomposerEEEEE10hipError_tT0_T1_T2_jT3_P12ihipStream_tbPNSt15iterator_traitsISK_E10value_typeEPNSQ_ISL_E10value_typeEPSM_NS1_7vsmem_tEENKUlT_SK_SL_SM_E_clISE_PfSF_SF_EESJ_SZ_SK_SL_SM_EUlSZ_E_NS1_11comp_targetILNS1_3genE10ELNS1_11target_archE1201ELNS1_3gpuE5ELNS1_3repE0EEENS1_48merge_mergepath_partition_config_static_selectorELNS0_4arch9wavefront6targetE1EEEvSL_.num_named_barrier, 0
	.set _ZN7rocprim17ROCPRIM_400000_NS6detail17trampoline_kernelINS0_14default_configENS1_38merge_sort_block_merge_config_selectorIfNS0_10empty_typeEEEZZNS1_27merge_sort_block_merge_implIS3_N6thrust23THRUST_200600_302600_NS6detail15normal_iteratorINS9_10device_ptrIfEEEEPS5_jNS1_19radix_merge_compareILb0ELb0EfNS0_19identity_decomposerEEEEE10hipError_tT0_T1_T2_jT3_P12ihipStream_tbPNSt15iterator_traitsISK_E10value_typeEPNSQ_ISL_E10value_typeEPSM_NS1_7vsmem_tEENKUlT_SK_SL_SM_E_clISE_PfSF_SF_EESJ_SZ_SK_SL_SM_EUlSZ_E_NS1_11comp_targetILNS1_3genE10ELNS1_11target_archE1201ELNS1_3gpuE5ELNS1_3repE0EEENS1_48merge_mergepath_partition_config_static_selectorELNS0_4arch9wavefront6targetE1EEEvSL_.private_seg_size, 0
	.set _ZN7rocprim17ROCPRIM_400000_NS6detail17trampoline_kernelINS0_14default_configENS1_38merge_sort_block_merge_config_selectorIfNS0_10empty_typeEEEZZNS1_27merge_sort_block_merge_implIS3_N6thrust23THRUST_200600_302600_NS6detail15normal_iteratorINS9_10device_ptrIfEEEEPS5_jNS1_19radix_merge_compareILb0ELb0EfNS0_19identity_decomposerEEEEE10hipError_tT0_T1_T2_jT3_P12ihipStream_tbPNSt15iterator_traitsISK_E10value_typeEPNSQ_ISL_E10value_typeEPSM_NS1_7vsmem_tEENKUlT_SK_SL_SM_E_clISE_PfSF_SF_EESJ_SZ_SK_SL_SM_EUlSZ_E_NS1_11comp_targetILNS1_3genE10ELNS1_11target_archE1201ELNS1_3gpuE5ELNS1_3repE0EEENS1_48merge_mergepath_partition_config_static_selectorELNS0_4arch9wavefront6targetE1EEEvSL_.uses_vcc, 0
	.set _ZN7rocprim17ROCPRIM_400000_NS6detail17trampoline_kernelINS0_14default_configENS1_38merge_sort_block_merge_config_selectorIfNS0_10empty_typeEEEZZNS1_27merge_sort_block_merge_implIS3_N6thrust23THRUST_200600_302600_NS6detail15normal_iteratorINS9_10device_ptrIfEEEEPS5_jNS1_19radix_merge_compareILb0ELb0EfNS0_19identity_decomposerEEEEE10hipError_tT0_T1_T2_jT3_P12ihipStream_tbPNSt15iterator_traitsISK_E10value_typeEPNSQ_ISL_E10value_typeEPSM_NS1_7vsmem_tEENKUlT_SK_SL_SM_E_clISE_PfSF_SF_EESJ_SZ_SK_SL_SM_EUlSZ_E_NS1_11comp_targetILNS1_3genE10ELNS1_11target_archE1201ELNS1_3gpuE5ELNS1_3repE0EEENS1_48merge_mergepath_partition_config_static_selectorELNS0_4arch9wavefront6targetE1EEEvSL_.uses_flat_scratch, 0
	.set _ZN7rocprim17ROCPRIM_400000_NS6detail17trampoline_kernelINS0_14default_configENS1_38merge_sort_block_merge_config_selectorIfNS0_10empty_typeEEEZZNS1_27merge_sort_block_merge_implIS3_N6thrust23THRUST_200600_302600_NS6detail15normal_iteratorINS9_10device_ptrIfEEEEPS5_jNS1_19radix_merge_compareILb0ELb0EfNS0_19identity_decomposerEEEEE10hipError_tT0_T1_T2_jT3_P12ihipStream_tbPNSt15iterator_traitsISK_E10value_typeEPNSQ_ISL_E10value_typeEPSM_NS1_7vsmem_tEENKUlT_SK_SL_SM_E_clISE_PfSF_SF_EESJ_SZ_SK_SL_SM_EUlSZ_E_NS1_11comp_targetILNS1_3genE10ELNS1_11target_archE1201ELNS1_3gpuE5ELNS1_3repE0EEENS1_48merge_mergepath_partition_config_static_selectorELNS0_4arch9wavefront6targetE1EEEvSL_.has_dyn_sized_stack, 0
	.set _ZN7rocprim17ROCPRIM_400000_NS6detail17trampoline_kernelINS0_14default_configENS1_38merge_sort_block_merge_config_selectorIfNS0_10empty_typeEEEZZNS1_27merge_sort_block_merge_implIS3_N6thrust23THRUST_200600_302600_NS6detail15normal_iteratorINS9_10device_ptrIfEEEEPS5_jNS1_19radix_merge_compareILb0ELb0EfNS0_19identity_decomposerEEEEE10hipError_tT0_T1_T2_jT3_P12ihipStream_tbPNSt15iterator_traitsISK_E10value_typeEPNSQ_ISL_E10value_typeEPSM_NS1_7vsmem_tEENKUlT_SK_SL_SM_E_clISE_PfSF_SF_EESJ_SZ_SK_SL_SM_EUlSZ_E_NS1_11comp_targetILNS1_3genE10ELNS1_11target_archE1201ELNS1_3gpuE5ELNS1_3repE0EEENS1_48merge_mergepath_partition_config_static_selectorELNS0_4arch9wavefront6targetE1EEEvSL_.has_recursion, 0
	.set _ZN7rocprim17ROCPRIM_400000_NS6detail17trampoline_kernelINS0_14default_configENS1_38merge_sort_block_merge_config_selectorIfNS0_10empty_typeEEEZZNS1_27merge_sort_block_merge_implIS3_N6thrust23THRUST_200600_302600_NS6detail15normal_iteratorINS9_10device_ptrIfEEEEPS5_jNS1_19radix_merge_compareILb0ELb0EfNS0_19identity_decomposerEEEEE10hipError_tT0_T1_T2_jT3_P12ihipStream_tbPNSt15iterator_traitsISK_E10value_typeEPNSQ_ISL_E10value_typeEPSM_NS1_7vsmem_tEENKUlT_SK_SL_SM_E_clISE_PfSF_SF_EESJ_SZ_SK_SL_SM_EUlSZ_E_NS1_11comp_targetILNS1_3genE10ELNS1_11target_archE1201ELNS1_3gpuE5ELNS1_3repE0EEENS1_48merge_mergepath_partition_config_static_selectorELNS0_4arch9wavefront6targetE1EEEvSL_.has_indirect_call, 0
	.section	.AMDGPU.csdata,"",@progbits
; Kernel info:
; codeLenInByte = 0
; TotalNumSgprs: 6
; NumVgprs: 0
; NumAgprs: 0
; TotalNumVgprs: 0
; ScratchSize: 0
; MemoryBound: 0
; FloatMode: 240
; IeeeMode: 1
; LDSByteSize: 0 bytes/workgroup (compile time only)
; SGPRBlocks: 0
; VGPRBlocks: 0
; NumSGPRsForWavesPerEU: 6
; NumVGPRsForWavesPerEU: 1
; AccumOffset: 4
; Occupancy: 8
; WaveLimiterHint : 0
; COMPUTE_PGM_RSRC2:SCRATCH_EN: 0
; COMPUTE_PGM_RSRC2:USER_SGPR: 2
; COMPUTE_PGM_RSRC2:TRAP_HANDLER: 0
; COMPUTE_PGM_RSRC2:TGID_X_EN: 1
; COMPUTE_PGM_RSRC2:TGID_Y_EN: 0
; COMPUTE_PGM_RSRC2:TGID_Z_EN: 0
; COMPUTE_PGM_RSRC2:TIDIG_COMP_CNT: 0
; COMPUTE_PGM_RSRC3_GFX90A:ACCUM_OFFSET: 0
; COMPUTE_PGM_RSRC3_GFX90A:TG_SPLIT: 0
	.section	.text._ZN7rocprim17ROCPRIM_400000_NS6detail17trampoline_kernelINS0_14default_configENS1_38merge_sort_block_merge_config_selectorIfNS0_10empty_typeEEEZZNS1_27merge_sort_block_merge_implIS3_N6thrust23THRUST_200600_302600_NS6detail15normal_iteratorINS9_10device_ptrIfEEEEPS5_jNS1_19radix_merge_compareILb0ELb0EfNS0_19identity_decomposerEEEEE10hipError_tT0_T1_T2_jT3_P12ihipStream_tbPNSt15iterator_traitsISK_E10value_typeEPNSQ_ISL_E10value_typeEPSM_NS1_7vsmem_tEENKUlT_SK_SL_SM_E_clISE_PfSF_SF_EESJ_SZ_SK_SL_SM_EUlSZ_E_NS1_11comp_targetILNS1_3genE5ELNS1_11target_archE942ELNS1_3gpuE9ELNS1_3repE0EEENS1_48merge_mergepath_partition_config_static_selectorELNS0_4arch9wavefront6targetE1EEEvSL_,"axG",@progbits,_ZN7rocprim17ROCPRIM_400000_NS6detail17trampoline_kernelINS0_14default_configENS1_38merge_sort_block_merge_config_selectorIfNS0_10empty_typeEEEZZNS1_27merge_sort_block_merge_implIS3_N6thrust23THRUST_200600_302600_NS6detail15normal_iteratorINS9_10device_ptrIfEEEEPS5_jNS1_19radix_merge_compareILb0ELb0EfNS0_19identity_decomposerEEEEE10hipError_tT0_T1_T2_jT3_P12ihipStream_tbPNSt15iterator_traitsISK_E10value_typeEPNSQ_ISL_E10value_typeEPSM_NS1_7vsmem_tEENKUlT_SK_SL_SM_E_clISE_PfSF_SF_EESJ_SZ_SK_SL_SM_EUlSZ_E_NS1_11comp_targetILNS1_3genE5ELNS1_11target_archE942ELNS1_3gpuE9ELNS1_3repE0EEENS1_48merge_mergepath_partition_config_static_selectorELNS0_4arch9wavefront6targetE1EEEvSL_,comdat
	.protected	_ZN7rocprim17ROCPRIM_400000_NS6detail17trampoline_kernelINS0_14default_configENS1_38merge_sort_block_merge_config_selectorIfNS0_10empty_typeEEEZZNS1_27merge_sort_block_merge_implIS3_N6thrust23THRUST_200600_302600_NS6detail15normal_iteratorINS9_10device_ptrIfEEEEPS5_jNS1_19radix_merge_compareILb0ELb0EfNS0_19identity_decomposerEEEEE10hipError_tT0_T1_T2_jT3_P12ihipStream_tbPNSt15iterator_traitsISK_E10value_typeEPNSQ_ISL_E10value_typeEPSM_NS1_7vsmem_tEENKUlT_SK_SL_SM_E_clISE_PfSF_SF_EESJ_SZ_SK_SL_SM_EUlSZ_E_NS1_11comp_targetILNS1_3genE5ELNS1_11target_archE942ELNS1_3gpuE9ELNS1_3repE0EEENS1_48merge_mergepath_partition_config_static_selectorELNS0_4arch9wavefront6targetE1EEEvSL_ ; -- Begin function _ZN7rocprim17ROCPRIM_400000_NS6detail17trampoline_kernelINS0_14default_configENS1_38merge_sort_block_merge_config_selectorIfNS0_10empty_typeEEEZZNS1_27merge_sort_block_merge_implIS3_N6thrust23THRUST_200600_302600_NS6detail15normal_iteratorINS9_10device_ptrIfEEEEPS5_jNS1_19radix_merge_compareILb0ELb0EfNS0_19identity_decomposerEEEEE10hipError_tT0_T1_T2_jT3_P12ihipStream_tbPNSt15iterator_traitsISK_E10value_typeEPNSQ_ISL_E10value_typeEPSM_NS1_7vsmem_tEENKUlT_SK_SL_SM_E_clISE_PfSF_SF_EESJ_SZ_SK_SL_SM_EUlSZ_E_NS1_11comp_targetILNS1_3genE5ELNS1_11target_archE942ELNS1_3gpuE9ELNS1_3repE0EEENS1_48merge_mergepath_partition_config_static_selectorELNS0_4arch9wavefront6targetE1EEEvSL_
	.globl	_ZN7rocprim17ROCPRIM_400000_NS6detail17trampoline_kernelINS0_14default_configENS1_38merge_sort_block_merge_config_selectorIfNS0_10empty_typeEEEZZNS1_27merge_sort_block_merge_implIS3_N6thrust23THRUST_200600_302600_NS6detail15normal_iteratorINS9_10device_ptrIfEEEEPS5_jNS1_19radix_merge_compareILb0ELb0EfNS0_19identity_decomposerEEEEE10hipError_tT0_T1_T2_jT3_P12ihipStream_tbPNSt15iterator_traitsISK_E10value_typeEPNSQ_ISL_E10value_typeEPSM_NS1_7vsmem_tEENKUlT_SK_SL_SM_E_clISE_PfSF_SF_EESJ_SZ_SK_SL_SM_EUlSZ_E_NS1_11comp_targetILNS1_3genE5ELNS1_11target_archE942ELNS1_3gpuE9ELNS1_3repE0EEENS1_48merge_mergepath_partition_config_static_selectorELNS0_4arch9wavefront6targetE1EEEvSL_
	.p2align	8
	.type	_ZN7rocprim17ROCPRIM_400000_NS6detail17trampoline_kernelINS0_14default_configENS1_38merge_sort_block_merge_config_selectorIfNS0_10empty_typeEEEZZNS1_27merge_sort_block_merge_implIS3_N6thrust23THRUST_200600_302600_NS6detail15normal_iteratorINS9_10device_ptrIfEEEEPS5_jNS1_19radix_merge_compareILb0ELb0EfNS0_19identity_decomposerEEEEE10hipError_tT0_T1_T2_jT3_P12ihipStream_tbPNSt15iterator_traitsISK_E10value_typeEPNSQ_ISL_E10value_typeEPSM_NS1_7vsmem_tEENKUlT_SK_SL_SM_E_clISE_PfSF_SF_EESJ_SZ_SK_SL_SM_EUlSZ_E_NS1_11comp_targetILNS1_3genE5ELNS1_11target_archE942ELNS1_3gpuE9ELNS1_3repE0EEENS1_48merge_mergepath_partition_config_static_selectorELNS0_4arch9wavefront6targetE1EEEvSL_,@function
_ZN7rocprim17ROCPRIM_400000_NS6detail17trampoline_kernelINS0_14default_configENS1_38merge_sort_block_merge_config_selectorIfNS0_10empty_typeEEEZZNS1_27merge_sort_block_merge_implIS3_N6thrust23THRUST_200600_302600_NS6detail15normal_iteratorINS9_10device_ptrIfEEEEPS5_jNS1_19radix_merge_compareILb0ELb0EfNS0_19identity_decomposerEEEEE10hipError_tT0_T1_T2_jT3_P12ihipStream_tbPNSt15iterator_traitsISK_E10value_typeEPNSQ_ISL_E10value_typeEPSM_NS1_7vsmem_tEENKUlT_SK_SL_SM_E_clISE_PfSF_SF_EESJ_SZ_SK_SL_SM_EUlSZ_E_NS1_11comp_targetILNS1_3genE5ELNS1_11target_archE942ELNS1_3gpuE9ELNS1_3repE0EEENS1_48merge_mergepath_partition_config_static_selectorELNS0_4arch9wavefront6targetE1EEEvSL_: ; @_ZN7rocprim17ROCPRIM_400000_NS6detail17trampoline_kernelINS0_14default_configENS1_38merge_sort_block_merge_config_selectorIfNS0_10empty_typeEEEZZNS1_27merge_sort_block_merge_implIS3_N6thrust23THRUST_200600_302600_NS6detail15normal_iteratorINS9_10device_ptrIfEEEEPS5_jNS1_19radix_merge_compareILb0ELb0EfNS0_19identity_decomposerEEEEE10hipError_tT0_T1_T2_jT3_P12ihipStream_tbPNSt15iterator_traitsISK_E10value_typeEPNSQ_ISL_E10value_typeEPSM_NS1_7vsmem_tEENKUlT_SK_SL_SM_E_clISE_PfSF_SF_EESJ_SZ_SK_SL_SM_EUlSZ_E_NS1_11comp_targetILNS1_3genE5ELNS1_11target_archE942ELNS1_3gpuE9ELNS1_3repE0EEENS1_48merge_mergepath_partition_config_static_selectorELNS0_4arch9wavefront6targetE1EEEvSL_
; %bb.0:
	.section	.rodata,"a",@progbits
	.p2align	6, 0x0
	.amdhsa_kernel _ZN7rocprim17ROCPRIM_400000_NS6detail17trampoline_kernelINS0_14default_configENS1_38merge_sort_block_merge_config_selectorIfNS0_10empty_typeEEEZZNS1_27merge_sort_block_merge_implIS3_N6thrust23THRUST_200600_302600_NS6detail15normal_iteratorINS9_10device_ptrIfEEEEPS5_jNS1_19radix_merge_compareILb0ELb0EfNS0_19identity_decomposerEEEEE10hipError_tT0_T1_T2_jT3_P12ihipStream_tbPNSt15iterator_traitsISK_E10value_typeEPNSQ_ISL_E10value_typeEPSM_NS1_7vsmem_tEENKUlT_SK_SL_SM_E_clISE_PfSF_SF_EESJ_SZ_SK_SL_SM_EUlSZ_E_NS1_11comp_targetILNS1_3genE5ELNS1_11target_archE942ELNS1_3gpuE9ELNS1_3repE0EEENS1_48merge_mergepath_partition_config_static_selectorELNS0_4arch9wavefront6targetE1EEEvSL_
		.amdhsa_group_segment_fixed_size 0
		.amdhsa_private_segment_fixed_size 0
		.amdhsa_kernarg_size 40
		.amdhsa_user_sgpr_count 2
		.amdhsa_user_sgpr_dispatch_ptr 0
		.amdhsa_user_sgpr_queue_ptr 0
		.amdhsa_user_sgpr_kernarg_segment_ptr 1
		.amdhsa_user_sgpr_dispatch_id 0
		.amdhsa_user_sgpr_kernarg_preload_length 0
		.amdhsa_user_sgpr_kernarg_preload_offset 0
		.amdhsa_user_sgpr_private_segment_size 0
		.amdhsa_uses_dynamic_stack 0
		.amdhsa_enable_private_segment 0
		.amdhsa_system_sgpr_workgroup_id_x 1
		.amdhsa_system_sgpr_workgroup_id_y 0
		.amdhsa_system_sgpr_workgroup_id_z 0
		.amdhsa_system_sgpr_workgroup_info 0
		.amdhsa_system_vgpr_workitem_id 0
		.amdhsa_next_free_vgpr 1
		.amdhsa_next_free_sgpr 0
		.amdhsa_accum_offset 4
		.amdhsa_reserve_vcc 0
		.amdhsa_float_round_mode_32 0
		.amdhsa_float_round_mode_16_64 0
		.amdhsa_float_denorm_mode_32 3
		.amdhsa_float_denorm_mode_16_64 3
		.amdhsa_dx10_clamp 1
		.amdhsa_ieee_mode 1
		.amdhsa_fp16_overflow 0
		.amdhsa_tg_split 0
		.amdhsa_exception_fp_ieee_invalid_op 0
		.amdhsa_exception_fp_denorm_src 0
		.amdhsa_exception_fp_ieee_div_zero 0
		.amdhsa_exception_fp_ieee_overflow 0
		.amdhsa_exception_fp_ieee_underflow 0
		.amdhsa_exception_fp_ieee_inexact 0
		.amdhsa_exception_int_div_zero 0
	.end_amdhsa_kernel
	.section	.text._ZN7rocprim17ROCPRIM_400000_NS6detail17trampoline_kernelINS0_14default_configENS1_38merge_sort_block_merge_config_selectorIfNS0_10empty_typeEEEZZNS1_27merge_sort_block_merge_implIS3_N6thrust23THRUST_200600_302600_NS6detail15normal_iteratorINS9_10device_ptrIfEEEEPS5_jNS1_19radix_merge_compareILb0ELb0EfNS0_19identity_decomposerEEEEE10hipError_tT0_T1_T2_jT3_P12ihipStream_tbPNSt15iterator_traitsISK_E10value_typeEPNSQ_ISL_E10value_typeEPSM_NS1_7vsmem_tEENKUlT_SK_SL_SM_E_clISE_PfSF_SF_EESJ_SZ_SK_SL_SM_EUlSZ_E_NS1_11comp_targetILNS1_3genE5ELNS1_11target_archE942ELNS1_3gpuE9ELNS1_3repE0EEENS1_48merge_mergepath_partition_config_static_selectorELNS0_4arch9wavefront6targetE1EEEvSL_,"axG",@progbits,_ZN7rocprim17ROCPRIM_400000_NS6detail17trampoline_kernelINS0_14default_configENS1_38merge_sort_block_merge_config_selectorIfNS0_10empty_typeEEEZZNS1_27merge_sort_block_merge_implIS3_N6thrust23THRUST_200600_302600_NS6detail15normal_iteratorINS9_10device_ptrIfEEEEPS5_jNS1_19radix_merge_compareILb0ELb0EfNS0_19identity_decomposerEEEEE10hipError_tT0_T1_T2_jT3_P12ihipStream_tbPNSt15iterator_traitsISK_E10value_typeEPNSQ_ISL_E10value_typeEPSM_NS1_7vsmem_tEENKUlT_SK_SL_SM_E_clISE_PfSF_SF_EESJ_SZ_SK_SL_SM_EUlSZ_E_NS1_11comp_targetILNS1_3genE5ELNS1_11target_archE942ELNS1_3gpuE9ELNS1_3repE0EEENS1_48merge_mergepath_partition_config_static_selectorELNS0_4arch9wavefront6targetE1EEEvSL_,comdat
.Lfunc_end501:
	.size	_ZN7rocprim17ROCPRIM_400000_NS6detail17trampoline_kernelINS0_14default_configENS1_38merge_sort_block_merge_config_selectorIfNS0_10empty_typeEEEZZNS1_27merge_sort_block_merge_implIS3_N6thrust23THRUST_200600_302600_NS6detail15normal_iteratorINS9_10device_ptrIfEEEEPS5_jNS1_19radix_merge_compareILb0ELb0EfNS0_19identity_decomposerEEEEE10hipError_tT0_T1_T2_jT3_P12ihipStream_tbPNSt15iterator_traitsISK_E10value_typeEPNSQ_ISL_E10value_typeEPSM_NS1_7vsmem_tEENKUlT_SK_SL_SM_E_clISE_PfSF_SF_EESJ_SZ_SK_SL_SM_EUlSZ_E_NS1_11comp_targetILNS1_3genE5ELNS1_11target_archE942ELNS1_3gpuE9ELNS1_3repE0EEENS1_48merge_mergepath_partition_config_static_selectorELNS0_4arch9wavefront6targetE1EEEvSL_, .Lfunc_end501-_ZN7rocprim17ROCPRIM_400000_NS6detail17trampoline_kernelINS0_14default_configENS1_38merge_sort_block_merge_config_selectorIfNS0_10empty_typeEEEZZNS1_27merge_sort_block_merge_implIS3_N6thrust23THRUST_200600_302600_NS6detail15normal_iteratorINS9_10device_ptrIfEEEEPS5_jNS1_19radix_merge_compareILb0ELb0EfNS0_19identity_decomposerEEEEE10hipError_tT0_T1_T2_jT3_P12ihipStream_tbPNSt15iterator_traitsISK_E10value_typeEPNSQ_ISL_E10value_typeEPSM_NS1_7vsmem_tEENKUlT_SK_SL_SM_E_clISE_PfSF_SF_EESJ_SZ_SK_SL_SM_EUlSZ_E_NS1_11comp_targetILNS1_3genE5ELNS1_11target_archE942ELNS1_3gpuE9ELNS1_3repE0EEENS1_48merge_mergepath_partition_config_static_selectorELNS0_4arch9wavefront6targetE1EEEvSL_
                                        ; -- End function
	.set _ZN7rocprim17ROCPRIM_400000_NS6detail17trampoline_kernelINS0_14default_configENS1_38merge_sort_block_merge_config_selectorIfNS0_10empty_typeEEEZZNS1_27merge_sort_block_merge_implIS3_N6thrust23THRUST_200600_302600_NS6detail15normal_iteratorINS9_10device_ptrIfEEEEPS5_jNS1_19radix_merge_compareILb0ELb0EfNS0_19identity_decomposerEEEEE10hipError_tT0_T1_T2_jT3_P12ihipStream_tbPNSt15iterator_traitsISK_E10value_typeEPNSQ_ISL_E10value_typeEPSM_NS1_7vsmem_tEENKUlT_SK_SL_SM_E_clISE_PfSF_SF_EESJ_SZ_SK_SL_SM_EUlSZ_E_NS1_11comp_targetILNS1_3genE5ELNS1_11target_archE942ELNS1_3gpuE9ELNS1_3repE0EEENS1_48merge_mergepath_partition_config_static_selectorELNS0_4arch9wavefront6targetE1EEEvSL_.num_vgpr, 0
	.set _ZN7rocprim17ROCPRIM_400000_NS6detail17trampoline_kernelINS0_14default_configENS1_38merge_sort_block_merge_config_selectorIfNS0_10empty_typeEEEZZNS1_27merge_sort_block_merge_implIS3_N6thrust23THRUST_200600_302600_NS6detail15normal_iteratorINS9_10device_ptrIfEEEEPS5_jNS1_19radix_merge_compareILb0ELb0EfNS0_19identity_decomposerEEEEE10hipError_tT0_T1_T2_jT3_P12ihipStream_tbPNSt15iterator_traitsISK_E10value_typeEPNSQ_ISL_E10value_typeEPSM_NS1_7vsmem_tEENKUlT_SK_SL_SM_E_clISE_PfSF_SF_EESJ_SZ_SK_SL_SM_EUlSZ_E_NS1_11comp_targetILNS1_3genE5ELNS1_11target_archE942ELNS1_3gpuE9ELNS1_3repE0EEENS1_48merge_mergepath_partition_config_static_selectorELNS0_4arch9wavefront6targetE1EEEvSL_.num_agpr, 0
	.set _ZN7rocprim17ROCPRIM_400000_NS6detail17trampoline_kernelINS0_14default_configENS1_38merge_sort_block_merge_config_selectorIfNS0_10empty_typeEEEZZNS1_27merge_sort_block_merge_implIS3_N6thrust23THRUST_200600_302600_NS6detail15normal_iteratorINS9_10device_ptrIfEEEEPS5_jNS1_19radix_merge_compareILb0ELb0EfNS0_19identity_decomposerEEEEE10hipError_tT0_T1_T2_jT3_P12ihipStream_tbPNSt15iterator_traitsISK_E10value_typeEPNSQ_ISL_E10value_typeEPSM_NS1_7vsmem_tEENKUlT_SK_SL_SM_E_clISE_PfSF_SF_EESJ_SZ_SK_SL_SM_EUlSZ_E_NS1_11comp_targetILNS1_3genE5ELNS1_11target_archE942ELNS1_3gpuE9ELNS1_3repE0EEENS1_48merge_mergepath_partition_config_static_selectorELNS0_4arch9wavefront6targetE1EEEvSL_.numbered_sgpr, 0
	.set _ZN7rocprim17ROCPRIM_400000_NS6detail17trampoline_kernelINS0_14default_configENS1_38merge_sort_block_merge_config_selectorIfNS0_10empty_typeEEEZZNS1_27merge_sort_block_merge_implIS3_N6thrust23THRUST_200600_302600_NS6detail15normal_iteratorINS9_10device_ptrIfEEEEPS5_jNS1_19radix_merge_compareILb0ELb0EfNS0_19identity_decomposerEEEEE10hipError_tT0_T1_T2_jT3_P12ihipStream_tbPNSt15iterator_traitsISK_E10value_typeEPNSQ_ISL_E10value_typeEPSM_NS1_7vsmem_tEENKUlT_SK_SL_SM_E_clISE_PfSF_SF_EESJ_SZ_SK_SL_SM_EUlSZ_E_NS1_11comp_targetILNS1_3genE5ELNS1_11target_archE942ELNS1_3gpuE9ELNS1_3repE0EEENS1_48merge_mergepath_partition_config_static_selectorELNS0_4arch9wavefront6targetE1EEEvSL_.num_named_barrier, 0
	.set _ZN7rocprim17ROCPRIM_400000_NS6detail17trampoline_kernelINS0_14default_configENS1_38merge_sort_block_merge_config_selectorIfNS0_10empty_typeEEEZZNS1_27merge_sort_block_merge_implIS3_N6thrust23THRUST_200600_302600_NS6detail15normal_iteratorINS9_10device_ptrIfEEEEPS5_jNS1_19radix_merge_compareILb0ELb0EfNS0_19identity_decomposerEEEEE10hipError_tT0_T1_T2_jT3_P12ihipStream_tbPNSt15iterator_traitsISK_E10value_typeEPNSQ_ISL_E10value_typeEPSM_NS1_7vsmem_tEENKUlT_SK_SL_SM_E_clISE_PfSF_SF_EESJ_SZ_SK_SL_SM_EUlSZ_E_NS1_11comp_targetILNS1_3genE5ELNS1_11target_archE942ELNS1_3gpuE9ELNS1_3repE0EEENS1_48merge_mergepath_partition_config_static_selectorELNS0_4arch9wavefront6targetE1EEEvSL_.private_seg_size, 0
	.set _ZN7rocprim17ROCPRIM_400000_NS6detail17trampoline_kernelINS0_14default_configENS1_38merge_sort_block_merge_config_selectorIfNS0_10empty_typeEEEZZNS1_27merge_sort_block_merge_implIS3_N6thrust23THRUST_200600_302600_NS6detail15normal_iteratorINS9_10device_ptrIfEEEEPS5_jNS1_19radix_merge_compareILb0ELb0EfNS0_19identity_decomposerEEEEE10hipError_tT0_T1_T2_jT3_P12ihipStream_tbPNSt15iterator_traitsISK_E10value_typeEPNSQ_ISL_E10value_typeEPSM_NS1_7vsmem_tEENKUlT_SK_SL_SM_E_clISE_PfSF_SF_EESJ_SZ_SK_SL_SM_EUlSZ_E_NS1_11comp_targetILNS1_3genE5ELNS1_11target_archE942ELNS1_3gpuE9ELNS1_3repE0EEENS1_48merge_mergepath_partition_config_static_selectorELNS0_4arch9wavefront6targetE1EEEvSL_.uses_vcc, 0
	.set _ZN7rocprim17ROCPRIM_400000_NS6detail17trampoline_kernelINS0_14default_configENS1_38merge_sort_block_merge_config_selectorIfNS0_10empty_typeEEEZZNS1_27merge_sort_block_merge_implIS3_N6thrust23THRUST_200600_302600_NS6detail15normal_iteratorINS9_10device_ptrIfEEEEPS5_jNS1_19radix_merge_compareILb0ELb0EfNS0_19identity_decomposerEEEEE10hipError_tT0_T1_T2_jT3_P12ihipStream_tbPNSt15iterator_traitsISK_E10value_typeEPNSQ_ISL_E10value_typeEPSM_NS1_7vsmem_tEENKUlT_SK_SL_SM_E_clISE_PfSF_SF_EESJ_SZ_SK_SL_SM_EUlSZ_E_NS1_11comp_targetILNS1_3genE5ELNS1_11target_archE942ELNS1_3gpuE9ELNS1_3repE0EEENS1_48merge_mergepath_partition_config_static_selectorELNS0_4arch9wavefront6targetE1EEEvSL_.uses_flat_scratch, 0
	.set _ZN7rocprim17ROCPRIM_400000_NS6detail17trampoline_kernelINS0_14default_configENS1_38merge_sort_block_merge_config_selectorIfNS0_10empty_typeEEEZZNS1_27merge_sort_block_merge_implIS3_N6thrust23THRUST_200600_302600_NS6detail15normal_iteratorINS9_10device_ptrIfEEEEPS5_jNS1_19radix_merge_compareILb0ELb0EfNS0_19identity_decomposerEEEEE10hipError_tT0_T1_T2_jT3_P12ihipStream_tbPNSt15iterator_traitsISK_E10value_typeEPNSQ_ISL_E10value_typeEPSM_NS1_7vsmem_tEENKUlT_SK_SL_SM_E_clISE_PfSF_SF_EESJ_SZ_SK_SL_SM_EUlSZ_E_NS1_11comp_targetILNS1_3genE5ELNS1_11target_archE942ELNS1_3gpuE9ELNS1_3repE0EEENS1_48merge_mergepath_partition_config_static_selectorELNS0_4arch9wavefront6targetE1EEEvSL_.has_dyn_sized_stack, 0
	.set _ZN7rocprim17ROCPRIM_400000_NS6detail17trampoline_kernelINS0_14default_configENS1_38merge_sort_block_merge_config_selectorIfNS0_10empty_typeEEEZZNS1_27merge_sort_block_merge_implIS3_N6thrust23THRUST_200600_302600_NS6detail15normal_iteratorINS9_10device_ptrIfEEEEPS5_jNS1_19radix_merge_compareILb0ELb0EfNS0_19identity_decomposerEEEEE10hipError_tT0_T1_T2_jT3_P12ihipStream_tbPNSt15iterator_traitsISK_E10value_typeEPNSQ_ISL_E10value_typeEPSM_NS1_7vsmem_tEENKUlT_SK_SL_SM_E_clISE_PfSF_SF_EESJ_SZ_SK_SL_SM_EUlSZ_E_NS1_11comp_targetILNS1_3genE5ELNS1_11target_archE942ELNS1_3gpuE9ELNS1_3repE0EEENS1_48merge_mergepath_partition_config_static_selectorELNS0_4arch9wavefront6targetE1EEEvSL_.has_recursion, 0
	.set _ZN7rocprim17ROCPRIM_400000_NS6detail17trampoline_kernelINS0_14default_configENS1_38merge_sort_block_merge_config_selectorIfNS0_10empty_typeEEEZZNS1_27merge_sort_block_merge_implIS3_N6thrust23THRUST_200600_302600_NS6detail15normal_iteratorINS9_10device_ptrIfEEEEPS5_jNS1_19radix_merge_compareILb0ELb0EfNS0_19identity_decomposerEEEEE10hipError_tT0_T1_T2_jT3_P12ihipStream_tbPNSt15iterator_traitsISK_E10value_typeEPNSQ_ISL_E10value_typeEPSM_NS1_7vsmem_tEENKUlT_SK_SL_SM_E_clISE_PfSF_SF_EESJ_SZ_SK_SL_SM_EUlSZ_E_NS1_11comp_targetILNS1_3genE5ELNS1_11target_archE942ELNS1_3gpuE9ELNS1_3repE0EEENS1_48merge_mergepath_partition_config_static_selectorELNS0_4arch9wavefront6targetE1EEEvSL_.has_indirect_call, 0
	.section	.AMDGPU.csdata,"",@progbits
; Kernel info:
; codeLenInByte = 0
; TotalNumSgprs: 6
; NumVgprs: 0
; NumAgprs: 0
; TotalNumVgprs: 0
; ScratchSize: 0
; MemoryBound: 0
; FloatMode: 240
; IeeeMode: 1
; LDSByteSize: 0 bytes/workgroup (compile time only)
; SGPRBlocks: 0
; VGPRBlocks: 0
; NumSGPRsForWavesPerEU: 6
; NumVGPRsForWavesPerEU: 1
; AccumOffset: 4
; Occupancy: 8
; WaveLimiterHint : 0
; COMPUTE_PGM_RSRC2:SCRATCH_EN: 0
; COMPUTE_PGM_RSRC2:USER_SGPR: 2
; COMPUTE_PGM_RSRC2:TRAP_HANDLER: 0
; COMPUTE_PGM_RSRC2:TGID_X_EN: 1
; COMPUTE_PGM_RSRC2:TGID_Y_EN: 0
; COMPUTE_PGM_RSRC2:TGID_Z_EN: 0
; COMPUTE_PGM_RSRC2:TIDIG_COMP_CNT: 0
; COMPUTE_PGM_RSRC3_GFX90A:ACCUM_OFFSET: 0
; COMPUTE_PGM_RSRC3_GFX90A:TG_SPLIT: 0
	.section	.text._ZN7rocprim17ROCPRIM_400000_NS6detail17trampoline_kernelINS0_14default_configENS1_38merge_sort_block_merge_config_selectorIfNS0_10empty_typeEEEZZNS1_27merge_sort_block_merge_implIS3_N6thrust23THRUST_200600_302600_NS6detail15normal_iteratorINS9_10device_ptrIfEEEEPS5_jNS1_19radix_merge_compareILb0ELb0EfNS0_19identity_decomposerEEEEE10hipError_tT0_T1_T2_jT3_P12ihipStream_tbPNSt15iterator_traitsISK_E10value_typeEPNSQ_ISL_E10value_typeEPSM_NS1_7vsmem_tEENKUlT_SK_SL_SM_E_clISE_PfSF_SF_EESJ_SZ_SK_SL_SM_EUlSZ_E_NS1_11comp_targetILNS1_3genE4ELNS1_11target_archE910ELNS1_3gpuE8ELNS1_3repE0EEENS1_48merge_mergepath_partition_config_static_selectorELNS0_4arch9wavefront6targetE1EEEvSL_,"axG",@progbits,_ZN7rocprim17ROCPRIM_400000_NS6detail17trampoline_kernelINS0_14default_configENS1_38merge_sort_block_merge_config_selectorIfNS0_10empty_typeEEEZZNS1_27merge_sort_block_merge_implIS3_N6thrust23THRUST_200600_302600_NS6detail15normal_iteratorINS9_10device_ptrIfEEEEPS5_jNS1_19radix_merge_compareILb0ELb0EfNS0_19identity_decomposerEEEEE10hipError_tT0_T1_T2_jT3_P12ihipStream_tbPNSt15iterator_traitsISK_E10value_typeEPNSQ_ISL_E10value_typeEPSM_NS1_7vsmem_tEENKUlT_SK_SL_SM_E_clISE_PfSF_SF_EESJ_SZ_SK_SL_SM_EUlSZ_E_NS1_11comp_targetILNS1_3genE4ELNS1_11target_archE910ELNS1_3gpuE8ELNS1_3repE0EEENS1_48merge_mergepath_partition_config_static_selectorELNS0_4arch9wavefront6targetE1EEEvSL_,comdat
	.protected	_ZN7rocprim17ROCPRIM_400000_NS6detail17trampoline_kernelINS0_14default_configENS1_38merge_sort_block_merge_config_selectorIfNS0_10empty_typeEEEZZNS1_27merge_sort_block_merge_implIS3_N6thrust23THRUST_200600_302600_NS6detail15normal_iteratorINS9_10device_ptrIfEEEEPS5_jNS1_19radix_merge_compareILb0ELb0EfNS0_19identity_decomposerEEEEE10hipError_tT0_T1_T2_jT3_P12ihipStream_tbPNSt15iterator_traitsISK_E10value_typeEPNSQ_ISL_E10value_typeEPSM_NS1_7vsmem_tEENKUlT_SK_SL_SM_E_clISE_PfSF_SF_EESJ_SZ_SK_SL_SM_EUlSZ_E_NS1_11comp_targetILNS1_3genE4ELNS1_11target_archE910ELNS1_3gpuE8ELNS1_3repE0EEENS1_48merge_mergepath_partition_config_static_selectorELNS0_4arch9wavefront6targetE1EEEvSL_ ; -- Begin function _ZN7rocprim17ROCPRIM_400000_NS6detail17trampoline_kernelINS0_14default_configENS1_38merge_sort_block_merge_config_selectorIfNS0_10empty_typeEEEZZNS1_27merge_sort_block_merge_implIS3_N6thrust23THRUST_200600_302600_NS6detail15normal_iteratorINS9_10device_ptrIfEEEEPS5_jNS1_19radix_merge_compareILb0ELb0EfNS0_19identity_decomposerEEEEE10hipError_tT0_T1_T2_jT3_P12ihipStream_tbPNSt15iterator_traitsISK_E10value_typeEPNSQ_ISL_E10value_typeEPSM_NS1_7vsmem_tEENKUlT_SK_SL_SM_E_clISE_PfSF_SF_EESJ_SZ_SK_SL_SM_EUlSZ_E_NS1_11comp_targetILNS1_3genE4ELNS1_11target_archE910ELNS1_3gpuE8ELNS1_3repE0EEENS1_48merge_mergepath_partition_config_static_selectorELNS0_4arch9wavefront6targetE1EEEvSL_
	.globl	_ZN7rocprim17ROCPRIM_400000_NS6detail17trampoline_kernelINS0_14default_configENS1_38merge_sort_block_merge_config_selectorIfNS0_10empty_typeEEEZZNS1_27merge_sort_block_merge_implIS3_N6thrust23THRUST_200600_302600_NS6detail15normal_iteratorINS9_10device_ptrIfEEEEPS5_jNS1_19radix_merge_compareILb0ELb0EfNS0_19identity_decomposerEEEEE10hipError_tT0_T1_T2_jT3_P12ihipStream_tbPNSt15iterator_traitsISK_E10value_typeEPNSQ_ISL_E10value_typeEPSM_NS1_7vsmem_tEENKUlT_SK_SL_SM_E_clISE_PfSF_SF_EESJ_SZ_SK_SL_SM_EUlSZ_E_NS1_11comp_targetILNS1_3genE4ELNS1_11target_archE910ELNS1_3gpuE8ELNS1_3repE0EEENS1_48merge_mergepath_partition_config_static_selectorELNS0_4arch9wavefront6targetE1EEEvSL_
	.p2align	8
	.type	_ZN7rocprim17ROCPRIM_400000_NS6detail17trampoline_kernelINS0_14default_configENS1_38merge_sort_block_merge_config_selectorIfNS0_10empty_typeEEEZZNS1_27merge_sort_block_merge_implIS3_N6thrust23THRUST_200600_302600_NS6detail15normal_iteratorINS9_10device_ptrIfEEEEPS5_jNS1_19radix_merge_compareILb0ELb0EfNS0_19identity_decomposerEEEEE10hipError_tT0_T1_T2_jT3_P12ihipStream_tbPNSt15iterator_traitsISK_E10value_typeEPNSQ_ISL_E10value_typeEPSM_NS1_7vsmem_tEENKUlT_SK_SL_SM_E_clISE_PfSF_SF_EESJ_SZ_SK_SL_SM_EUlSZ_E_NS1_11comp_targetILNS1_3genE4ELNS1_11target_archE910ELNS1_3gpuE8ELNS1_3repE0EEENS1_48merge_mergepath_partition_config_static_selectorELNS0_4arch9wavefront6targetE1EEEvSL_,@function
_ZN7rocprim17ROCPRIM_400000_NS6detail17trampoline_kernelINS0_14default_configENS1_38merge_sort_block_merge_config_selectorIfNS0_10empty_typeEEEZZNS1_27merge_sort_block_merge_implIS3_N6thrust23THRUST_200600_302600_NS6detail15normal_iteratorINS9_10device_ptrIfEEEEPS5_jNS1_19radix_merge_compareILb0ELb0EfNS0_19identity_decomposerEEEEE10hipError_tT0_T1_T2_jT3_P12ihipStream_tbPNSt15iterator_traitsISK_E10value_typeEPNSQ_ISL_E10value_typeEPSM_NS1_7vsmem_tEENKUlT_SK_SL_SM_E_clISE_PfSF_SF_EESJ_SZ_SK_SL_SM_EUlSZ_E_NS1_11comp_targetILNS1_3genE4ELNS1_11target_archE910ELNS1_3gpuE8ELNS1_3repE0EEENS1_48merge_mergepath_partition_config_static_selectorELNS0_4arch9wavefront6targetE1EEEvSL_: ; @_ZN7rocprim17ROCPRIM_400000_NS6detail17trampoline_kernelINS0_14default_configENS1_38merge_sort_block_merge_config_selectorIfNS0_10empty_typeEEEZZNS1_27merge_sort_block_merge_implIS3_N6thrust23THRUST_200600_302600_NS6detail15normal_iteratorINS9_10device_ptrIfEEEEPS5_jNS1_19radix_merge_compareILb0ELb0EfNS0_19identity_decomposerEEEEE10hipError_tT0_T1_T2_jT3_P12ihipStream_tbPNSt15iterator_traitsISK_E10value_typeEPNSQ_ISL_E10value_typeEPSM_NS1_7vsmem_tEENKUlT_SK_SL_SM_E_clISE_PfSF_SF_EESJ_SZ_SK_SL_SM_EUlSZ_E_NS1_11comp_targetILNS1_3genE4ELNS1_11target_archE910ELNS1_3gpuE8ELNS1_3repE0EEENS1_48merge_mergepath_partition_config_static_selectorELNS0_4arch9wavefront6targetE1EEEvSL_
; %bb.0:
	.section	.rodata,"a",@progbits
	.p2align	6, 0x0
	.amdhsa_kernel _ZN7rocprim17ROCPRIM_400000_NS6detail17trampoline_kernelINS0_14default_configENS1_38merge_sort_block_merge_config_selectorIfNS0_10empty_typeEEEZZNS1_27merge_sort_block_merge_implIS3_N6thrust23THRUST_200600_302600_NS6detail15normal_iteratorINS9_10device_ptrIfEEEEPS5_jNS1_19radix_merge_compareILb0ELb0EfNS0_19identity_decomposerEEEEE10hipError_tT0_T1_T2_jT3_P12ihipStream_tbPNSt15iterator_traitsISK_E10value_typeEPNSQ_ISL_E10value_typeEPSM_NS1_7vsmem_tEENKUlT_SK_SL_SM_E_clISE_PfSF_SF_EESJ_SZ_SK_SL_SM_EUlSZ_E_NS1_11comp_targetILNS1_3genE4ELNS1_11target_archE910ELNS1_3gpuE8ELNS1_3repE0EEENS1_48merge_mergepath_partition_config_static_selectorELNS0_4arch9wavefront6targetE1EEEvSL_
		.amdhsa_group_segment_fixed_size 0
		.amdhsa_private_segment_fixed_size 0
		.amdhsa_kernarg_size 40
		.amdhsa_user_sgpr_count 2
		.amdhsa_user_sgpr_dispatch_ptr 0
		.amdhsa_user_sgpr_queue_ptr 0
		.amdhsa_user_sgpr_kernarg_segment_ptr 1
		.amdhsa_user_sgpr_dispatch_id 0
		.amdhsa_user_sgpr_kernarg_preload_length 0
		.amdhsa_user_sgpr_kernarg_preload_offset 0
		.amdhsa_user_sgpr_private_segment_size 0
		.amdhsa_uses_dynamic_stack 0
		.amdhsa_enable_private_segment 0
		.amdhsa_system_sgpr_workgroup_id_x 1
		.amdhsa_system_sgpr_workgroup_id_y 0
		.amdhsa_system_sgpr_workgroup_id_z 0
		.amdhsa_system_sgpr_workgroup_info 0
		.amdhsa_system_vgpr_workitem_id 0
		.amdhsa_next_free_vgpr 1
		.amdhsa_next_free_sgpr 0
		.amdhsa_accum_offset 4
		.amdhsa_reserve_vcc 0
		.amdhsa_float_round_mode_32 0
		.amdhsa_float_round_mode_16_64 0
		.amdhsa_float_denorm_mode_32 3
		.amdhsa_float_denorm_mode_16_64 3
		.amdhsa_dx10_clamp 1
		.amdhsa_ieee_mode 1
		.amdhsa_fp16_overflow 0
		.amdhsa_tg_split 0
		.amdhsa_exception_fp_ieee_invalid_op 0
		.amdhsa_exception_fp_denorm_src 0
		.amdhsa_exception_fp_ieee_div_zero 0
		.amdhsa_exception_fp_ieee_overflow 0
		.amdhsa_exception_fp_ieee_underflow 0
		.amdhsa_exception_fp_ieee_inexact 0
		.amdhsa_exception_int_div_zero 0
	.end_amdhsa_kernel
	.section	.text._ZN7rocprim17ROCPRIM_400000_NS6detail17trampoline_kernelINS0_14default_configENS1_38merge_sort_block_merge_config_selectorIfNS0_10empty_typeEEEZZNS1_27merge_sort_block_merge_implIS3_N6thrust23THRUST_200600_302600_NS6detail15normal_iteratorINS9_10device_ptrIfEEEEPS5_jNS1_19radix_merge_compareILb0ELb0EfNS0_19identity_decomposerEEEEE10hipError_tT0_T1_T2_jT3_P12ihipStream_tbPNSt15iterator_traitsISK_E10value_typeEPNSQ_ISL_E10value_typeEPSM_NS1_7vsmem_tEENKUlT_SK_SL_SM_E_clISE_PfSF_SF_EESJ_SZ_SK_SL_SM_EUlSZ_E_NS1_11comp_targetILNS1_3genE4ELNS1_11target_archE910ELNS1_3gpuE8ELNS1_3repE0EEENS1_48merge_mergepath_partition_config_static_selectorELNS0_4arch9wavefront6targetE1EEEvSL_,"axG",@progbits,_ZN7rocprim17ROCPRIM_400000_NS6detail17trampoline_kernelINS0_14default_configENS1_38merge_sort_block_merge_config_selectorIfNS0_10empty_typeEEEZZNS1_27merge_sort_block_merge_implIS3_N6thrust23THRUST_200600_302600_NS6detail15normal_iteratorINS9_10device_ptrIfEEEEPS5_jNS1_19radix_merge_compareILb0ELb0EfNS0_19identity_decomposerEEEEE10hipError_tT0_T1_T2_jT3_P12ihipStream_tbPNSt15iterator_traitsISK_E10value_typeEPNSQ_ISL_E10value_typeEPSM_NS1_7vsmem_tEENKUlT_SK_SL_SM_E_clISE_PfSF_SF_EESJ_SZ_SK_SL_SM_EUlSZ_E_NS1_11comp_targetILNS1_3genE4ELNS1_11target_archE910ELNS1_3gpuE8ELNS1_3repE0EEENS1_48merge_mergepath_partition_config_static_selectorELNS0_4arch9wavefront6targetE1EEEvSL_,comdat
.Lfunc_end502:
	.size	_ZN7rocprim17ROCPRIM_400000_NS6detail17trampoline_kernelINS0_14default_configENS1_38merge_sort_block_merge_config_selectorIfNS0_10empty_typeEEEZZNS1_27merge_sort_block_merge_implIS3_N6thrust23THRUST_200600_302600_NS6detail15normal_iteratorINS9_10device_ptrIfEEEEPS5_jNS1_19radix_merge_compareILb0ELb0EfNS0_19identity_decomposerEEEEE10hipError_tT0_T1_T2_jT3_P12ihipStream_tbPNSt15iterator_traitsISK_E10value_typeEPNSQ_ISL_E10value_typeEPSM_NS1_7vsmem_tEENKUlT_SK_SL_SM_E_clISE_PfSF_SF_EESJ_SZ_SK_SL_SM_EUlSZ_E_NS1_11comp_targetILNS1_3genE4ELNS1_11target_archE910ELNS1_3gpuE8ELNS1_3repE0EEENS1_48merge_mergepath_partition_config_static_selectorELNS0_4arch9wavefront6targetE1EEEvSL_, .Lfunc_end502-_ZN7rocprim17ROCPRIM_400000_NS6detail17trampoline_kernelINS0_14default_configENS1_38merge_sort_block_merge_config_selectorIfNS0_10empty_typeEEEZZNS1_27merge_sort_block_merge_implIS3_N6thrust23THRUST_200600_302600_NS6detail15normal_iteratorINS9_10device_ptrIfEEEEPS5_jNS1_19radix_merge_compareILb0ELb0EfNS0_19identity_decomposerEEEEE10hipError_tT0_T1_T2_jT3_P12ihipStream_tbPNSt15iterator_traitsISK_E10value_typeEPNSQ_ISL_E10value_typeEPSM_NS1_7vsmem_tEENKUlT_SK_SL_SM_E_clISE_PfSF_SF_EESJ_SZ_SK_SL_SM_EUlSZ_E_NS1_11comp_targetILNS1_3genE4ELNS1_11target_archE910ELNS1_3gpuE8ELNS1_3repE0EEENS1_48merge_mergepath_partition_config_static_selectorELNS0_4arch9wavefront6targetE1EEEvSL_
                                        ; -- End function
	.set _ZN7rocprim17ROCPRIM_400000_NS6detail17trampoline_kernelINS0_14default_configENS1_38merge_sort_block_merge_config_selectorIfNS0_10empty_typeEEEZZNS1_27merge_sort_block_merge_implIS3_N6thrust23THRUST_200600_302600_NS6detail15normal_iteratorINS9_10device_ptrIfEEEEPS5_jNS1_19radix_merge_compareILb0ELb0EfNS0_19identity_decomposerEEEEE10hipError_tT0_T1_T2_jT3_P12ihipStream_tbPNSt15iterator_traitsISK_E10value_typeEPNSQ_ISL_E10value_typeEPSM_NS1_7vsmem_tEENKUlT_SK_SL_SM_E_clISE_PfSF_SF_EESJ_SZ_SK_SL_SM_EUlSZ_E_NS1_11comp_targetILNS1_3genE4ELNS1_11target_archE910ELNS1_3gpuE8ELNS1_3repE0EEENS1_48merge_mergepath_partition_config_static_selectorELNS0_4arch9wavefront6targetE1EEEvSL_.num_vgpr, 0
	.set _ZN7rocprim17ROCPRIM_400000_NS6detail17trampoline_kernelINS0_14default_configENS1_38merge_sort_block_merge_config_selectorIfNS0_10empty_typeEEEZZNS1_27merge_sort_block_merge_implIS3_N6thrust23THRUST_200600_302600_NS6detail15normal_iteratorINS9_10device_ptrIfEEEEPS5_jNS1_19radix_merge_compareILb0ELb0EfNS0_19identity_decomposerEEEEE10hipError_tT0_T1_T2_jT3_P12ihipStream_tbPNSt15iterator_traitsISK_E10value_typeEPNSQ_ISL_E10value_typeEPSM_NS1_7vsmem_tEENKUlT_SK_SL_SM_E_clISE_PfSF_SF_EESJ_SZ_SK_SL_SM_EUlSZ_E_NS1_11comp_targetILNS1_3genE4ELNS1_11target_archE910ELNS1_3gpuE8ELNS1_3repE0EEENS1_48merge_mergepath_partition_config_static_selectorELNS0_4arch9wavefront6targetE1EEEvSL_.num_agpr, 0
	.set _ZN7rocprim17ROCPRIM_400000_NS6detail17trampoline_kernelINS0_14default_configENS1_38merge_sort_block_merge_config_selectorIfNS0_10empty_typeEEEZZNS1_27merge_sort_block_merge_implIS3_N6thrust23THRUST_200600_302600_NS6detail15normal_iteratorINS9_10device_ptrIfEEEEPS5_jNS1_19radix_merge_compareILb0ELb0EfNS0_19identity_decomposerEEEEE10hipError_tT0_T1_T2_jT3_P12ihipStream_tbPNSt15iterator_traitsISK_E10value_typeEPNSQ_ISL_E10value_typeEPSM_NS1_7vsmem_tEENKUlT_SK_SL_SM_E_clISE_PfSF_SF_EESJ_SZ_SK_SL_SM_EUlSZ_E_NS1_11comp_targetILNS1_3genE4ELNS1_11target_archE910ELNS1_3gpuE8ELNS1_3repE0EEENS1_48merge_mergepath_partition_config_static_selectorELNS0_4arch9wavefront6targetE1EEEvSL_.numbered_sgpr, 0
	.set _ZN7rocprim17ROCPRIM_400000_NS6detail17trampoline_kernelINS0_14default_configENS1_38merge_sort_block_merge_config_selectorIfNS0_10empty_typeEEEZZNS1_27merge_sort_block_merge_implIS3_N6thrust23THRUST_200600_302600_NS6detail15normal_iteratorINS9_10device_ptrIfEEEEPS5_jNS1_19radix_merge_compareILb0ELb0EfNS0_19identity_decomposerEEEEE10hipError_tT0_T1_T2_jT3_P12ihipStream_tbPNSt15iterator_traitsISK_E10value_typeEPNSQ_ISL_E10value_typeEPSM_NS1_7vsmem_tEENKUlT_SK_SL_SM_E_clISE_PfSF_SF_EESJ_SZ_SK_SL_SM_EUlSZ_E_NS1_11comp_targetILNS1_3genE4ELNS1_11target_archE910ELNS1_3gpuE8ELNS1_3repE0EEENS1_48merge_mergepath_partition_config_static_selectorELNS0_4arch9wavefront6targetE1EEEvSL_.num_named_barrier, 0
	.set _ZN7rocprim17ROCPRIM_400000_NS6detail17trampoline_kernelINS0_14default_configENS1_38merge_sort_block_merge_config_selectorIfNS0_10empty_typeEEEZZNS1_27merge_sort_block_merge_implIS3_N6thrust23THRUST_200600_302600_NS6detail15normal_iteratorINS9_10device_ptrIfEEEEPS5_jNS1_19radix_merge_compareILb0ELb0EfNS0_19identity_decomposerEEEEE10hipError_tT0_T1_T2_jT3_P12ihipStream_tbPNSt15iterator_traitsISK_E10value_typeEPNSQ_ISL_E10value_typeEPSM_NS1_7vsmem_tEENKUlT_SK_SL_SM_E_clISE_PfSF_SF_EESJ_SZ_SK_SL_SM_EUlSZ_E_NS1_11comp_targetILNS1_3genE4ELNS1_11target_archE910ELNS1_3gpuE8ELNS1_3repE0EEENS1_48merge_mergepath_partition_config_static_selectorELNS0_4arch9wavefront6targetE1EEEvSL_.private_seg_size, 0
	.set _ZN7rocprim17ROCPRIM_400000_NS6detail17trampoline_kernelINS0_14default_configENS1_38merge_sort_block_merge_config_selectorIfNS0_10empty_typeEEEZZNS1_27merge_sort_block_merge_implIS3_N6thrust23THRUST_200600_302600_NS6detail15normal_iteratorINS9_10device_ptrIfEEEEPS5_jNS1_19radix_merge_compareILb0ELb0EfNS0_19identity_decomposerEEEEE10hipError_tT0_T1_T2_jT3_P12ihipStream_tbPNSt15iterator_traitsISK_E10value_typeEPNSQ_ISL_E10value_typeEPSM_NS1_7vsmem_tEENKUlT_SK_SL_SM_E_clISE_PfSF_SF_EESJ_SZ_SK_SL_SM_EUlSZ_E_NS1_11comp_targetILNS1_3genE4ELNS1_11target_archE910ELNS1_3gpuE8ELNS1_3repE0EEENS1_48merge_mergepath_partition_config_static_selectorELNS0_4arch9wavefront6targetE1EEEvSL_.uses_vcc, 0
	.set _ZN7rocprim17ROCPRIM_400000_NS6detail17trampoline_kernelINS0_14default_configENS1_38merge_sort_block_merge_config_selectorIfNS0_10empty_typeEEEZZNS1_27merge_sort_block_merge_implIS3_N6thrust23THRUST_200600_302600_NS6detail15normal_iteratorINS9_10device_ptrIfEEEEPS5_jNS1_19radix_merge_compareILb0ELb0EfNS0_19identity_decomposerEEEEE10hipError_tT0_T1_T2_jT3_P12ihipStream_tbPNSt15iterator_traitsISK_E10value_typeEPNSQ_ISL_E10value_typeEPSM_NS1_7vsmem_tEENKUlT_SK_SL_SM_E_clISE_PfSF_SF_EESJ_SZ_SK_SL_SM_EUlSZ_E_NS1_11comp_targetILNS1_3genE4ELNS1_11target_archE910ELNS1_3gpuE8ELNS1_3repE0EEENS1_48merge_mergepath_partition_config_static_selectorELNS0_4arch9wavefront6targetE1EEEvSL_.uses_flat_scratch, 0
	.set _ZN7rocprim17ROCPRIM_400000_NS6detail17trampoline_kernelINS0_14default_configENS1_38merge_sort_block_merge_config_selectorIfNS0_10empty_typeEEEZZNS1_27merge_sort_block_merge_implIS3_N6thrust23THRUST_200600_302600_NS6detail15normal_iteratorINS9_10device_ptrIfEEEEPS5_jNS1_19radix_merge_compareILb0ELb0EfNS0_19identity_decomposerEEEEE10hipError_tT0_T1_T2_jT3_P12ihipStream_tbPNSt15iterator_traitsISK_E10value_typeEPNSQ_ISL_E10value_typeEPSM_NS1_7vsmem_tEENKUlT_SK_SL_SM_E_clISE_PfSF_SF_EESJ_SZ_SK_SL_SM_EUlSZ_E_NS1_11comp_targetILNS1_3genE4ELNS1_11target_archE910ELNS1_3gpuE8ELNS1_3repE0EEENS1_48merge_mergepath_partition_config_static_selectorELNS0_4arch9wavefront6targetE1EEEvSL_.has_dyn_sized_stack, 0
	.set _ZN7rocprim17ROCPRIM_400000_NS6detail17trampoline_kernelINS0_14default_configENS1_38merge_sort_block_merge_config_selectorIfNS0_10empty_typeEEEZZNS1_27merge_sort_block_merge_implIS3_N6thrust23THRUST_200600_302600_NS6detail15normal_iteratorINS9_10device_ptrIfEEEEPS5_jNS1_19radix_merge_compareILb0ELb0EfNS0_19identity_decomposerEEEEE10hipError_tT0_T1_T2_jT3_P12ihipStream_tbPNSt15iterator_traitsISK_E10value_typeEPNSQ_ISL_E10value_typeEPSM_NS1_7vsmem_tEENKUlT_SK_SL_SM_E_clISE_PfSF_SF_EESJ_SZ_SK_SL_SM_EUlSZ_E_NS1_11comp_targetILNS1_3genE4ELNS1_11target_archE910ELNS1_3gpuE8ELNS1_3repE0EEENS1_48merge_mergepath_partition_config_static_selectorELNS0_4arch9wavefront6targetE1EEEvSL_.has_recursion, 0
	.set _ZN7rocprim17ROCPRIM_400000_NS6detail17trampoline_kernelINS0_14default_configENS1_38merge_sort_block_merge_config_selectorIfNS0_10empty_typeEEEZZNS1_27merge_sort_block_merge_implIS3_N6thrust23THRUST_200600_302600_NS6detail15normal_iteratorINS9_10device_ptrIfEEEEPS5_jNS1_19radix_merge_compareILb0ELb0EfNS0_19identity_decomposerEEEEE10hipError_tT0_T1_T2_jT3_P12ihipStream_tbPNSt15iterator_traitsISK_E10value_typeEPNSQ_ISL_E10value_typeEPSM_NS1_7vsmem_tEENKUlT_SK_SL_SM_E_clISE_PfSF_SF_EESJ_SZ_SK_SL_SM_EUlSZ_E_NS1_11comp_targetILNS1_3genE4ELNS1_11target_archE910ELNS1_3gpuE8ELNS1_3repE0EEENS1_48merge_mergepath_partition_config_static_selectorELNS0_4arch9wavefront6targetE1EEEvSL_.has_indirect_call, 0
	.section	.AMDGPU.csdata,"",@progbits
; Kernel info:
; codeLenInByte = 0
; TotalNumSgprs: 6
; NumVgprs: 0
; NumAgprs: 0
; TotalNumVgprs: 0
; ScratchSize: 0
; MemoryBound: 0
; FloatMode: 240
; IeeeMode: 1
; LDSByteSize: 0 bytes/workgroup (compile time only)
; SGPRBlocks: 0
; VGPRBlocks: 0
; NumSGPRsForWavesPerEU: 6
; NumVGPRsForWavesPerEU: 1
; AccumOffset: 4
; Occupancy: 8
; WaveLimiterHint : 0
; COMPUTE_PGM_RSRC2:SCRATCH_EN: 0
; COMPUTE_PGM_RSRC2:USER_SGPR: 2
; COMPUTE_PGM_RSRC2:TRAP_HANDLER: 0
; COMPUTE_PGM_RSRC2:TGID_X_EN: 1
; COMPUTE_PGM_RSRC2:TGID_Y_EN: 0
; COMPUTE_PGM_RSRC2:TGID_Z_EN: 0
; COMPUTE_PGM_RSRC2:TIDIG_COMP_CNT: 0
; COMPUTE_PGM_RSRC3_GFX90A:ACCUM_OFFSET: 0
; COMPUTE_PGM_RSRC3_GFX90A:TG_SPLIT: 0
	.section	.text._ZN7rocprim17ROCPRIM_400000_NS6detail17trampoline_kernelINS0_14default_configENS1_38merge_sort_block_merge_config_selectorIfNS0_10empty_typeEEEZZNS1_27merge_sort_block_merge_implIS3_N6thrust23THRUST_200600_302600_NS6detail15normal_iteratorINS9_10device_ptrIfEEEEPS5_jNS1_19radix_merge_compareILb0ELb0EfNS0_19identity_decomposerEEEEE10hipError_tT0_T1_T2_jT3_P12ihipStream_tbPNSt15iterator_traitsISK_E10value_typeEPNSQ_ISL_E10value_typeEPSM_NS1_7vsmem_tEENKUlT_SK_SL_SM_E_clISE_PfSF_SF_EESJ_SZ_SK_SL_SM_EUlSZ_E_NS1_11comp_targetILNS1_3genE3ELNS1_11target_archE908ELNS1_3gpuE7ELNS1_3repE0EEENS1_48merge_mergepath_partition_config_static_selectorELNS0_4arch9wavefront6targetE1EEEvSL_,"axG",@progbits,_ZN7rocprim17ROCPRIM_400000_NS6detail17trampoline_kernelINS0_14default_configENS1_38merge_sort_block_merge_config_selectorIfNS0_10empty_typeEEEZZNS1_27merge_sort_block_merge_implIS3_N6thrust23THRUST_200600_302600_NS6detail15normal_iteratorINS9_10device_ptrIfEEEEPS5_jNS1_19radix_merge_compareILb0ELb0EfNS0_19identity_decomposerEEEEE10hipError_tT0_T1_T2_jT3_P12ihipStream_tbPNSt15iterator_traitsISK_E10value_typeEPNSQ_ISL_E10value_typeEPSM_NS1_7vsmem_tEENKUlT_SK_SL_SM_E_clISE_PfSF_SF_EESJ_SZ_SK_SL_SM_EUlSZ_E_NS1_11comp_targetILNS1_3genE3ELNS1_11target_archE908ELNS1_3gpuE7ELNS1_3repE0EEENS1_48merge_mergepath_partition_config_static_selectorELNS0_4arch9wavefront6targetE1EEEvSL_,comdat
	.protected	_ZN7rocprim17ROCPRIM_400000_NS6detail17trampoline_kernelINS0_14default_configENS1_38merge_sort_block_merge_config_selectorIfNS0_10empty_typeEEEZZNS1_27merge_sort_block_merge_implIS3_N6thrust23THRUST_200600_302600_NS6detail15normal_iteratorINS9_10device_ptrIfEEEEPS5_jNS1_19radix_merge_compareILb0ELb0EfNS0_19identity_decomposerEEEEE10hipError_tT0_T1_T2_jT3_P12ihipStream_tbPNSt15iterator_traitsISK_E10value_typeEPNSQ_ISL_E10value_typeEPSM_NS1_7vsmem_tEENKUlT_SK_SL_SM_E_clISE_PfSF_SF_EESJ_SZ_SK_SL_SM_EUlSZ_E_NS1_11comp_targetILNS1_3genE3ELNS1_11target_archE908ELNS1_3gpuE7ELNS1_3repE0EEENS1_48merge_mergepath_partition_config_static_selectorELNS0_4arch9wavefront6targetE1EEEvSL_ ; -- Begin function _ZN7rocprim17ROCPRIM_400000_NS6detail17trampoline_kernelINS0_14default_configENS1_38merge_sort_block_merge_config_selectorIfNS0_10empty_typeEEEZZNS1_27merge_sort_block_merge_implIS3_N6thrust23THRUST_200600_302600_NS6detail15normal_iteratorINS9_10device_ptrIfEEEEPS5_jNS1_19radix_merge_compareILb0ELb0EfNS0_19identity_decomposerEEEEE10hipError_tT0_T1_T2_jT3_P12ihipStream_tbPNSt15iterator_traitsISK_E10value_typeEPNSQ_ISL_E10value_typeEPSM_NS1_7vsmem_tEENKUlT_SK_SL_SM_E_clISE_PfSF_SF_EESJ_SZ_SK_SL_SM_EUlSZ_E_NS1_11comp_targetILNS1_3genE3ELNS1_11target_archE908ELNS1_3gpuE7ELNS1_3repE0EEENS1_48merge_mergepath_partition_config_static_selectorELNS0_4arch9wavefront6targetE1EEEvSL_
	.globl	_ZN7rocprim17ROCPRIM_400000_NS6detail17trampoline_kernelINS0_14default_configENS1_38merge_sort_block_merge_config_selectorIfNS0_10empty_typeEEEZZNS1_27merge_sort_block_merge_implIS3_N6thrust23THRUST_200600_302600_NS6detail15normal_iteratorINS9_10device_ptrIfEEEEPS5_jNS1_19radix_merge_compareILb0ELb0EfNS0_19identity_decomposerEEEEE10hipError_tT0_T1_T2_jT3_P12ihipStream_tbPNSt15iterator_traitsISK_E10value_typeEPNSQ_ISL_E10value_typeEPSM_NS1_7vsmem_tEENKUlT_SK_SL_SM_E_clISE_PfSF_SF_EESJ_SZ_SK_SL_SM_EUlSZ_E_NS1_11comp_targetILNS1_3genE3ELNS1_11target_archE908ELNS1_3gpuE7ELNS1_3repE0EEENS1_48merge_mergepath_partition_config_static_selectorELNS0_4arch9wavefront6targetE1EEEvSL_
	.p2align	8
	.type	_ZN7rocprim17ROCPRIM_400000_NS6detail17trampoline_kernelINS0_14default_configENS1_38merge_sort_block_merge_config_selectorIfNS0_10empty_typeEEEZZNS1_27merge_sort_block_merge_implIS3_N6thrust23THRUST_200600_302600_NS6detail15normal_iteratorINS9_10device_ptrIfEEEEPS5_jNS1_19radix_merge_compareILb0ELb0EfNS0_19identity_decomposerEEEEE10hipError_tT0_T1_T2_jT3_P12ihipStream_tbPNSt15iterator_traitsISK_E10value_typeEPNSQ_ISL_E10value_typeEPSM_NS1_7vsmem_tEENKUlT_SK_SL_SM_E_clISE_PfSF_SF_EESJ_SZ_SK_SL_SM_EUlSZ_E_NS1_11comp_targetILNS1_3genE3ELNS1_11target_archE908ELNS1_3gpuE7ELNS1_3repE0EEENS1_48merge_mergepath_partition_config_static_selectorELNS0_4arch9wavefront6targetE1EEEvSL_,@function
_ZN7rocprim17ROCPRIM_400000_NS6detail17trampoline_kernelINS0_14default_configENS1_38merge_sort_block_merge_config_selectorIfNS0_10empty_typeEEEZZNS1_27merge_sort_block_merge_implIS3_N6thrust23THRUST_200600_302600_NS6detail15normal_iteratorINS9_10device_ptrIfEEEEPS5_jNS1_19radix_merge_compareILb0ELb0EfNS0_19identity_decomposerEEEEE10hipError_tT0_T1_T2_jT3_P12ihipStream_tbPNSt15iterator_traitsISK_E10value_typeEPNSQ_ISL_E10value_typeEPSM_NS1_7vsmem_tEENKUlT_SK_SL_SM_E_clISE_PfSF_SF_EESJ_SZ_SK_SL_SM_EUlSZ_E_NS1_11comp_targetILNS1_3genE3ELNS1_11target_archE908ELNS1_3gpuE7ELNS1_3repE0EEENS1_48merge_mergepath_partition_config_static_selectorELNS0_4arch9wavefront6targetE1EEEvSL_: ; @_ZN7rocprim17ROCPRIM_400000_NS6detail17trampoline_kernelINS0_14default_configENS1_38merge_sort_block_merge_config_selectorIfNS0_10empty_typeEEEZZNS1_27merge_sort_block_merge_implIS3_N6thrust23THRUST_200600_302600_NS6detail15normal_iteratorINS9_10device_ptrIfEEEEPS5_jNS1_19radix_merge_compareILb0ELb0EfNS0_19identity_decomposerEEEEE10hipError_tT0_T1_T2_jT3_P12ihipStream_tbPNSt15iterator_traitsISK_E10value_typeEPNSQ_ISL_E10value_typeEPSM_NS1_7vsmem_tEENKUlT_SK_SL_SM_E_clISE_PfSF_SF_EESJ_SZ_SK_SL_SM_EUlSZ_E_NS1_11comp_targetILNS1_3genE3ELNS1_11target_archE908ELNS1_3gpuE7ELNS1_3repE0EEENS1_48merge_mergepath_partition_config_static_selectorELNS0_4arch9wavefront6targetE1EEEvSL_
; %bb.0:
	.section	.rodata,"a",@progbits
	.p2align	6, 0x0
	.amdhsa_kernel _ZN7rocprim17ROCPRIM_400000_NS6detail17trampoline_kernelINS0_14default_configENS1_38merge_sort_block_merge_config_selectorIfNS0_10empty_typeEEEZZNS1_27merge_sort_block_merge_implIS3_N6thrust23THRUST_200600_302600_NS6detail15normal_iteratorINS9_10device_ptrIfEEEEPS5_jNS1_19radix_merge_compareILb0ELb0EfNS0_19identity_decomposerEEEEE10hipError_tT0_T1_T2_jT3_P12ihipStream_tbPNSt15iterator_traitsISK_E10value_typeEPNSQ_ISL_E10value_typeEPSM_NS1_7vsmem_tEENKUlT_SK_SL_SM_E_clISE_PfSF_SF_EESJ_SZ_SK_SL_SM_EUlSZ_E_NS1_11comp_targetILNS1_3genE3ELNS1_11target_archE908ELNS1_3gpuE7ELNS1_3repE0EEENS1_48merge_mergepath_partition_config_static_selectorELNS0_4arch9wavefront6targetE1EEEvSL_
		.amdhsa_group_segment_fixed_size 0
		.amdhsa_private_segment_fixed_size 0
		.amdhsa_kernarg_size 40
		.amdhsa_user_sgpr_count 2
		.amdhsa_user_sgpr_dispatch_ptr 0
		.amdhsa_user_sgpr_queue_ptr 0
		.amdhsa_user_sgpr_kernarg_segment_ptr 1
		.amdhsa_user_sgpr_dispatch_id 0
		.amdhsa_user_sgpr_kernarg_preload_length 0
		.amdhsa_user_sgpr_kernarg_preload_offset 0
		.amdhsa_user_sgpr_private_segment_size 0
		.amdhsa_uses_dynamic_stack 0
		.amdhsa_enable_private_segment 0
		.amdhsa_system_sgpr_workgroup_id_x 1
		.amdhsa_system_sgpr_workgroup_id_y 0
		.amdhsa_system_sgpr_workgroup_id_z 0
		.amdhsa_system_sgpr_workgroup_info 0
		.amdhsa_system_vgpr_workitem_id 0
		.amdhsa_next_free_vgpr 1
		.amdhsa_next_free_sgpr 0
		.amdhsa_accum_offset 4
		.amdhsa_reserve_vcc 0
		.amdhsa_float_round_mode_32 0
		.amdhsa_float_round_mode_16_64 0
		.amdhsa_float_denorm_mode_32 3
		.amdhsa_float_denorm_mode_16_64 3
		.amdhsa_dx10_clamp 1
		.amdhsa_ieee_mode 1
		.amdhsa_fp16_overflow 0
		.amdhsa_tg_split 0
		.amdhsa_exception_fp_ieee_invalid_op 0
		.amdhsa_exception_fp_denorm_src 0
		.amdhsa_exception_fp_ieee_div_zero 0
		.amdhsa_exception_fp_ieee_overflow 0
		.amdhsa_exception_fp_ieee_underflow 0
		.amdhsa_exception_fp_ieee_inexact 0
		.amdhsa_exception_int_div_zero 0
	.end_amdhsa_kernel
	.section	.text._ZN7rocprim17ROCPRIM_400000_NS6detail17trampoline_kernelINS0_14default_configENS1_38merge_sort_block_merge_config_selectorIfNS0_10empty_typeEEEZZNS1_27merge_sort_block_merge_implIS3_N6thrust23THRUST_200600_302600_NS6detail15normal_iteratorINS9_10device_ptrIfEEEEPS5_jNS1_19radix_merge_compareILb0ELb0EfNS0_19identity_decomposerEEEEE10hipError_tT0_T1_T2_jT3_P12ihipStream_tbPNSt15iterator_traitsISK_E10value_typeEPNSQ_ISL_E10value_typeEPSM_NS1_7vsmem_tEENKUlT_SK_SL_SM_E_clISE_PfSF_SF_EESJ_SZ_SK_SL_SM_EUlSZ_E_NS1_11comp_targetILNS1_3genE3ELNS1_11target_archE908ELNS1_3gpuE7ELNS1_3repE0EEENS1_48merge_mergepath_partition_config_static_selectorELNS0_4arch9wavefront6targetE1EEEvSL_,"axG",@progbits,_ZN7rocprim17ROCPRIM_400000_NS6detail17trampoline_kernelINS0_14default_configENS1_38merge_sort_block_merge_config_selectorIfNS0_10empty_typeEEEZZNS1_27merge_sort_block_merge_implIS3_N6thrust23THRUST_200600_302600_NS6detail15normal_iteratorINS9_10device_ptrIfEEEEPS5_jNS1_19radix_merge_compareILb0ELb0EfNS0_19identity_decomposerEEEEE10hipError_tT0_T1_T2_jT3_P12ihipStream_tbPNSt15iterator_traitsISK_E10value_typeEPNSQ_ISL_E10value_typeEPSM_NS1_7vsmem_tEENKUlT_SK_SL_SM_E_clISE_PfSF_SF_EESJ_SZ_SK_SL_SM_EUlSZ_E_NS1_11comp_targetILNS1_3genE3ELNS1_11target_archE908ELNS1_3gpuE7ELNS1_3repE0EEENS1_48merge_mergepath_partition_config_static_selectorELNS0_4arch9wavefront6targetE1EEEvSL_,comdat
.Lfunc_end503:
	.size	_ZN7rocprim17ROCPRIM_400000_NS6detail17trampoline_kernelINS0_14default_configENS1_38merge_sort_block_merge_config_selectorIfNS0_10empty_typeEEEZZNS1_27merge_sort_block_merge_implIS3_N6thrust23THRUST_200600_302600_NS6detail15normal_iteratorINS9_10device_ptrIfEEEEPS5_jNS1_19radix_merge_compareILb0ELb0EfNS0_19identity_decomposerEEEEE10hipError_tT0_T1_T2_jT3_P12ihipStream_tbPNSt15iterator_traitsISK_E10value_typeEPNSQ_ISL_E10value_typeEPSM_NS1_7vsmem_tEENKUlT_SK_SL_SM_E_clISE_PfSF_SF_EESJ_SZ_SK_SL_SM_EUlSZ_E_NS1_11comp_targetILNS1_3genE3ELNS1_11target_archE908ELNS1_3gpuE7ELNS1_3repE0EEENS1_48merge_mergepath_partition_config_static_selectorELNS0_4arch9wavefront6targetE1EEEvSL_, .Lfunc_end503-_ZN7rocprim17ROCPRIM_400000_NS6detail17trampoline_kernelINS0_14default_configENS1_38merge_sort_block_merge_config_selectorIfNS0_10empty_typeEEEZZNS1_27merge_sort_block_merge_implIS3_N6thrust23THRUST_200600_302600_NS6detail15normal_iteratorINS9_10device_ptrIfEEEEPS5_jNS1_19radix_merge_compareILb0ELb0EfNS0_19identity_decomposerEEEEE10hipError_tT0_T1_T2_jT3_P12ihipStream_tbPNSt15iterator_traitsISK_E10value_typeEPNSQ_ISL_E10value_typeEPSM_NS1_7vsmem_tEENKUlT_SK_SL_SM_E_clISE_PfSF_SF_EESJ_SZ_SK_SL_SM_EUlSZ_E_NS1_11comp_targetILNS1_3genE3ELNS1_11target_archE908ELNS1_3gpuE7ELNS1_3repE0EEENS1_48merge_mergepath_partition_config_static_selectorELNS0_4arch9wavefront6targetE1EEEvSL_
                                        ; -- End function
	.set _ZN7rocprim17ROCPRIM_400000_NS6detail17trampoline_kernelINS0_14default_configENS1_38merge_sort_block_merge_config_selectorIfNS0_10empty_typeEEEZZNS1_27merge_sort_block_merge_implIS3_N6thrust23THRUST_200600_302600_NS6detail15normal_iteratorINS9_10device_ptrIfEEEEPS5_jNS1_19radix_merge_compareILb0ELb0EfNS0_19identity_decomposerEEEEE10hipError_tT0_T1_T2_jT3_P12ihipStream_tbPNSt15iterator_traitsISK_E10value_typeEPNSQ_ISL_E10value_typeEPSM_NS1_7vsmem_tEENKUlT_SK_SL_SM_E_clISE_PfSF_SF_EESJ_SZ_SK_SL_SM_EUlSZ_E_NS1_11comp_targetILNS1_3genE3ELNS1_11target_archE908ELNS1_3gpuE7ELNS1_3repE0EEENS1_48merge_mergepath_partition_config_static_selectorELNS0_4arch9wavefront6targetE1EEEvSL_.num_vgpr, 0
	.set _ZN7rocprim17ROCPRIM_400000_NS6detail17trampoline_kernelINS0_14default_configENS1_38merge_sort_block_merge_config_selectorIfNS0_10empty_typeEEEZZNS1_27merge_sort_block_merge_implIS3_N6thrust23THRUST_200600_302600_NS6detail15normal_iteratorINS9_10device_ptrIfEEEEPS5_jNS1_19radix_merge_compareILb0ELb0EfNS0_19identity_decomposerEEEEE10hipError_tT0_T1_T2_jT3_P12ihipStream_tbPNSt15iterator_traitsISK_E10value_typeEPNSQ_ISL_E10value_typeEPSM_NS1_7vsmem_tEENKUlT_SK_SL_SM_E_clISE_PfSF_SF_EESJ_SZ_SK_SL_SM_EUlSZ_E_NS1_11comp_targetILNS1_3genE3ELNS1_11target_archE908ELNS1_3gpuE7ELNS1_3repE0EEENS1_48merge_mergepath_partition_config_static_selectorELNS0_4arch9wavefront6targetE1EEEvSL_.num_agpr, 0
	.set _ZN7rocprim17ROCPRIM_400000_NS6detail17trampoline_kernelINS0_14default_configENS1_38merge_sort_block_merge_config_selectorIfNS0_10empty_typeEEEZZNS1_27merge_sort_block_merge_implIS3_N6thrust23THRUST_200600_302600_NS6detail15normal_iteratorINS9_10device_ptrIfEEEEPS5_jNS1_19radix_merge_compareILb0ELb0EfNS0_19identity_decomposerEEEEE10hipError_tT0_T1_T2_jT3_P12ihipStream_tbPNSt15iterator_traitsISK_E10value_typeEPNSQ_ISL_E10value_typeEPSM_NS1_7vsmem_tEENKUlT_SK_SL_SM_E_clISE_PfSF_SF_EESJ_SZ_SK_SL_SM_EUlSZ_E_NS1_11comp_targetILNS1_3genE3ELNS1_11target_archE908ELNS1_3gpuE7ELNS1_3repE0EEENS1_48merge_mergepath_partition_config_static_selectorELNS0_4arch9wavefront6targetE1EEEvSL_.numbered_sgpr, 0
	.set _ZN7rocprim17ROCPRIM_400000_NS6detail17trampoline_kernelINS0_14default_configENS1_38merge_sort_block_merge_config_selectorIfNS0_10empty_typeEEEZZNS1_27merge_sort_block_merge_implIS3_N6thrust23THRUST_200600_302600_NS6detail15normal_iteratorINS9_10device_ptrIfEEEEPS5_jNS1_19radix_merge_compareILb0ELb0EfNS0_19identity_decomposerEEEEE10hipError_tT0_T1_T2_jT3_P12ihipStream_tbPNSt15iterator_traitsISK_E10value_typeEPNSQ_ISL_E10value_typeEPSM_NS1_7vsmem_tEENKUlT_SK_SL_SM_E_clISE_PfSF_SF_EESJ_SZ_SK_SL_SM_EUlSZ_E_NS1_11comp_targetILNS1_3genE3ELNS1_11target_archE908ELNS1_3gpuE7ELNS1_3repE0EEENS1_48merge_mergepath_partition_config_static_selectorELNS0_4arch9wavefront6targetE1EEEvSL_.num_named_barrier, 0
	.set _ZN7rocprim17ROCPRIM_400000_NS6detail17trampoline_kernelINS0_14default_configENS1_38merge_sort_block_merge_config_selectorIfNS0_10empty_typeEEEZZNS1_27merge_sort_block_merge_implIS3_N6thrust23THRUST_200600_302600_NS6detail15normal_iteratorINS9_10device_ptrIfEEEEPS5_jNS1_19radix_merge_compareILb0ELb0EfNS0_19identity_decomposerEEEEE10hipError_tT0_T1_T2_jT3_P12ihipStream_tbPNSt15iterator_traitsISK_E10value_typeEPNSQ_ISL_E10value_typeEPSM_NS1_7vsmem_tEENKUlT_SK_SL_SM_E_clISE_PfSF_SF_EESJ_SZ_SK_SL_SM_EUlSZ_E_NS1_11comp_targetILNS1_3genE3ELNS1_11target_archE908ELNS1_3gpuE7ELNS1_3repE0EEENS1_48merge_mergepath_partition_config_static_selectorELNS0_4arch9wavefront6targetE1EEEvSL_.private_seg_size, 0
	.set _ZN7rocprim17ROCPRIM_400000_NS6detail17trampoline_kernelINS0_14default_configENS1_38merge_sort_block_merge_config_selectorIfNS0_10empty_typeEEEZZNS1_27merge_sort_block_merge_implIS3_N6thrust23THRUST_200600_302600_NS6detail15normal_iteratorINS9_10device_ptrIfEEEEPS5_jNS1_19radix_merge_compareILb0ELb0EfNS0_19identity_decomposerEEEEE10hipError_tT0_T1_T2_jT3_P12ihipStream_tbPNSt15iterator_traitsISK_E10value_typeEPNSQ_ISL_E10value_typeEPSM_NS1_7vsmem_tEENKUlT_SK_SL_SM_E_clISE_PfSF_SF_EESJ_SZ_SK_SL_SM_EUlSZ_E_NS1_11comp_targetILNS1_3genE3ELNS1_11target_archE908ELNS1_3gpuE7ELNS1_3repE0EEENS1_48merge_mergepath_partition_config_static_selectorELNS0_4arch9wavefront6targetE1EEEvSL_.uses_vcc, 0
	.set _ZN7rocprim17ROCPRIM_400000_NS6detail17trampoline_kernelINS0_14default_configENS1_38merge_sort_block_merge_config_selectorIfNS0_10empty_typeEEEZZNS1_27merge_sort_block_merge_implIS3_N6thrust23THRUST_200600_302600_NS6detail15normal_iteratorINS9_10device_ptrIfEEEEPS5_jNS1_19radix_merge_compareILb0ELb0EfNS0_19identity_decomposerEEEEE10hipError_tT0_T1_T2_jT3_P12ihipStream_tbPNSt15iterator_traitsISK_E10value_typeEPNSQ_ISL_E10value_typeEPSM_NS1_7vsmem_tEENKUlT_SK_SL_SM_E_clISE_PfSF_SF_EESJ_SZ_SK_SL_SM_EUlSZ_E_NS1_11comp_targetILNS1_3genE3ELNS1_11target_archE908ELNS1_3gpuE7ELNS1_3repE0EEENS1_48merge_mergepath_partition_config_static_selectorELNS0_4arch9wavefront6targetE1EEEvSL_.uses_flat_scratch, 0
	.set _ZN7rocprim17ROCPRIM_400000_NS6detail17trampoline_kernelINS0_14default_configENS1_38merge_sort_block_merge_config_selectorIfNS0_10empty_typeEEEZZNS1_27merge_sort_block_merge_implIS3_N6thrust23THRUST_200600_302600_NS6detail15normal_iteratorINS9_10device_ptrIfEEEEPS5_jNS1_19radix_merge_compareILb0ELb0EfNS0_19identity_decomposerEEEEE10hipError_tT0_T1_T2_jT3_P12ihipStream_tbPNSt15iterator_traitsISK_E10value_typeEPNSQ_ISL_E10value_typeEPSM_NS1_7vsmem_tEENKUlT_SK_SL_SM_E_clISE_PfSF_SF_EESJ_SZ_SK_SL_SM_EUlSZ_E_NS1_11comp_targetILNS1_3genE3ELNS1_11target_archE908ELNS1_3gpuE7ELNS1_3repE0EEENS1_48merge_mergepath_partition_config_static_selectorELNS0_4arch9wavefront6targetE1EEEvSL_.has_dyn_sized_stack, 0
	.set _ZN7rocprim17ROCPRIM_400000_NS6detail17trampoline_kernelINS0_14default_configENS1_38merge_sort_block_merge_config_selectorIfNS0_10empty_typeEEEZZNS1_27merge_sort_block_merge_implIS3_N6thrust23THRUST_200600_302600_NS6detail15normal_iteratorINS9_10device_ptrIfEEEEPS5_jNS1_19radix_merge_compareILb0ELb0EfNS0_19identity_decomposerEEEEE10hipError_tT0_T1_T2_jT3_P12ihipStream_tbPNSt15iterator_traitsISK_E10value_typeEPNSQ_ISL_E10value_typeEPSM_NS1_7vsmem_tEENKUlT_SK_SL_SM_E_clISE_PfSF_SF_EESJ_SZ_SK_SL_SM_EUlSZ_E_NS1_11comp_targetILNS1_3genE3ELNS1_11target_archE908ELNS1_3gpuE7ELNS1_3repE0EEENS1_48merge_mergepath_partition_config_static_selectorELNS0_4arch9wavefront6targetE1EEEvSL_.has_recursion, 0
	.set _ZN7rocprim17ROCPRIM_400000_NS6detail17trampoline_kernelINS0_14default_configENS1_38merge_sort_block_merge_config_selectorIfNS0_10empty_typeEEEZZNS1_27merge_sort_block_merge_implIS3_N6thrust23THRUST_200600_302600_NS6detail15normal_iteratorINS9_10device_ptrIfEEEEPS5_jNS1_19radix_merge_compareILb0ELb0EfNS0_19identity_decomposerEEEEE10hipError_tT0_T1_T2_jT3_P12ihipStream_tbPNSt15iterator_traitsISK_E10value_typeEPNSQ_ISL_E10value_typeEPSM_NS1_7vsmem_tEENKUlT_SK_SL_SM_E_clISE_PfSF_SF_EESJ_SZ_SK_SL_SM_EUlSZ_E_NS1_11comp_targetILNS1_3genE3ELNS1_11target_archE908ELNS1_3gpuE7ELNS1_3repE0EEENS1_48merge_mergepath_partition_config_static_selectorELNS0_4arch9wavefront6targetE1EEEvSL_.has_indirect_call, 0
	.section	.AMDGPU.csdata,"",@progbits
; Kernel info:
; codeLenInByte = 0
; TotalNumSgprs: 6
; NumVgprs: 0
; NumAgprs: 0
; TotalNumVgprs: 0
; ScratchSize: 0
; MemoryBound: 0
; FloatMode: 240
; IeeeMode: 1
; LDSByteSize: 0 bytes/workgroup (compile time only)
; SGPRBlocks: 0
; VGPRBlocks: 0
; NumSGPRsForWavesPerEU: 6
; NumVGPRsForWavesPerEU: 1
; AccumOffset: 4
; Occupancy: 8
; WaveLimiterHint : 0
; COMPUTE_PGM_RSRC2:SCRATCH_EN: 0
; COMPUTE_PGM_RSRC2:USER_SGPR: 2
; COMPUTE_PGM_RSRC2:TRAP_HANDLER: 0
; COMPUTE_PGM_RSRC2:TGID_X_EN: 1
; COMPUTE_PGM_RSRC2:TGID_Y_EN: 0
; COMPUTE_PGM_RSRC2:TGID_Z_EN: 0
; COMPUTE_PGM_RSRC2:TIDIG_COMP_CNT: 0
; COMPUTE_PGM_RSRC3_GFX90A:ACCUM_OFFSET: 0
; COMPUTE_PGM_RSRC3_GFX90A:TG_SPLIT: 0
	.section	.text._ZN7rocprim17ROCPRIM_400000_NS6detail17trampoline_kernelINS0_14default_configENS1_38merge_sort_block_merge_config_selectorIfNS0_10empty_typeEEEZZNS1_27merge_sort_block_merge_implIS3_N6thrust23THRUST_200600_302600_NS6detail15normal_iteratorINS9_10device_ptrIfEEEEPS5_jNS1_19radix_merge_compareILb0ELb0EfNS0_19identity_decomposerEEEEE10hipError_tT0_T1_T2_jT3_P12ihipStream_tbPNSt15iterator_traitsISK_E10value_typeEPNSQ_ISL_E10value_typeEPSM_NS1_7vsmem_tEENKUlT_SK_SL_SM_E_clISE_PfSF_SF_EESJ_SZ_SK_SL_SM_EUlSZ_E_NS1_11comp_targetILNS1_3genE2ELNS1_11target_archE906ELNS1_3gpuE6ELNS1_3repE0EEENS1_48merge_mergepath_partition_config_static_selectorELNS0_4arch9wavefront6targetE1EEEvSL_,"axG",@progbits,_ZN7rocprim17ROCPRIM_400000_NS6detail17trampoline_kernelINS0_14default_configENS1_38merge_sort_block_merge_config_selectorIfNS0_10empty_typeEEEZZNS1_27merge_sort_block_merge_implIS3_N6thrust23THRUST_200600_302600_NS6detail15normal_iteratorINS9_10device_ptrIfEEEEPS5_jNS1_19radix_merge_compareILb0ELb0EfNS0_19identity_decomposerEEEEE10hipError_tT0_T1_T2_jT3_P12ihipStream_tbPNSt15iterator_traitsISK_E10value_typeEPNSQ_ISL_E10value_typeEPSM_NS1_7vsmem_tEENKUlT_SK_SL_SM_E_clISE_PfSF_SF_EESJ_SZ_SK_SL_SM_EUlSZ_E_NS1_11comp_targetILNS1_3genE2ELNS1_11target_archE906ELNS1_3gpuE6ELNS1_3repE0EEENS1_48merge_mergepath_partition_config_static_selectorELNS0_4arch9wavefront6targetE1EEEvSL_,comdat
	.protected	_ZN7rocprim17ROCPRIM_400000_NS6detail17trampoline_kernelINS0_14default_configENS1_38merge_sort_block_merge_config_selectorIfNS0_10empty_typeEEEZZNS1_27merge_sort_block_merge_implIS3_N6thrust23THRUST_200600_302600_NS6detail15normal_iteratorINS9_10device_ptrIfEEEEPS5_jNS1_19radix_merge_compareILb0ELb0EfNS0_19identity_decomposerEEEEE10hipError_tT0_T1_T2_jT3_P12ihipStream_tbPNSt15iterator_traitsISK_E10value_typeEPNSQ_ISL_E10value_typeEPSM_NS1_7vsmem_tEENKUlT_SK_SL_SM_E_clISE_PfSF_SF_EESJ_SZ_SK_SL_SM_EUlSZ_E_NS1_11comp_targetILNS1_3genE2ELNS1_11target_archE906ELNS1_3gpuE6ELNS1_3repE0EEENS1_48merge_mergepath_partition_config_static_selectorELNS0_4arch9wavefront6targetE1EEEvSL_ ; -- Begin function _ZN7rocprim17ROCPRIM_400000_NS6detail17trampoline_kernelINS0_14default_configENS1_38merge_sort_block_merge_config_selectorIfNS0_10empty_typeEEEZZNS1_27merge_sort_block_merge_implIS3_N6thrust23THRUST_200600_302600_NS6detail15normal_iteratorINS9_10device_ptrIfEEEEPS5_jNS1_19radix_merge_compareILb0ELb0EfNS0_19identity_decomposerEEEEE10hipError_tT0_T1_T2_jT3_P12ihipStream_tbPNSt15iterator_traitsISK_E10value_typeEPNSQ_ISL_E10value_typeEPSM_NS1_7vsmem_tEENKUlT_SK_SL_SM_E_clISE_PfSF_SF_EESJ_SZ_SK_SL_SM_EUlSZ_E_NS1_11comp_targetILNS1_3genE2ELNS1_11target_archE906ELNS1_3gpuE6ELNS1_3repE0EEENS1_48merge_mergepath_partition_config_static_selectorELNS0_4arch9wavefront6targetE1EEEvSL_
	.globl	_ZN7rocprim17ROCPRIM_400000_NS6detail17trampoline_kernelINS0_14default_configENS1_38merge_sort_block_merge_config_selectorIfNS0_10empty_typeEEEZZNS1_27merge_sort_block_merge_implIS3_N6thrust23THRUST_200600_302600_NS6detail15normal_iteratorINS9_10device_ptrIfEEEEPS5_jNS1_19radix_merge_compareILb0ELb0EfNS0_19identity_decomposerEEEEE10hipError_tT0_T1_T2_jT3_P12ihipStream_tbPNSt15iterator_traitsISK_E10value_typeEPNSQ_ISL_E10value_typeEPSM_NS1_7vsmem_tEENKUlT_SK_SL_SM_E_clISE_PfSF_SF_EESJ_SZ_SK_SL_SM_EUlSZ_E_NS1_11comp_targetILNS1_3genE2ELNS1_11target_archE906ELNS1_3gpuE6ELNS1_3repE0EEENS1_48merge_mergepath_partition_config_static_selectorELNS0_4arch9wavefront6targetE1EEEvSL_
	.p2align	8
	.type	_ZN7rocprim17ROCPRIM_400000_NS6detail17trampoline_kernelINS0_14default_configENS1_38merge_sort_block_merge_config_selectorIfNS0_10empty_typeEEEZZNS1_27merge_sort_block_merge_implIS3_N6thrust23THRUST_200600_302600_NS6detail15normal_iteratorINS9_10device_ptrIfEEEEPS5_jNS1_19radix_merge_compareILb0ELb0EfNS0_19identity_decomposerEEEEE10hipError_tT0_T1_T2_jT3_P12ihipStream_tbPNSt15iterator_traitsISK_E10value_typeEPNSQ_ISL_E10value_typeEPSM_NS1_7vsmem_tEENKUlT_SK_SL_SM_E_clISE_PfSF_SF_EESJ_SZ_SK_SL_SM_EUlSZ_E_NS1_11comp_targetILNS1_3genE2ELNS1_11target_archE906ELNS1_3gpuE6ELNS1_3repE0EEENS1_48merge_mergepath_partition_config_static_selectorELNS0_4arch9wavefront6targetE1EEEvSL_,@function
_ZN7rocprim17ROCPRIM_400000_NS6detail17trampoline_kernelINS0_14default_configENS1_38merge_sort_block_merge_config_selectorIfNS0_10empty_typeEEEZZNS1_27merge_sort_block_merge_implIS3_N6thrust23THRUST_200600_302600_NS6detail15normal_iteratorINS9_10device_ptrIfEEEEPS5_jNS1_19radix_merge_compareILb0ELb0EfNS0_19identity_decomposerEEEEE10hipError_tT0_T1_T2_jT3_P12ihipStream_tbPNSt15iterator_traitsISK_E10value_typeEPNSQ_ISL_E10value_typeEPSM_NS1_7vsmem_tEENKUlT_SK_SL_SM_E_clISE_PfSF_SF_EESJ_SZ_SK_SL_SM_EUlSZ_E_NS1_11comp_targetILNS1_3genE2ELNS1_11target_archE906ELNS1_3gpuE6ELNS1_3repE0EEENS1_48merge_mergepath_partition_config_static_selectorELNS0_4arch9wavefront6targetE1EEEvSL_: ; @_ZN7rocprim17ROCPRIM_400000_NS6detail17trampoline_kernelINS0_14default_configENS1_38merge_sort_block_merge_config_selectorIfNS0_10empty_typeEEEZZNS1_27merge_sort_block_merge_implIS3_N6thrust23THRUST_200600_302600_NS6detail15normal_iteratorINS9_10device_ptrIfEEEEPS5_jNS1_19radix_merge_compareILb0ELb0EfNS0_19identity_decomposerEEEEE10hipError_tT0_T1_T2_jT3_P12ihipStream_tbPNSt15iterator_traitsISK_E10value_typeEPNSQ_ISL_E10value_typeEPSM_NS1_7vsmem_tEENKUlT_SK_SL_SM_E_clISE_PfSF_SF_EESJ_SZ_SK_SL_SM_EUlSZ_E_NS1_11comp_targetILNS1_3genE2ELNS1_11target_archE906ELNS1_3gpuE6ELNS1_3repE0EEENS1_48merge_mergepath_partition_config_static_selectorELNS0_4arch9wavefront6targetE1EEEvSL_
; %bb.0:
	.section	.rodata,"a",@progbits
	.p2align	6, 0x0
	.amdhsa_kernel _ZN7rocprim17ROCPRIM_400000_NS6detail17trampoline_kernelINS0_14default_configENS1_38merge_sort_block_merge_config_selectorIfNS0_10empty_typeEEEZZNS1_27merge_sort_block_merge_implIS3_N6thrust23THRUST_200600_302600_NS6detail15normal_iteratorINS9_10device_ptrIfEEEEPS5_jNS1_19radix_merge_compareILb0ELb0EfNS0_19identity_decomposerEEEEE10hipError_tT0_T1_T2_jT3_P12ihipStream_tbPNSt15iterator_traitsISK_E10value_typeEPNSQ_ISL_E10value_typeEPSM_NS1_7vsmem_tEENKUlT_SK_SL_SM_E_clISE_PfSF_SF_EESJ_SZ_SK_SL_SM_EUlSZ_E_NS1_11comp_targetILNS1_3genE2ELNS1_11target_archE906ELNS1_3gpuE6ELNS1_3repE0EEENS1_48merge_mergepath_partition_config_static_selectorELNS0_4arch9wavefront6targetE1EEEvSL_
		.amdhsa_group_segment_fixed_size 0
		.amdhsa_private_segment_fixed_size 0
		.amdhsa_kernarg_size 40
		.amdhsa_user_sgpr_count 2
		.amdhsa_user_sgpr_dispatch_ptr 0
		.amdhsa_user_sgpr_queue_ptr 0
		.amdhsa_user_sgpr_kernarg_segment_ptr 1
		.amdhsa_user_sgpr_dispatch_id 0
		.amdhsa_user_sgpr_kernarg_preload_length 0
		.amdhsa_user_sgpr_kernarg_preload_offset 0
		.amdhsa_user_sgpr_private_segment_size 0
		.amdhsa_uses_dynamic_stack 0
		.amdhsa_enable_private_segment 0
		.amdhsa_system_sgpr_workgroup_id_x 1
		.amdhsa_system_sgpr_workgroup_id_y 0
		.amdhsa_system_sgpr_workgroup_id_z 0
		.amdhsa_system_sgpr_workgroup_info 0
		.amdhsa_system_vgpr_workitem_id 0
		.amdhsa_next_free_vgpr 1
		.amdhsa_next_free_sgpr 0
		.amdhsa_accum_offset 4
		.amdhsa_reserve_vcc 0
		.amdhsa_float_round_mode_32 0
		.amdhsa_float_round_mode_16_64 0
		.amdhsa_float_denorm_mode_32 3
		.amdhsa_float_denorm_mode_16_64 3
		.amdhsa_dx10_clamp 1
		.amdhsa_ieee_mode 1
		.amdhsa_fp16_overflow 0
		.amdhsa_tg_split 0
		.amdhsa_exception_fp_ieee_invalid_op 0
		.amdhsa_exception_fp_denorm_src 0
		.amdhsa_exception_fp_ieee_div_zero 0
		.amdhsa_exception_fp_ieee_overflow 0
		.amdhsa_exception_fp_ieee_underflow 0
		.amdhsa_exception_fp_ieee_inexact 0
		.amdhsa_exception_int_div_zero 0
	.end_amdhsa_kernel
	.section	.text._ZN7rocprim17ROCPRIM_400000_NS6detail17trampoline_kernelINS0_14default_configENS1_38merge_sort_block_merge_config_selectorIfNS0_10empty_typeEEEZZNS1_27merge_sort_block_merge_implIS3_N6thrust23THRUST_200600_302600_NS6detail15normal_iteratorINS9_10device_ptrIfEEEEPS5_jNS1_19radix_merge_compareILb0ELb0EfNS0_19identity_decomposerEEEEE10hipError_tT0_T1_T2_jT3_P12ihipStream_tbPNSt15iterator_traitsISK_E10value_typeEPNSQ_ISL_E10value_typeEPSM_NS1_7vsmem_tEENKUlT_SK_SL_SM_E_clISE_PfSF_SF_EESJ_SZ_SK_SL_SM_EUlSZ_E_NS1_11comp_targetILNS1_3genE2ELNS1_11target_archE906ELNS1_3gpuE6ELNS1_3repE0EEENS1_48merge_mergepath_partition_config_static_selectorELNS0_4arch9wavefront6targetE1EEEvSL_,"axG",@progbits,_ZN7rocprim17ROCPRIM_400000_NS6detail17trampoline_kernelINS0_14default_configENS1_38merge_sort_block_merge_config_selectorIfNS0_10empty_typeEEEZZNS1_27merge_sort_block_merge_implIS3_N6thrust23THRUST_200600_302600_NS6detail15normal_iteratorINS9_10device_ptrIfEEEEPS5_jNS1_19radix_merge_compareILb0ELb0EfNS0_19identity_decomposerEEEEE10hipError_tT0_T1_T2_jT3_P12ihipStream_tbPNSt15iterator_traitsISK_E10value_typeEPNSQ_ISL_E10value_typeEPSM_NS1_7vsmem_tEENKUlT_SK_SL_SM_E_clISE_PfSF_SF_EESJ_SZ_SK_SL_SM_EUlSZ_E_NS1_11comp_targetILNS1_3genE2ELNS1_11target_archE906ELNS1_3gpuE6ELNS1_3repE0EEENS1_48merge_mergepath_partition_config_static_selectorELNS0_4arch9wavefront6targetE1EEEvSL_,comdat
.Lfunc_end504:
	.size	_ZN7rocprim17ROCPRIM_400000_NS6detail17trampoline_kernelINS0_14default_configENS1_38merge_sort_block_merge_config_selectorIfNS0_10empty_typeEEEZZNS1_27merge_sort_block_merge_implIS3_N6thrust23THRUST_200600_302600_NS6detail15normal_iteratorINS9_10device_ptrIfEEEEPS5_jNS1_19radix_merge_compareILb0ELb0EfNS0_19identity_decomposerEEEEE10hipError_tT0_T1_T2_jT3_P12ihipStream_tbPNSt15iterator_traitsISK_E10value_typeEPNSQ_ISL_E10value_typeEPSM_NS1_7vsmem_tEENKUlT_SK_SL_SM_E_clISE_PfSF_SF_EESJ_SZ_SK_SL_SM_EUlSZ_E_NS1_11comp_targetILNS1_3genE2ELNS1_11target_archE906ELNS1_3gpuE6ELNS1_3repE0EEENS1_48merge_mergepath_partition_config_static_selectorELNS0_4arch9wavefront6targetE1EEEvSL_, .Lfunc_end504-_ZN7rocprim17ROCPRIM_400000_NS6detail17trampoline_kernelINS0_14default_configENS1_38merge_sort_block_merge_config_selectorIfNS0_10empty_typeEEEZZNS1_27merge_sort_block_merge_implIS3_N6thrust23THRUST_200600_302600_NS6detail15normal_iteratorINS9_10device_ptrIfEEEEPS5_jNS1_19radix_merge_compareILb0ELb0EfNS0_19identity_decomposerEEEEE10hipError_tT0_T1_T2_jT3_P12ihipStream_tbPNSt15iterator_traitsISK_E10value_typeEPNSQ_ISL_E10value_typeEPSM_NS1_7vsmem_tEENKUlT_SK_SL_SM_E_clISE_PfSF_SF_EESJ_SZ_SK_SL_SM_EUlSZ_E_NS1_11comp_targetILNS1_3genE2ELNS1_11target_archE906ELNS1_3gpuE6ELNS1_3repE0EEENS1_48merge_mergepath_partition_config_static_selectorELNS0_4arch9wavefront6targetE1EEEvSL_
                                        ; -- End function
	.set _ZN7rocprim17ROCPRIM_400000_NS6detail17trampoline_kernelINS0_14default_configENS1_38merge_sort_block_merge_config_selectorIfNS0_10empty_typeEEEZZNS1_27merge_sort_block_merge_implIS3_N6thrust23THRUST_200600_302600_NS6detail15normal_iteratorINS9_10device_ptrIfEEEEPS5_jNS1_19radix_merge_compareILb0ELb0EfNS0_19identity_decomposerEEEEE10hipError_tT0_T1_T2_jT3_P12ihipStream_tbPNSt15iterator_traitsISK_E10value_typeEPNSQ_ISL_E10value_typeEPSM_NS1_7vsmem_tEENKUlT_SK_SL_SM_E_clISE_PfSF_SF_EESJ_SZ_SK_SL_SM_EUlSZ_E_NS1_11comp_targetILNS1_3genE2ELNS1_11target_archE906ELNS1_3gpuE6ELNS1_3repE0EEENS1_48merge_mergepath_partition_config_static_selectorELNS0_4arch9wavefront6targetE1EEEvSL_.num_vgpr, 0
	.set _ZN7rocprim17ROCPRIM_400000_NS6detail17trampoline_kernelINS0_14default_configENS1_38merge_sort_block_merge_config_selectorIfNS0_10empty_typeEEEZZNS1_27merge_sort_block_merge_implIS3_N6thrust23THRUST_200600_302600_NS6detail15normal_iteratorINS9_10device_ptrIfEEEEPS5_jNS1_19radix_merge_compareILb0ELb0EfNS0_19identity_decomposerEEEEE10hipError_tT0_T1_T2_jT3_P12ihipStream_tbPNSt15iterator_traitsISK_E10value_typeEPNSQ_ISL_E10value_typeEPSM_NS1_7vsmem_tEENKUlT_SK_SL_SM_E_clISE_PfSF_SF_EESJ_SZ_SK_SL_SM_EUlSZ_E_NS1_11comp_targetILNS1_3genE2ELNS1_11target_archE906ELNS1_3gpuE6ELNS1_3repE0EEENS1_48merge_mergepath_partition_config_static_selectorELNS0_4arch9wavefront6targetE1EEEvSL_.num_agpr, 0
	.set _ZN7rocprim17ROCPRIM_400000_NS6detail17trampoline_kernelINS0_14default_configENS1_38merge_sort_block_merge_config_selectorIfNS0_10empty_typeEEEZZNS1_27merge_sort_block_merge_implIS3_N6thrust23THRUST_200600_302600_NS6detail15normal_iteratorINS9_10device_ptrIfEEEEPS5_jNS1_19radix_merge_compareILb0ELb0EfNS0_19identity_decomposerEEEEE10hipError_tT0_T1_T2_jT3_P12ihipStream_tbPNSt15iterator_traitsISK_E10value_typeEPNSQ_ISL_E10value_typeEPSM_NS1_7vsmem_tEENKUlT_SK_SL_SM_E_clISE_PfSF_SF_EESJ_SZ_SK_SL_SM_EUlSZ_E_NS1_11comp_targetILNS1_3genE2ELNS1_11target_archE906ELNS1_3gpuE6ELNS1_3repE0EEENS1_48merge_mergepath_partition_config_static_selectorELNS0_4arch9wavefront6targetE1EEEvSL_.numbered_sgpr, 0
	.set _ZN7rocprim17ROCPRIM_400000_NS6detail17trampoline_kernelINS0_14default_configENS1_38merge_sort_block_merge_config_selectorIfNS0_10empty_typeEEEZZNS1_27merge_sort_block_merge_implIS3_N6thrust23THRUST_200600_302600_NS6detail15normal_iteratorINS9_10device_ptrIfEEEEPS5_jNS1_19radix_merge_compareILb0ELb0EfNS0_19identity_decomposerEEEEE10hipError_tT0_T1_T2_jT3_P12ihipStream_tbPNSt15iterator_traitsISK_E10value_typeEPNSQ_ISL_E10value_typeEPSM_NS1_7vsmem_tEENKUlT_SK_SL_SM_E_clISE_PfSF_SF_EESJ_SZ_SK_SL_SM_EUlSZ_E_NS1_11comp_targetILNS1_3genE2ELNS1_11target_archE906ELNS1_3gpuE6ELNS1_3repE0EEENS1_48merge_mergepath_partition_config_static_selectorELNS0_4arch9wavefront6targetE1EEEvSL_.num_named_barrier, 0
	.set _ZN7rocprim17ROCPRIM_400000_NS6detail17trampoline_kernelINS0_14default_configENS1_38merge_sort_block_merge_config_selectorIfNS0_10empty_typeEEEZZNS1_27merge_sort_block_merge_implIS3_N6thrust23THRUST_200600_302600_NS6detail15normal_iteratorINS9_10device_ptrIfEEEEPS5_jNS1_19radix_merge_compareILb0ELb0EfNS0_19identity_decomposerEEEEE10hipError_tT0_T1_T2_jT3_P12ihipStream_tbPNSt15iterator_traitsISK_E10value_typeEPNSQ_ISL_E10value_typeEPSM_NS1_7vsmem_tEENKUlT_SK_SL_SM_E_clISE_PfSF_SF_EESJ_SZ_SK_SL_SM_EUlSZ_E_NS1_11comp_targetILNS1_3genE2ELNS1_11target_archE906ELNS1_3gpuE6ELNS1_3repE0EEENS1_48merge_mergepath_partition_config_static_selectorELNS0_4arch9wavefront6targetE1EEEvSL_.private_seg_size, 0
	.set _ZN7rocprim17ROCPRIM_400000_NS6detail17trampoline_kernelINS0_14default_configENS1_38merge_sort_block_merge_config_selectorIfNS0_10empty_typeEEEZZNS1_27merge_sort_block_merge_implIS3_N6thrust23THRUST_200600_302600_NS6detail15normal_iteratorINS9_10device_ptrIfEEEEPS5_jNS1_19radix_merge_compareILb0ELb0EfNS0_19identity_decomposerEEEEE10hipError_tT0_T1_T2_jT3_P12ihipStream_tbPNSt15iterator_traitsISK_E10value_typeEPNSQ_ISL_E10value_typeEPSM_NS1_7vsmem_tEENKUlT_SK_SL_SM_E_clISE_PfSF_SF_EESJ_SZ_SK_SL_SM_EUlSZ_E_NS1_11comp_targetILNS1_3genE2ELNS1_11target_archE906ELNS1_3gpuE6ELNS1_3repE0EEENS1_48merge_mergepath_partition_config_static_selectorELNS0_4arch9wavefront6targetE1EEEvSL_.uses_vcc, 0
	.set _ZN7rocprim17ROCPRIM_400000_NS6detail17trampoline_kernelINS0_14default_configENS1_38merge_sort_block_merge_config_selectorIfNS0_10empty_typeEEEZZNS1_27merge_sort_block_merge_implIS3_N6thrust23THRUST_200600_302600_NS6detail15normal_iteratorINS9_10device_ptrIfEEEEPS5_jNS1_19radix_merge_compareILb0ELb0EfNS0_19identity_decomposerEEEEE10hipError_tT0_T1_T2_jT3_P12ihipStream_tbPNSt15iterator_traitsISK_E10value_typeEPNSQ_ISL_E10value_typeEPSM_NS1_7vsmem_tEENKUlT_SK_SL_SM_E_clISE_PfSF_SF_EESJ_SZ_SK_SL_SM_EUlSZ_E_NS1_11comp_targetILNS1_3genE2ELNS1_11target_archE906ELNS1_3gpuE6ELNS1_3repE0EEENS1_48merge_mergepath_partition_config_static_selectorELNS0_4arch9wavefront6targetE1EEEvSL_.uses_flat_scratch, 0
	.set _ZN7rocprim17ROCPRIM_400000_NS6detail17trampoline_kernelINS0_14default_configENS1_38merge_sort_block_merge_config_selectorIfNS0_10empty_typeEEEZZNS1_27merge_sort_block_merge_implIS3_N6thrust23THRUST_200600_302600_NS6detail15normal_iteratorINS9_10device_ptrIfEEEEPS5_jNS1_19radix_merge_compareILb0ELb0EfNS0_19identity_decomposerEEEEE10hipError_tT0_T1_T2_jT3_P12ihipStream_tbPNSt15iterator_traitsISK_E10value_typeEPNSQ_ISL_E10value_typeEPSM_NS1_7vsmem_tEENKUlT_SK_SL_SM_E_clISE_PfSF_SF_EESJ_SZ_SK_SL_SM_EUlSZ_E_NS1_11comp_targetILNS1_3genE2ELNS1_11target_archE906ELNS1_3gpuE6ELNS1_3repE0EEENS1_48merge_mergepath_partition_config_static_selectorELNS0_4arch9wavefront6targetE1EEEvSL_.has_dyn_sized_stack, 0
	.set _ZN7rocprim17ROCPRIM_400000_NS6detail17trampoline_kernelINS0_14default_configENS1_38merge_sort_block_merge_config_selectorIfNS0_10empty_typeEEEZZNS1_27merge_sort_block_merge_implIS3_N6thrust23THRUST_200600_302600_NS6detail15normal_iteratorINS9_10device_ptrIfEEEEPS5_jNS1_19radix_merge_compareILb0ELb0EfNS0_19identity_decomposerEEEEE10hipError_tT0_T1_T2_jT3_P12ihipStream_tbPNSt15iterator_traitsISK_E10value_typeEPNSQ_ISL_E10value_typeEPSM_NS1_7vsmem_tEENKUlT_SK_SL_SM_E_clISE_PfSF_SF_EESJ_SZ_SK_SL_SM_EUlSZ_E_NS1_11comp_targetILNS1_3genE2ELNS1_11target_archE906ELNS1_3gpuE6ELNS1_3repE0EEENS1_48merge_mergepath_partition_config_static_selectorELNS0_4arch9wavefront6targetE1EEEvSL_.has_recursion, 0
	.set _ZN7rocprim17ROCPRIM_400000_NS6detail17trampoline_kernelINS0_14default_configENS1_38merge_sort_block_merge_config_selectorIfNS0_10empty_typeEEEZZNS1_27merge_sort_block_merge_implIS3_N6thrust23THRUST_200600_302600_NS6detail15normal_iteratorINS9_10device_ptrIfEEEEPS5_jNS1_19radix_merge_compareILb0ELb0EfNS0_19identity_decomposerEEEEE10hipError_tT0_T1_T2_jT3_P12ihipStream_tbPNSt15iterator_traitsISK_E10value_typeEPNSQ_ISL_E10value_typeEPSM_NS1_7vsmem_tEENKUlT_SK_SL_SM_E_clISE_PfSF_SF_EESJ_SZ_SK_SL_SM_EUlSZ_E_NS1_11comp_targetILNS1_3genE2ELNS1_11target_archE906ELNS1_3gpuE6ELNS1_3repE0EEENS1_48merge_mergepath_partition_config_static_selectorELNS0_4arch9wavefront6targetE1EEEvSL_.has_indirect_call, 0
	.section	.AMDGPU.csdata,"",@progbits
; Kernel info:
; codeLenInByte = 0
; TotalNumSgprs: 6
; NumVgprs: 0
; NumAgprs: 0
; TotalNumVgprs: 0
; ScratchSize: 0
; MemoryBound: 0
; FloatMode: 240
; IeeeMode: 1
; LDSByteSize: 0 bytes/workgroup (compile time only)
; SGPRBlocks: 0
; VGPRBlocks: 0
; NumSGPRsForWavesPerEU: 6
; NumVGPRsForWavesPerEU: 1
; AccumOffset: 4
; Occupancy: 8
; WaveLimiterHint : 0
; COMPUTE_PGM_RSRC2:SCRATCH_EN: 0
; COMPUTE_PGM_RSRC2:USER_SGPR: 2
; COMPUTE_PGM_RSRC2:TRAP_HANDLER: 0
; COMPUTE_PGM_RSRC2:TGID_X_EN: 1
; COMPUTE_PGM_RSRC2:TGID_Y_EN: 0
; COMPUTE_PGM_RSRC2:TGID_Z_EN: 0
; COMPUTE_PGM_RSRC2:TIDIG_COMP_CNT: 0
; COMPUTE_PGM_RSRC3_GFX90A:ACCUM_OFFSET: 0
; COMPUTE_PGM_RSRC3_GFX90A:TG_SPLIT: 0
	.section	.text._ZN7rocprim17ROCPRIM_400000_NS6detail17trampoline_kernelINS0_14default_configENS1_38merge_sort_block_merge_config_selectorIfNS0_10empty_typeEEEZZNS1_27merge_sort_block_merge_implIS3_N6thrust23THRUST_200600_302600_NS6detail15normal_iteratorINS9_10device_ptrIfEEEEPS5_jNS1_19radix_merge_compareILb0ELb0EfNS0_19identity_decomposerEEEEE10hipError_tT0_T1_T2_jT3_P12ihipStream_tbPNSt15iterator_traitsISK_E10value_typeEPNSQ_ISL_E10value_typeEPSM_NS1_7vsmem_tEENKUlT_SK_SL_SM_E_clISE_PfSF_SF_EESJ_SZ_SK_SL_SM_EUlSZ_E_NS1_11comp_targetILNS1_3genE9ELNS1_11target_archE1100ELNS1_3gpuE3ELNS1_3repE0EEENS1_48merge_mergepath_partition_config_static_selectorELNS0_4arch9wavefront6targetE1EEEvSL_,"axG",@progbits,_ZN7rocprim17ROCPRIM_400000_NS6detail17trampoline_kernelINS0_14default_configENS1_38merge_sort_block_merge_config_selectorIfNS0_10empty_typeEEEZZNS1_27merge_sort_block_merge_implIS3_N6thrust23THRUST_200600_302600_NS6detail15normal_iteratorINS9_10device_ptrIfEEEEPS5_jNS1_19radix_merge_compareILb0ELb0EfNS0_19identity_decomposerEEEEE10hipError_tT0_T1_T2_jT3_P12ihipStream_tbPNSt15iterator_traitsISK_E10value_typeEPNSQ_ISL_E10value_typeEPSM_NS1_7vsmem_tEENKUlT_SK_SL_SM_E_clISE_PfSF_SF_EESJ_SZ_SK_SL_SM_EUlSZ_E_NS1_11comp_targetILNS1_3genE9ELNS1_11target_archE1100ELNS1_3gpuE3ELNS1_3repE0EEENS1_48merge_mergepath_partition_config_static_selectorELNS0_4arch9wavefront6targetE1EEEvSL_,comdat
	.protected	_ZN7rocprim17ROCPRIM_400000_NS6detail17trampoline_kernelINS0_14default_configENS1_38merge_sort_block_merge_config_selectorIfNS0_10empty_typeEEEZZNS1_27merge_sort_block_merge_implIS3_N6thrust23THRUST_200600_302600_NS6detail15normal_iteratorINS9_10device_ptrIfEEEEPS5_jNS1_19radix_merge_compareILb0ELb0EfNS0_19identity_decomposerEEEEE10hipError_tT0_T1_T2_jT3_P12ihipStream_tbPNSt15iterator_traitsISK_E10value_typeEPNSQ_ISL_E10value_typeEPSM_NS1_7vsmem_tEENKUlT_SK_SL_SM_E_clISE_PfSF_SF_EESJ_SZ_SK_SL_SM_EUlSZ_E_NS1_11comp_targetILNS1_3genE9ELNS1_11target_archE1100ELNS1_3gpuE3ELNS1_3repE0EEENS1_48merge_mergepath_partition_config_static_selectorELNS0_4arch9wavefront6targetE1EEEvSL_ ; -- Begin function _ZN7rocprim17ROCPRIM_400000_NS6detail17trampoline_kernelINS0_14default_configENS1_38merge_sort_block_merge_config_selectorIfNS0_10empty_typeEEEZZNS1_27merge_sort_block_merge_implIS3_N6thrust23THRUST_200600_302600_NS6detail15normal_iteratorINS9_10device_ptrIfEEEEPS5_jNS1_19radix_merge_compareILb0ELb0EfNS0_19identity_decomposerEEEEE10hipError_tT0_T1_T2_jT3_P12ihipStream_tbPNSt15iterator_traitsISK_E10value_typeEPNSQ_ISL_E10value_typeEPSM_NS1_7vsmem_tEENKUlT_SK_SL_SM_E_clISE_PfSF_SF_EESJ_SZ_SK_SL_SM_EUlSZ_E_NS1_11comp_targetILNS1_3genE9ELNS1_11target_archE1100ELNS1_3gpuE3ELNS1_3repE0EEENS1_48merge_mergepath_partition_config_static_selectorELNS0_4arch9wavefront6targetE1EEEvSL_
	.globl	_ZN7rocprim17ROCPRIM_400000_NS6detail17trampoline_kernelINS0_14default_configENS1_38merge_sort_block_merge_config_selectorIfNS0_10empty_typeEEEZZNS1_27merge_sort_block_merge_implIS3_N6thrust23THRUST_200600_302600_NS6detail15normal_iteratorINS9_10device_ptrIfEEEEPS5_jNS1_19radix_merge_compareILb0ELb0EfNS0_19identity_decomposerEEEEE10hipError_tT0_T1_T2_jT3_P12ihipStream_tbPNSt15iterator_traitsISK_E10value_typeEPNSQ_ISL_E10value_typeEPSM_NS1_7vsmem_tEENKUlT_SK_SL_SM_E_clISE_PfSF_SF_EESJ_SZ_SK_SL_SM_EUlSZ_E_NS1_11comp_targetILNS1_3genE9ELNS1_11target_archE1100ELNS1_3gpuE3ELNS1_3repE0EEENS1_48merge_mergepath_partition_config_static_selectorELNS0_4arch9wavefront6targetE1EEEvSL_
	.p2align	8
	.type	_ZN7rocprim17ROCPRIM_400000_NS6detail17trampoline_kernelINS0_14default_configENS1_38merge_sort_block_merge_config_selectorIfNS0_10empty_typeEEEZZNS1_27merge_sort_block_merge_implIS3_N6thrust23THRUST_200600_302600_NS6detail15normal_iteratorINS9_10device_ptrIfEEEEPS5_jNS1_19radix_merge_compareILb0ELb0EfNS0_19identity_decomposerEEEEE10hipError_tT0_T1_T2_jT3_P12ihipStream_tbPNSt15iterator_traitsISK_E10value_typeEPNSQ_ISL_E10value_typeEPSM_NS1_7vsmem_tEENKUlT_SK_SL_SM_E_clISE_PfSF_SF_EESJ_SZ_SK_SL_SM_EUlSZ_E_NS1_11comp_targetILNS1_3genE9ELNS1_11target_archE1100ELNS1_3gpuE3ELNS1_3repE0EEENS1_48merge_mergepath_partition_config_static_selectorELNS0_4arch9wavefront6targetE1EEEvSL_,@function
_ZN7rocprim17ROCPRIM_400000_NS6detail17trampoline_kernelINS0_14default_configENS1_38merge_sort_block_merge_config_selectorIfNS0_10empty_typeEEEZZNS1_27merge_sort_block_merge_implIS3_N6thrust23THRUST_200600_302600_NS6detail15normal_iteratorINS9_10device_ptrIfEEEEPS5_jNS1_19radix_merge_compareILb0ELb0EfNS0_19identity_decomposerEEEEE10hipError_tT0_T1_T2_jT3_P12ihipStream_tbPNSt15iterator_traitsISK_E10value_typeEPNSQ_ISL_E10value_typeEPSM_NS1_7vsmem_tEENKUlT_SK_SL_SM_E_clISE_PfSF_SF_EESJ_SZ_SK_SL_SM_EUlSZ_E_NS1_11comp_targetILNS1_3genE9ELNS1_11target_archE1100ELNS1_3gpuE3ELNS1_3repE0EEENS1_48merge_mergepath_partition_config_static_selectorELNS0_4arch9wavefront6targetE1EEEvSL_: ; @_ZN7rocprim17ROCPRIM_400000_NS6detail17trampoline_kernelINS0_14default_configENS1_38merge_sort_block_merge_config_selectorIfNS0_10empty_typeEEEZZNS1_27merge_sort_block_merge_implIS3_N6thrust23THRUST_200600_302600_NS6detail15normal_iteratorINS9_10device_ptrIfEEEEPS5_jNS1_19radix_merge_compareILb0ELb0EfNS0_19identity_decomposerEEEEE10hipError_tT0_T1_T2_jT3_P12ihipStream_tbPNSt15iterator_traitsISK_E10value_typeEPNSQ_ISL_E10value_typeEPSM_NS1_7vsmem_tEENKUlT_SK_SL_SM_E_clISE_PfSF_SF_EESJ_SZ_SK_SL_SM_EUlSZ_E_NS1_11comp_targetILNS1_3genE9ELNS1_11target_archE1100ELNS1_3gpuE3ELNS1_3repE0EEENS1_48merge_mergepath_partition_config_static_selectorELNS0_4arch9wavefront6targetE1EEEvSL_
; %bb.0:
	.section	.rodata,"a",@progbits
	.p2align	6, 0x0
	.amdhsa_kernel _ZN7rocprim17ROCPRIM_400000_NS6detail17trampoline_kernelINS0_14default_configENS1_38merge_sort_block_merge_config_selectorIfNS0_10empty_typeEEEZZNS1_27merge_sort_block_merge_implIS3_N6thrust23THRUST_200600_302600_NS6detail15normal_iteratorINS9_10device_ptrIfEEEEPS5_jNS1_19radix_merge_compareILb0ELb0EfNS0_19identity_decomposerEEEEE10hipError_tT0_T1_T2_jT3_P12ihipStream_tbPNSt15iterator_traitsISK_E10value_typeEPNSQ_ISL_E10value_typeEPSM_NS1_7vsmem_tEENKUlT_SK_SL_SM_E_clISE_PfSF_SF_EESJ_SZ_SK_SL_SM_EUlSZ_E_NS1_11comp_targetILNS1_3genE9ELNS1_11target_archE1100ELNS1_3gpuE3ELNS1_3repE0EEENS1_48merge_mergepath_partition_config_static_selectorELNS0_4arch9wavefront6targetE1EEEvSL_
		.amdhsa_group_segment_fixed_size 0
		.amdhsa_private_segment_fixed_size 0
		.amdhsa_kernarg_size 40
		.amdhsa_user_sgpr_count 2
		.amdhsa_user_sgpr_dispatch_ptr 0
		.amdhsa_user_sgpr_queue_ptr 0
		.amdhsa_user_sgpr_kernarg_segment_ptr 1
		.amdhsa_user_sgpr_dispatch_id 0
		.amdhsa_user_sgpr_kernarg_preload_length 0
		.amdhsa_user_sgpr_kernarg_preload_offset 0
		.amdhsa_user_sgpr_private_segment_size 0
		.amdhsa_uses_dynamic_stack 0
		.amdhsa_enable_private_segment 0
		.amdhsa_system_sgpr_workgroup_id_x 1
		.amdhsa_system_sgpr_workgroup_id_y 0
		.amdhsa_system_sgpr_workgroup_id_z 0
		.amdhsa_system_sgpr_workgroup_info 0
		.amdhsa_system_vgpr_workitem_id 0
		.amdhsa_next_free_vgpr 1
		.amdhsa_next_free_sgpr 0
		.amdhsa_accum_offset 4
		.amdhsa_reserve_vcc 0
		.amdhsa_float_round_mode_32 0
		.amdhsa_float_round_mode_16_64 0
		.amdhsa_float_denorm_mode_32 3
		.amdhsa_float_denorm_mode_16_64 3
		.amdhsa_dx10_clamp 1
		.amdhsa_ieee_mode 1
		.amdhsa_fp16_overflow 0
		.amdhsa_tg_split 0
		.amdhsa_exception_fp_ieee_invalid_op 0
		.amdhsa_exception_fp_denorm_src 0
		.amdhsa_exception_fp_ieee_div_zero 0
		.amdhsa_exception_fp_ieee_overflow 0
		.amdhsa_exception_fp_ieee_underflow 0
		.amdhsa_exception_fp_ieee_inexact 0
		.amdhsa_exception_int_div_zero 0
	.end_amdhsa_kernel
	.section	.text._ZN7rocprim17ROCPRIM_400000_NS6detail17trampoline_kernelINS0_14default_configENS1_38merge_sort_block_merge_config_selectorIfNS0_10empty_typeEEEZZNS1_27merge_sort_block_merge_implIS3_N6thrust23THRUST_200600_302600_NS6detail15normal_iteratorINS9_10device_ptrIfEEEEPS5_jNS1_19radix_merge_compareILb0ELb0EfNS0_19identity_decomposerEEEEE10hipError_tT0_T1_T2_jT3_P12ihipStream_tbPNSt15iterator_traitsISK_E10value_typeEPNSQ_ISL_E10value_typeEPSM_NS1_7vsmem_tEENKUlT_SK_SL_SM_E_clISE_PfSF_SF_EESJ_SZ_SK_SL_SM_EUlSZ_E_NS1_11comp_targetILNS1_3genE9ELNS1_11target_archE1100ELNS1_3gpuE3ELNS1_3repE0EEENS1_48merge_mergepath_partition_config_static_selectorELNS0_4arch9wavefront6targetE1EEEvSL_,"axG",@progbits,_ZN7rocprim17ROCPRIM_400000_NS6detail17trampoline_kernelINS0_14default_configENS1_38merge_sort_block_merge_config_selectorIfNS0_10empty_typeEEEZZNS1_27merge_sort_block_merge_implIS3_N6thrust23THRUST_200600_302600_NS6detail15normal_iteratorINS9_10device_ptrIfEEEEPS5_jNS1_19radix_merge_compareILb0ELb0EfNS0_19identity_decomposerEEEEE10hipError_tT0_T1_T2_jT3_P12ihipStream_tbPNSt15iterator_traitsISK_E10value_typeEPNSQ_ISL_E10value_typeEPSM_NS1_7vsmem_tEENKUlT_SK_SL_SM_E_clISE_PfSF_SF_EESJ_SZ_SK_SL_SM_EUlSZ_E_NS1_11comp_targetILNS1_3genE9ELNS1_11target_archE1100ELNS1_3gpuE3ELNS1_3repE0EEENS1_48merge_mergepath_partition_config_static_selectorELNS0_4arch9wavefront6targetE1EEEvSL_,comdat
.Lfunc_end505:
	.size	_ZN7rocprim17ROCPRIM_400000_NS6detail17trampoline_kernelINS0_14default_configENS1_38merge_sort_block_merge_config_selectorIfNS0_10empty_typeEEEZZNS1_27merge_sort_block_merge_implIS3_N6thrust23THRUST_200600_302600_NS6detail15normal_iteratorINS9_10device_ptrIfEEEEPS5_jNS1_19radix_merge_compareILb0ELb0EfNS0_19identity_decomposerEEEEE10hipError_tT0_T1_T2_jT3_P12ihipStream_tbPNSt15iterator_traitsISK_E10value_typeEPNSQ_ISL_E10value_typeEPSM_NS1_7vsmem_tEENKUlT_SK_SL_SM_E_clISE_PfSF_SF_EESJ_SZ_SK_SL_SM_EUlSZ_E_NS1_11comp_targetILNS1_3genE9ELNS1_11target_archE1100ELNS1_3gpuE3ELNS1_3repE0EEENS1_48merge_mergepath_partition_config_static_selectorELNS0_4arch9wavefront6targetE1EEEvSL_, .Lfunc_end505-_ZN7rocprim17ROCPRIM_400000_NS6detail17trampoline_kernelINS0_14default_configENS1_38merge_sort_block_merge_config_selectorIfNS0_10empty_typeEEEZZNS1_27merge_sort_block_merge_implIS3_N6thrust23THRUST_200600_302600_NS6detail15normal_iteratorINS9_10device_ptrIfEEEEPS5_jNS1_19radix_merge_compareILb0ELb0EfNS0_19identity_decomposerEEEEE10hipError_tT0_T1_T2_jT3_P12ihipStream_tbPNSt15iterator_traitsISK_E10value_typeEPNSQ_ISL_E10value_typeEPSM_NS1_7vsmem_tEENKUlT_SK_SL_SM_E_clISE_PfSF_SF_EESJ_SZ_SK_SL_SM_EUlSZ_E_NS1_11comp_targetILNS1_3genE9ELNS1_11target_archE1100ELNS1_3gpuE3ELNS1_3repE0EEENS1_48merge_mergepath_partition_config_static_selectorELNS0_4arch9wavefront6targetE1EEEvSL_
                                        ; -- End function
	.set _ZN7rocprim17ROCPRIM_400000_NS6detail17trampoline_kernelINS0_14default_configENS1_38merge_sort_block_merge_config_selectorIfNS0_10empty_typeEEEZZNS1_27merge_sort_block_merge_implIS3_N6thrust23THRUST_200600_302600_NS6detail15normal_iteratorINS9_10device_ptrIfEEEEPS5_jNS1_19radix_merge_compareILb0ELb0EfNS0_19identity_decomposerEEEEE10hipError_tT0_T1_T2_jT3_P12ihipStream_tbPNSt15iterator_traitsISK_E10value_typeEPNSQ_ISL_E10value_typeEPSM_NS1_7vsmem_tEENKUlT_SK_SL_SM_E_clISE_PfSF_SF_EESJ_SZ_SK_SL_SM_EUlSZ_E_NS1_11comp_targetILNS1_3genE9ELNS1_11target_archE1100ELNS1_3gpuE3ELNS1_3repE0EEENS1_48merge_mergepath_partition_config_static_selectorELNS0_4arch9wavefront6targetE1EEEvSL_.num_vgpr, 0
	.set _ZN7rocprim17ROCPRIM_400000_NS6detail17trampoline_kernelINS0_14default_configENS1_38merge_sort_block_merge_config_selectorIfNS0_10empty_typeEEEZZNS1_27merge_sort_block_merge_implIS3_N6thrust23THRUST_200600_302600_NS6detail15normal_iteratorINS9_10device_ptrIfEEEEPS5_jNS1_19radix_merge_compareILb0ELb0EfNS0_19identity_decomposerEEEEE10hipError_tT0_T1_T2_jT3_P12ihipStream_tbPNSt15iterator_traitsISK_E10value_typeEPNSQ_ISL_E10value_typeEPSM_NS1_7vsmem_tEENKUlT_SK_SL_SM_E_clISE_PfSF_SF_EESJ_SZ_SK_SL_SM_EUlSZ_E_NS1_11comp_targetILNS1_3genE9ELNS1_11target_archE1100ELNS1_3gpuE3ELNS1_3repE0EEENS1_48merge_mergepath_partition_config_static_selectorELNS0_4arch9wavefront6targetE1EEEvSL_.num_agpr, 0
	.set _ZN7rocprim17ROCPRIM_400000_NS6detail17trampoline_kernelINS0_14default_configENS1_38merge_sort_block_merge_config_selectorIfNS0_10empty_typeEEEZZNS1_27merge_sort_block_merge_implIS3_N6thrust23THRUST_200600_302600_NS6detail15normal_iteratorINS9_10device_ptrIfEEEEPS5_jNS1_19radix_merge_compareILb0ELb0EfNS0_19identity_decomposerEEEEE10hipError_tT0_T1_T2_jT3_P12ihipStream_tbPNSt15iterator_traitsISK_E10value_typeEPNSQ_ISL_E10value_typeEPSM_NS1_7vsmem_tEENKUlT_SK_SL_SM_E_clISE_PfSF_SF_EESJ_SZ_SK_SL_SM_EUlSZ_E_NS1_11comp_targetILNS1_3genE9ELNS1_11target_archE1100ELNS1_3gpuE3ELNS1_3repE0EEENS1_48merge_mergepath_partition_config_static_selectorELNS0_4arch9wavefront6targetE1EEEvSL_.numbered_sgpr, 0
	.set _ZN7rocprim17ROCPRIM_400000_NS6detail17trampoline_kernelINS0_14default_configENS1_38merge_sort_block_merge_config_selectorIfNS0_10empty_typeEEEZZNS1_27merge_sort_block_merge_implIS3_N6thrust23THRUST_200600_302600_NS6detail15normal_iteratorINS9_10device_ptrIfEEEEPS5_jNS1_19radix_merge_compareILb0ELb0EfNS0_19identity_decomposerEEEEE10hipError_tT0_T1_T2_jT3_P12ihipStream_tbPNSt15iterator_traitsISK_E10value_typeEPNSQ_ISL_E10value_typeEPSM_NS1_7vsmem_tEENKUlT_SK_SL_SM_E_clISE_PfSF_SF_EESJ_SZ_SK_SL_SM_EUlSZ_E_NS1_11comp_targetILNS1_3genE9ELNS1_11target_archE1100ELNS1_3gpuE3ELNS1_3repE0EEENS1_48merge_mergepath_partition_config_static_selectorELNS0_4arch9wavefront6targetE1EEEvSL_.num_named_barrier, 0
	.set _ZN7rocprim17ROCPRIM_400000_NS6detail17trampoline_kernelINS0_14default_configENS1_38merge_sort_block_merge_config_selectorIfNS0_10empty_typeEEEZZNS1_27merge_sort_block_merge_implIS3_N6thrust23THRUST_200600_302600_NS6detail15normal_iteratorINS9_10device_ptrIfEEEEPS5_jNS1_19radix_merge_compareILb0ELb0EfNS0_19identity_decomposerEEEEE10hipError_tT0_T1_T2_jT3_P12ihipStream_tbPNSt15iterator_traitsISK_E10value_typeEPNSQ_ISL_E10value_typeEPSM_NS1_7vsmem_tEENKUlT_SK_SL_SM_E_clISE_PfSF_SF_EESJ_SZ_SK_SL_SM_EUlSZ_E_NS1_11comp_targetILNS1_3genE9ELNS1_11target_archE1100ELNS1_3gpuE3ELNS1_3repE0EEENS1_48merge_mergepath_partition_config_static_selectorELNS0_4arch9wavefront6targetE1EEEvSL_.private_seg_size, 0
	.set _ZN7rocprim17ROCPRIM_400000_NS6detail17trampoline_kernelINS0_14default_configENS1_38merge_sort_block_merge_config_selectorIfNS0_10empty_typeEEEZZNS1_27merge_sort_block_merge_implIS3_N6thrust23THRUST_200600_302600_NS6detail15normal_iteratorINS9_10device_ptrIfEEEEPS5_jNS1_19radix_merge_compareILb0ELb0EfNS0_19identity_decomposerEEEEE10hipError_tT0_T1_T2_jT3_P12ihipStream_tbPNSt15iterator_traitsISK_E10value_typeEPNSQ_ISL_E10value_typeEPSM_NS1_7vsmem_tEENKUlT_SK_SL_SM_E_clISE_PfSF_SF_EESJ_SZ_SK_SL_SM_EUlSZ_E_NS1_11comp_targetILNS1_3genE9ELNS1_11target_archE1100ELNS1_3gpuE3ELNS1_3repE0EEENS1_48merge_mergepath_partition_config_static_selectorELNS0_4arch9wavefront6targetE1EEEvSL_.uses_vcc, 0
	.set _ZN7rocprim17ROCPRIM_400000_NS6detail17trampoline_kernelINS0_14default_configENS1_38merge_sort_block_merge_config_selectorIfNS0_10empty_typeEEEZZNS1_27merge_sort_block_merge_implIS3_N6thrust23THRUST_200600_302600_NS6detail15normal_iteratorINS9_10device_ptrIfEEEEPS5_jNS1_19radix_merge_compareILb0ELb0EfNS0_19identity_decomposerEEEEE10hipError_tT0_T1_T2_jT3_P12ihipStream_tbPNSt15iterator_traitsISK_E10value_typeEPNSQ_ISL_E10value_typeEPSM_NS1_7vsmem_tEENKUlT_SK_SL_SM_E_clISE_PfSF_SF_EESJ_SZ_SK_SL_SM_EUlSZ_E_NS1_11comp_targetILNS1_3genE9ELNS1_11target_archE1100ELNS1_3gpuE3ELNS1_3repE0EEENS1_48merge_mergepath_partition_config_static_selectorELNS0_4arch9wavefront6targetE1EEEvSL_.uses_flat_scratch, 0
	.set _ZN7rocprim17ROCPRIM_400000_NS6detail17trampoline_kernelINS0_14default_configENS1_38merge_sort_block_merge_config_selectorIfNS0_10empty_typeEEEZZNS1_27merge_sort_block_merge_implIS3_N6thrust23THRUST_200600_302600_NS6detail15normal_iteratorINS9_10device_ptrIfEEEEPS5_jNS1_19radix_merge_compareILb0ELb0EfNS0_19identity_decomposerEEEEE10hipError_tT0_T1_T2_jT3_P12ihipStream_tbPNSt15iterator_traitsISK_E10value_typeEPNSQ_ISL_E10value_typeEPSM_NS1_7vsmem_tEENKUlT_SK_SL_SM_E_clISE_PfSF_SF_EESJ_SZ_SK_SL_SM_EUlSZ_E_NS1_11comp_targetILNS1_3genE9ELNS1_11target_archE1100ELNS1_3gpuE3ELNS1_3repE0EEENS1_48merge_mergepath_partition_config_static_selectorELNS0_4arch9wavefront6targetE1EEEvSL_.has_dyn_sized_stack, 0
	.set _ZN7rocprim17ROCPRIM_400000_NS6detail17trampoline_kernelINS0_14default_configENS1_38merge_sort_block_merge_config_selectorIfNS0_10empty_typeEEEZZNS1_27merge_sort_block_merge_implIS3_N6thrust23THRUST_200600_302600_NS6detail15normal_iteratorINS9_10device_ptrIfEEEEPS5_jNS1_19radix_merge_compareILb0ELb0EfNS0_19identity_decomposerEEEEE10hipError_tT0_T1_T2_jT3_P12ihipStream_tbPNSt15iterator_traitsISK_E10value_typeEPNSQ_ISL_E10value_typeEPSM_NS1_7vsmem_tEENKUlT_SK_SL_SM_E_clISE_PfSF_SF_EESJ_SZ_SK_SL_SM_EUlSZ_E_NS1_11comp_targetILNS1_3genE9ELNS1_11target_archE1100ELNS1_3gpuE3ELNS1_3repE0EEENS1_48merge_mergepath_partition_config_static_selectorELNS0_4arch9wavefront6targetE1EEEvSL_.has_recursion, 0
	.set _ZN7rocprim17ROCPRIM_400000_NS6detail17trampoline_kernelINS0_14default_configENS1_38merge_sort_block_merge_config_selectorIfNS0_10empty_typeEEEZZNS1_27merge_sort_block_merge_implIS3_N6thrust23THRUST_200600_302600_NS6detail15normal_iteratorINS9_10device_ptrIfEEEEPS5_jNS1_19radix_merge_compareILb0ELb0EfNS0_19identity_decomposerEEEEE10hipError_tT0_T1_T2_jT3_P12ihipStream_tbPNSt15iterator_traitsISK_E10value_typeEPNSQ_ISL_E10value_typeEPSM_NS1_7vsmem_tEENKUlT_SK_SL_SM_E_clISE_PfSF_SF_EESJ_SZ_SK_SL_SM_EUlSZ_E_NS1_11comp_targetILNS1_3genE9ELNS1_11target_archE1100ELNS1_3gpuE3ELNS1_3repE0EEENS1_48merge_mergepath_partition_config_static_selectorELNS0_4arch9wavefront6targetE1EEEvSL_.has_indirect_call, 0
	.section	.AMDGPU.csdata,"",@progbits
; Kernel info:
; codeLenInByte = 0
; TotalNumSgprs: 6
; NumVgprs: 0
; NumAgprs: 0
; TotalNumVgprs: 0
; ScratchSize: 0
; MemoryBound: 0
; FloatMode: 240
; IeeeMode: 1
; LDSByteSize: 0 bytes/workgroup (compile time only)
; SGPRBlocks: 0
; VGPRBlocks: 0
; NumSGPRsForWavesPerEU: 6
; NumVGPRsForWavesPerEU: 1
; AccumOffset: 4
; Occupancy: 8
; WaveLimiterHint : 0
; COMPUTE_PGM_RSRC2:SCRATCH_EN: 0
; COMPUTE_PGM_RSRC2:USER_SGPR: 2
; COMPUTE_PGM_RSRC2:TRAP_HANDLER: 0
; COMPUTE_PGM_RSRC2:TGID_X_EN: 1
; COMPUTE_PGM_RSRC2:TGID_Y_EN: 0
; COMPUTE_PGM_RSRC2:TGID_Z_EN: 0
; COMPUTE_PGM_RSRC2:TIDIG_COMP_CNT: 0
; COMPUTE_PGM_RSRC3_GFX90A:ACCUM_OFFSET: 0
; COMPUTE_PGM_RSRC3_GFX90A:TG_SPLIT: 0
	.section	.text._ZN7rocprim17ROCPRIM_400000_NS6detail17trampoline_kernelINS0_14default_configENS1_38merge_sort_block_merge_config_selectorIfNS0_10empty_typeEEEZZNS1_27merge_sort_block_merge_implIS3_N6thrust23THRUST_200600_302600_NS6detail15normal_iteratorINS9_10device_ptrIfEEEEPS5_jNS1_19radix_merge_compareILb0ELb0EfNS0_19identity_decomposerEEEEE10hipError_tT0_T1_T2_jT3_P12ihipStream_tbPNSt15iterator_traitsISK_E10value_typeEPNSQ_ISL_E10value_typeEPSM_NS1_7vsmem_tEENKUlT_SK_SL_SM_E_clISE_PfSF_SF_EESJ_SZ_SK_SL_SM_EUlSZ_E_NS1_11comp_targetILNS1_3genE8ELNS1_11target_archE1030ELNS1_3gpuE2ELNS1_3repE0EEENS1_48merge_mergepath_partition_config_static_selectorELNS0_4arch9wavefront6targetE1EEEvSL_,"axG",@progbits,_ZN7rocprim17ROCPRIM_400000_NS6detail17trampoline_kernelINS0_14default_configENS1_38merge_sort_block_merge_config_selectorIfNS0_10empty_typeEEEZZNS1_27merge_sort_block_merge_implIS3_N6thrust23THRUST_200600_302600_NS6detail15normal_iteratorINS9_10device_ptrIfEEEEPS5_jNS1_19radix_merge_compareILb0ELb0EfNS0_19identity_decomposerEEEEE10hipError_tT0_T1_T2_jT3_P12ihipStream_tbPNSt15iterator_traitsISK_E10value_typeEPNSQ_ISL_E10value_typeEPSM_NS1_7vsmem_tEENKUlT_SK_SL_SM_E_clISE_PfSF_SF_EESJ_SZ_SK_SL_SM_EUlSZ_E_NS1_11comp_targetILNS1_3genE8ELNS1_11target_archE1030ELNS1_3gpuE2ELNS1_3repE0EEENS1_48merge_mergepath_partition_config_static_selectorELNS0_4arch9wavefront6targetE1EEEvSL_,comdat
	.protected	_ZN7rocprim17ROCPRIM_400000_NS6detail17trampoline_kernelINS0_14default_configENS1_38merge_sort_block_merge_config_selectorIfNS0_10empty_typeEEEZZNS1_27merge_sort_block_merge_implIS3_N6thrust23THRUST_200600_302600_NS6detail15normal_iteratorINS9_10device_ptrIfEEEEPS5_jNS1_19radix_merge_compareILb0ELb0EfNS0_19identity_decomposerEEEEE10hipError_tT0_T1_T2_jT3_P12ihipStream_tbPNSt15iterator_traitsISK_E10value_typeEPNSQ_ISL_E10value_typeEPSM_NS1_7vsmem_tEENKUlT_SK_SL_SM_E_clISE_PfSF_SF_EESJ_SZ_SK_SL_SM_EUlSZ_E_NS1_11comp_targetILNS1_3genE8ELNS1_11target_archE1030ELNS1_3gpuE2ELNS1_3repE0EEENS1_48merge_mergepath_partition_config_static_selectorELNS0_4arch9wavefront6targetE1EEEvSL_ ; -- Begin function _ZN7rocprim17ROCPRIM_400000_NS6detail17trampoline_kernelINS0_14default_configENS1_38merge_sort_block_merge_config_selectorIfNS0_10empty_typeEEEZZNS1_27merge_sort_block_merge_implIS3_N6thrust23THRUST_200600_302600_NS6detail15normal_iteratorINS9_10device_ptrIfEEEEPS5_jNS1_19radix_merge_compareILb0ELb0EfNS0_19identity_decomposerEEEEE10hipError_tT0_T1_T2_jT3_P12ihipStream_tbPNSt15iterator_traitsISK_E10value_typeEPNSQ_ISL_E10value_typeEPSM_NS1_7vsmem_tEENKUlT_SK_SL_SM_E_clISE_PfSF_SF_EESJ_SZ_SK_SL_SM_EUlSZ_E_NS1_11comp_targetILNS1_3genE8ELNS1_11target_archE1030ELNS1_3gpuE2ELNS1_3repE0EEENS1_48merge_mergepath_partition_config_static_selectorELNS0_4arch9wavefront6targetE1EEEvSL_
	.globl	_ZN7rocprim17ROCPRIM_400000_NS6detail17trampoline_kernelINS0_14default_configENS1_38merge_sort_block_merge_config_selectorIfNS0_10empty_typeEEEZZNS1_27merge_sort_block_merge_implIS3_N6thrust23THRUST_200600_302600_NS6detail15normal_iteratorINS9_10device_ptrIfEEEEPS5_jNS1_19radix_merge_compareILb0ELb0EfNS0_19identity_decomposerEEEEE10hipError_tT0_T1_T2_jT3_P12ihipStream_tbPNSt15iterator_traitsISK_E10value_typeEPNSQ_ISL_E10value_typeEPSM_NS1_7vsmem_tEENKUlT_SK_SL_SM_E_clISE_PfSF_SF_EESJ_SZ_SK_SL_SM_EUlSZ_E_NS1_11comp_targetILNS1_3genE8ELNS1_11target_archE1030ELNS1_3gpuE2ELNS1_3repE0EEENS1_48merge_mergepath_partition_config_static_selectorELNS0_4arch9wavefront6targetE1EEEvSL_
	.p2align	8
	.type	_ZN7rocprim17ROCPRIM_400000_NS6detail17trampoline_kernelINS0_14default_configENS1_38merge_sort_block_merge_config_selectorIfNS0_10empty_typeEEEZZNS1_27merge_sort_block_merge_implIS3_N6thrust23THRUST_200600_302600_NS6detail15normal_iteratorINS9_10device_ptrIfEEEEPS5_jNS1_19radix_merge_compareILb0ELb0EfNS0_19identity_decomposerEEEEE10hipError_tT0_T1_T2_jT3_P12ihipStream_tbPNSt15iterator_traitsISK_E10value_typeEPNSQ_ISL_E10value_typeEPSM_NS1_7vsmem_tEENKUlT_SK_SL_SM_E_clISE_PfSF_SF_EESJ_SZ_SK_SL_SM_EUlSZ_E_NS1_11comp_targetILNS1_3genE8ELNS1_11target_archE1030ELNS1_3gpuE2ELNS1_3repE0EEENS1_48merge_mergepath_partition_config_static_selectorELNS0_4arch9wavefront6targetE1EEEvSL_,@function
_ZN7rocprim17ROCPRIM_400000_NS6detail17trampoline_kernelINS0_14default_configENS1_38merge_sort_block_merge_config_selectorIfNS0_10empty_typeEEEZZNS1_27merge_sort_block_merge_implIS3_N6thrust23THRUST_200600_302600_NS6detail15normal_iteratorINS9_10device_ptrIfEEEEPS5_jNS1_19radix_merge_compareILb0ELb0EfNS0_19identity_decomposerEEEEE10hipError_tT0_T1_T2_jT3_P12ihipStream_tbPNSt15iterator_traitsISK_E10value_typeEPNSQ_ISL_E10value_typeEPSM_NS1_7vsmem_tEENKUlT_SK_SL_SM_E_clISE_PfSF_SF_EESJ_SZ_SK_SL_SM_EUlSZ_E_NS1_11comp_targetILNS1_3genE8ELNS1_11target_archE1030ELNS1_3gpuE2ELNS1_3repE0EEENS1_48merge_mergepath_partition_config_static_selectorELNS0_4arch9wavefront6targetE1EEEvSL_: ; @_ZN7rocprim17ROCPRIM_400000_NS6detail17trampoline_kernelINS0_14default_configENS1_38merge_sort_block_merge_config_selectorIfNS0_10empty_typeEEEZZNS1_27merge_sort_block_merge_implIS3_N6thrust23THRUST_200600_302600_NS6detail15normal_iteratorINS9_10device_ptrIfEEEEPS5_jNS1_19radix_merge_compareILb0ELb0EfNS0_19identity_decomposerEEEEE10hipError_tT0_T1_T2_jT3_P12ihipStream_tbPNSt15iterator_traitsISK_E10value_typeEPNSQ_ISL_E10value_typeEPSM_NS1_7vsmem_tEENKUlT_SK_SL_SM_E_clISE_PfSF_SF_EESJ_SZ_SK_SL_SM_EUlSZ_E_NS1_11comp_targetILNS1_3genE8ELNS1_11target_archE1030ELNS1_3gpuE2ELNS1_3repE0EEENS1_48merge_mergepath_partition_config_static_selectorELNS0_4arch9wavefront6targetE1EEEvSL_
; %bb.0:
	.section	.rodata,"a",@progbits
	.p2align	6, 0x0
	.amdhsa_kernel _ZN7rocprim17ROCPRIM_400000_NS6detail17trampoline_kernelINS0_14default_configENS1_38merge_sort_block_merge_config_selectorIfNS0_10empty_typeEEEZZNS1_27merge_sort_block_merge_implIS3_N6thrust23THRUST_200600_302600_NS6detail15normal_iteratorINS9_10device_ptrIfEEEEPS5_jNS1_19radix_merge_compareILb0ELb0EfNS0_19identity_decomposerEEEEE10hipError_tT0_T1_T2_jT3_P12ihipStream_tbPNSt15iterator_traitsISK_E10value_typeEPNSQ_ISL_E10value_typeEPSM_NS1_7vsmem_tEENKUlT_SK_SL_SM_E_clISE_PfSF_SF_EESJ_SZ_SK_SL_SM_EUlSZ_E_NS1_11comp_targetILNS1_3genE8ELNS1_11target_archE1030ELNS1_3gpuE2ELNS1_3repE0EEENS1_48merge_mergepath_partition_config_static_selectorELNS0_4arch9wavefront6targetE1EEEvSL_
		.amdhsa_group_segment_fixed_size 0
		.amdhsa_private_segment_fixed_size 0
		.amdhsa_kernarg_size 40
		.amdhsa_user_sgpr_count 2
		.amdhsa_user_sgpr_dispatch_ptr 0
		.amdhsa_user_sgpr_queue_ptr 0
		.amdhsa_user_sgpr_kernarg_segment_ptr 1
		.amdhsa_user_sgpr_dispatch_id 0
		.amdhsa_user_sgpr_kernarg_preload_length 0
		.amdhsa_user_sgpr_kernarg_preload_offset 0
		.amdhsa_user_sgpr_private_segment_size 0
		.amdhsa_uses_dynamic_stack 0
		.amdhsa_enable_private_segment 0
		.amdhsa_system_sgpr_workgroup_id_x 1
		.amdhsa_system_sgpr_workgroup_id_y 0
		.amdhsa_system_sgpr_workgroup_id_z 0
		.amdhsa_system_sgpr_workgroup_info 0
		.amdhsa_system_vgpr_workitem_id 0
		.amdhsa_next_free_vgpr 1
		.amdhsa_next_free_sgpr 0
		.amdhsa_accum_offset 4
		.amdhsa_reserve_vcc 0
		.amdhsa_float_round_mode_32 0
		.amdhsa_float_round_mode_16_64 0
		.amdhsa_float_denorm_mode_32 3
		.amdhsa_float_denorm_mode_16_64 3
		.amdhsa_dx10_clamp 1
		.amdhsa_ieee_mode 1
		.amdhsa_fp16_overflow 0
		.amdhsa_tg_split 0
		.amdhsa_exception_fp_ieee_invalid_op 0
		.amdhsa_exception_fp_denorm_src 0
		.amdhsa_exception_fp_ieee_div_zero 0
		.amdhsa_exception_fp_ieee_overflow 0
		.amdhsa_exception_fp_ieee_underflow 0
		.amdhsa_exception_fp_ieee_inexact 0
		.amdhsa_exception_int_div_zero 0
	.end_amdhsa_kernel
	.section	.text._ZN7rocprim17ROCPRIM_400000_NS6detail17trampoline_kernelINS0_14default_configENS1_38merge_sort_block_merge_config_selectorIfNS0_10empty_typeEEEZZNS1_27merge_sort_block_merge_implIS3_N6thrust23THRUST_200600_302600_NS6detail15normal_iteratorINS9_10device_ptrIfEEEEPS5_jNS1_19radix_merge_compareILb0ELb0EfNS0_19identity_decomposerEEEEE10hipError_tT0_T1_T2_jT3_P12ihipStream_tbPNSt15iterator_traitsISK_E10value_typeEPNSQ_ISL_E10value_typeEPSM_NS1_7vsmem_tEENKUlT_SK_SL_SM_E_clISE_PfSF_SF_EESJ_SZ_SK_SL_SM_EUlSZ_E_NS1_11comp_targetILNS1_3genE8ELNS1_11target_archE1030ELNS1_3gpuE2ELNS1_3repE0EEENS1_48merge_mergepath_partition_config_static_selectorELNS0_4arch9wavefront6targetE1EEEvSL_,"axG",@progbits,_ZN7rocprim17ROCPRIM_400000_NS6detail17trampoline_kernelINS0_14default_configENS1_38merge_sort_block_merge_config_selectorIfNS0_10empty_typeEEEZZNS1_27merge_sort_block_merge_implIS3_N6thrust23THRUST_200600_302600_NS6detail15normal_iteratorINS9_10device_ptrIfEEEEPS5_jNS1_19radix_merge_compareILb0ELb0EfNS0_19identity_decomposerEEEEE10hipError_tT0_T1_T2_jT3_P12ihipStream_tbPNSt15iterator_traitsISK_E10value_typeEPNSQ_ISL_E10value_typeEPSM_NS1_7vsmem_tEENKUlT_SK_SL_SM_E_clISE_PfSF_SF_EESJ_SZ_SK_SL_SM_EUlSZ_E_NS1_11comp_targetILNS1_3genE8ELNS1_11target_archE1030ELNS1_3gpuE2ELNS1_3repE0EEENS1_48merge_mergepath_partition_config_static_selectorELNS0_4arch9wavefront6targetE1EEEvSL_,comdat
.Lfunc_end506:
	.size	_ZN7rocprim17ROCPRIM_400000_NS6detail17trampoline_kernelINS0_14default_configENS1_38merge_sort_block_merge_config_selectorIfNS0_10empty_typeEEEZZNS1_27merge_sort_block_merge_implIS3_N6thrust23THRUST_200600_302600_NS6detail15normal_iteratorINS9_10device_ptrIfEEEEPS5_jNS1_19radix_merge_compareILb0ELb0EfNS0_19identity_decomposerEEEEE10hipError_tT0_T1_T2_jT3_P12ihipStream_tbPNSt15iterator_traitsISK_E10value_typeEPNSQ_ISL_E10value_typeEPSM_NS1_7vsmem_tEENKUlT_SK_SL_SM_E_clISE_PfSF_SF_EESJ_SZ_SK_SL_SM_EUlSZ_E_NS1_11comp_targetILNS1_3genE8ELNS1_11target_archE1030ELNS1_3gpuE2ELNS1_3repE0EEENS1_48merge_mergepath_partition_config_static_selectorELNS0_4arch9wavefront6targetE1EEEvSL_, .Lfunc_end506-_ZN7rocprim17ROCPRIM_400000_NS6detail17trampoline_kernelINS0_14default_configENS1_38merge_sort_block_merge_config_selectorIfNS0_10empty_typeEEEZZNS1_27merge_sort_block_merge_implIS3_N6thrust23THRUST_200600_302600_NS6detail15normal_iteratorINS9_10device_ptrIfEEEEPS5_jNS1_19radix_merge_compareILb0ELb0EfNS0_19identity_decomposerEEEEE10hipError_tT0_T1_T2_jT3_P12ihipStream_tbPNSt15iterator_traitsISK_E10value_typeEPNSQ_ISL_E10value_typeEPSM_NS1_7vsmem_tEENKUlT_SK_SL_SM_E_clISE_PfSF_SF_EESJ_SZ_SK_SL_SM_EUlSZ_E_NS1_11comp_targetILNS1_3genE8ELNS1_11target_archE1030ELNS1_3gpuE2ELNS1_3repE0EEENS1_48merge_mergepath_partition_config_static_selectorELNS0_4arch9wavefront6targetE1EEEvSL_
                                        ; -- End function
	.set _ZN7rocprim17ROCPRIM_400000_NS6detail17trampoline_kernelINS0_14default_configENS1_38merge_sort_block_merge_config_selectorIfNS0_10empty_typeEEEZZNS1_27merge_sort_block_merge_implIS3_N6thrust23THRUST_200600_302600_NS6detail15normal_iteratorINS9_10device_ptrIfEEEEPS5_jNS1_19radix_merge_compareILb0ELb0EfNS0_19identity_decomposerEEEEE10hipError_tT0_T1_T2_jT3_P12ihipStream_tbPNSt15iterator_traitsISK_E10value_typeEPNSQ_ISL_E10value_typeEPSM_NS1_7vsmem_tEENKUlT_SK_SL_SM_E_clISE_PfSF_SF_EESJ_SZ_SK_SL_SM_EUlSZ_E_NS1_11comp_targetILNS1_3genE8ELNS1_11target_archE1030ELNS1_3gpuE2ELNS1_3repE0EEENS1_48merge_mergepath_partition_config_static_selectorELNS0_4arch9wavefront6targetE1EEEvSL_.num_vgpr, 0
	.set _ZN7rocprim17ROCPRIM_400000_NS6detail17trampoline_kernelINS0_14default_configENS1_38merge_sort_block_merge_config_selectorIfNS0_10empty_typeEEEZZNS1_27merge_sort_block_merge_implIS3_N6thrust23THRUST_200600_302600_NS6detail15normal_iteratorINS9_10device_ptrIfEEEEPS5_jNS1_19radix_merge_compareILb0ELb0EfNS0_19identity_decomposerEEEEE10hipError_tT0_T1_T2_jT3_P12ihipStream_tbPNSt15iterator_traitsISK_E10value_typeEPNSQ_ISL_E10value_typeEPSM_NS1_7vsmem_tEENKUlT_SK_SL_SM_E_clISE_PfSF_SF_EESJ_SZ_SK_SL_SM_EUlSZ_E_NS1_11comp_targetILNS1_3genE8ELNS1_11target_archE1030ELNS1_3gpuE2ELNS1_3repE0EEENS1_48merge_mergepath_partition_config_static_selectorELNS0_4arch9wavefront6targetE1EEEvSL_.num_agpr, 0
	.set _ZN7rocprim17ROCPRIM_400000_NS6detail17trampoline_kernelINS0_14default_configENS1_38merge_sort_block_merge_config_selectorIfNS0_10empty_typeEEEZZNS1_27merge_sort_block_merge_implIS3_N6thrust23THRUST_200600_302600_NS6detail15normal_iteratorINS9_10device_ptrIfEEEEPS5_jNS1_19radix_merge_compareILb0ELb0EfNS0_19identity_decomposerEEEEE10hipError_tT0_T1_T2_jT3_P12ihipStream_tbPNSt15iterator_traitsISK_E10value_typeEPNSQ_ISL_E10value_typeEPSM_NS1_7vsmem_tEENKUlT_SK_SL_SM_E_clISE_PfSF_SF_EESJ_SZ_SK_SL_SM_EUlSZ_E_NS1_11comp_targetILNS1_3genE8ELNS1_11target_archE1030ELNS1_3gpuE2ELNS1_3repE0EEENS1_48merge_mergepath_partition_config_static_selectorELNS0_4arch9wavefront6targetE1EEEvSL_.numbered_sgpr, 0
	.set _ZN7rocprim17ROCPRIM_400000_NS6detail17trampoline_kernelINS0_14default_configENS1_38merge_sort_block_merge_config_selectorIfNS0_10empty_typeEEEZZNS1_27merge_sort_block_merge_implIS3_N6thrust23THRUST_200600_302600_NS6detail15normal_iteratorINS9_10device_ptrIfEEEEPS5_jNS1_19radix_merge_compareILb0ELb0EfNS0_19identity_decomposerEEEEE10hipError_tT0_T1_T2_jT3_P12ihipStream_tbPNSt15iterator_traitsISK_E10value_typeEPNSQ_ISL_E10value_typeEPSM_NS1_7vsmem_tEENKUlT_SK_SL_SM_E_clISE_PfSF_SF_EESJ_SZ_SK_SL_SM_EUlSZ_E_NS1_11comp_targetILNS1_3genE8ELNS1_11target_archE1030ELNS1_3gpuE2ELNS1_3repE0EEENS1_48merge_mergepath_partition_config_static_selectorELNS0_4arch9wavefront6targetE1EEEvSL_.num_named_barrier, 0
	.set _ZN7rocprim17ROCPRIM_400000_NS6detail17trampoline_kernelINS0_14default_configENS1_38merge_sort_block_merge_config_selectorIfNS0_10empty_typeEEEZZNS1_27merge_sort_block_merge_implIS3_N6thrust23THRUST_200600_302600_NS6detail15normal_iteratorINS9_10device_ptrIfEEEEPS5_jNS1_19radix_merge_compareILb0ELb0EfNS0_19identity_decomposerEEEEE10hipError_tT0_T1_T2_jT3_P12ihipStream_tbPNSt15iterator_traitsISK_E10value_typeEPNSQ_ISL_E10value_typeEPSM_NS1_7vsmem_tEENKUlT_SK_SL_SM_E_clISE_PfSF_SF_EESJ_SZ_SK_SL_SM_EUlSZ_E_NS1_11comp_targetILNS1_3genE8ELNS1_11target_archE1030ELNS1_3gpuE2ELNS1_3repE0EEENS1_48merge_mergepath_partition_config_static_selectorELNS0_4arch9wavefront6targetE1EEEvSL_.private_seg_size, 0
	.set _ZN7rocprim17ROCPRIM_400000_NS6detail17trampoline_kernelINS0_14default_configENS1_38merge_sort_block_merge_config_selectorIfNS0_10empty_typeEEEZZNS1_27merge_sort_block_merge_implIS3_N6thrust23THRUST_200600_302600_NS6detail15normal_iteratorINS9_10device_ptrIfEEEEPS5_jNS1_19radix_merge_compareILb0ELb0EfNS0_19identity_decomposerEEEEE10hipError_tT0_T1_T2_jT3_P12ihipStream_tbPNSt15iterator_traitsISK_E10value_typeEPNSQ_ISL_E10value_typeEPSM_NS1_7vsmem_tEENKUlT_SK_SL_SM_E_clISE_PfSF_SF_EESJ_SZ_SK_SL_SM_EUlSZ_E_NS1_11comp_targetILNS1_3genE8ELNS1_11target_archE1030ELNS1_3gpuE2ELNS1_3repE0EEENS1_48merge_mergepath_partition_config_static_selectorELNS0_4arch9wavefront6targetE1EEEvSL_.uses_vcc, 0
	.set _ZN7rocprim17ROCPRIM_400000_NS6detail17trampoline_kernelINS0_14default_configENS1_38merge_sort_block_merge_config_selectorIfNS0_10empty_typeEEEZZNS1_27merge_sort_block_merge_implIS3_N6thrust23THRUST_200600_302600_NS6detail15normal_iteratorINS9_10device_ptrIfEEEEPS5_jNS1_19radix_merge_compareILb0ELb0EfNS0_19identity_decomposerEEEEE10hipError_tT0_T1_T2_jT3_P12ihipStream_tbPNSt15iterator_traitsISK_E10value_typeEPNSQ_ISL_E10value_typeEPSM_NS1_7vsmem_tEENKUlT_SK_SL_SM_E_clISE_PfSF_SF_EESJ_SZ_SK_SL_SM_EUlSZ_E_NS1_11comp_targetILNS1_3genE8ELNS1_11target_archE1030ELNS1_3gpuE2ELNS1_3repE0EEENS1_48merge_mergepath_partition_config_static_selectorELNS0_4arch9wavefront6targetE1EEEvSL_.uses_flat_scratch, 0
	.set _ZN7rocprim17ROCPRIM_400000_NS6detail17trampoline_kernelINS0_14default_configENS1_38merge_sort_block_merge_config_selectorIfNS0_10empty_typeEEEZZNS1_27merge_sort_block_merge_implIS3_N6thrust23THRUST_200600_302600_NS6detail15normal_iteratorINS9_10device_ptrIfEEEEPS5_jNS1_19radix_merge_compareILb0ELb0EfNS0_19identity_decomposerEEEEE10hipError_tT0_T1_T2_jT3_P12ihipStream_tbPNSt15iterator_traitsISK_E10value_typeEPNSQ_ISL_E10value_typeEPSM_NS1_7vsmem_tEENKUlT_SK_SL_SM_E_clISE_PfSF_SF_EESJ_SZ_SK_SL_SM_EUlSZ_E_NS1_11comp_targetILNS1_3genE8ELNS1_11target_archE1030ELNS1_3gpuE2ELNS1_3repE0EEENS1_48merge_mergepath_partition_config_static_selectorELNS0_4arch9wavefront6targetE1EEEvSL_.has_dyn_sized_stack, 0
	.set _ZN7rocprim17ROCPRIM_400000_NS6detail17trampoline_kernelINS0_14default_configENS1_38merge_sort_block_merge_config_selectorIfNS0_10empty_typeEEEZZNS1_27merge_sort_block_merge_implIS3_N6thrust23THRUST_200600_302600_NS6detail15normal_iteratorINS9_10device_ptrIfEEEEPS5_jNS1_19radix_merge_compareILb0ELb0EfNS0_19identity_decomposerEEEEE10hipError_tT0_T1_T2_jT3_P12ihipStream_tbPNSt15iterator_traitsISK_E10value_typeEPNSQ_ISL_E10value_typeEPSM_NS1_7vsmem_tEENKUlT_SK_SL_SM_E_clISE_PfSF_SF_EESJ_SZ_SK_SL_SM_EUlSZ_E_NS1_11comp_targetILNS1_3genE8ELNS1_11target_archE1030ELNS1_3gpuE2ELNS1_3repE0EEENS1_48merge_mergepath_partition_config_static_selectorELNS0_4arch9wavefront6targetE1EEEvSL_.has_recursion, 0
	.set _ZN7rocprim17ROCPRIM_400000_NS6detail17trampoline_kernelINS0_14default_configENS1_38merge_sort_block_merge_config_selectorIfNS0_10empty_typeEEEZZNS1_27merge_sort_block_merge_implIS3_N6thrust23THRUST_200600_302600_NS6detail15normal_iteratorINS9_10device_ptrIfEEEEPS5_jNS1_19radix_merge_compareILb0ELb0EfNS0_19identity_decomposerEEEEE10hipError_tT0_T1_T2_jT3_P12ihipStream_tbPNSt15iterator_traitsISK_E10value_typeEPNSQ_ISL_E10value_typeEPSM_NS1_7vsmem_tEENKUlT_SK_SL_SM_E_clISE_PfSF_SF_EESJ_SZ_SK_SL_SM_EUlSZ_E_NS1_11comp_targetILNS1_3genE8ELNS1_11target_archE1030ELNS1_3gpuE2ELNS1_3repE0EEENS1_48merge_mergepath_partition_config_static_selectorELNS0_4arch9wavefront6targetE1EEEvSL_.has_indirect_call, 0
	.section	.AMDGPU.csdata,"",@progbits
; Kernel info:
; codeLenInByte = 0
; TotalNumSgprs: 6
; NumVgprs: 0
; NumAgprs: 0
; TotalNumVgprs: 0
; ScratchSize: 0
; MemoryBound: 0
; FloatMode: 240
; IeeeMode: 1
; LDSByteSize: 0 bytes/workgroup (compile time only)
; SGPRBlocks: 0
; VGPRBlocks: 0
; NumSGPRsForWavesPerEU: 6
; NumVGPRsForWavesPerEU: 1
; AccumOffset: 4
; Occupancy: 8
; WaveLimiterHint : 0
; COMPUTE_PGM_RSRC2:SCRATCH_EN: 0
; COMPUTE_PGM_RSRC2:USER_SGPR: 2
; COMPUTE_PGM_RSRC2:TRAP_HANDLER: 0
; COMPUTE_PGM_RSRC2:TGID_X_EN: 1
; COMPUTE_PGM_RSRC2:TGID_Y_EN: 0
; COMPUTE_PGM_RSRC2:TGID_Z_EN: 0
; COMPUTE_PGM_RSRC2:TIDIG_COMP_CNT: 0
; COMPUTE_PGM_RSRC3_GFX90A:ACCUM_OFFSET: 0
; COMPUTE_PGM_RSRC3_GFX90A:TG_SPLIT: 0
	.section	.text._ZN7rocprim17ROCPRIM_400000_NS6detail17trampoline_kernelINS0_14default_configENS1_38merge_sort_block_merge_config_selectorIfNS0_10empty_typeEEEZZNS1_27merge_sort_block_merge_implIS3_N6thrust23THRUST_200600_302600_NS6detail15normal_iteratorINS9_10device_ptrIfEEEEPS5_jNS1_19radix_merge_compareILb0ELb0EfNS0_19identity_decomposerEEEEE10hipError_tT0_T1_T2_jT3_P12ihipStream_tbPNSt15iterator_traitsISK_E10value_typeEPNSQ_ISL_E10value_typeEPSM_NS1_7vsmem_tEENKUlT_SK_SL_SM_E_clISE_PfSF_SF_EESJ_SZ_SK_SL_SM_EUlSZ_E0_NS1_11comp_targetILNS1_3genE0ELNS1_11target_archE4294967295ELNS1_3gpuE0ELNS1_3repE0EEENS1_38merge_mergepath_config_static_selectorELNS0_4arch9wavefront6targetE1EEEvSL_,"axG",@progbits,_ZN7rocprim17ROCPRIM_400000_NS6detail17trampoline_kernelINS0_14default_configENS1_38merge_sort_block_merge_config_selectorIfNS0_10empty_typeEEEZZNS1_27merge_sort_block_merge_implIS3_N6thrust23THRUST_200600_302600_NS6detail15normal_iteratorINS9_10device_ptrIfEEEEPS5_jNS1_19radix_merge_compareILb0ELb0EfNS0_19identity_decomposerEEEEE10hipError_tT0_T1_T2_jT3_P12ihipStream_tbPNSt15iterator_traitsISK_E10value_typeEPNSQ_ISL_E10value_typeEPSM_NS1_7vsmem_tEENKUlT_SK_SL_SM_E_clISE_PfSF_SF_EESJ_SZ_SK_SL_SM_EUlSZ_E0_NS1_11comp_targetILNS1_3genE0ELNS1_11target_archE4294967295ELNS1_3gpuE0ELNS1_3repE0EEENS1_38merge_mergepath_config_static_selectorELNS0_4arch9wavefront6targetE1EEEvSL_,comdat
	.protected	_ZN7rocprim17ROCPRIM_400000_NS6detail17trampoline_kernelINS0_14default_configENS1_38merge_sort_block_merge_config_selectorIfNS0_10empty_typeEEEZZNS1_27merge_sort_block_merge_implIS3_N6thrust23THRUST_200600_302600_NS6detail15normal_iteratorINS9_10device_ptrIfEEEEPS5_jNS1_19radix_merge_compareILb0ELb0EfNS0_19identity_decomposerEEEEE10hipError_tT0_T1_T2_jT3_P12ihipStream_tbPNSt15iterator_traitsISK_E10value_typeEPNSQ_ISL_E10value_typeEPSM_NS1_7vsmem_tEENKUlT_SK_SL_SM_E_clISE_PfSF_SF_EESJ_SZ_SK_SL_SM_EUlSZ_E0_NS1_11comp_targetILNS1_3genE0ELNS1_11target_archE4294967295ELNS1_3gpuE0ELNS1_3repE0EEENS1_38merge_mergepath_config_static_selectorELNS0_4arch9wavefront6targetE1EEEvSL_ ; -- Begin function _ZN7rocprim17ROCPRIM_400000_NS6detail17trampoline_kernelINS0_14default_configENS1_38merge_sort_block_merge_config_selectorIfNS0_10empty_typeEEEZZNS1_27merge_sort_block_merge_implIS3_N6thrust23THRUST_200600_302600_NS6detail15normal_iteratorINS9_10device_ptrIfEEEEPS5_jNS1_19radix_merge_compareILb0ELb0EfNS0_19identity_decomposerEEEEE10hipError_tT0_T1_T2_jT3_P12ihipStream_tbPNSt15iterator_traitsISK_E10value_typeEPNSQ_ISL_E10value_typeEPSM_NS1_7vsmem_tEENKUlT_SK_SL_SM_E_clISE_PfSF_SF_EESJ_SZ_SK_SL_SM_EUlSZ_E0_NS1_11comp_targetILNS1_3genE0ELNS1_11target_archE4294967295ELNS1_3gpuE0ELNS1_3repE0EEENS1_38merge_mergepath_config_static_selectorELNS0_4arch9wavefront6targetE1EEEvSL_
	.globl	_ZN7rocprim17ROCPRIM_400000_NS6detail17trampoline_kernelINS0_14default_configENS1_38merge_sort_block_merge_config_selectorIfNS0_10empty_typeEEEZZNS1_27merge_sort_block_merge_implIS3_N6thrust23THRUST_200600_302600_NS6detail15normal_iteratorINS9_10device_ptrIfEEEEPS5_jNS1_19radix_merge_compareILb0ELb0EfNS0_19identity_decomposerEEEEE10hipError_tT0_T1_T2_jT3_P12ihipStream_tbPNSt15iterator_traitsISK_E10value_typeEPNSQ_ISL_E10value_typeEPSM_NS1_7vsmem_tEENKUlT_SK_SL_SM_E_clISE_PfSF_SF_EESJ_SZ_SK_SL_SM_EUlSZ_E0_NS1_11comp_targetILNS1_3genE0ELNS1_11target_archE4294967295ELNS1_3gpuE0ELNS1_3repE0EEENS1_38merge_mergepath_config_static_selectorELNS0_4arch9wavefront6targetE1EEEvSL_
	.p2align	8
	.type	_ZN7rocprim17ROCPRIM_400000_NS6detail17trampoline_kernelINS0_14default_configENS1_38merge_sort_block_merge_config_selectorIfNS0_10empty_typeEEEZZNS1_27merge_sort_block_merge_implIS3_N6thrust23THRUST_200600_302600_NS6detail15normal_iteratorINS9_10device_ptrIfEEEEPS5_jNS1_19radix_merge_compareILb0ELb0EfNS0_19identity_decomposerEEEEE10hipError_tT0_T1_T2_jT3_P12ihipStream_tbPNSt15iterator_traitsISK_E10value_typeEPNSQ_ISL_E10value_typeEPSM_NS1_7vsmem_tEENKUlT_SK_SL_SM_E_clISE_PfSF_SF_EESJ_SZ_SK_SL_SM_EUlSZ_E0_NS1_11comp_targetILNS1_3genE0ELNS1_11target_archE4294967295ELNS1_3gpuE0ELNS1_3repE0EEENS1_38merge_mergepath_config_static_selectorELNS0_4arch9wavefront6targetE1EEEvSL_,@function
_ZN7rocprim17ROCPRIM_400000_NS6detail17trampoline_kernelINS0_14default_configENS1_38merge_sort_block_merge_config_selectorIfNS0_10empty_typeEEEZZNS1_27merge_sort_block_merge_implIS3_N6thrust23THRUST_200600_302600_NS6detail15normal_iteratorINS9_10device_ptrIfEEEEPS5_jNS1_19radix_merge_compareILb0ELb0EfNS0_19identity_decomposerEEEEE10hipError_tT0_T1_T2_jT3_P12ihipStream_tbPNSt15iterator_traitsISK_E10value_typeEPNSQ_ISL_E10value_typeEPSM_NS1_7vsmem_tEENKUlT_SK_SL_SM_E_clISE_PfSF_SF_EESJ_SZ_SK_SL_SM_EUlSZ_E0_NS1_11comp_targetILNS1_3genE0ELNS1_11target_archE4294967295ELNS1_3gpuE0ELNS1_3repE0EEENS1_38merge_mergepath_config_static_selectorELNS0_4arch9wavefront6targetE1EEEvSL_: ; @_ZN7rocprim17ROCPRIM_400000_NS6detail17trampoline_kernelINS0_14default_configENS1_38merge_sort_block_merge_config_selectorIfNS0_10empty_typeEEEZZNS1_27merge_sort_block_merge_implIS3_N6thrust23THRUST_200600_302600_NS6detail15normal_iteratorINS9_10device_ptrIfEEEEPS5_jNS1_19radix_merge_compareILb0ELb0EfNS0_19identity_decomposerEEEEE10hipError_tT0_T1_T2_jT3_P12ihipStream_tbPNSt15iterator_traitsISK_E10value_typeEPNSQ_ISL_E10value_typeEPSM_NS1_7vsmem_tEENKUlT_SK_SL_SM_E_clISE_PfSF_SF_EESJ_SZ_SK_SL_SM_EUlSZ_E0_NS1_11comp_targetILNS1_3genE0ELNS1_11target_archE4294967295ELNS1_3gpuE0ELNS1_3repE0EEENS1_38merge_mergepath_config_static_selectorELNS0_4arch9wavefront6targetE1EEEvSL_
; %bb.0:
	s_load_dwordx2 s[18:19], s[0:1], 0x40
	s_load_dword s5, s[0:1], 0x30
	s_add_u32 s14, s0, 64
	s_addc_u32 s15, s1, 0
	s_waitcnt lgkmcnt(0)
	s_mul_i32 s4, s19, s4
	s_add_i32 s3, s4, s3
	s_mul_i32 s3, s3, s18
	s_add_i32 s16, s3, s2
	s_cmp_ge_u32 s16, s5
	s_cbranch_scc1 .LBB507_73
; %bb.1:
	s_load_dwordx2 s[4:5], s[0:1], 0x28
	s_load_dwordx2 s[6:7], s[0:1], 0x38
	;; [unrolled: 1-line block ×3, first 2 shown]
	s_mov_b32 s17, 0
	v_mov_b32_e32 v9, 0
	s_waitcnt lgkmcnt(0)
	s_lshr_b32 s19, s4, 10
	s_cmp_lg_u32 s16, s19
	s_cselect_b64 s[8:9], -1, 0
	s_lshl_b64 s[10:11], s[16:17], 2
	s_add_u32 s6, s6, s10
	s_addc_u32 s7, s7, s11
	s_lshr_b32 s3, s5, 9
	s_and_b32 s3, s3, 0x7ffffe
	s_load_dwordx2 s[10:11], s[6:7], 0x0
	s_sub_i32 s3, 0, s3
	s_and_b32 s7, s16, s3
	s_lshl_b32 s21, s7, 10
	s_lshl_b32 s6, s16, 10
	;; [unrolled: 1-line block ×3, first 2 shown]
	s_sub_i32 s20, s6, s21
	s_add_i32 s7, s7, s5
	s_add_i32 s22, s7, s20
	s_waitcnt lgkmcnt(0)
	s_sub_i32 s20, s22, s10
	s_sub_i32 s22, s22, s11
	;; [unrolled: 1-line block ×3, first 2 shown]
	s_min_u32 s20, s4, s20
	s_addk_i32 s22, 0x400
	s_or_b32 s3, s16, s3
	s_min_u32 s21, s4, s7
	s_add_i32 s7, s7, s5
	s_cmp_eq_u32 s3, -1
	s_cselect_b32 s3, s7, s22
	s_cselect_b32 s5, s21, s11
	s_min_u32 s3, s3, s4
	s_mov_b32 s11, s17
	s_sub_i32 s5, s5, s10
	s_sub_i32 s7, s3, s20
	s_lshl_b64 s[10:11], s[10:11], 2
	s_add_u32 s10, s12, s10
	s_mov_b32 s21, s17
	s_addc_u32 s11, s13, s11
	s_lshl_b64 s[20:21], s[20:21], 2
	s_add_u32 s12, s12, s20
	s_addc_u32 s13, s13, s21
	s_cmp_lt_u32 s2, s18
	s_cselect_b32 s2, 12, 18
	global_load_dword v1, v9, s[14:15] offset:14
	s_add_u32 s2, s14, s2
	s_addc_u32 s3, s15, 0
	global_load_ushort v2, v9, s[2:3]
	s_cmp_eq_u32 s16, s19
	v_lshlrev_b32_e32 v10, 2, v0
	s_waitcnt vmcnt(1)
	v_lshrrev_b32_e32 v3, 16, v1
	v_and_b32_e32 v1, 0xffff, v1
	v_mul_lo_u32 v1, v1, v3
	s_waitcnt vmcnt(0)
	v_mul_lo_u32 v1, v1, v2
	v_add_u32_e32 v14, v1, v0
	v_add_u32_e32 v12, v14, v1
	s_cbranch_scc1 .LBB507_3
; %bb.2:
	v_mov_b32_e32 v11, v9
	v_subrev_co_u32_e32 v8, vcc, s5, v0
	v_lshl_add_u64 v[2:3], s[10:11], 0, v[10:11]
	v_lshl_add_u64 v[4:5], v[8:9], 2, s[12:13]
	v_cndmask_b32_e32 v3, v5, v3, vcc
	v_cndmask_b32_e32 v2, v4, v2, vcc
	v_mov_b32_e32 v15, v9
	v_subrev_co_u32_e32 v8, vcc, s5, v14
	v_lshl_add_u64 v[4:5], v[14:15], 2, s[10:11]
	v_lshl_add_u64 v[6:7], v[8:9], 2, s[12:13]
	v_cndmask_b32_e32 v5, v7, v5, vcc
	v_cndmask_b32_e32 v4, v6, v4, vcc
	v_mov_b32_e32 v13, v9
	v_subrev_co_u32_e32 v8, vcc, s5, v12
	global_load_dword v2, v[2:3], off
	v_lshl_add_u64 v[6:7], v[8:9], 2, s[12:13]
	global_load_dword v3, v[4:5], off
	v_lshl_add_u64 v[4:5], v[12:13], 2, s[10:11]
	v_cndmask_b32_e32 v4, v6, v4, vcc
	v_add_u32_e32 v6, v12, v1
	v_cndmask_b32_e32 v5, v7, v5, vcc
	v_mov_b32_e32 v7, v9
	v_subrev_co_u32_e32 v8, vcc, s5, v6
	v_lshl_add_u64 v[16:17], v[6:7], 2, s[10:11]
	v_lshl_add_u64 v[18:19], v[8:9], 2, s[12:13]
	v_cndmask_b32_e32 v17, v19, v17, vcc
	v_cndmask_b32_e32 v16, v18, v16, vcc
	global_load_dword v4, v[4:5], off
	s_add_i32 s16, s7, s5
	global_load_dword v5, v[16:17], off
	v_add_u32_e32 v16, v6, v1
	v_mov_b32_e32 v17, v9
	v_subrev_co_u32_e32 v8, vcc, s5, v16
	v_lshl_add_u64 v[6:7], v[16:17], 2, s[10:11]
	v_lshl_add_u64 v[18:19], v[8:9], 2, s[12:13]
	v_add_u32_e32 v16, v16, v1
	v_cndmask_b32_e32 v7, v19, v7, vcc
	v_cndmask_b32_e32 v6, v18, v6, vcc
	v_subrev_co_u32_e32 v8, vcc, s5, v16
	v_lshl_add_u64 v[18:19], v[16:17], 2, s[10:11]
	v_lshl_add_u64 v[20:21], v[8:9], 2, s[12:13]
	v_add_u32_e32 v16, v16, v1
	v_cndmask_b32_e32 v19, v21, v19, vcc
	v_cndmask_b32_e32 v18, v20, v18, vcc
	v_subrev_co_u32_e32 v8, vcc, s5, v16
	global_load_dword v6, v[6:7], off
	v_lshl_add_u64 v[20:21], v[8:9], 2, s[12:13]
	global_load_dword v7, v[18:19], off
	v_lshl_add_u64 v[18:19], v[16:17], 2, s[10:11]
	v_cndmask_b32_e32 v19, v21, v19, vcc
	v_cndmask_b32_e32 v18, v20, v18, vcc
	global_load_dword v8, v[18:19], off
	v_add_u32_e32 v16, v16, v1
	s_mov_b64 s[2:3], -1
	v_mov_b32_e32 v11, s16
	s_cbranch_execz .LBB507_4
	s_branch .LBB507_17
.LBB507_3:
	s_mov_b64 s[2:3], 0
                                        ; implicit-def: $vgpr16
                                        ; implicit-def: $vgpr2_vgpr3_vgpr4_vgpr5_vgpr6_vgpr7_vgpr8_vgpr9
                                        ; implicit-def: $vgpr11
.LBB507_4:
	s_add_i32 s14, s7, s5
	s_waitcnt vmcnt(6)
	v_mov_b32_e32 v2, 0
	v_cmp_gt_u32_e32 vcc, s14, v0
	s_waitcnt vmcnt(5)
	v_mov_b32_e32 v3, v2
	s_waitcnt vmcnt(4)
	v_mov_b32_e32 v4, v2
	s_waitcnt vmcnt(3)
	v_mov_b32_e32 v5, v2
	s_waitcnt vmcnt(2)
	v_mov_b32_e32 v6, v2
	s_waitcnt vmcnt(1)
	v_mov_b32_e32 v7, v2
	s_waitcnt vmcnt(0)
	v_mov_b32_e32 v8, v2
	v_mov_b32_e32 v9, v2
	s_and_saveexec_b64 s[2:3], vcc
	s_cbranch_execnz .LBB507_74
; %bb.5:
	s_or_b64 exec, exec, s[2:3]
	v_cmp_gt_u32_e32 vcc, s14, v14
	s_and_saveexec_b64 s[2:3], vcc
	s_cbranch_execnz .LBB507_75
.LBB507_6:
	s_or_b64 exec, exec, s[2:3]
	v_cmp_gt_u32_e32 vcc, s14, v12
	s_and_saveexec_b64 s[2:3], vcc
	s_cbranch_execz .LBB507_8
.LBB507_7:
	v_mov_b32_e32 v13, 0
	v_subrev_co_u32_e32 v16, vcc, s5, v12
	v_mov_b32_e32 v17, v13
	v_lshl_add_u64 v[14:15], v[12:13], 2, s[10:11]
	v_lshl_add_u64 v[16:17], v[16:17], 2, s[12:13]
	v_cndmask_b32_e32 v15, v17, v15, vcc
	v_cndmask_b32_e32 v14, v16, v14, vcc
	global_load_dword v4, v[14:15], off
.LBB507_8:
	s_or_b64 exec, exec, s[2:3]
	v_add_u32_e32 v12, v12, v1
	v_cmp_gt_u32_e32 vcc, s14, v12
	s_and_saveexec_b64 s[2:3], vcc
	s_cbranch_execz .LBB507_10
; %bb.9:
	v_mov_b32_e32 v13, 0
	v_subrev_co_u32_e32 v16, vcc, s5, v12
	v_mov_b32_e32 v17, v13
	v_lshl_add_u64 v[14:15], v[12:13], 2, s[10:11]
	v_lshl_add_u64 v[16:17], v[16:17], 2, s[12:13]
	v_cndmask_b32_e32 v15, v17, v15, vcc
	v_cndmask_b32_e32 v14, v16, v14, vcc
	global_load_dword v5, v[14:15], off
.LBB507_10:
	s_or_b64 exec, exec, s[2:3]
	v_add_u32_e32 v12, v12, v1
	v_cmp_gt_u32_e32 vcc, s14, v12
	s_and_saveexec_b64 s[2:3], vcc
	s_cbranch_execz .LBB507_12
; %bb.11:
	v_mov_b32_e32 v13, 0
	v_subrev_co_u32_e32 v16, vcc, s5, v12
	v_mov_b32_e32 v17, v13
	v_lshl_add_u64 v[14:15], v[12:13], 2, s[10:11]
	v_lshl_add_u64 v[16:17], v[16:17], 2, s[12:13]
	v_cndmask_b32_e32 v15, v17, v15, vcc
	v_cndmask_b32_e32 v14, v16, v14, vcc
	global_load_dword v6, v[14:15], off
.LBB507_12:
	;; [unrolled: 15-line block ×4, first 2 shown]
	s_or_b64 exec, exec, s[2:3]
	v_add_u32_e32 v16, v12, v1
	v_cmp_gt_u32_e64 s[2:3], s14, v16
	v_mov_b32_e32 v11, s14
.LBB507_17:
	s_and_saveexec_b64 s[14:15], s[2:3]
	s_cbranch_execz .LBB507_19
; %bb.18:
	v_mov_b32_e32 v13, 0
	v_mov_b32_e32 v17, v13
	v_subrev_co_u32_e32 v12, vcc, s5, v16
	v_lshl_add_u64 v[14:15], v[16:17], 2, s[10:11]
	v_lshl_add_u64 v[12:13], v[12:13], 2, s[12:13]
	v_cndmask_b32_e32 v13, v13, v15, vcc
	v_cndmask_b32_e32 v12, v12, v14, vcc
	global_load_dword v9, v[12:13], off
.LBB507_19:
	s_or_b64 exec, exec, s[14:15]
	s_load_dwordx2 s[2:3], s[0:1], 0x10
	v_lshlrev_b32_e32 v1, 3, v0
	v_min_u32_e32 v13, v11, v1
	v_sub_u32_e64 v12, v13, s7 clamp
	v_min_u32_e32 v14, s5, v13
	v_cmp_lt_u32_e32 vcc, v12, v14
	s_waitcnt vmcnt(0)
	ds_write2st64_b32 v10, v2, v3 offset1:2
	ds_write2st64_b32 v10, v4, v5 offset0:4 offset1:6
	ds_write2st64_b32 v10, v6, v7 offset0:8 offset1:10
	;; [unrolled: 1-line block ×3, first 2 shown]
	s_waitcnt lgkmcnt(0)
	s_barrier
	s_and_saveexec_b64 s[0:1], vcc
	s_cbranch_execz .LBB507_23
; %bb.20:
	v_lshlrev_b32_e32 v15, 2, v13
	v_lshl_add_u32 v15, s5, 2, v15
	s_mov_b64 s[10:11], 0
.LBB507_21:                             ; =>This Inner Loop Header: Depth=1
	v_add_u32_e32 v16, v14, v12
	v_lshrrev_b32_e32 v18, 1, v16
	v_not_b32_e32 v16, v18
	v_lshlrev_b32_e32 v17, 2, v18
	v_lshl_add_u32 v20, v16, 2, v15
	ds_read_b32 v16, v17
	ds_read_b32 v17, v20
	v_add_u32_e32 v19, 1, v18
	s_waitcnt lgkmcnt(0)
	v_pk_add_f32 v[16:17], v[16:17], 0 op_sel_hi:[1,0]
	s_nop 0
	v_ashrrev_i32_e32 v20, 31, v17
	v_ashrrev_i32_e32 v21, 31, v16
	v_or_b32_e32 v20, 0x80000000, v20
	v_or_b32_e32 v21, 0x80000000, v21
	v_xor_b32_e32 v17, v20, v17
	v_xor_b32_e32 v16, v21, v16
	v_cmp_gt_u32_e32 vcc, v16, v17
	s_nop 1
	v_cndmask_b32_e32 v14, v14, v18, vcc
	v_cndmask_b32_e32 v12, v19, v12, vcc
	v_cmp_ge_u32_e32 vcc, v12, v14
	s_or_b64 s[10:11], vcc, s[10:11]
	s_andn2_b64 exec, exec, s[10:11]
	s_cbranch_execnz .LBB507_21
; %bb.22:
	s_or_b64 exec, exec, s[10:11]
.LBB507_23:
	s_or_b64 exec, exec, s[0:1]
	v_sub_u32_e32 v13, v13, v12
	v_add_u32_e32 v13, s5, v13
	v_cmp_ge_u32_e32 vcc, s5, v12
	v_cmp_le_u32_e64 s[0:1], v13, v11
	s_or_b64 s[0:1], vcc, s[0:1]
	s_and_saveexec_b64 s[10:11], s[0:1]
	s_xor_b64 s[10:11], exec, s[10:11]
	s_cbranch_execz .LBB507_59
; %bb.24:
	v_cmp_le_u32_e32 vcc, s5, v12
	v_cmp_gt_u32_e64 s[0:1], s5, v12
                                        ; implicit-def: $vgpr8
	s_and_saveexec_b64 s[12:13], s[0:1]
; %bb.25:
	v_lshlrev_b32_e32 v2, 2, v12
	ds_read_b32 v8, v2
; %bb.26:
	s_or_b64 exec, exec, s[12:13]
	v_cmp_ge_u32_e64 s[12:13], v13, v11
	v_cmp_lt_u32_e64 s[0:1], v13, v11
	s_and_saveexec_b64 s[14:15], s[0:1]
; %bb.27:
	v_lshlrev_b32_e32 v2, 2, v13
	ds_read_b32 v9, v2
; %bb.28:
	s_or_b64 exec, exec, s[14:15]
	s_nor_b64 s[14:15], vcc, s[12:13]
	s_and_saveexec_b64 s[0:1], s[14:15]
	s_cbranch_execz .LBB507_30
; %bb.29:
	s_waitcnt lgkmcnt(0)
	v_pk_add_f32 v[2:3], v[8:9], 0 op_sel_hi:[1,0]
	s_andn2_b64 s[12:13], s[12:13], exec
	v_ashrrev_i32_e32 v4, 31, v3
	v_ashrrev_i32_e32 v5, 31, v2
	v_or_b32_e32 v4, 0x80000000, v4
	v_or_b32_e32 v5, 0x80000000, v5
	v_xor_b32_e32 v3, v4, v3
	v_xor_b32_e32 v2, v5, v2
	v_cmp_le_u32_e32 vcc, v2, v3
	s_and_b64 s[14:15], vcc, exec
	s_or_b64 s[12:13], s[12:13], s[14:15]
.LBB507_30:
	s_or_b64 exec, exec, s[0:1]
	v_mov_b32_e32 v3, s5
	v_cndmask_b32_e64 v2, v13, v12, s[12:13]
	v_cndmask_b32_e64 v3, v11, v3, s[12:13]
	v_add_u32_e32 v5, 1, v2
	v_add_u32_e32 v2, -1, v3
	v_min_u32_e32 v2, v5, v2
	v_lshlrev_b32_e32 v2, 2, v2
	ds_read_b32 v3, v2
	v_cndmask_b32_e64 v4, v5, v13, s[12:13]
	v_cndmask_b32_e64 v5, v12, v5, s[12:13]
	v_cmp_lt_u32_e32 vcc, v4, v11
	s_mov_b64 s[14:15], -1
	s_waitcnt lgkmcnt(0)
	v_cndmask_b32_e64 v2, v3, v9, s[12:13]
	v_cndmask_b32_e64 v3, v8, v3, s[12:13]
	s_mov_b64 s[0:1], -1
	s_and_saveexec_b64 s[16:17], vcc
	s_cbranch_execz .LBB507_34
; %bb.31:
	v_cmp_gt_u32_e32 vcc, s5, v5
	s_mov_b64 s[18:19], 0
	s_and_saveexec_b64 s[0:1], vcc
; %bb.32:
	v_add_f32_e32 v6, 0, v3
	v_add_f32_e32 v7, 0, v2
	v_ashrrev_i32_e32 v12, 31, v6
	s_brev_b32 s7, 1
	v_bitop3_b32 v6, v12, v6, s7 bitop3:0x36
	v_ashrrev_i32_e32 v12, 31, v7
	v_bitop3_b32 v7, v12, v7, s7 bitop3:0x36
	v_cmp_le_u32_e32 vcc, v6, v7
	s_and_b64 s[18:19], vcc, exec
; %bb.33:
	s_or_b64 exec, exec, s[0:1]
	s_orn2_b64 s[0:1], s[18:19], exec
.LBB507_34:
	s_or_b64 exec, exec, s[16:17]
	v_mov_b32_e32 v7, s5
	v_cndmask_b32_e64 v6, v4, v5, s[0:1]
	v_cndmask_b32_e64 v7, v11, v7, s[0:1]
	v_add_u32_e32 v13, 1, v6
	v_add_u32_e32 v6, -1, v7
	v_min_u32_e32 v6, v13, v6
	v_lshlrev_b32_e32 v6, 2, v6
	ds_read_b32 v7, v6
	v_cndmask_b32_e64 v6, v13, v4, s[0:1]
	v_cmp_lt_u32_e32 vcc, v6, v11
	s_waitcnt lgkmcnt(0)
	v_cndmask_b32_e64 v4, v7, v2, s[0:1]
	v_cndmask_b32_e64 v12, v3, v7, s[0:1]
	;; [unrolled: 1-line block ×3, first 2 shown]
	s_and_saveexec_b64 s[16:17], vcc
	s_cbranch_execz .LBB507_38
; %bb.35:
	v_cmp_gt_u32_e32 vcc, s5, v7
	s_mov_b64 s[18:19], 0
	s_and_saveexec_b64 s[14:15], vcc
; %bb.36:
	v_add_f32_e32 v5, 0, v12
	v_add_f32_e32 v13, 0, v4
	v_ashrrev_i32_e32 v14, 31, v5
	s_brev_b32 s7, 1
	v_bitop3_b32 v5, v14, v5, s7 bitop3:0x36
	v_ashrrev_i32_e32 v14, 31, v13
	v_bitop3_b32 v13, v14, v13, s7 bitop3:0x36
	v_cmp_le_u32_e32 vcc, v5, v13
	s_and_b64 s[18:19], vcc, exec
; %bb.37:
	s_or_b64 exec, exec, s[14:15]
	s_orn2_b64 s[14:15], s[18:19], exec
.LBB507_38:
	s_or_b64 exec, exec, s[16:17]
	v_mov_b32_e32 v13, s5
	v_cndmask_b32_e64 v5, v6, v7, s[14:15]
	v_cndmask_b32_e64 v13, v11, v13, s[14:15]
	v_add_u32_e32 v14, 1, v5
	v_add_u32_e32 v5, -1, v13
	v_min_u32_e32 v5, v14, v5
	v_lshlrev_b32_e32 v5, 2, v5
	ds_read_b32 v13, v5
	v_cndmask_b32_e64 v6, v14, v6, s[14:15]
	v_cndmask_b32_e64 v7, v7, v14, s[14:15]
	v_cmp_lt_u32_e32 vcc, v6, v11
	s_mov_b64 s[18:19], -1
	s_waitcnt lgkmcnt(0)
	v_cndmask_b32_e64 v5, v13, v4, s[14:15]
	v_cndmask_b32_e64 v13, v12, v13, s[14:15]
	s_mov_b64 s[16:17], -1
	s_and_saveexec_b64 s[20:21], vcc
	s_cbranch_execz .LBB507_42
; %bb.39:
	v_cmp_gt_u32_e32 vcc, s5, v7
	s_mov_b64 s[22:23], 0
	s_and_saveexec_b64 s[16:17], vcc
; %bb.40:
	v_add_f32_e32 v14, 0, v13
	v_add_f32_e32 v15, 0, v5
	v_ashrrev_i32_e32 v16, 31, v14
	s_brev_b32 s7, 1
	v_bitop3_b32 v14, v16, v14, s7 bitop3:0x36
	v_ashrrev_i32_e32 v16, 31, v15
	v_bitop3_b32 v15, v16, v15, s7 bitop3:0x36
	v_cmp_le_u32_e32 vcc, v14, v15
	s_and_b64 s[22:23], vcc, exec
; %bb.41:
	s_or_b64 exec, exec, s[16:17]
	s_orn2_b64 s[16:17], s[22:23], exec
.LBB507_42:
	s_or_b64 exec, exec, s[20:21]
	v_mov_b32_e32 v15, s5
	v_cndmask_b32_e64 v14, v6, v7, s[16:17]
	v_cndmask_b32_e64 v15, v11, v15, s[16:17]
	v_add_u32_e32 v16, 1, v14
	v_add_u32_e32 v14, -1, v15
	v_min_u32_e32 v14, v16, v14
	v_lshlrev_b32_e32 v14, 2, v14
	ds_read_b32 v14, v14
	v_cndmask_b32_e64 v15, v16, v6, s[16:17]
	v_cndmask_b32_e64 v16, v7, v16, s[16:17]
	v_cmp_lt_u32_e32 vcc, v15, v11
	s_waitcnt lgkmcnt(0)
	v_cndmask_b32_e64 v6, v14, v5, s[16:17]
	v_cndmask_b32_e64 v14, v13, v14, s[16:17]
	s_and_saveexec_b64 s[20:21], vcc
	s_cbranch_execz .LBB507_46
; %bb.43:
	v_cmp_gt_u32_e32 vcc, s5, v16
	s_mov_b64 s[22:23], 0
	s_and_saveexec_b64 s[18:19], vcc
; %bb.44:
	v_add_f32_e32 v7, 0, v14
	v_add_f32_e32 v17, 0, v6
	v_ashrrev_i32_e32 v18, 31, v7
	s_brev_b32 s7, 1
	v_bitop3_b32 v7, v18, v7, s7 bitop3:0x36
	v_ashrrev_i32_e32 v18, 31, v17
	v_bitop3_b32 v17, v18, v17, s7 bitop3:0x36
	v_cmp_le_u32_e32 vcc, v7, v17
	s_and_b64 s[22:23], vcc, exec
; %bb.45:
	s_or_b64 exec, exec, s[18:19]
	s_orn2_b64 s[18:19], s[22:23], exec
.LBB507_46:
	s_or_b64 exec, exec, s[20:21]
	v_mov_b32_e32 v17, s5
	v_cndmask_b32_e64 v7, v15, v16, s[18:19]
	v_cndmask_b32_e64 v17, v11, v17, s[18:19]
	v_add_u32_e32 v18, 1, v7
	v_add_u32_e32 v7, -1, v17
	v_min_u32_e32 v7, v18, v7
	v_lshlrev_b32_e32 v7, 2, v7
	ds_read_b32 v17, v7
	v_cndmask_b32_e64 v15, v18, v15, s[18:19]
	v_cndmask_b32_e64 v18, v16, v18, s[18:19]
	v_cmp_lt_u32_e32 vcc, v15, v11
	s_mov_b64 s[20:21], -1
	s_waitcnt lgkmcnt(0)
	v_cndmask_b32_e64 v7, v17, v6, s[18:19]
	v_cndmask_b32_e64 v17, v14, v17, s[18:19]
	s_mov_b64 s[22:23], -1
	s_and_saveexec_b64 s[24:25], vcc
	s_cbranch_execz .LBB507_50
; %bb.47:
	v_cmp_gt_u32_e32 vcc, s5, v18
	s_mov_b64 s[26:27], 0
	s_and_saveexec_b64 s[22:23], vcc
; %bb.48:
	v_add_f32_e32 v16, 0, v17
	v_add_f32_e32 v19, 0, v7
	v_ashrrev_i32_e32 v20, 31, v16
	s_brev_b32 s7, 1
	v_bitop3_b32 v16, v20, v16, s7 bitop3:0x36
	v_ashrrev_i32_e32 v20, 31, v19
	v_bitop3_b32 v19, v20, v19, s7 bitop3:0x36
	v_cmp_le_u32_e32 vcc, v16, v19
	s_and_b64 s[26:27], vcc, exec
; %bb.49:
	s_or_b64 exec, exec, s[22:23]
	s_orn2_b64 s[22:23], s[26:27], exec
.LBB507_50:
	s_or_b64 exec, exec, s[24:25]
	v_mov_b32_e32 v19, s5
	v_cndmask_b32_e64 v16, v15, v18, s[22:23]
	v_cndmask_b32_e64 v19, v11, v19, s[22:23]
	v_add_u32_e32 v20, 1, v16
	v_add_u32_e32 v16, -1, v19
	v_min_u32_e32 v16, v20, v16
	v_lshlrev_b32_e32 v16, 2, v16
	ds_read_b32 v16, v16
	v_cndmask_b32_e64 v19, v20, v15, s[22:23]
	v_cndmask_b32_e64 v18, v18, v20, s[22:23]
	v_cmp_lt_u32_e32 vcc, v19, v11
	s_waitcnt lgkmcnt(0)
	v_cndmask_b32_e64 v15, v16, v7, s[22:23]
	v_cndmask_b32_e64 v16, v17, v16, s[22:23]
	s_and_saveexec_b64 s[24:25], vcc
	s_cbranch_execz .LBB507_54
; %bb.51:
	v_cmp_gt_u32_e32 vcc, s5, v18
	s_mov_b64 s[26:27], 0
	s_and_saveexec_b64 s[20:21], vcc
; %bb.52:
	v_add_f32_e32 v20, 0, v16
	v_add_f32_e32 v21, 0, v15
	v_ashrrev_i32_e32 v22, 31, v20
	s_brev_b32 s7, 1
	v_bitop3_b32 v20, v22, v20, s7 bitop3:0x36
	v_ashrrev_i32_e32 v22, 31, v21
	v_bitop3_b32 v21, v22, v21, s7 bitop3:0x36
	v_cmp_le_u32_e32 vcc, v20, v21
	s_and_b64 s[26:27], vcc, exec
; %bb.53:
	s_or_b64 exec, exec, s[20:21]
	s_orn2_b64 s[20:21], s[26:27], exec
.LBB507_54:
	s_or_b64 exec, exec, s[24:25]
	v_cndmask_b32_e64 v7, v7, v17, s[22:23]
	v_mov_b32_e32 v17, s5
	v_cndmask_b32_e64 v6, v6, v14, s[18:19]
	v_cndmask_b32_e64 v14, v19, v18, s[20:21]
	v_cndmask_b32_e64 v17, v11, v17, s[20:21]
	v_add_u32_e32 v14, 1, v14
	v_add_u32_e32 v17, -1, v17
	v_min_u32_e32 v17, v14, v17
	v_lshlrev_b32_e32 v17, 2, v17
	ds_read_b32 v17, v17
	v_cndmask_b32_e64 v3, v2, v3, s[0:1]
	v_cndmask_b32_e64 v2, v9, v8, s[12:13]
	;; [unrolled: 1-line block ×5, first 2 shown]
	s_waitcnt lgkmcnt(0)
	v_cndmask_b32_e64 v9, v16, v17, s[20:21]
	v_cmp_lt_u32_e32 vcc, v8, v11
	s_and_saveexec_b64 s[0:1], vcc
	s_cbranch_execz .LBB507_58
; %bb.55:
	v_cndmask_b32_e64 v11, v18, v14, s[20:21]
	v_cndmask_b32_e64 v8, v17, v15, s[20:21]
	v_cmp_gt_u32_e32 vcc, s5, v11
	s_and_saveexec_b64 s[12:13], vcc
; %bb.56:
	v_add_f32_e32 v11, 0, v9
	v_add_f32_e32 v12, 0, v8
	v_ashrrev_i32_e32 v13, 31, v11
	s_brev_b32 s5, 1
	v_bitop3_b32 v11, v13, v11, s5 bitop3:0x36
	v_ashrrev_i32_e32 v13, 31, v12
	v_bitop3_b32 v12, v13, v12, s5 bitop3:0x36
	v_cmp_gt_u32_e32 vcc, v11, v12
	s_nop 1
	v_cndmask_b32_e32 v8, v9, v8, vcc
; %bb.57:
	s_or_b64 exec, exec, s[12:13]
	v_mov_b32_e32 v9, v8
.LBB507_58:
	s_or_b64 exec, exec, s[0:1]
	v_cndmask_b32_e64 v8, v15, v16, s[20:21]
.LBB507_59:
	s_andn2_saveexec_b64 s[0:1], s[10:11]
	s_or_b64 exec, exec, s[0:1]
	v_and_b32_e32 v11, 0x7c, v0
	v_lshl_add_u32 v1, v1, 2, v11
	s_barrier
	s_barrier
	ds_write2_b32 v1, v2, v3 offset1:1
	ds_write2_b32 v1, v4, v5 offset0:2 offset1:3
	ds_write2_b32 v1, v6, v7 offset0:4 offset1:5
	;; [unrolled: 1-line block ×3, first 2 shown]
	v_lshrrev_b32_e32 v1, 3, v0
	v_and_b32_e32 v1, 12, v1
	v_or_b32_e32 v9, 0x80, v0
	v_add_u32_e32 v12, v1, v10
	v_lshrrev_b32_e32 v1, 3, v9
	v_and_b32_e32 v1, 28, v1
	v_or_b32_e32 v8, 0x100, v0
	v_add_u32_e32 v13, v1, v10
	;; [unrolled: 4-line block ×6, first 2 shown]
	v_lshrrev_b32_e32 v1, 3, v4
	s_mov_b32 s7, 0
	v_and_b32_e32 v1, 0x6c, v1
	s_lshl_b64 s[0:1], s[6:7], 2
	v_add_u32_e32 v18, v1, v10
	v_or_b32_e32 v1, 0x380, v0
	s_add_u32 s0, s2, s0
	v_lshrrev_b32_e32 v2, 3, v1
	s_addc_u32 s1, s3, s1
	v_and_b32_e32 v2, 0x7c, v2
	v_mov_b32_e32 v11, 0
	v_add_u32_e32 v19, v2, v10
	v_lshl_add_u64 v[2:3], s[0:1], 0, v[10:11]
	s_and_b64 vcc, exec, s[8:9]
	s_waitcnt lgkmcnt(0)
	s_cbranch_vccz .LBB507_61
; %bb.60:
	s_barrier
	ds_read_b32 v10, v12
	ds_read_b32 v11, v13 offset:512
	ds_read_b32 v20, v14 offset:1024
	;; [unrolled: 1-line block ×7, first 2 shown]
	s_waitcnt lgkmcnt(7)
	global_store_dword v[2:3], v10, off
	s_waitcnt lgkmcnt(6)
	global_store_dword v[2:3], v11, off offset:512
	s_waitcnt lgkmcnt(5)
	global_store_dword v[2:3], v20, off offset:1024
	;; [unrolled: 2-line block ×6, first 2 shown]
	s_mov_b64 s[0:1], -1
	s_cbranch_execz .LBB507_62
	s_branch .LBB507_71
.LBB507_61:
	s_mov_b64 s[0:1], 0
                                        ; implicit-def: $vgpr22
.LBB507_62:
	s_barrier
	s_waitcnt lgkmcnt(0)
	ds_read_b32 v21, v13 offset:512
	ds_read_b32 v20, v14 offset:1024
	;; [unrolled: 1-line block ×7, first 2 shown]
	s_sub_i32 s2, s4, s6
	v_cmp_gt_u32_e32 vcc, s2, v0
	s_and_saveexec_b64 s[0:1], vcc
	s_cbranch_execnz .LBB507_76
; %bb.63:
	s_or_b64 exec, exec, s[0:1]
	v_cmp_gt_u32_e32 vcc, s2, v9
	s_and_saveexec_b64 s[0:1], vcc
	s_cbranch_execnz .LBB507_77
.LBB507_64:
	s_or_b64 exec, exec, s[0:1]
	v_cmp_gt_u32_e32 vcc, s2, v8
	s_and_saveexec_b64 s[0:1], vcc
	s_cbranch_execnz .LBB507_78
.LBB507_65:
	s_or_b64 exec, exec, s[0:1]
	v_cmp_gt_u32_e32 vcc, s2, v7
	s_and_saveexec_b64 s[0:1], vcc
	s_cbranch_execnz .LBB507_79
.LBB507_66:
	s_or_b64 exec, exec, s[0:1]
	v_cmp_gt_u32_e32 vcc, s2, v6
	s_and_saveexec_b64 s[0:1], vcc
	s_cbranch_execnz .LBB507_80
.LBB507_67:
	s_or_b64 exec, exec, s[0:1]
	v_cmp_gt_u32_e32 vcc, s2, v5
	s_and_saveexec_b64 s[0:1], vcc
	s_cbranch_execnz .LBB507_81
.LBB507_68:
	s_or_b64 exec, exec, s[0:1]
	v_cmp_gt_u32_e32 vcc, s2, v4
	s_and_saveexec_b64 s[0:1], vcc
	s_cbranch_execz .LBB507_70
.LBB507_69:
	s_waitcnt lgkmcnt(1)
	global_store_dword v[2:3], v10, off offset:3072
.LBB507_70:
	s_or_b64 exec, exec, s[0:1]
	v_cmp_gt_u32_e64 s[0:1], s2, v1
.LBB507_71:
	s_and_saveexec_b64 s[2:3], s[0:1]
	s_cbranch_execz .LBB507_73
; %bb.72:
	s_waitcnt lgkmcnt(0)
	global_store_dword v[2:3], v22, off offset:3584
.LBB507_73:
	s_endpgm
.LBB507_74:
	v_mov_b32_e32 v11, v2
	v_subrev_co_u32_e32 v6, vcc, s5, v0
	v_mov_b32_e32 v7, v2
	v_lshl_add_u64 v[4:5], s[10:11], 0, v[10:11]
	v_lshl_add_u64 v[6:7], v[6:7], 2, s[12:13]
	v_cndmask_b32_e32 v5, v7, v5, vcc
	v_cndmask_b32_e32 v4, v6, v4, vcc
	global_load_dword v16, v[4:5], off
	v_mov_b32_e32 v17, v2
	v_mov_b32_e32 v18, v2
	;; [unrolled: 1-line block ×7, first 2 shown]
	s_waitcnt vmcnt(0)
	v_mov_b64_e32 v[2:3], v[16:17]
	v_mov_b64_e32 v[4:5], v[18:19]
	;; [unrolled: 1-line block ×4, first 2 shown]
	s_or_b64 exec, exec, s[2:3]
	v_cmp_gt_u32_e32 vcc, s14, v14
	s_and_saveexec_b64 s[2:3], vcc
	s_cbranch_execz .LBB507_6
.LBB507_75:
	v_mov_b32_e32 v15, 0
	v_lshl_add_u64 v[16:17], v[14:15], 2, s[10:11]
	v_subrev_co_u32_e32 v14, vcc, s5, v14
	v_lshl_add_u64 v[14:15], v[14:15], 2, s[12:13]
	s_nop 0
	v_cndmask_b32_e32 v15, v15, v17, vcc
	v_cndmask_b32_e32 v14, v14, v16, vcc
	global_load_dword v3, v[14:15], off
	s_or_b64 exec, exec, s[2:3]
	v_cmp_gt_u32_e32 vcc, s14, v12
	s_and_saveexec_b64 s[2:3], vcc
	s_cbranch_execnz .LBB507_7
	s_branch .LBB507_8
.LBB507_76:
	ds_read_b32 v0, v12
	s_waitcnt lgkmcnt(0)
	global_store_dword v[2:3], v0, off
	s_or_b64 exec, exec, s[0:1]
	v_cmp_gt_u32_e32 vcc, s2, v9
	s_and_saveexec_b64 s[0:1], vcc
	s_cbranch_execz .LBB507_64
.LBB507_77:
	s_waitcnt lgkmcnt(6)
	global_store_dword v[2:3], v21, off offset:512
	s_or_b64 exec, exec, s[0:1]
	v_cmp_gt_u32_e32 vcc, s2, v8
	s_and_saveexec_b64 s[0:1], vcc
	s_cbranch_execz .LBB507_65
.LBB507_78:
	s_waitcnt lgkmcnt(5)
	global_store_dword v[2:3], v20, off offset:1024
	s_or_b64 exec, exec, s[0:1]
	v_cmp_gt_u32_e32 vcc, s2, v7
	s_and_saveexec_b64 s[0:1], vcc
	s_cbranch_execz .LBB507_66
.LBB507_79:
	s_waitcnt lgkmcnt(4)
	global_store_dword v[2:3], v14, off offset:1536
	s_or_b64 exec, exec, s[0:1]
	v_cmp_gt_u32_e32 vcc, s2, v6
	s_and_saveexec_b64 s[0:1], vcc
	s_cbranch_execz .LBB507_67
.LBB507_80:
	s_waitcnt lgkmcnt(3)
	global_store_dword v[2:3], v13, off offset:2048
	s_or_b64 exec, exec, s[0:1]
	v_cmp_gt_u32_e32 vcc, s2, v5
	s_and_saveexec_b64 s[0:1], vcc
	s_cbranch_execz .LBB507_68
.LBB507_81:
	s_waitcnt lgkmcnt(2)
	global_store_dword v[2:3], v11, off offset:2560
	s_or_b64 exec, exec, s[0:1]
	v_cmp_gt_u32_e32 vcc, s2, v4
	s_and_saveexec_b64 s[0:1], vcc
	s_cbranch_execnz .LBB507_69
	s_branch .LBB507_70
	.section	.rodata,"a",@progbits
	.p2align	6, 0x0
	.amdhsa_kernel _ZN7rocprim17ROCPRIM_400000_NS6detail17trampoline_kernelINS0_14default_configENS1_38merge_sort_block_merge_config_selectorIfNS0_10empty_typeEEEZZNS1_27merge_sort_block_merge_implIS3_N6thrust23THRUST_200600_302600_NS6detail15normal_iteratorINS9_10device_ptrIfEEEEPS5_jNS1_19radix_merge_compareILb0ELb0EfNS0_19identity_decomposerEEEEE10hipError_tT0_T1_T2_jT3_P12ihipStream_tbPNSt15iterator_traitsISK_E10value_typeEPNSQ_ISL_E10value_typeEPSM_NS1_7vsmem_tEENKUlT_SK_SL_SM_E_clISE_PfSF_SF_EESJ_SZ_SK_SL_SM_EUlSZ_E0_NS1_11comp_targetILNS1_3genE0ELNS1_11target_archE4294967295ELNS1_3gpuE0ELNS1_3repE0EEENS1_38merge_mergepath_config_static_selectorELNS0_4arch9wavefront6targetE1EEEvSL_
		.amdhsa_group_segment_fixed_size 4224
		.amdhsa_private_segment_fixed_size 0
		.amdhsa_kernarg_size 320
		.amdhsa_user_sgpr_count 2
		.amdhsa_user_sgpr_dispatch_ptr 0
		.amdhsa_user_sgpr_queue_ptr 0
		.amdhsa_user_sgpr_kernarg_segment_ptr 1
		.amdhsa_user_sgpr_dispatch_id 0
		.amdhsa_user_sgpr_kernarg_preload_length 0
		.amdhsa_user_sgpr_kernarg_preload_offset 0
		.amdhsa_user_sgpr_private_segment_size 0
		.amdhsa_uses_dynamic_stack 0
		.amdhsa_enable_private_segment 0
		.amdhsa_system_sgpr_workgroup_id_x 1
		.amdhsa_system_sgpr_workgroup_id_y 1
		.amdhsa_system_sgpr_workgroup_id_z 1
		.amdhsa_system_sgpr_workgroup_info 0
		.amdhsa_system_vgpr_workitem_id 0
		.amdhsa_next_free_vgpr 26
		.amdhsa_next_free_sgpr 28
		.amdhsa_accum_offset 28
		.amdhsa_reserve_vcc 1
		.amdhsa_float_round_mode_32 0
		.amdhsa_float_round_mode_16_64 0
		.amdhsa_float_denorm_mode_32 3
		.amdhsa_float_denorm_mode_16_64 3
		.amdhsa_dx10_clamp 1
		.amdhsa_ieee_mode 1
		.amdhsa_fp16_overflow 0
		.amdhsa_tg_split 0
		.amdhsa_exception_fp_ieee_invalid_op 0
		.amdhsa_exception_fp_denorm_src 0
		.amdhsa_exception_fp_ieee_div_zero 0
		.amdhsa_exception_fp_ieee_overflow 0
		.amdhsa_exception_fp_ieee_underflow 0
		.amdhsa_exception_fp_ieee_inexact 0
		.amdhsa_exception_int_div_zero 0
	.end_amdhsa_kernel
	.section	.text._ZN7rocprim17ROCPRIM_400000_NS6detail17trampoline_kernelINS0_14default_configENS1_38merge_sort_block_merge_config_selectorIfNS0_10empty_typeEEEZZNS1_27merge_sort_block_merge_implIS3_N6thrust23THRUST_200600_302600_NS6detail15normal_iteratorINS9_10device_ptrIfEEEEPS5_jNS1_19radix_merge_compareILb0ELb0EfNS0_19identity_decomposerEEEEE10hipError_tT0_T1_T2_jT3_P12ihipStream_tbPNSt15iterator_traitsISK_E10value_typeEPNSQ_ISL_E10value_typeEPSM_NS1_7vsmem_tEENKUlT_SK_SL_SM_E_clISE_PfSF_SF_EESJ_SZ_SK_SL_SM_EUlSZ_E0_NS1_11comp_targetILNS1_3genE0ELNS1_11target_archE4294967295ELNS1_3gpuE0ELNS1_3repE0EEENS1_38merge_mergepath_config_static_selectorELNS0_4arch9wavefront6targetE1EEEvSL_,"axG",@progbits,_ZN7rocprim17ROCPRIM_400000_NS6detail17trampoline_kernelINS0_14default_configENS1_38merge_sort_block_merge_config_selectorIfNS0_10empty_typeEEEZZNS1_27merge_sort_block_merge_implIS3_N6thrust23THRUST_200600_302600_NS6detail15normal_iteratorINS9_10device_ptrIfEEEEPS5_jNS1_19radix_merge_compareILb0ELb0EfNS0_19identity_decomposerEEEEE10hipError_tT0_T1_T2_jT3_P12ihipStream_tbPNSt15iterator_traitsISK_E10value_typeEPNSQ_ISL_E10value_typeEPSM_NS1_7vsmem_tEENKUlT_SK_SL_SM_E_clISE_PfSF_SF_EESJ_SZ_SK_SL_SM_EUlSZ_E0_NS1_11comp_targetILNS1_3genE0ELNS1_11target_archE4294967295ELNS1_3gpuE0ELNS1_3repE0EEENS1_38merge_mergepath_config_static_selectorELNS0_4arch9wavefront6targetE1EEEvSL_,comdat
.Lfunc_end507:
	.size	_ZN7rocprim17ROCPRIM_400000_NS6detail17trampoline_kernelINS0_14default_configENS1_38merge_sort_block_merge_config_selectorIfNS0_10empty_typeEEEZZNS1_27merge_sort_block_merge_implIS3_N6thrust23THRUST_200600_302600_NS6detail15normal_iteratorINS9_10device_ptrIfEEEEPS5_jNS1_19radix_merge_compareILb0ELb0EfNS0_19identity_decomposerEEEEE10hipError_tT0_T1_T2_jT3_P12ihipStream_tbPNSt15iterator_traitsISK_E10value_typeEPNSQ_ISL_E10value_typeEPSM_NS1_7vsmem_tEENKUlT_SK_SL_SM_E_clISE_PfSF_SF_EESJ_SZ_SK_SL_SM_EUlSZ_E0_NS1_11comp_targetILNS1_3genE0ELNS1_11target_archE4294967295ELNS1_3gpuE0ELNS1_3repE0EEENS1_38merge_mergepath_config_static_selectorELNS0_4arch9wavefront6targetE1EEEvSL_, .Lfunc_end507-_ZN7rocprim17ROCPRIM_400000_NS6detail17trampoline_kernelINS0_14default_configENS1_38merge_sort_block_merge_config_selectorIfNS0_10empty_typeEEEZZNS1_27merge_sort_block_merge_implIS3_N6thrust23THRUST_200600_302600_NS6detail15normal_iteratorINS9_10device_ptrIfEEEEPS5_jNS1_19radix_merge_compareILb0ELb0EfNS0_19identity_decomposerEEEEE10hipError_tT0_T1_T2_jT3_P12ihipStream_tbPNSt15iterator_traitsISK_E10value_typeEPNSQ_ISL_E10value_typeEPSM_NS1_7vsmem_tEENKUlT_SK_SL_SM_E_clISE_PfSF_SF_EESJ_SZ_SK_SL_SM_EUlSZ_E0_NS1_11comp_targetILNS1_3genE0ELNS1_11target_archE4294967295ELNS1_3gpuE0ELNS1_3repE0EEENS1_38merge_mergepath_config_static_selectorELNS0_4arch9wavefront6targetE1EEEvSL_
                                        ; -- End function
	.set _ZN7rocprim17ROCPRIM_400000_NS6detail17trampoline_kernelINS0_14default_configENS1_38merge_sort_block_merge_config_selectorIfNS0_10empty_typeEEEZZNS1_27merge_sort_block_merge_implIS3_N6thrust23THRUST_200600_302600_NS6detail15normal_iteratorINS9_10device_ptrIfEEEEPS5_jNS1_19radix_merge_compareILb0ELb0EfNS0_19identity_decomposerEEEEE10hipError_tT0_T1_T2_jT3_P12ihipStream_tbPNSt15iterator_traitsISK_E10value_typeEPNSQ_ISL_E10value_typeEPSM_NS1_7vsmem_tEENKUlT_SK_SL_SM_E_clISE_PfSF_SF_EESJ_SZ_SK_SL_SM_EUlSZ_E0_NS1_11comp_targetILNS1_3genE0ELNS1_11target_archE4294967295ELNS1_3gpuE0ELNS1_3repE0EEENS1_38merge_mergepath_config_static_selectorELNS0_4arch9wavefront6targetE1EEEvSL_.num_vgpr, 26
	.set _ZN7rocprim17ROCPRIM_400000_NS6detail17trampoline_kernelINS0_14default_configENS1_38merge_sort_block_merge_config_selectorIfNS0_10empty_typeEEEZZNS1_27merge_sort_block_merge_implIS3_N6thrust23THRUST_200600_302600_NS6detail15normal_iteratorINS9_10device_ptrIfEEEEPS5_jNS1_19radix_merge_compareILb0ELb0EfNS0_19identity_decomposerEEEEE10hipError_tT0_T1_T2_jT3_P12ihipStream_tbPNSt15iterator_traitsISK_E10value_typeEPNSQ_ISL_E10value_typeEPSM_NS1_7vsmem_tEENKUlT_SK_SL_SM_E_clISE_PfSF_SF_EESJ_SZ_SK_SL_SM_EUlSZ_E0_NS1_11comp_targetILNS1_3genE0ELNS1_11target_archE4294967295ELNS1_3gpuE0ELNS1_3repE0EEENS1_38merge_mergepath_config_static_selectorELNS0_4arch9wavefront6targetE1EEEvSL_.num_agpr, 0
	.set _ZN7rocprim17ROCPRIM_400000_NS6detail17trampoline_kernelINS0_14default_configENS1_38merge_sort_block_merge_config_selectorIfNS0_10empty_typeEEEZZNS1_27merge_sort_block_merge_implIS3_N6thrust23THRUST_200600_302600_NS6detail15normal_iteratorINS9_10device_ptrIfEEEEPS5_jNS1_19radix_merge_compareILb0ELb0EfNS0_19identity_decomposerEEEEE10hipError_tT0_T1_T2_jT3_P12ihipStream_tbPNSt15iterator_traitsISK_E10value_typeEPNSQ_ISL_E10value_typeEPSM_NS1_7vsmem_tEENKUlT_SK_SL_SM_E_clISE_PfSF_SF_EESJ_SZ_SK_SL_SM_EUlSZ_E0_NS1_11comp_targetILNS1_3genE0ELNS1_11target_archE4294967295ELNS1_3gpuE0ELNS1_3repE0EEENS1_38merge_mergepath_config_static_selectorELNS0_4arch9wavefront6targetE1EEEvSL_.numbered_sgpr, 28
	.set _ZN7rocprim17ROCPRIM_400000_NS6detail17trampoline_kernelINS0_14default_configENS1_38merge_sort_block_merge_config_selectorIfNS0_10empty_typeEEEZZNS1_27merge_sort_block_merge_implIS3_N6thrust23THRUST_200600_302600_NS6detail15normal_iteratorINS9_10device_ptrIfEEEEPS5_jNS1_19radix_merge_compareILb0ELb0EfNS0_19identity_decomposerEEEEE10hipError_tT0_T1_T2_jT3_P12ihipStream_tbPNSt15iterator_traitsISK_E10value_typeEPNSQ_ISL_E10value_typeEPSM_NS1_7vsmem_tEENKUlT_SK_SL_SM_E_clISE_PfSF_SF_EESJ_SZ_SK_SL_SM_EUlSZ_E0_NS1_11comp_targetILNS1_3genE0ELNS1_11target_archE4294967295ELNS1_3gpuE0ELNS1_3repE0EEENS1_38merge_mergepath_config_static_selectorELNS0_4arch9wavefront6targetE1EEEvSL_.num_named_barrier, 0
	.set _ZN7rocprim17ROCPRIM_400000_NS6detail17trampoline_kernelINS0_14default_configENS1_38merge_sort_block_merge_config_selectorIfNS0_10empty_typeEEEZZNS1_27merge_sort_block_merge_implIS3_N6thrust23THRUST_200600_302600_NS6detail15normal_iteratorINS9_10device_ptrIfEEEEPS5_jNS1_19radix_merge_compareILb0ELb0EfNS0_19identity_decomposerEEEEE10hipError_tT0_T1_T2_jT3_P12ihipStream_tbPNSt15iterator_traitsISK_E10value_typeEPNSQ_ISL_E10value_typeEPSM_NS1_7vsmem_tEENKUlT_SK_SL_SM_E_clISE_PfSF_SF_EESJ_SZ_SK_SL_SM_EUlSZ_E0_NS1_11comp_targetILNS1_3genE0ELNS1_11target_archE4294967295ELNS1_3gpuE0ELNS1_3repE0EEENS1_38merge_mergepath_config_static_selectorELNS0_4arch9wavefront6targetE1EEEvSL_.private_seg_size, 0
	.set _ZN7rocprim17ROCPRIM_400000_NS6detail17trampoline_kernelINS0_14default_configENS1_38merge_sort_block_merge_config_selectorIfNS0_10empty_typeEEEZZNS1_27merge_sort_block_merge_implIS3_N6thrust23THRUST_200600_302600_NS6detail15normal_iteratorINS9_10device_ptrIfEEEEPS5_jNS1_19radix_merge_compareILb0ELb0EfNS0_19identity_decomposerEEEEE10hipError_tT0_T1_T2_jT3_P12ihipStream_tbPNSt15iterator_traitsISK_E10value_typeEPNSQ_ISL_E10value_typeEPSM_NS1_7vsmem_tEENKUlT_SK_SL_SM_E_clISE_PfSF_SF_EESJ_SZ_SK_SL_SM_EUlSZ_E0_NS1_11comp_targetILNS1_3genE0ELNS1_11target_archE4294967295ELNS1_3gpuE0ELNS1_3repE0EEENS1_38merge_mergepath_config_static_selectorELNS0_4arch9wavefront6targetE1EEEvSL_.uses_vcc, 1
	.set _ZN7rocprim17ROCPRIM_400000_NS6detail17trampoline_kernelINS0_14default_configENS1_38merge_sort_block_merge_config_selectorIfNS0_10empty_typeEEEZZNS1_27merge_sort_block_merge_implIS3_N6thrust23THRUST_200600_302600_NS6detail15normal_iteratorINS9_10device_ptrIfEEEEPS5_jNS1_19radix_merge_compareILb0ELb0EfNS0_19identity_decomposerEEEEE10hipError_tT0_T1_T2_jT3_P12ihipStream_tbPNSt15iterator_traitsISK_E10value_typeEPNSQ_ISL_E10value_typeEPSM_NS1_7vsmem_tEENKUlT_SK_SL_SM_E_clISE_PfSF_SF_EESJ_SZ_SK_SL_SM_EUlSZ_E0_NS1_11comp_targetILNS1_3genE0ELNS1_11target_archE4294967295ELNS1_3gpuE0ELNS1_3repE0EEENS1_38merge_mergepath_config_static_selectorELNS0_4arch9wavefront6targetE1EEEvSL_.uses_flat_scratch, 0
	.set _ZN7rocprim17ROCPRIM_400000_NS6detail17trampoline_kernelINS0_14default_configENS1_38merge_sort_block_merge_config_selectorIfNS0_10empty_typeEEEZZNS1_27merge_sort_block_merge_implIS3_N6thrust23THRUST_200600_302600_NS6detail15normal_iteratorINS9_10device_ptrIfEEEEPS5_jNS1_19radix_merge_compareILb0ELb0EfNS0_19identity_decomposerEEEEE10hipError_tT0_T1_T2_jT3_P12ihipStream_tbPNSt15iterator_traitsISK_E10value_typeEPNSQ_ISL_E10value_typeEPSM_NS1_7vsmem_tEENKUlT_SK_SL_SM_E_clISE_PfSF_SF_EESJ_SZ_SK_SL_SM_EUlSZ_E0_NS1_11comp_targetILNS1_3genE0ELNS1_11target_archE4294967295ELNS1_3gpuE0ELNS1_3repE0EEENS1_38merge_mergepath_config_static_selectorELNS0_4arch9wavefront6targetE1EEEvSL_.has_dyn_sized_stack, 0
	.set _ZN7rocprim17ROCPRIM_400000_NS6detail17trampoline_kernelINS0_14default_configENS1_38merge_sort_block_merge_config_selectorIfNS0_10empty_typeEEEZZNS1_27merge_sort_block_merge_implIS3_N6thrust23THRUST_200600_302600_NS6detail15normal_iteratorINS9_10device_ptrIfEEEEPS5_jNS1_19radix_merge_compareILb0ELb0EfNS0_19identity_decomposerEEEEE10hipError_tT0_T1_T2_jT3_P12ihipStream_tbPNSt15iterator_traitsISK_E10value_typeEPNSQ_ISL_E10value_typeEPSM_NS1_7vsmem_tEENKUlT_SK_SL_SM_E_clISE_PfSF_SF_EESJ_SZ_SK_SL_SM_EUlSZ_E0_NS1_11comp_targetILNS1_3genE0ELNS1_11target_archE4294967295ELNS1_3gpuE0ELNS1_3repE0EEENS1_38merge_mergepath_config_static_selectorELNS0_4arch9wavefront6targetE1EEEvSL_.has_recursion, 0
	.set _ZN7rocprim17ROCPRIM_400000_NS6detail17trampoline_kernelINS0_14default_configENS1_38merge_sort_block_merge_config_selectorIfNS0_10empty_typeEEEZZNS1_27merge_sort_block_merge_implIS3_N6thrust23THRUST_200600_302600_NS6detail15normal_iteratorINS9_10device_ptrIfEEEEPS5_jNS1_19radix_merge_compareILb0ELb0EfNS0_19identity_decomposerEEEEE10hipError_tT0_T1_T2_jT3_P12ihipStream_tbPNSt15iterator_traitsISK_E10value_typeEPNSQ_ISL_E10value_typeEPSM_NS1_7vsmem_tEENKUlT_SK_SL_SM_E_clISE_PfSF_SF_EESJ_SZ_SK_SL_SM_EUlSZ_E0_NS1_11comp_targetILNS1_3genE0ELNS1_11target_archE4294967295ELNS1_3gpuE0ELNS1_3repE0EEENS1_38merge_mergepath_config_static_selectorELNS0_4arch9wavefront6targetE1EEEvSL_.has_indirect_call, 0
	.section	.AMDGPU.csdata,"",@progbits
; Kernel info:
; codeLenInByte = 3772
; TotalNumSgprs: 34
; NumVgprs: 26
; NumAgprs: 0
; TotalNumVgprs: 26
; ScratchSize: 0
; MemoryBound: 0
; FloatMode: 240
; IeeeMode: 1
; LDSByteSize: 4224 bytes/workgroup (compile time only)
; SGPRBlocks: 4
; VGPRBlocks: 3
; NumSGPRsForWavesPerEU: 34
; NumVGPRsForWavesPerEU: 26
; AccumOffset: 28
; Occupancy: 8
; WaveLimiterHint : 1
; COMPUTE_PGM_RSRC2:SCRATCH_EN: 0
; COMPUTE_PGM_RSRC2:USER_SGPR: 2
; COMPUTE_PGM_RSRC2:TRAP_HANDLER: 0
; COMPUTE_PGM_RSRC2:TGID_X_EN: 1
; COMPUTE_PGM_RSRC2:TGID_Y_EN: 1
; COMPUTE_PGM_RSRC2:TGID_Z_EN: 1
; COMPUTE_PGM_RSRC2:TIDIG_COMP_CNT: 0
; COMPUTE_PGM_RSRC3_GFX90A:ACCUM_OFFSET: 6
; COMPUTE_PGM_RSRC3_GFX90A:TG_SPLIT: 0
	.section	.text._ZN7rocprim17ROCPRIM_400000_NS6detail17trampoline_kernelINS0_14default_configENS1_38merge_sort_block_merge_config_selectorIfNS0_10empty_typeEEEZZNS1_27merge_sort_block_merge_implIS3_N6thrust23THRUST_200600_302600_NS6detail15normal_iteratorINS9_10device_ptrIfEEEEPS5_jNS1_19radix_merge_compareILb0ELb0EfNS0_19identity_decomposerEEEEE10hipError_tT0_T1_T2_jT3_P12ihipStream_tbPNSt15iterator_traitsISK_E10value_typeEPNSQ_ISL_E10value_typeEPSM_NS1_7vsmem_tEENKUlT_SK_SL_SM_E_clISE_PfSF_SF_EESJ_SZ_SK_SL_SM_EUlSZ_E0_NS1_11comp_targetILNS1_3genE10ELNS1_11target_archE1201ELNS1_3gpuE5ELNS1_3repE0EEENS1_38merge_mergepath_config_static_selectorELNS0_4arch9wavefront6targetE1EEEvSL_,"axG",@progbits,_ZN7rocprim17ROCPRIM_400000_NS6detail17trampoline_kernelINS0_14default_configENS1_38merge_sort_block_merge_config_selectorIfNS0_10empty_typeEEEZZNS1_27merge_sort_block_merge_implIS3_N6thrust23THRUST_200600_302600_NS6detail15normal_iteratorINS9_10device_ptrIfEEEEPS5_jNS1_19radix_merge_compareILb0ELb0EfNS0_19identity_decomposerEEEEE10hipError_tT0_T1_T2_jT3_P12ihipStream_tbPNSt15iterator_traitsISK_E10value_typeEPNSQ_ISL_E10value_typeEPSM_NS1_7vsmem_tEENKUlT_SK_SL_SM_E_clISE_PfSF_SF_EESJ_SZ_SK_SL_SM_EUlSZ_E0_NS1_11comp_targetILNS1_3genE10ELNS1_11target_archE1201ELNS1_3gpuE5ELNS1_3repE0EEENS1_38merge_mergepath_config_static_selectorELNS0_4arch9wavefront6targetE1EEEvSL_,comdat
	.protected	_ZN7rocprim17ROCPRIM_400000_NS6detail17trampoline_kernelINS0_14default_configENS1_38merge_sort_block_merge_config_selectorIfNS0_10empty_typeEEEZZNS1_27merge_sort_block_merge_implIS3_N6thrust23THRUST_200600_302600_NS6detail15normal_iteratorINS9_10device_ptrIfEEEEPS5_jNS1_19radix_merge_compareILb0ELb0EfNS0_19identity_decomposerEEEEE10hipError_tT0_T1_T2_jT3_P12ihipStream_tbPNSt15iterator_traitsISK_E10value_typeEPNSQ_ISL_E10value_typeEPSM_NS1_7vsmem_tEENKUlT_SK_SL_SM_E_clISE_PfSF_SF_EESJ_SZ_SK_SL_SM_EUlSZ_E0_NS1_11comp_targetILNS1_3genE10ELNS1_11target_archE1201ELNS1_3gpuE5ELNS1_3repE0EEENS1_38merge_mergepath_config_static_selectorELNS0_4arch9wavefront6targetE1EEEvSL_ ; -- Begin function _ZN7rocprim17ROCPRIM_400000_NS6detail17trampoline_kernelINS0_14default_configENS1_38merge_sort_block_merge_config_selectorIfNS0_10empty_typeEEEZZNS1_27merge_sort_block_merge_implIS3_N6thrust23THRUST_200600_302600_NS6detail15normal_iteratorINS9_10device_ptrIfEEEEPS5_jNS1_19radix_merge_compareILb0ELb0EfNS0_19identity_decomposerEEEEE10hipError_tT0_T1_T2_jT3_P12ihipStream_tbPNSt15iterator_traitsISK_E10value_typeEPNSQ_ISL_E10value_typeEPSM_NS1_7vsmem_tEENKUlT_SK_SL_SM_E_clISE_PfSF_SF_EESJ_SZ_SK_SL_SM_EUlSZ_E0_NS1_11comp_targetILNS1_3genE10ELNS1_11target_archE1201ELNS1_3gpuE5ELNS1_3repE0EEENS1_38merge_mergepath_config_static_selectorELNS0_4arch9wavefront6targetE1EEEvSL_
	.globl	_ZN7rocprim17ROCPRIM_400000_NS6detail17trampoline_kernelINS0_14default_configENS1_38merge_sort_block_merge_config_selectorIfNS0_10empty_typeEEEZZNS1_27merge_sort_block_merge_implIS3_N6thrust23THRUST_200600_302600_NS6detail15normal_iteratorINS9_10device_ptrIfEEEEPS5_jNS1_19radix_merge_compareILb0ELb0EfNS0_19identity_decomposerEEEEE10hipError_tT0_T1_T2_jT3_P12ihipStream_tbPNSt15iterator_traitsISK_E10value_typeEPNSQ_ISL_E10value_typeEPSM_NS1_7vsmem_tEENKUlT_SK_SL_SM_E_clISE_PfSF_SF_EESJ_SZ_SK_SL_SM_EUlSZ_E0_NS1_11comp_targetILNS1_3genE10ELNS1_11target_archE1201ELNS1_3gpuE5ELNS1_3repE0EEENS1_38merge_mergepath_config_static_selectorELNS0_4arch9wavefront6targetE1EEEvSL_
	.p2align	8
	.type	_ZN7rocprim17ROCPRIM_400000_NS6detail17trampoline_kernelINS0_14default_configENS1_38merge_sort_block_merge_config_selectorIfNS0_10empty_typeEEEZZNS1_27merge_sort_block_merge_implIS3_N6thrust23THRUST_200600_302600_NS6detail15normal_iteratorINS9_10device_ptrIfEEEEPS5_jNS1_19radix_merge_compareILb0ELb0EfNS0_19identity_decomposerEEEEE10hipError_tT0_T1_T2_jT3_P12ihipStream_tbPNSt15iterator_traitsISK_E10value_typeEPNSQ_ISL_E10value_typeEPSM_NS1_7vsmem_tEENKUlT_SK_SL_SM_E_clISE_PfSF_SF_EESJ_SZ_SK_SL_SM_EUlSZ_E0_NS1_11comp_targetILNS1_3genE10ELNS1_11target_archE1201ELNS1_3gpuE5ELNS1_3repE0EEENS1_38merge_mergepath_config_static_selectorELNS0_4arch9wavefront6targetE1EEEvSL_,@function
_ZN7rocprim17ROCPRIM_400000_NS6detail17trampoline_kernelINS0_14default_configENS1_38merge_sort_block_merge_config_selectorIfNS0_10empty_typeEEEZZNS1_27merge_sort_block_merge_implIS3_N6thrust23THRUST_200600_302600_NS6detail15normal_iteratorINS9_10device_ptrIfEEEEPS5_jNS1_19radix_merge_compareILb0ELb0EfNS0_19identity_decomposerEEEEE10hipError_tT0_T1_T2_jT3_P12ihipStream_tbPNSt15iterator_traitsISK_E10value_typeEPNSQ_ISL_E10value_typeEPSM_NS1_7vsmem_tEENKUlT_SK_SL_SM_E_clISE_PfSF_SF_EESJ_SZ_SK_SL_SM_EUlSZ_E0_NS1_11comp_targetILNS1_3genE10ELNS1_11target_archE1201ELNS1_3gpuE5ELNS1_3repE0EEENS1_38merge_mergepath_config_static_selectorELNS0_4arch9wavefront6targetE1EEEvSL_: ; @_ZN7rocprim17ROCPRIM_400000_NS6detail17trampoline_kernelINS0_14default_configENS1_38merge_sort_block_merge_config_selectorIfNS0_10empty_typeEEEZZNS1_27merge_sort_block_merge_implIS3_N6thrust23THRUST_200600_302600_NS6detail15normal_iteratorINS9_10device_ptrIfEEEEPS5_jNS1_19radix_merge_compareILb0ELb0EfNS0_19identity_decomposerEEEEE10hipError_tT0_T1_T2_jT3_P12ihipStream_tbPNSt15iterator_traitsISK_E10value_typeEPNSQ_ISL_E10value_typeEPSM_NS1_7vsmem_tEENKUlT_SK_SL_SM_E_clISE_PfSF_SF_EESJ_SZ_SK_SL_SM_EUlSZ_E0_NS1_11comp_targetILNS1_3genE10ELNS1_11target_archE1201ELNS1_3gpuE5ELNS1_3repE0EEENS1_38merge_mergepath_config_static_selectorELNS0_4arch9wavefront6targetE1EEEvSL_
; %bb.0:
	.section	.rodata,"a",@progbits
	.p2align	6, 0x0
	.amdhsa_kernel _ZN7rocprim17ROCPRIM_400000_NS6detail17trampoline_kernelINS0_14default_configENS1_38merge_sort_block_merge_config_selectorIfNS0_10empty_typeEEEZZNS1_27merge_sort_block_merge_implIS3_N6thrust23THRUST_200600_302600_NS6detail15normal_iteratorINS9_10device_ptrIfEEEEPS5_jNS1_19radix_merge_compareILb0ELb0EfNS0_19identity_decomposerEEEEE10hipError_tT0_T1_T2_jT3_P12ihipStream_tbPNSt15iterator_traitsISK_E10value_typeEPNSQ_ISL_E10value_typeEPSM_NS1_7vsmem_tEENKUlT_SK_SL_SM_E_clISE_PfSF_SF_EESJ_SZ_SK_SL_SM_EUlSZ_E0_NS1_11comp_targetILNS1_3genE10ELNS1_11target_archE1201ELNS1_3gpuE5ELNS1_3repE0EEENS1_38merge_mergepath_config_static_selectorELNS0_4arch9wavefront6targetE1EEEvSL_
		.amdhsa_group_segment_fixed_size 0
		.amdhsa_private_segment_fixed_size 0
		.amdhsa_kernarg_size 64
		.amdhsa_user_sgpr_count 2
		.amdhsa_user_sgpr_dispatch_ptr 0
		.amdhsa_user_sgpr_queue_ptr 0
		.amdhsa_user_sgpr_kernarg_segment_ptr 1
		.amdhsa_user_sgpr_dispatch_id 0
		.amdhsa_user_sgpr_kernarg_preload_length 0
		.amdhsa_user_sgpr_kernarg_preload_offset 0
		.amdhsa_user_sgpr_private_segment_size 0
		.amdhsa_uses_dynamic_stack 0
		.amdhsa_enable_private_segment 0
		.amdhsa_system_sgpr_workgroup_id_x 1
		.amdhsa_system_sgpr_workgroup_id_y 0
		.amdhsa_system_sgpr_workgroup_id_z 0
		.amdhsa_system_sgpr_workgroup_info 0
		.amdhsa_system_vgpr_workitem_id 0
		.amdhsa_next_free_vgpr 1
		.amdhsa_next_free_sgpr 0
		.amdhsa_accum_offset 4
		.amdhsa_reserve_vcc 0
		.amdhsa_float_round_mode_32 0
		.amdhsa_float_round_mode_16_64 0
		.amdhsa_float_denorm_mode_32 3
		.amdhsa_float_denorm_mode_16_64 3
		.amdhsa_dx10_clamp 1
		.amdhsa_ieee_mode 1
		.amdhsa_fp16_overflow 0
		.amdhsa_tg_split 0
		.amdhsa_exception_fp_ieee_invalid_op 0
		.amdhsa_exception_fp_denorm_src 0
		.amdhsa_exception_fp_ieee_div_zero 0
		.amdhsa_exception_fp_ieee_overflow 0
		.amdhsa_exception_fp_ieee_underflow 0
		.amdhsa_exception_fp_ieee_inexact 0
		.amdhsa_exception_int_div_zero 0
	.end_amdhsa_kernel
	.section	.text._ZN7rocprim17ROCPRIM_400000_NS6detail17trampoline_kernelINS0_14default_configENS1_38merge_sort_block_merge_config_selectorIfNS0_10empty_typeEEEZZNS1_27merge_sort_block_merge_implIS3_N6thrust23THRUST_200600_302600_NS6detail15normal_iteratorINS9_10device_ptrIfEEEEPS5_jNS1_19radix_merge_compareILb0ELb0EfNS0_19identity_decomposerEEEEE10hipError_tT0_T1_T2_jT3_P12ihipStream_tbPNSt15iterator_traitsISK_E10value_typeEPNSQ_ISL_E10value_typeEPSM_NS1_7vsmem_tEENKUlT_SK_SL_SM_E_clISE_PfSF_SF_EESJ_SZ_SK_SL_SM_EUlSZ_E0_NS1_11comp_targetILNS1_3genE10ELNS1_11target_archE1201ELNS1_3gpuE5ELNS1_3repE0EEENS1_38merge_mergepath_config_static_selectorELNS0_4arch9wavefront6targetE1EEEvSL_,"axG",@progbits,_ZN7rocprim17ROCPRIM_400000_NS6detail17trampoline_kernelINS0_14default_configENS1_38merge_sort_block_merge_config_selectorIfNS0_10empty_typeEEEZZNS1_27merge_sort_block_merge_implIS3_N6thrust23THRUST_200600_302600_NS6detail15normal_iteratorINS9_10device_ptrIfEEEEPS5_jNS1_19radix_merge_compareILb0ELb0EfNS0_19identity_decomposerEEEEE10hipError_tT0_T1_T2_jT3_P12ihipStream_tbPNSt15iterator_traitsISK_E10value_typeEPNSQ_ISL_E10value_typeEPSM_NS1_7vsmem_tEENKUlT_SK_SL_SM_E_clISE_PfSF_SF_EESJ_SZ_SK_SL_SM_EUlSZ_E0_NS1_11comp_targetILNS1_3genE10ELNS1_11target_archE1201ELNS1_3gpuE5ELNS1_3repE0EEENS1_38merge_mergepath_config_static_selectorELNS0_4arch9wavefront6targetE1EEEvSL_,comdat
.Lfunc_end508:
	.size	_ZN7rocprim17ROCPRIM_400000_NS6detail17trampoline_kernelINS0_14default_configENS1_38merge_sort_block_merge_config_selectorIfNS0_10empty_typeEEEZZNS1_27merge_sort_block_merge_implIS3_N6thrust23THRUST_200600_302600_NS6detail15normal_iteratorINS9_10device_ptrIfEEEEPS5_jNS1_19radix_merge_compareILb0ELb0EfNS0_19identity_decomposerEEEEE10hipError_tT0_T1_T2_jT3_P12ihipStream_tbPNSt15iterator_traitsISK_E10value_typeEPNSQ_ISL_E10value_typeEPSM_NS1_7vsmem_tEENKUlT_SK_SL_SM_E_clISE_PfSF_SF_EESJ_SZ_SK_SL_SM_EUlSZ_E0_NS1_11comp_targetILNS1_3genE10ELNS1_11target_archE1201ELNS1_3gpuE5ELNS1_3repE0EEENS1_38merge_mergepath_config_static_selectorELNS0_4arch9wavefront6targetE1EEEvSL_, .Lfunc_end508-_ZN7rocprim17ROCPRIM_400000_NS6detail17trampoline_kernelINS0_14default_configENS1_38merge_sort_block_merge_config_selectorIfNS0_10empty_typeEEEZZNS1_27merge_sort_block_merge_implIS3_N6thrust23THRUST_200600_302600_NS6detail15normal_iteratorINS9_10device_ptrIfEEEEPS5_jNS1_19radix_merge_compareILb0ELb0EfNS0_19identity_decomposerEEEEE10hipError_tT0_T1_T2_jT3_P12ihipStream_tbPNSt15iterator_traitsISK_E10value_typeEPNSQ_ISL_E10value_typeEPSM_NS1_7vsmem_tEENKUlT_SK_SL_SM_E_clISE_PfSF_SF_EESJ_SZ_SK_SL_SM_EUlSZ_E0_NS1_11comp_targetILNS1_3genE10ELNS1_11target_archE1201ELNS1_3gpuE5ELNS1_3repE0EEENS1_38merge_mergepath_config_static_selectorELNS0_4arch9wavefront6targetE1EEEvSL_
                                        ; -- End function
	.set _ZN7rocprim17ROCPRIM_400000_NS6detail17trampoline_kernelINS0_14default_configENS1_38merge_sort_block_merge_config_selectorIfNS0_10empty_typeEEEZZNS1_27merge_sort_block_merge_implIS3_N6thrust23THRUST_200600_302600_NS6detail15normal_iteratorINS9_10device_ptrIfEEEEPS5_jNS1_19radix_merge_compareILb0ELb0EfNS0_19identity_decomposerEEEEE10hipError_tT0_T1_T2_jT3_P12ihipStream_tbPNSt15iterator_traitsISK_E10value_typeEPNSQ_ISL_E10value_typeEPSM_NS1_7vsmem_tEENKUlT_SK_SL_SM_E_clISE_PfSF_SF_EESJ_SZ_SK_SL_SM_EUlSZ_E0_NS1_11comp_targetILNS1_3genE10ELNS1_11target_archE1201ELNS1_3gpuE5ELNS1_3repE0EEENS1_38merge_mergepath_config_static_selectorELNS0_4arch9wavefront6targetE1EEEvSL_.num_vgpr, 0
	.set _ZN7rocprim17ROCPRIM_400000_NS6detail17trampoline_kernelINS0_14default_configENS1_38merge_sort_block_merge_config_selectorIfNS0_10empty_typeEEEZZNS1_27merge_sort_block_merge_implIS3_N6thrust23THRUST_200600_302600_NS6detail15normal_iteratorINS9_10device_ptrIfEEEEPS5_jNS1_19radix_merge_compareILb0ELb0EfNS0_19identity_decomposerEEEEE10hipError_tT0_T1_T2_jT3_P12ihipStream_tbPNSt15iterator_traitsISK_E10value_typeEPNSQ_ISL_E10value_typeEPSM_NS1_7vsmem_tEENKUlT_SK_SL_SM_E_clISE_PfSF_SF_EESJ_SZ_SK_SL_SM_EUlSZ_E0_NS1_11comp_targetILNS1_3genE10ELNS1_11target_archE1201ELNS1_3gpuE5ELNS1_3repE0EEENS1_38merge_mergepath_config_static_selectorELNS0_4arch9wavefront6targetE1EEEvSL_.num_agpr, 0
	.set _ZN7rocprim17ROCPRIM_400000_NS6detail17trampoline_kernelINS0_14default_configENS1_38merge_sort_block_merge_config_selectorIfNS0_10empty_typeEEEZZNS1_27merge_sort_block_merge_implIS3_N6thrust23THRUST_200600_302600_NS6detail15normal_iteratorINS9_10device_ptrIfEEEEPS5_jNS1_19radix_merge_compareILb0ELb0EfNS0_19identity_decomposerEEEEE10hipError_tT0_T1_T2_jT3_P12ihipStream_tbPNSt15iterator_traitsISK_E10value_typeEPNSQ_ISL_E10value_typeEPSM_NS1_7vsmem_tEENKUlT_SK_SL_SM_E_clISE_PfSF_SF_EESJ_SZ_SK_SL_SM_EUlSZ_E0_NS1_11comp_targetILNS1_3genE10ELNS1_11target_archE1201ELNS1_3gpuE5ELNS1_3repE0EEENS1_38merge_mergepath_config_static_selectorELNS0_4arch9wavefront6targetE1EEEvSL_.numbered_sgpr, 0
	.set _ZN7rocprim17ROCPRIM_400000_NS6detail17trampoline_kernelINS0_14default_configENS1_38merge_sort_block_merge_config_selectorIfNS0_10empty_typeEEEZZNS1_27merge_sort_block_merge_implIS3_N6thrust23THRUST_200600_302600_NS6detail15normal_iteratorINS9_10device_ptrIfEEEEPS5_jNS1_19radix_merge_compareILb0ELb0EfNS0_19identity_decomposerEEEEE10hipError_tT0_T1_T2_jT3_P12ihipStream_tbPNSt15iterator_traitsISK_E10value_typeEPNSQ_ISL_E10value_typeEPSM_NS1_7vsmem_tEENKUlT_SK_SL_SM_E_clISE_PfSF_SF_EESJ_SZ_SK_SL_SM_EUlSZ_E0_NS1_11comp_targetILNS1_3genE10ELNS1_11target_archE1201ELNS1_3gpuE5ELNS1_3repE0EEENS1_38merge_mergepath_config_static_selectorELNS0_4arch9wavefront6targetE1EEEvSL_.num_named_barrier, 0
	.set _ZN7rocprim17ROCPRIM_400000_NS6detail17trampoline_kernelINS0_14default_configENS1_38merge_sort_block_merge_config_selectorIfNS0_10empty_typeEEEZZNS1_27merge_sort_block_merge_implIS3_N6thrust23THRUST_200600_302600_NS6detail15normal_iteratorINS9_10device_ptrIfEEEEPS5_jNS1_19radix_merge_compareILb0ELb0EfNS0_19identity_decomposerEEEEE10hipError_tT0_T1_T2_jT3_P12ihipStream_tbPNSt15iterator_traitsISK_E10value_typeEPNSQ_ISL_E10value_typeEPSM_NS1_7vsmem_tEENKUlT_SK_SL_SM_E_clISE_PfSF_SF_EESJ_SZ_SK_SL_SM_EUlSZ_E0_NS1_11comp_targetILNS1_3genE10ELNS1_11target_archE1201ELNS1_3gpuE5ELNS1_3repE0EEENS1_38merge_mergepath_config_static_selectorELNS0_4arch9wavefront6targetE1EEEvSL_.private_seg_size, 0
	.set _ZN7rocprim17ROCPRIM_400000_NS6detail17trampoline_kernelINS0_14default_configENS1_38merge_sort_block_merge_config_selectorIfNS0_10empty_typeEEEZZNS1_27merge_sort_block_merge_implIS3_N6thrust23THRUST_200600_302600_NS6detail15normal_iteratorINS9_10device_ptrIfEEEEPS5_jNS1_19radix_merge_compareILb0ELb0EfNS0_19identity_decomposerEEEEE10hipError_tT0_T1_T2_jT3_P12ihipStream_tbPNSt15iterator_traitsISK_E10value_typeEPNSQ_ISL_E10value_typeEPSM_NS1_7vsmem_tEENKUlT_SK_SL_SM_E_clISE_PfSF_SF_EESJ_SZ_SK_SL_SM_EUlSZ_E0_NS1_11comp_targetILNS1_3genE10ELNS1_11target_archE1201ELNS1_3gpuE5ELNS1_3repE0EEENS1_38merge_mergepath_config_static_selectorELNS0_4arch9wavefront6targetE1EEEvSL_.uses_vcc, 0
	.set _ZN7rocprim17ROCPRIM_400000_NS6detail17trampoline_kernelINS0_14default_configENS1_38merge_sort_block_merge_config_selectorIfNS0_10empty_typeEEEZZNS1_27merge_sort_block_merge_implIS3_N6thrust23THRUST_200600_302600_NS6detail15normal_iteratorINS9_10device_ptrIfEEEEPS5_jNS1_19radix_merge_compareILb0ELb0EfNS0_19identity_decomposerEEEEE10hipError_tT0_T1_T2_jT3_P12ihipStream_tbPNSt15iterator_traitsISK_E10value_typeEPNSQ_ISL_E10value_typeEPSM_NS1_7vsmem_tEENKUlT_SK_SL_SM_E_clISE_PfSF_SF_EESJ_SZ_SK_SL_SM_EUlSZ_E0_NS1_11comp_targetILNS1_3genE10ELNS1_11target_archE1201ELNS1_3gpuE5ELNS1_3repE0EEENS1_38merge_mergepath_config_static_selectorELNS0_4arch9wavefront6targetE1EEEvSL_.uses_flat_scratch, 0
	.set _ZN7rocprim17ROCPRIM_400000_NS6detail17trampoline_kernelINS0_14default_configENS1_38merge_sort_block_merge_config_selectorIfNS0_10empty_typeEEEZZNS1_27merge_sort_block_merge_implIS3_N6thrust23THRUST_200600_302600_NS6detail15normal_iteratorINS9_10device_ptrIfEEEEPS5_jNS1_19radix_merge_compareILb0ELb0EfNS0_19identity_decomposerEEEEE10hipError_tT0_T1_T2_jT3_P12ihipStream_tbPNSt15iterator_traitsISK_E10value_typeEPNSQ_ISL_E10value_typeEPSM_NS1_7vsmem_tEENKUlT_SK_SL_SM_E_clISE_PfSF_SF_EESJ_SZ_SK_SL_SM_EUlSZ_E0_NS1_11comp_targetILNS1_3genE10ELNS1_11target_archE1201ELNS1_3gpuE5ELNS1_3repE0EEENS1_38merge_mergepath_config_static_selectorELNS0_4arch9wavefront6targetE1EEEvSL_.has_dyn_sized_stack, 0
	.set _ZN7rocprim17ROCPRIM_400000_NS6detail17trampoline_kernelINS0_14default_configENS1_38merge_sort_block_merge_config_selectorIfNS0_10empty_typeEEEZZNS1_27merge_sort_block_merge_implIS3_N6thrust23THRUST_200600_302600_NS6detail15normal_iteratorINS9_10device_ptrIfEEEEPS5_jNS1_19radix_merge_compareILb0ELb0EfNS0_19identity_decomposerEEEEE10hipError_tT0_T1_T2_jT3_P12ihipStream_tbPNSt15iterator_traitsISK_E10value_typeEPNSQ_ISL_E10value_typeEPSM_NS1_7vsmem_tEENKUlT_SK_SL_SM_E_clISE_PfSF_SF_EESJ_SZ_SK_SL_SM_EUlSZ_E0_NS1_11comp_targetILNS1_3genE10ELNS1_11target_archE1201ELNS1_3gpuE5ELNS1_3repE0EEENS1_38merge_mergepath_config_static_selectorELNS0_4arch9wavefront6targetE1EEEvSL_.has_recursion, 0
	.set _ZN7rocprim17ROCPRIM_400000_NS6detail17trampoline_kernelINS0_14default_configENS1_38merge_sort_block_merge_config_selectorIfNS0_10empty_typeEEEZZNS1_27merge_sort_block_merge_implIS3_N6thrust23THRUST_200600_302600_NS6detail15normal_iteratorINS9_10device_ptrIfEEEEPS5_jNS1_19radix_merge_compareILb0ELb0EfNS0_19identity_decomposerEEEEE10hipError_tT0_T1_T2_jT3_P12ihipStream_tbPNSt15iterator_traitsISK_E10value_typeEPNSQ_ISL_E10value_typeEPSM_NS1_7vsmem_tEENKUlT_SK_SL_SM_E_clISE_PfSF_SF_EESJ_SZ_SK_SL_SM_EUlSZ_E0_NS1_11comp_targetILNS1_3genE10ELNS1_11target_archE1201ELNS1_3gpuE5ELNS1_3repE0EEENS1_38merge_mergepath_config_static_selectorELNS0_4arch9wavefront6targetE1EEEvSL_.has_indirect_call, 0
	.section	.AMDGPU.csdata,"",@progbits
; Kernel info:
; codeLenInByte = 0
; TotalNumSgprs: 6
; NumVgprs: 0
; NumAgprs: 0
; TotalNumVgprs: 0
; ScratchSize: 0
; MemoryBound: 0
; FloatMode: 240
; IeeeMode: 1
; LDSByteSize: 0 bytes/workgroup (compile time only)
; SGPRBlocks: 0
; VGPRBlocks: 0
; NumSGPRsForWavesPerEU: 6
; NumVGPRsForWavesPerEU: 1
; AccumOffset: 4
; Occupancy: 8
; WaveLimiterHint : 0
; COMPUTE_PGM_RSRC2:SCRATCH_EN: 0
; COMPUTE_PGM_RSRC2:USER_SGPR: 2
; COMPUTE_PGM_RSRC2:TRAP_HANDLER: 0
; COMPUTE_PGM_RSRC2:TGID_X_EN: 1
; COMPUTE_PGM_RSRC2:TGID_Y_EN: 0
; COMPUTE_PGM_RSRC2:TGID_Z_EN: 0
; COMPUTE_PGM_RSRC2:TIDIG_COMP_CNT: 0
; COMPUTE_PGM_RSRC3_GFX90A:ACCUM_OFFSET: 0
; COMPUTE_PGM_RSRC3_GFX90A:TG_SPLIT: 0
	.section	.text._ZN7rocprim17ROCPRIM_400000_NS6detail17trampoline_kernelINS0_14default_configENS1_38merge_sort_block_merge_config_selectorIfNS0_10empty_typeEEEZZNS1_27merge_sort_block_merge_implIS3_N6thrust23THRUST_200600_302600_NS6detail15normal_iteratorINS9_10device_ptrIfEEEEPS5_jNS1_19radix_merge_compareILb0ELb0EfNS0_19identity_decomposerEEEEE10hipError_tT0_T1_T2_jT3_P12ihipStream_tbPNSt15iterator_traitsISK_E10value_typeEPNSQ_ISL_E10value_typeEPSM_NS1_7vsmem_tEENKUlT_SK_SL_SM_E_clISE_PfSF_SF_EESJ_SZ_SK_SL_SM_EUlSZ_E0_NS1_11comp_targetILNS1_3genE5ELNS1_11target_archE942ELNS1_3gpuE9ELNS1_3repE0EEENS1_38merge_mergepath_config_static_selectorELNS0_4arch9wavefront6targetE1EEEvSL_,"axG",@progbits,_ZN7rocprim17ROCPRIM_400000_NS6detail17trampoline_kernelINS0_14default_configENS1_38merge_sort_block_merge_config_selectorIfNS0_10empty_typeEEEZZNS1_27merge_sort_block_merge_implIS3_N6thrust23THRUST_200600_302600_NS6detail15normal_iteratorINS9_10device_ptrIfEEEEPS5_jNS1_19radix_merge_compareILb0ELb0EfNS0_19identity_decomposerEEEEE10hipError_tT0_T1_T2_jT3_P12ihipStream_tbPNSt15iterator_traitsISK_E10value_typeEPNSQ_ISL_E10value_typeEPSM_NS1_7vsmem_tEENKUlT_SK_SL_SM_E_clISE_PfSF_SF_EESJ_SZ_SK_SL_SM_EUlSZ_E0_NS1_11comp_targetILNS1_3genE5ELNS1_11target_archE942ELNS1_3gpuE9ELNS1_3repE0EEENS1_38merge_mergepath_config_static_selectorELNS0_4arch9wavefront6targetE1EEEvSL_,comdat
	.protected	_ZN7rocprim17ROCPRIM_400000_NS6detail17trampoline_kernelINS0_14default_configENS1_38merge_sort_block_merge_config_selectorIfNS0_10empty_typeEEEZZNS1_27merge_sort_block_merge_implIS3_N6thrust23THRUST_200600_302600_NS6detail15normal_iteratorINS9_10device_ptrIfEEEEPS5_jNS1_19radix_merge_compareILb0ELb0EfNS0_19identity_decomposerEEEEE10hipError_tT0_T1_T2_jT3_P12ihipStream_tbPNSt15iterator_traitsISK_E10value_typeEPNSQ_ISL_E10value_typeEPSM_NS1_7vsmem_tEENKUlT_SK_SL_SM_E_clISE_PfSF_SF_EESJ_SZ_SK_SL_SM_EUlSZ_E0_NS1_11comp_targetILNS1_3genE5ELNS1_11target_archE942ELNS1_3gpuE9ELNS1_3repE0EEENS1_38merge_mergepath_config_static_selectorELNS0_4arch9wavefront6targetE1EEEvSL_ ; -- Begin function _ZN7rocprim17ROCPRIM_400000_NS6detail17trampoline_kernelINS0_14default_configENS1_38merge_sort_block_merge_config_selectorIfNS0_10empty_typeEEEZZNS1_27merge_sort_block_merge_implIS3_N6thrust23THRUST_200600_302600_NS6detail15normal_iteratorINS9_10device_ptrIfEEEEPS5_jNS1_19radix_merge_compareILb0ELb0EfNS0_19identity_decomposerEEEEE10hipError_tT0_T1_T2_jT3_P12ihipStream_tbPNSt15iterator_traitsISK_E10value_typeEPNSQ_ISL_E10value_typeEPSM_NS1_7vsmem_tEENKUlT_SK_SL_SM_E_clISE_PfSF_SF_EESJ_SZ_SK_SL_SM_EUlSZ_E0_NS1_11comp_targetILNS1_3genE5ELNS1_11target_archE942ELNS1_3gpuE9ELNS1_3repE0EEENS1_38merge_mergepath_config_static_selectorELNS0_4arch9wavefront6targetE1EEEvSL_
	.globl	_ZN7rocprim17ROCPRIM_400000_NS6detail17trampoline_kernelINS0_14default_configENS1_38merge_sort_block_merge_config_selectorIfNS0_10empty_typeEEEZZNS1_27merge_sort_block_merge_implIS3_N6thrust23THRUST_200600_302600_NS6detail15normal_iteratorINS9_10device_ptrIfEEEEPS5_jNS1_19radix_merge_compareILb0ELb0EfNS0_19identity_decomposerEEEEE10hipError_tT0_T1_T2_jT3_P12ihipStream_tbPNSt15iterator_traitsISK_E10value_typeEPNSQ_ISL_E10value_typeEPSM_NS1_7vsmem_tEENKUlT_SK_SL_SM_E_clISE_PfSF_SF_EESJ_SZ_SK_SL_SM_EUlSZ_E0_NS1_11comp_targetILNS1_3genE5ELNS1_11target_archE942ELNS1_3gpuE9ELNS1_3repE0EEENS1_38merge_mergepath_config_static_selectorELNS0_4arch9wavefront6targetE1EEEvSL_
	.p2align	8
	.type	_ZN7rocprim17ROCPRIM_400000_NS6detail17trampoline_kernelINS0_14default_configENS1_38merge_sort_block_merge_config_selectorIfNS0_10empty_typeEEEZZNS1_27merge_sort_block_merge_implIS3_N6thrust23THRUST_200600_302600_NS6detail15normal_iteratorINS9_10device_ptrIfEEEEPS5_jNS1_19radix_merge_compareILb0ELb0EfNS0_19identity_decomposerEEEEE10hipError_tT0_T1_T2_jT3_P12ihipStream_tbPNSt15iterator_traitsISK_E10value_typeEPNSQ_ISL_E10value_typeEPSM_NS1_7vsmem_tEENKUlT_SK_SL_SM_E_clISE_PfSF_SF_EESJ_SZ_SK_SL_SM_EUlSZ_E0_NS1_11comp_targetILNS1_3genE5ELNS1_11target_archE942ELNS1_3gpuE9ELNS1_3repE0EEENS1_38merge_mergepath_config_static_selectorELNS0_4arch9wavefront6targetE1EEEvSL_,@function
_ZN7rocprim17ROCPRIM_400000_NS6detail17trampoline_kernelINS0_14default_configENS1_38merge_sort_block_merge_config_selectorIfNS0_10empty_typeEEEZZNS1_27merge_sort_block_merge_implIS3_N6thrust23THRUST_200600_302600_NS6detail15normal_iteratorINS9_10device_ptrIfEEEEPS5_jNS1_19radix_merge_compareILb0ELb0EfNS0_19identity_decomposerEEEEE10hipError_tT0_T1_T2_jT3_P12ihipStream_tbPNSt15iterator_traitsISK_E10value_typeEPNSQ_ISL_E10value_typeEPSM_NS1_7vsmem_tEENKUlT_SK_SL_SM_E_clISE_PfSF_SF_EESJ_SZ_SK_SL_SM_EUlSZ_E0_NS1_11comp_targetILNS1_3genE5ELNS1_11target_archE942ELNS1_3gpuE9ELNS1_3repE0EEENS1_38merge_mergepath_config_static_selectorELNS0_4arch9wavefront6targetE1EEEvSL_: ; @_ZN7rocprim17ROCPRIM_400000_NS6detail17trampoline_kernelINS0_14default_configENS1_38merge_sort_block_merge_config_selectorIfNS0_10empty_typeEEEZZNS1_27merge_sort_block_merge_implIS3_N6thrust23THRUST_200600_302600_NS6detail15normal_iteratorINS9_10device_ptrIfEEEEPS5_jNS1_19radix_merge_compareILb0ELb0EfNS0_19identity_decomposerEEEEE10hipError_tT0_T1_T2_jT3_P12ihipStream_tbPNSt15iterator_traitsISK_E10value_typeEPNSQ_ISL_E10value_typeEPSM_NS1_7vsmem_tEENKUlT_SK_SL_SM_E_clISE_PfSF_SF_EESJ_SZ_SK_SL_SM_EUlSZ_E0_NS1_11comp_targetILNS1_3genE5ELNS1_11target_archE942ELNS1_3gpuE9ELNS1_3repE0EEENS1_38merge_mergepath_config_static_selectorELNS0_4arch9wavefront6targetE1EEEvSL_
; %bb.0:
	.section	.rodata,"a",@progbits
	.p2align	6, 0x0
	.amdhsa_kernel _ZN7rocprim17ROCPRIM_400000_NS6detail17trampoline_kernelINS0_14default_configENS1_38merge_sort_block_merge_config_selectorIfNS0_10empty_typeEEEZZNS1_27merge_sort_block_merge_implIS3_N6thrust23THRUST_200600_302600_NS6detail15normal_iteratorINS9_10device_ptrIfEEEEPS5_jNS1_19radix_merge_compareILb0ELb0EfNS0_19identity_decomposerEEEEE10hipError_tT0_T1_T2_jT3_P12ihipStream_tbPNSt15iterator_traitsISK_E10value_typeEPNSQ_ISL_E10value_typeEPSM_NS1_7vsmem_tEENKUlT_SK_SL_SM_E_clISE_PfSF_SF_EESJ_SZ_SK_SL_SM_EUlSZ_E0_NS1_11comp_targetILNS1_3genE5ELNS1_11target_archE942ELNS1_3gpuE9ELNS1_3repE0EEENS1_38merge_mergepath_config_static_selectorELNS0_4arch9wavefront6targetE1EEEvSL_
		.amdhsa_group_segment_fixed_size 0
		.amdhsa_private_segment_fixed_size 0
		.amdhsa_kernarg_size 64
		.amdhsa_user_sgpr_count 2
		.amdhsa_user_sgpr_dispatch_ptr 0
		.amdhsa_user_sgpr_queue_ptr 0
		.amdhsa_user_sgpr_kernarg_segment_ptr 1
		.amdhsa_user_sgpr_dispatch_id 0
		.amdhsa_user_sgpr_kernarg_preload_length 0
		.amdhsa_user_sgpr_kernarg_preload_offset 0
		.amdhsa_user_sgpr_private_segment_size 0
		.amdhsa_uses_dynamic_stack 0
		.amdhsa_enable_private_segment 0
		.amdhsa_system_sgpr_workgroup_id_x 1
		.amdhsa_system_sgpr_workgroup_id_y 0
		.amdhsa_system_sgpr_workgroup_id_z 0
		.amdhsa_system_sgpr_workgroup_info 0
		.amdhsa_system_vgpr_workitem_id 0
		.amdhsa_next_free_vgpr 1
		.amdhsa_next_free_sgpr 0
		.amdhsa_accum_offset 4
		.amdhsa_reserve_vcc 0
		.amdhsa_float_round_mode_32 0
		.amdhsa_float_round_mode_16_64 0
		.amdhsa_float_denorm_mode_32 3
		.amdhsa_float_denorm_mode_16_64 3
		.amdhsa_dx10_clamp 1
		.amdhsa_ieee_mode 1
		.amdhsa_fp16_overflow 0
		.amdhsa_tg_split 0
		.amdhsa_exception_fp_ieee_invalid_op 0
		.amdhsa_exception_fp_denorm_src 0
		.amdhsa_exception_fp_ieee_div_zero 0
		.amdhsa_exception_fp_ieee_overflow 0
		.amdhsa_exception_fp_ieee_underflow 0
		.amdhsa_exception_fp_ieee_inexact 0
		.amdhsa_exception_int_div_zero 0
	.end_amdhsa_kernel
	.section	.text._ZN7rocprim17ROCPRIM_400000_NS6detail17trampoline_kernelINS0_14default_configENS1_38merge_sort_block_merge_config_selectorIfNS0_10empty_typeEEEZZNS1_27merge_sort_block_merge_implIS3_N6thrust23THRUST_200600_302600_NS6detail15normal_iteratorINS9_10device_ptrIfEEEEPS5_jNS1_19radix_merge_compareILb0ELb0EfNS0_19identity_decomposerEEEEE10hipError_tT0_T1_T2_jT3_P12ihipStream_tbPNSt15iterator_traitsISK_E10value_typeEPNSQ_ISL_E10value_typeEPSM_NS1_7vsmem_tEENKUlT_SK_SL_SM_E_clISE_PfSF_SF_EESJ_SZ_SK_SL_SM_EUlSZ_E0_NS1_11comp_targetILNS1_3genE5ELNS1_11target_archE942ELNS1_3gpuE9ELNS1_3repE0EEENS1_38merge_mergepath_config_static_selectorELNS0_4arch9wavefront6targetE1EEEvSL_,"axG",@progbits,_ZN7rocprim17ROCPRIM_400000_NS6detail17trampoline_kernelINS0_14default_configENS1_38merge_sort_block_merge_config_selectorIfNS0_10empty_typeEEEZZNS1_27merge_sort_block_merge_implIS3_N6thrust23THRUST_200600_302600_NS6detail15normal_iteratorINS9_10device_ptrIfEEEEPS5_jNS1_19radix_merge_compareILb0ELb0EfNS0_19identity_decomposerEEEEE10hipError_tT0_T1_T2_jT3_P12ihipStream_tbPNSt15iterator_traitsISK_E10value_typeEPNSQ_ISL_E10value_typeEPSM_NS1_7vsmem_tEENKUlT_SK_SL_SM_E_clISE_PfSF_SF_EESJ_SZ_SK_SL_SM_EUlSZ_E0_NS1_11comp_targetILNS1_3genE5ELNS1_11target_archE942ELNS1_3gpuE9ELNS1_3repE0EEENS1_38merge_mergepath_config_static_selectorELNS0_4arch9wavefront6targetE1EEEvSL_,comdat
.Lfunc_end509:
	.size	_ZN7rocprim17ROCPRIM_400000_NS6detail17trampoline_kernelINS0_14default_configENS1_38merge_sort_block_merge_config_selectorIfNS0_10empty_typeEEEZZNS1_27merge_sort_block_merge_implIS3_N6thrust23THRUST_200600_302600_NS6detail15normal_iteratorINS9_10device_ptrIfEEEEPS5_jNS1_19radix_merge_compareILb0ELb0EfNS0_19identity_decomposerEEEEE10hipError_tT0_T1_T2_jT3_P12ihipStream_tbPNSt15iterator_traitsISK_E10value_typeEPNSQ_ISL_E10value_typeEPSM_NS1_7vsmem_tEENKUlT_SK_SL_SM_E_clISE_PfSF_SF_EESJ_SZ_SK_SL_SM_EUlSZ_E0_NS1_11comp_targetILNS1_3genE5ELNS1_11target_archE942ELNS1_3gpuE9ELNS1_3repE0EEENS1_38merge_mergepath_config_static_selectorELNS0_4arch9wavefront6targetE1EEEvSL_, .Lfunc_end509-_ZN7rocprim17ROCPRIM_400000_NS6detail17trampoline_kernelINS0_14default_configENS1_38merge_sort_block_merge_config_selectorIfNS0_10empty_typeEEEZZNS1_27merge_sort_block_merge_implIS3_N6thrust23THRUST_200600_302600_NS6detail15normal_iteratorINS9_10device_ptrIfEEEEPS5_jNS1_19radix_merge_compareILb0ELb0EfNS0_19identity_decomposerEEEEE10hipError_tT0_T1_T2_jT3_P12ihipStream_tbPNSt15iterator_traitsISK_E10value_typeEPNSQ_ISL_E10value_typeEPSM_NS1_7vsmem_tEENKUlT_SK_SL_SM_E_clISE_PfSF_SF_EESJ_SZ_SK_SL_SM_EUlSZ_E0_NS1_11comp_targetILNS1_3genE5ELNS1_11target_archE942ELNS1_3gpuE9ELNS1_3repE0EEENS1_38merge_mergepath_config_static_selectorELNS0_4arch9wavefront6targetE1EEEvSL_
                                        ; -- End function
	.set _ZN7rocprim17ROCPRIM_400000_NS6detail17trampoline_kernelINS0_14default_configENS1_38merge_sort_block_merge_config_selectorIfNS0_10empty_typeEEEZZNS1_27merge_sort_block_merge_implIS3_N6thrust23THRUST_200600_302600_NS6detail15normal_iteratorINS9_10device_ptrIfEEEEPS5_jNS1_19radix_merge_compareILb0ELb0EfNS0_19identity_decomposerEEEEE10hipError_tT0_T1_T2_jT3_P12ihipStream_tbPNSt15iterator_traitsISK_E10value_typeEPNSQ_ISL_E10value_typeEPSM_NS1_7vsmem_tEENKUlT_SK_SL_SM_E_clISE_PfSF_SF_EESJ_SZ_SK_SL_SM_EUlSZ_E0_NS1_11comp_targetILNS1_3genE5ELNS1_11target_archE942ELNS1_3gpuE9ELNS1_3repE0EEENS1_38merge_mergepath_config_static_selectorELNS0_4arch9wavefront6targetE1EEEvSL_.num_vgpr, 0
	.set _ZN7rocprim17ROCPRIM_400000_NS6detail17trampoline_kernelINS0_14default_configENS1_38merge_sort_block_merge_config_selectorIfNS0_10empty_typeEEEZZNS1_27merge_sort_block_merge_implIS3_N6thrust23THRUST_200600_302600_NS6detail15normal_iteratorINS9_10device_ptrIfEEEEPS5_jNS1_19radix_merge_compareILb0ELb0EfNS0_19identity_decomposerEEEEE10hipError_tT0_T1_T2_jT3_P12ihipStream_tbPNSt15iterator_traitsISK_E10value_typeEPNSQ_ISL_E10value_typeEPSM_NS1_7vsmem_tEENKUlT_SK_SL_SM_E_clISE_PfSF_SF_EESJ_SZ_SK_SL_SM_EUlSZ_E0_NS1_11comp_targetILNS1_3genE5ELNS1_11target_archE942ELNS1_3gpuE9ELNS1_3repE0EEENS1_38merge_mergepath_config_static_selectorELNS0_4arch9wavefront6targetE1EEEvSL_.num_agpr, 0
	.set _ZN7rocprim17ROCPRIM_400000_NS6detail17trampoline_kernelINS0_14default_configENS1_38merge_sort_block_merge_config_selectorIfNS0_10empty_typeEEEZZNS1_27merge_sort_block_merge_implIS3_N6thrust23THRUST_200600_302600_NS6detail15normal_iteratorINS9_10device_ptrIfEEEEPS5_jNS1_19radix_merge_compareILb0ELb0EfNS0_19identity_decomposerEEEEE10hipError_tT0_T1_T2_jT3_P12ihipStream_tbPNSt15iterator_traitsISK_E10value_typeEPNSQ_ISL_E10value_typeEPSM_NS1_7vsmem_tEENKUlT_SK_SL_SM_E_clISE_PfSF_SF_EESJ_SZ_SK_SL_SM_EUlSZ_E0_NS1_11comp_targetILNS1_3genE5ELNS1_11target_archE942ELNS1_3gpuE9ELNS1_3repE0EEENS1_38merge_mergepath_config_static_selectorELNS0_4arch9wavefront6targetE1EEEvSL_.numbered_sgpr, 0
	.set _ZN7rocprim17ROCPRIM_400000_NS6detail17trampoline_kernelINS0_14default_configENS1_38merge_sort_block_merge_config_selectorIfNS0_10empty_typeEEEZZNS1_27merge_sort_block_merge_implIS3_N6thrust23THRUST_200600_302600_NS6detail15normal_iteratorINS9_10device_ptrIfEEEEPS5_jNS1_19radix_merge_compareILb0ELb0EfNS0_19identity_decomposerEEEEE10hipError_tT0_T1_T2_jT3_P12ihipStream_tbPNSt15iterator_traitsISK_E10value_typeEPNSQ_ISL_E10value_typeEPSM_NS1_7vsmem_tEENKUlT_SK_SL_SM_E_clISE_PfSF_SF_EESJ_SZ_SK_SL_SM_EUlSZ_E0_NS1_11comp_targetILNS1_3genE5ELNS1_11target_archE942ELNS1_3gpuE9ELNS1_3repE0EEENS1_38merge_mergepath_config_static_selectorELNS0_4arch9wavefront6targetE1EEEvSL_.num_named_barrier, 0
	.set _ZN7rocprim17ROCPRIM_400000_NS6detail17trampoline_kernelINS0_14default_configENS1_38merge_sort_block_merge_config_selectorIfNS0_10empty_typeEEEZZNS1_27merge_sort_block_merge_implIS3_N6thrust23THRUST_200600_302600_NS6detail15normal_iteratorINS9_10device_ptrIfEEEEPS5_jNS1_19radix_merge_compareILb0ELb0EfNS0_19identity_decomposerEEEEE10hipError_tT0_T1_T2_jT3_P12ihipStream_tbPNSt15iterator_traitsISK_E10value_typeEPNSQ_ISL_E10value_typeEPSM_NS1_7vsmem_tEENKUlT_SK_SL_SM_E_clISE_PfSF_SF_EESJ_SZ_SK_SL_SM_EUlSZ_E0_NS1_11comp_targetILNS1_3genE5ELNS1_11target_archE942ELNS1_3gpuE9ELNS1_3repE0EEENS1_38merge_mergepath_config_static_selectorELNS0_4arch9wavefront6targetE1EEEvSL_.private_seg_size, 0
	.set _ZN7rocprim17ROCPRIM_400000_NS6detail17trampoline_kernelINS0_14default_configENS1_38merge_sort_block_merge_config_selectorIfNS0_10empty_typeEEEZZNS1_27merge_sort_block_merge_implIS3_N6thrust23THRUST_200600_302600_NS6detail15normal_iteratorINS9_10device_ptrIfEEEEPS5_jNS1_19radix_merge_compareILb0ELb0EfNS0_19identity_decomposerEEEEE10hipError_tT0_T1_T2_jT3_P12ihipStream_tbPNSt15iterator_traitsISK_E10value_typeEPNSQ_ISL_E10value_typeEPSM_NS1_7vsmem_tEENKUlT_SK_SL_SM_E_clISE_PfSF_SF_EESJ_SZ_SK_SL_SM_EUlSZ_E0_NS1_11comp_targetILNS1_3genE5ELNS1_11target_archE942ELNS1_3gpuE9ELNS1_3repE0EEENS1_38merge_mergepath_config_static_selectorELNS0_4arch9wavefront6targetE1EEEvSL_.uses_vcc, 0
	.set _ZN7rocprim17ROCPRIM_400000_NS6detail17trampoline_kernelINS0_14default_configENS1_38merge_sort_block_merge_config_selectorIfNS0_10empty_typeEEEZZNS1_27merge_sort_block_merge_implIS3_N6thrust23THRUST_200600_302600_NS6detail15normal_iteratorINS9_10device_ptrIfEEEEPS5_jNS1_19radix_merge_compareILb0ELb0EfNS0_19identity_decomposerEEEEE10hipError_tT0_T1_T2_jT3_P12ihipStream_tbPNSt15iterator_traitsISK_E10value_typeEPNSQ_ISL_E10value_typeEPSM_NS1_7vsmem_tEENKUlT_SK_SL_SM_E_clISE_PfSF_SF_EESJ_SZ_SK_SL_SM_EUlSZ_E0_NS1_11comp_targetILNS1_3genE5ELNS1_11target_archE942ELNS1_3gpuE9ELNS1_3repE0EEENS1_38merge_mergepath_config_static_selectorELNS0_4arch9wavefront6targetE1EEEvSL_.uses_flat_scratch, 0
	.set _ZN7rocprim17ROCPRIM_400000_NS6detail17trampoline_kernelINS0_14default_configENS1_38merge_sort_block_merge_config_selectorIfNS0_10empty_typeEEEZZNS1_27merge_sort_block_merge_implIS3_N6thrust23THRUST_200600_302600_NS6detail15normal_iteratorINS9_10device_ptrIfEEEEPS5_jNS1_19radix_merge_compareILb0ELb0EfNS0_19identity_decomposerEEEEE10hipError_tT0_T1_T2_jT3_P12ihipStream_tbPNSt15iterator_traitsISK_E10value_typeEPNSQ_ISL_E10value_typeEPSM_NS1_7vsmem_tEENKUlT_SK_SL_SM_E_clISE_PfSF_SF_EESJ_SZ_SK_SL_SM_EUlSZ_E0_NS1_11comp_targetILNS1_3genE5ELNS1_11target_archE942ELNS1_3gpuE9ELNS1_3repE0EEENS1_38merge_mergepath_config_static_selectorELNS0_4arch9wavefront6targetE1EEEvSL_.has_dyn_sized_stack, 0
	.set _ZN7rocprim17ROCPRIM_400000_NS6detail17trampoline_kernelINS0_14default_configENS1_38merge_sort_block_merge_config_selectorIfNS0_10empty_typeEEEZZNS1_27merge_sort_block_merge_implIS3_N6thrust23THRUST_200600_302600_NS6detail15normal_iteratorINS9_10device_ptrIfEEEEPS5_jNS1_19radix_merge_compareILb0ELb0EfNS0_19identity_decomposerEEEEE10hipError_tT0_T1_T2_jT3_P12ihipStream_tbPNSt15iterator_traitsISK_E10value_typeEPNSQ_ISL_E10value_typeEPSM_NS1_7vsmem_tEENKUlT_SK_SL_SM_E_clISE_PfSF_SF_EESJ_SZ_SK_SL_SM_EUlSZ_E0_NS1_11comp_targetILNS1_3genE5ELNS1_11target_archE942ELNS1_3gpuE9ELNS1_3repE0EEENS1_38merge_mergepath_config_static_selectorELNS0_4arch9wavefront6targetE1EEEvSL_.has_recursion, 0
	.set _ZN7rocprim17ROCPRIM_400000_NS6detail17trampoline_kernelINS0_14default_configENS1_38merge_sort_block_merge_config_selectorIfNS0_10empty_typeEEEZZNS1_27merge_sort_block_merge_implIS3_N6thrust23THRUST_200600_302600_NS6detail15normal_iteratorINS9_10device_ptrIfEEEEPS5_jNS1_19radix_merge_compareILb0ELb0EfNS0_19identity_decomposerEEEEE10hipError_tT0_T1_T2_jT3_P12ihipStream_tbPNSt15iterator_traitsISK_E10value_typeEPNSQ_ISL_E10value_typeEPSM_NS1_7vsmem_tEENKUlT_SK_SL_SM_E_clISE_PfSF_SF_EESJ_SZ_SK_SL_SM_EUlSZ_E0_NS1_11comp_targetILNS1_3genE5ELNS1_11target_archE942ELNS1_3gpuE9ELNS1_3repE0EEENS1_38merge_mergepath_config_static_selectorELNS0_4arch9wavefront6targetE1EEEvSL_.has_indirect_call, 0
	.section	.AMDGPU.csdata,"",@progbits
; Kernel info:
; codeLenInByte = 0
; TotalNumSgprs: 6
; NumVgprs: 0
; NumAgprs: 0
; TotalNumVgprs: 0
; ScratchSize: 0
; MemoryBound: 0
; FloatMode: 240
; IeeeMode: 1
; LDSByteSize: 0 bytes/workgroup (compile time only)
; SGPRBlocks: 0
; VGPRBlocks: 0
; NumSGPRsForWavesPerEU: 6
; NumVGPRsForWavesPerEU: 1
; AccumOffset: 4
; Occupancy: 8
; WaveLimiterHint : 0
; COMPUTE_PGM_RSRC2:SCRATCH_EN: 0
; COMPUTE_PGM_RSRC2:USER_SGPR: 2
; COMPUTE_PGM_RSRC2:TRAP_HANDLER: 0
; COMPUTE_PGM_RSRC2:TGID_X_EN: 1
; COMPUTE_PGM_RSRC2:TGID_Y_EN: 0
; COMPUTE_PGM_RSRC2:TGID_Z_EN: 0
; COMPUTE_PGM_RSRC2:TIDIG_COMP_CNT: 0
; COMPUTE_PGM_RSRC3_GFX90A:ACCUM_OFFSET: 0
; COMPUTE_PGM_RSRC3_GFX90A:TG_SPLIT: 0
	.section	.text._ZN7rocprim17ROCPRIM_400000_NS6detail17trampoline_kernelINS0_14default_configENS1_38merge_sort_block_merge_config_selectorIfNS0_10empty_typeEEEZZNS1_27merge_sort_block_merge_implIS3_N6thrust23THRUST_200600_302600_NS6detail15normal_iteratorINS9_10device_ptrIfEEEEPS5_jNS1_19radix_merge_compareILb0ELb0EfNS0_19identity_decomposerEEEEE10hipError_tT0_T1_T2_jT3_P12ihipStream_tbPNSt15iterator_traitsISK_E10value_typeEPNSQ_ISL_E10value_typeEPSM_NS1_7vsmem_tEENKUlT_SK_SL_SM_E_clISE_PfSF_SF_EESJ_SZ_SK_SL_SM_EUlSZ_E0_NS1_11comp_targetILNS1_3genE4ELNS1_11target_archE910ELNS1_3gpuE8ELNS1_3repE0EEENS1_38merge_mergepath_config_static_selectorELNS0_4arch9wavefront6targetE1EEEvSL_,"axG",@progbits,_ZN7rocprim17ROCPRIM_400000_NS6detail17trampoline_kernelINS0_14default_configENS1_38merge_sort_block_merge_config_selectorIfNS0_10empty_typeEEEZZNS1_27merge_sort_block_merge_implIS3_N6thrust23THRUST_200600_302600_NS6detail15normal_iteratorINS9_10device_ptrIfEEEEPS5_jNS1_19radix_merge_compareILb0ELb0EfNS0_19identity_decomposerEEEEE10hipError_tT0_T1_T2_jT3_P12ihipStream_tbPNSt15iterator_traitsISK_E10value_typeEPNSQ_ISL_E10value_typeEPSM_NS1_7vsmem_tEENKUlT_SK_SL_SM_E_clISE_PfSF_SF_EESJ_SZ_SK_SL_SM_EUlSZ_E0_NS1_11comp_targetILNS1_3genE4ELNS1_11target_archE910ELNS1_3gpuE8ELNS1_3repE0EEENS1_38merge_mergepath_config_static_selectorELNS0_4arch9wavefront6targetE1EEEvSL_,comdat
	.protected	_ZN7rocprim17ROCPRIM_400000_NS6detail17trampoline_kernelINS0_14default_configENS1_38merge_sort_block_merge_config_selectorIfNS0_10empty_typeEEEZZNS1_27merge_sort_block_merge_implIS3_N6thrust23THRUST_200600_302600_NS6detail15normal_iteratorINS9_10device_ptrIfEEEEPS5_jNS1_19radix_merge_compareILb0ELb0EfNS0_19identity_decomposerEEEEE10hipError_tT0_T1_T2_jT3_P12ihipStream_tbPNSt15iterator_traitsISK_E10value_typeEPNSQ_ISL_E10value_typeEPSM_NS1_7vsmem_tEENKUlT_SK_SL_SM_E_clISE_PfSF_SF_EESJ_SZ_SK_SL_SM_EUlSZ_E0_NS1_11comp_targetILNS1_3genE4ELNS1_11target_archE910ELNS1_3gpuE8ELNS1_3repE0EEENS1_38merge_mergepath_config_static_selectorELNS0_4arch9wavefront6targetE1EEEvSL_ ; -- Begin function _ZN7rocprim17ROCPRIM_400000_NS6detail17trampoline_kernelINS0_14default_configENS1_38merge_sort_block_merge_config_selectorIfNS0_10empty_typeEEEZZNS1_27merge_sort_block_merge_implIS3_N6thrust23THRUST_200600_302600_NS6detail15normal_iteratorINS9_10device_ptrIfEEEEPS5_jNS1_19radix_merge_compareILb0ELb0EfNS0_19identity_decomposerEEEEE10hipError_tT0_T1_T2_jT3_P12ihipStream_tbPNSt15iterator_traitsISK_E10value_typeEPNSQ_ISL_E10value_typeEPSM_NS1_7vsmem_tEENKUlT_SK_SL_SM_E_clISE_PfSF_SF_EESJ_SZ_SK_SL_SM_EUlSZ_E0_NS1_11comp_targetILNS1_3genE4ELNS1_11target_archE910ELNS1_3gpuE8ELNS1_3repE0EEENS1_38merge_mergepath_config_static_selectorELNS0_4arch9wavefront6targetE1EEEvSL_
	.globl	_ZN7rocprim17ROCPRIM_400000_NS6detail17trampoline_kernelINS0_14default_configENS1_38merge_sort_block_merge_config_selectorIfNS0_10empty_typeEEEZZNS1_27merge_sort_block_merge_implIS3_N6thrust23THRUST_200600_302600_NS6detail15normal_iteratorINS9_10device_ptrIfEEEEPS5_jNS1_19radix_merge_compareILb0ELb0EfNS0_19identity_decomposerEEEEE10hipError_tT0_T1_T2_jT3_P12ihipStream_tbPNSt15iterator_traitsISK_E10value_typeEPNSQ_ISL_E10value_typeEPSM_NS1_7vsmem_tEENKUlT_SK_SL_SM_E_clISE_PfSF_SF_EESJ_SZ_SK_SL_SM_EUlSZ_E0_NS1_11comp_targetILNS1_3genE4ELNS1_11target_archE910ELNS1_3gpuE8ELNS1_3repE0EEENS1_38merge_mergepath_config_static_selectorELNS0_4arch9wavefront6targetE1EEEvSL_
	.p2align	8
	.type	_ZN7rocprim17ROCPRIM_400000_NS6detail17trampoline_kernelINS0_14default_configENS1_38merge_sort_block_merge_config_selectorIfNS0_10empty_typeEEEZZNS1_27merge_sort_block_merge_implIS3_N6thrust23THRUST_200600_302600_NS6detail15normal_iteratorINS9_10device_ptrIfEEEEPS5_jNS1_19radix_merge_compareILb0ELb0EfNS0_19identity_decomposerEEEEE10hipError_tT0_T1_T2_jT3_P12ihipStream_tbPNSt15iterator_traitsISK_E10value_typeEPNSQ_ISL_E10value_typeEPSM_NS1_7vsmem_tEENKUlT_SK_SL_SM_E_clISE_PfSF_SF_EESJ_SZ_SK_SL_SM_EUlSZ_E0_NS1_11comp_targetILNS1_3genE4ELNS1_11target_archE910ELNS1_3gpuE8ELNS1_3repE0EEENS1_38merge_mergepath_config_static_selectorELNS0_4arch9wavefront6targetE1EEEvSL_,@function
_ZN7rocprim17ROCPRIM_400000_NS6detail17trampoline_kernelINS0_14default_configENS1_38merge_sort_block_merge_config_selectorIfNS0_10empty_typeEEEZZNS1_27merge_sort_block_merge_implIS3_N6thrust23THRUST_200600_302600_NS6detail15normal_iteratorINS9_10device_ptrIfEEEEPS5_jNS1_19radix_merge_compareILb0ELb0EfNS0_19identity_decomposerEEEEE10hipError_tT0_T1_T2_jT3_P12ihipStream_tbPNSt15iterator_traitsISK_E10value_typeEPNSQ_ISL_E10value_typeEPSM_NS1_7vsmem_tEENKUlT_SK_SL_SM_E_clISE_PfSF_SF_EESJ_SZ_SK_SL_SM_EUlSZ_E0_NS1_11comp_targetILNS1_3genE4ELNS1_11target_archE910ELNS1_3gpuE8ELNS1_3repE0EEENS1_38merge_mergepath_config_static_selectorELNS0_4arch9wavefront6targetE1EEEvSL_: ; @_ZN7rocprim17ROCPRIM_400000_NS6detail17trampoline_kernelINS0_14default_configENS1_38merge_sort_block_merge_config_selectorIfNS0_10empty_typeEEEZZNS1_27merge_sort_block_merge_implIS3_N6thrust23THRUST_200600_302600_NS6detail15normal_iteratorINS9_10device_ptrIfEEEEPS5_jNS1_19radix_merge_compareILb0ELb0EfNS0_19identity_decomposerEEEEE10hipError_tT0_T1_T2_jT3_P12ihipStream_tbPNSt15iterator_traitsISK_E10value_typeEPNSQ_ISL_E10value_typeEPSM_NS1_7vsmem_tEENKUlT_SK_SL_SM_E_clISE_PfSF_SF_EESJ_SZ_SK_SL_SM_EUlSZ_E0_NS1_11comp_targetILNS1_3genE4ELNS1_11target_archE910ELNS1_3gpuE8ELNS1_3repE0EEENS1_38merge_mergepath_config_static_selectorELNS0_4arch9wavefront6targetE1EEEvSL_
; %bb.0:
	.section	.rodata,"a",@progbits
	.p2align	6, 0x0
	.amdhsa_kernel _ZN7rocprim17ROCPRIM_400000_NS6detail17trampoline_kernelINS0_14default_configENS1_38merge_sort_block_merge_config_selectorIfNS0_10empty_typeEEEZZNS1_27merge_sort_block_merge_implIS3_N6thrust23THRUST_200600_302600_NS6detail15normal_iteratorINS9_10device_ptrIfEEEEPS5_jNS1_19radix_merge_compareILb0ELb0EfNS0_19identity_decomposerEEEEE10hipError_tT0_T1_T2_jT3_P12ihipStream_tbPNSt15iterator_traitsISK_E10value_typeEPNSQ_ISL_E10value_typeEPSM_NS1_7vsmem_tEENKUlT_SK_SL_SM_E_clISE_PfSF_SF_EESJ_SZ_SK_SL_SM_EUlSZ_E0_NS1_11comp_targetILNS1_3genE4ELNS1_11target_archE910ELNS1_3gpuE8ELNS1_3repE0EEENS1_38merge_mergepath_config_static_selectorELNS0_4arch9wavefront6targetE1EEEvSL_
		.amdhsa_group_segment_fixed_size 0
		.amdhsa_private_segment_fixed_size 0
		.amdhsa_kernarg_size 64
		.amdhsa_user_sgpr_count 2
		.amdhsa_user_sgpr_dispatch_ptr 0
		.amdhsa_user_sgpr_queue_ptr 0
		.amdhsa_user_sgpr_kernarg_segment_ptr 1
		.amdhsa_user_sgpr_dispatch_id 0
		.amdhsa_user_sgpr_kernarg_preload_length 0
		.amdhsa_user_sgpr_kernarg_preload_offset 0
		.amdhsa_user_sgpr_private_segment_size 0
		.amdhsa_uses_dynamic_stack 0
		.amdhsa_enable_private_segment 0
		.amdhsa_system_sgpr_workgroup_id_x 1
		.amdhsa_system_sgpr_workgroup_id_y 0
		.amdhsa_system_sgpr_workgroup_id_z 0
		.amdhsa_system_sgpr_workgroup_info 0
		.amdhsa_system_vgpr_workitem_id 0
		.amdhsa_next_free_vgpr 1
		.amdhsa_next_free_sgpr 0
		.amdhsa_accum_offset 4
		.amdhsa_reserve_vcc 0
		.amdhsa_float_round_mode_32 0
		.amdhsa_float_round_mode_16_64 0
		.amdhsa_float_denorm_mode_32 3
		.amdhsa_float_denorm_mode_16_64 3
		.amdhsa_dx10_clamp 1
		.amdhsa_ieee_mode 1
		.amdhsa_fp16_overflow 0
		.amdhsa_tg_split 0
		.amdhsa_exception_fp_ieee_invalid_op 0
		.amdhsa_exception_fp_denorm_src 0
		.amdhsa_exception_fp_ieee_div_zero 0
		.amdhsa_exception_fp_ieee_overflow 0
		.amdhsa_exception_fp_ieee_underflow 0
		.amdhsa_exception_fp_ieee_inexact 0
		.amdhsa_exception_int_div_zero 0
	.end_amdhsa_kernel
	.section	.text._ZN7rocprim17ROCPRIM_400000_NS6detail17trampoline_kernelINS0_14default_configENS1_38merge_sort_block_merge_config_selectorIfNS0_10empty_typeEEEZZNS1_27merge_sort_block_merge_implIS3_N6thrust23THRUST_200600_302600_NS6detail15normal_iteratorINS9_10device_ptrIfEEEEPS5_jNS1_19radix_merge_compareILb0ELb0EfNS0_19identity_decomposerEEEEE10hipError_tT0_T1_T2_jT3_P12ihipStream_tbPNSt15iterator_traitsISK_E10value_typeEPNSQ_ISL_E10value_typeEPSM_NS1_7vsmem_tEENKUlT_SK_SL_SM_E_clISE_PfSF_SF_EESJ_SZ_SK_SL_SM_EUlSZ_E0_NS1_11comp_targetILNS1_3genE4ELNS1_11target_archE910ELNS1_3gpuE8ELNS1_3repE0EEENS1_38merge_mergepath_config_static_selectorELNS0_4arch9wavefront6targetE1EEEvSL_,"axG",@progbits,_ZN7rocprim17ROCPRIM_400000_NS6detail17trampoline_kernelINS0_14default_configENS1_38merge_sort_block_merge_config_selectorIfNS0_10empty_typeEEEZZNS1_27merge_sort_block_merge_implIS3_N6thrust23THRUST_200600_302600_NS6detail15normal_iteratorINS9_10device_ptrIfEEEEPS5_jNS1_19radix_merge_compareILb0ELb0EfNS0_19identity_decomposerEEEEE10hipError_tT0_T1_T2_jT3_P12ihipStream_tbPNSt15iterator_traitsISK_E10value_typeEPNSQ_ISL_E10value_typeEPSM_NS1_7vsmem_tEENKUlT_SK_SL_SM_E_clISE_PfSF_SF_EESJ_SZ_SK_SL_SM_EUlSZ_E0_NS1_11comp_targetILNS1_3genE4ELNS1_11target_archE910ELNS1_3gpuE8ELNS1_3repE0EEENS1_38merge_mergepath_config_static_selectorELNS0_4arch9wavefront6targetE1EEEvSL_,comdat
.Lfunc_end510:
	.size	_ZN7rocprim17ROCPRIM_400000_NS6detail17trampoline_kernelINS0_14default_configENS1_38merge_sort_block_merge_config_selectorIfNS0_10empty_typeEEEZZNS1_27merge_sort_block_merge_implIS3_N6thrust23THRUST_200600_302600_NS6detail15normal_iteratorINS9_10device_ptrIfEEEEPS5_jNS1_19radix_merge_compareILb0ELb0EfNS0_19identity_decomposerEEEEE10hipError_tT0_T1_T2_jT3_P12ihipStream_tbPNSt15iterator_traitsISK_E10value_typeEPNSQ_ISL_E10value_typeEPSM_NS1_7vsmem_tEENKUlT_SK_SL_SM_E_clISE_PfSF_SF_EESJ_SZ_SK_SL_SM_EUlSZ_E0_NS1_11comp_targetILNS1_3genE4ELNS1_11target_archE910ELNS1_3gpuE8ELNS1_3repE0EEENS1_38merge_mergepath_config_static_selectorELNS0_4arch9wavefront6targetE1EEEvSL_, .Lfunc_end510-_ZN7rocprim17ROCPRIM_400000_NS6detail17trampoline_kernelINS0_14default_configENS1_38merge_sort_block_merge_config_selectorIfNS0_10empty_typeEEEZZNS1_27merge_sort_block_merge_implIS3_N6thrust23THRUST_200600_302600_NS6detail15normal_iteratorINS9_10device_ptrIfEEEEPS5_jNS1_19radix_merge_compareILb0ELb0EfNS0_19identity_decomposerEEEEE10hipError_tT0_T1_T2_jT3_P12ihipStream_tbPNSt15iterator_traitsISK_E10value_typeEPNSQ_ISL_E10value_typeEPSM_NS1_7vsmem_tEENKUlT_SK_SL_SM_E_clISE_PfSF_SF_EESJ_SZ_SK_SL_SM_EUlSZ_E0_NS1_11comp_targetILNS1_3genE4ELNS1_11target_archE910ELNS1_3gpuE8ELNS1_3repE0EEENS1_38merge_mergepath_config_static_selectorELNS0_4arch9wavefront6targetE1EEEvSL_
                                        ; -- End function
	.set _ZN7rocprim17ROCPRIM_400000_NS6detail17trampoline_kernelINS0_14default_configENS1_38merge_sort_block_merge_config_selectorIfNS0_10empty_typeEEEZZNS1_27merge_sort_block_merge_implIS3_N6thrust23THRUST_200600_302600_NS6detail15normal_iteratorINS9_10device_ptrIfEEEEPS5_jNS1_19radix_merge_compareILb0ELb0EfNS0_19identity_decomposerEEEEE10hipError_tT0_T1_T2_jT3_P12ihipStream_tbPNSt15iterator_traitsISK_E10value_typeEPNSQ_ISL_E10value_typeEPSM_NS1_7vsmem_tEENKUlT_SK_SL_SM_E_clISE_PfSF_SF_EESJ_SZ_SK_SL_SM_EUlSZ_E0_NS1_11comp_targetILNS1_3genE4ELNS1_11target_archE910ELNS1_3gpuE8ELNS1_3repE0EEENS1_38merge_mergepath_config_static_selectorELNS0_4arch9wavefront6targetE1EEEvSL_.num_vgpr, 0
	.set _ZN7rocprim17ROCPRIM_400000_NS6detail17trampoline_kernelINS0_14default_configENS1_38merge_sort_block_merge_config_selectorIfNS0_10empty_typeEEEZZNS1_27merge_sort_block_merge_implIS3_N6thrust23THRUST_200600_302600_NS6detail15normal_iteratorINS9_10device_ptrIfEEEEPS5_jNS1_19radix_merge_compareILb0ELb0EfNS0_19identity_decomposerEEEEE10hipError_tT0_T1_T2_jT3_P12ihipStream_tbPNSt15iterator_traitsISK_E10value_typeEPNSQ_ISL_E10value_typeEPSM_NS1_7vsmem_tEENKUlT_SK_SL_SM_E_clISE_PfSF_SF_EESJ_SZ_SK_SL_SM_EUlSZ_E0_NS1_11comp_targetILNS1_3genE4ELNS1_11target_archE910ELNS1_3gpuE8ELNS1_3repE0EEENS1_38merge_mergepath_config_static_selectorELNS0_4arch9wavefront6targetE1EEEvSL_.num_agpr, 0
	.set _ZN7rocprim17ROCPRIM_400000_NS6detail17trampoline_kernelINS0_14default_configENS1_38merge_sort_block_merge_config_selectorIfNS0_10empty_typeEEEZZNS1_27merge_sort_block_merge_implIS3_N6thrust23THRUST_200600_302600_NS6detail15normal_iteratorINS9_10device_ptrIfEEEEPS5_jNS1_19radix_merge_compareILb0ELb0EfNS0_19identity_decomposerEEEEE10hipError_tT0_T1_T2_jT3_P12ihipStream_tbPNSt15iterator_traitsISK_E10value_typeEPNSQ_ISL_E10value_typeEPSM_NS1_7vsmem_tEENKUlT_SK_SL_SM_E_clISE_PfSF_SF_EESJ_SZ_SK_SL_SM_EUlSZ_E0_NS1_11comp_targetILNS1_3genE4ELNS1_11target_archE910ELNS1_3gpuE8ELNS1_3repE0EEENS1_38merge_mergepath_config_static_selectorELNS0_4arch9wavefront6targetE1EEEvSL_.numbered_sgpr, 0
	.set _ZN7rocprim17ROCPRIM_400000_NS6detail17trampoline_kernelINS0_14default_configENS1_38merge_sort_block_merge_config_selectorIfNS0_10empty_typeEEEZZNS1_27merge_sort_block_merge_implIS3_N6thrust23THRUST_200600_302600_NS6detail15normal_iteratorINS9_10device_ptrIfEEEEPS5_jNS1_19radix_merge_compareILb0ELb0EfNS0_19identity_decomposerEEEEE10hipError_tT0_T1_T2_jT3_P12ihipStream_tbPNSt15iterator_traitsISK_E10value_typeEPNSQ_ISL_E10value_typeEPSM_NS1_7vsmem_tEENKUlT_SK_SL_SM_E_clISE_PfSF_SF_EESJ_SZ_SK_SL_SM_EUlSZ_E0_NS1_11comp_targetILNS1_3genE4ELNS1_11target_archE910ELNS1_3gpuE8ELNS1_3repE0EEENS1_38merge_mergepath_config_static_selectorELNS0_4arch9wavefront6targetE1EEEvSL_.num_named_barrier, 0
	.set _ZN7rocprim17ROCPRIM_400000_NS6detail17trampoline_kernelINS0_14default_configENS1_38merge_sort_block_merge_config_selectorIfNS0_10empty_typeEEEZZNS1_27merge_sort_block_merge_implIS3_N6thrust23THRUST_200600_302600_NS6detail15normal_iteratorINS9_10device_ptrIfEEEEPS5_jNS1_19radix_merge_compareILb0ELb0EfNS0_19identity_decomposerEEEEE10hipError_tT0_T1_T2_jT3_P12ihipStream_tbPNSt15iterator_traitsISK_E10value_typeEPNSQ_ISL_E10value_typeEPSM_NS1_7vsmem_tEENKUlT_SK_SL_SM_E_clISE_PfSF_SF_EESJ_SZ_SK_SL_SM_EUlSZ_E0_NS1_11comp_targetILNS1_3genE4ELNS1_11target_archE910ELNS1_3gpuE8ELNS1_3repE0EEENS1_38merge_mergepath_config_static_selectorELNS0_4arch9wavefront6targetE1EEEvSL_.private_seg_size, 0
	.set _ZN7rocprim17ROCPRIM_400000_NS6detail17trampoline_kernelINS0_14default_configENS1_38merge_sort_block_merge_config_selectorIfNS0_10empty_typeEEEZZNS1_27merge_sort_block_merge_implIS3_N6thrust23THRUST_200600_302600_NS6detail15normal_iteratorINS9_10device_ptrIfEEEEPS5_jNS1_19radix_merge_compareILb0ELb0EfNS0_19identity_decomposerEEEEE10hipError_tT0_T1_T2_jT3_P12ihipStream_tbPNSt15iterator_traitsISK_E10value_typeEPNSQ_ISL_E10value_typeEPSM_NS1_7vsmem_tEENKUlT_SK_SL_SM_E_clISE_PfSF_SF_EESJ_SZ_SK_SL_SM_EUlSZ_E0_NS1_11comp_targetILNS1_3genE4ELNS1_11target_archE910ELNS1_3gpuE8ELNS1_3repE0EEENS1_38merge_mergepath_config_static_selectorELNS0_4arch9wavefront6targetE1EEEvSL_.uses_vcc, 0
	.set _ZN7rocprim17ROCPRIM_400000_NS6detail17trampoline_kernelINS0_14default_configENS1_38merge_sort_block_merge_config_selectorIfNS0_10empty_typeEEEZZNS1_27merge_sort_block_merge_implIS3_N6thrust23THRUST_200600_302600_NS6detail15normal_iteratorINS9_10device_ptrIfEEEEPS5_jNS1_19radix_merge_compareILb0ELb0EfNS0_19identity_decomposerEEEEE10hipError_tT0_T1_T2_jT3_P12ihipStream_tbPNSt15iterator_traitsISK_E10value_typeEPNSQ_ISL_E10value_typeEPSM_NS1_7vsmem_tEENKUlT_SK_SL_SM_E_clISE_PfSF_SF_EESJ_SZ_SK_SL_SM_EUlSZ_E0_NS1_11comp_targetILNS1_3genE4ELNS1_11target_archE910ELNS1_3gpuE8ELNS1_3repE0EEENS1_38merge_mergepath_config_static_selectorELNS0_4arch9wavefront6targetE1EEEvSL_.uses_flat_scratch, 0
	.set _ZN7rocprim17ROCPRIM_400000_NS6detail17trampoline_kernelINS0_14default_configENS1_38merge_sort_block_merge_config_selectorIfNS0_10empty_typeEEEZZNS1_27merge_sort_block_merge_implIS3_N6thrust23THRUST_200600_302600_NS6detail15normal_iteratorINS9_10device_ptrIfEEEEPS5_jNS1_19radix_merge_compareILb0ELb0EfNS0_19identity_decomposerEEEEE10hipError_tT0_T1_T2_jT3_P12ihipStream_tbPNSt15iterator_traitsISK_E10value_typeEPNSQ_ISL_E10value_typeEPSM_NS1_7vsmem_tEENKUlT_SK_SL_SM_E_clISE_PfSF_SF_EESJ_SZ_SK_SL_SM_EUlSZ_E0_NS1_11comp_targetILNS1_3genE4ELNS1_11target_archE910ELNS1_3gpuE8ELNS1_3repE0EEENS1_38merge_mergepath_config_static_selectorELNS0_4arch9wavefront6targetE1EEEvSL_.has_dyn_sized_stack, 0
	.set _ZN7rocprim17ROCPRIM_400000_NS6detail17trampoline_kernelINS0_14default_configENS1_38merge_sort_block_merge_config_selectorIfNS0_10empty_typeEEEZZNS1_27merge_sort_block_merge_implIS3_N6thrust23THRUST_200600_302600_NS6detail15normal_iteratorINS9_10device_ptrIfEEEEPS5_jNS1_19radix_merge_compareILb0ELb0EfNS0_19identity_decomposerEEEEE10hipError_tT0_T1_T2_jT3_P12ihipStream_tbPNSt15iterator_traitsISK_E10value_typeEPNSQ_ISL_E10value_typeEPSM_NS1_7vsmem_tEENKUlT_SK_SL_SM_E_clISE_PfSF_SF_EESJ_SZ_SK_SL_SM_EUlSZ_E0_NS1_11comp_targetILNS1_3genE4ELNS1_11target_archE910ELNS1_3gpuE8ELNS1_3repE0EEENS1_38merge_mergepath_config_static_selectorELNS0_4arch9wavefront6targetE1EEEvSL_.has_recursion, 0
	.set _ZN7rocprim17ROCPRIM_400000_NS6detail17trampoline_kernelINS0_14default_configENS1_38merge_sort_block_merge_config_selectorIfNS0_10empty_typeEEEZZNS1_27merge_sort_block_merge_implIS3_N6thrust23THRUST_200600_302600_NS6detail15normal_iteratorINS9_10device_ptrIfEEEEPS5_jNS1_19radix_merge_compareILb0ELb0EfNS0_19identity_decomposerEEEEE10hipError_tT0_T1_T2_jT3_P12ihipStream_tbPNSt15iterator_traitsISK_E10value_typeEPNSQ_ISL_E10value_typeEPSM_NS1_7vsmem_tEENKUlT_SK_SL_SM_E_clISE_PfSF_SF_EESJ_SZ_SK_SL_SM_EUlSZ_E0_NS1_11comp_targetILNS1_3genE4ELNS1_11target_archE910ELNS1_3gpuE8ELNS1_3repE0EEENS1_38merge_mergepath_config_static_selectorELNS0_4arch9wavefront6targetE1EEEvSL_.has_indirect_call, 0
	.section	.AMDGPU.csdata,"",@progbits
; Kernel info:
; codeLenInByte = 0
; TotalNumSgprs: 6
; NumVgprs: 0
; NumAgprs: 0
; TotalNumVgprs: 0
; ScratchSize: 0
; MemoryBound: 0
; FloatMode: 240
; IeeeMode: 1
; LDSByteSize: 0 bytes/workgroup (compile time only)
; SGPRBlocks: 0
; VGPRBlocks: 0
; NumSGPRsForWavesPerEU: 6
; NumVGPRsForWavesPerEU: 1
; AccumOffset: 4
; Occupancy: 8
; WaveLimiterHint : 0
; COMPUTE_PGM_RSRC2:SCRATCH_EN: 0
; COMPUTE_PGM_RSRC2:USER_SGPR: 2
; COMPUTE_PGM_RSRC2:TRAP_HANDLER: 0
; COMPUTE_PGM_RSRC2:TGID_X_EN: 1
; COMPUTE_PGM_RSRC2:TGID_Y_EN: 0
; COMPUTE_PGM_RSRC2:TGID_Z_EN: 0
; COMPUTE_PGM_RSRC2:TIDIG_COMP_CNT: 0
; COMPUTE_PGM_RSRC3_GFX90A:ACCUM_OFFSET: 0
; COMPUTE_PGM_RSRC3_GFX90A:TG_SPLIT: 0
	.section	.text._ZN7rocprim17ROCPRIM_400000_NS6detail17trampoline_kernelINS0_14default_configENS1_38merge_sort_block_merge_config_selectorIfNS0_10empty_typeEEEZZNS1_27merge_sort_block_merge_implIS3_N6thrust23THRUST_200600_302600_NS6detail15normal_iteratorINS9_10device_ptrIfEEEEPS5_jNS1_19radix_merge_compareILb0ELb0EfNS0_19identity_decomposerEEEEE10hipError_tT0_T1_T2_jT3_P12ihipStream_tbPNSt15iterator_traitsISK_E10value_typeEPNSQ_ISL_E10value_typeEPSM_NS1_7vsmem_tEENKUlT_SK_SL_SM_E_clISE_PfSF_SF_EESJ_SZ_SK_SL_SM_EUlSZ_E0_NS1_11comp_targetILNS1_3genE3ELNS1_11target_archE908ELNS1_3gpuE7ELNS1_3repE0EEENS1_38merge_mergepath_config_static_selectorELNS0_4arch9wavefront6targetE1EEEvSL_,"axG",@progbits,_ZN7rocprim17ROCPRIM_400000_NS6detail17trampoline_kernelINS0_14default_configENS1_38merge_sort_block_merge_config_selectorIfNS0_10empty_typeEEEZZNS1_27merge_sort_block_merge_implIS3_N6thrust23THRUST_200600_302600_NS6detail15normal_iteratorINS9_10device_ptrIfEEEEPS5_jNS1_19radix_merge_compareILb0ELb0EfNS0_19identity_decomposerEEEEE10hipError_tT0_T1_T2_jT3_P12ihipStream_tbPNSt15iterator_traitsISK_E10value_typeEPNSQ_ISL_E10value_typeEPSM_NS1_7vsmem_tEENKUlT_SK_SL_SM_E_clISE_PfSF_SF_EESJ_SZ_SK_SL_SM_EUlSZ_E0_NS1_11comp_targetILNS1_3genE3ELNS1_11target_archE908ELNS1_3gpuE7ELNS1_3repE0EEENS1_38merge_mergepath_config_static_selectorELNS0_4arch9wavefront6targetE1EEEvSL_,comdat
	.protected	_ZN7rocprim17ROCPRIM_400000_NS6detail17trampoline_kernelINS0_14default_configENS1_38merge_sort_block_merge_config_selectorIfNS0_10empty_typeEEEZZNS1_27merge_sort_block_merge_implIS3_N6thrust23THRUST_200600_302600_NS6detail15normal_iteratorINS9_10device_ptrIfEEEEPS5_jNS1_19radix_merge_compareILb0ELb0EfNS0_19identity_decomposerEEEEE10hipError_tT0_T1_T2_jT3_P12ihipStream_tbPNSt15iterator_traitsISK_E10value_typeEPNSQ_ISL_E10value_typeEPSM_NS1_7vsmem_tEENKUlT_SK_SL_SM_E_clISE_PfSF_SF_EESJ_SZ_SK_SL_SM_EUlSZ_E0_NS1_11comp_targetILNS1_3genE3ELNS1_11target_archE908ELNS1_3gpuE7ELNS1_3repE0EEENS1_38merge_mergepath_config_static_selectorELNS0_4arch9wavefront6targetE1EEEvSL_ ; -- Begin function _ZN7rocprim17ROCPRIM_400000_NS6detail17trampoline_kernelINS0_14default_configENS1_38merge_sort_block_merge_config_selectorIfNS0_10empty_typeEEEZZNS1_27merge_sort_block_merge_implIS3_N6thrust23THRUST_200600_302600_NS6detail15normal_iteratorINS9_10device_ptrIfEEEEPS5_jNS1_19radix_merge_compareILb0ELb0EfNS0_19identity_decomposerEEEEE10hipError_tT0_T1_T2_jT3_P12ihipStream_tbPNSt15iterator_traitsISK_E10value_typeEPNSQ_ISL_E10value_typeEPSM_NS1_7vsmem_tEENKUlT_SK_SL_SM_E_clISE_PfSF_SF_EESJ_SZ_SK_SL_SM_EUlSZ_E0_NS1_11comp_targetILNS1_3genE3ELNS1_11target_archE908ELNS1_3gpuE7ELNS1_3repE0EEENS1_38merge_mergepath_config_static_selectorELNS0_4arch9wavefront6targetE1EEEvSL_
	.globl	_ZN7rocprim17ROCPRIM_400000_NS6detail17trampoline_kernelINS0_14default_configENS1_38merge_sort_block_merge_config_selectorIfNS0_10empty_typeEEEZZNS1_27merge_sort_block_merge_implIS3_N6thrust23THRUST_200600_302600_NS6detail15normal_iteratorINS9_10device_ptrIfEEEEPS5_jNS1_19radix_merge_compareILb0ELb0EfNS0_19identity_decomposerEEEEE10hipError_tT0_T1_T2_jT3_P12ihipStream_tbPNSt15iterator_traitsISK_E10value_typeEPNSQ_ISL_E10value_typeEPSM_NS1_7vsmem_tEENKUlT_SK_SL_SM_E_clISE_PfSF_SF_EESJ_SZ_SK_SL_SM_EUlSZ_E0_NS1_11comp_targetILNS1_3genE3ELNS1_11target_archE908ELNS1_3gpuE7ELNS1_3repE0EEENS1_38merge_mergepath_config_static_selectorELNS0_4arch9wavefront6targetE1EEEvSL_
	.p2align	8
	.type	_ZN7rocprim17ROCPRIM_400000_NS6detail17trampoline_kernelINS0_14default_configENS1_38merge_sort_block_merge_config_selectorIfNS0_10empty_typeEEEZZNS1_27merge_sort_block_merge_implIS3_N6thrust23THRUST_200600_302600_NS6detail15normal_iteratorINS9_10device_ptrIfEEEEPS5_jNS1_19radix_merge_compareILb0ELb0EfNS0_19identity_decomposerEEEEE10hipError_tT0_T1_T2_jT3_P12ihipStream_tbPNSt15iterator_traitsISK_E10value_typeEPNSQ_ISL_E10value_typeEPSM_NS1_7vsmem_tEENKUlT_SK_SL_SM_E_clISE_PfSF_SF_EESJ_SZ_SK_SL_SM_EUlSZ_E0_NS1_11comp_targetILNS1_3genE3ELNS1_11target_archE908ELNS1_3gpuE7ELNS1_3repE0EEENS1_38merge_mergepath_config_static_selectorELNS0_4arch9wavefront6targetE1EEEvSL_,@function
_ZN7rocprim17ROCPRIM_400000_NS6detail17trampoline_kernelINS0_14default_configENS1_38merge_sort_block_merge_config_selectorIfNS0_10empty_typeEEEZZNS1_27merge_sort_block_merge_implIS3_N6thrust23THRUST_200600_302600_NS6detail15normal_iteratorINS9_10device_ptrIfEEEEPS5_jNS1_19radix_merge_compareILb0ELb0EfNS0_19identity_decomposerEEEEE10hipError_tT0_T1_T2_jT3_P12ihipStream_tbPNSt15iterator_traitsISK_E10value_typeEPNSQ_ISL_E10value_typeEPSM_NS1_7vsmem_tEENKUlT_SK_SL_SM_E_clISE_PfSF_SF_EESJ_SZ_SK_SL_SM_EUlSZ_E0_NS1_11comp_targetILNS1_3genE3ELNS1_11target_archE908ELNS1_3gpuE7ELNS1_3repE0EEENS1_38merge_mergepath_config_static_selectorELNS0_4arch9wavefront6targetE1EEEvSL_: ; @_ZN7rocprim17ROCPRIM_400000_NS6detail17trampoline_kernelINS0_14default_configENS1_38merge_sort_block_merge_config_selectorIfNS0_10empty_typeEEEZZNS1_27merge_sort_block_merge_implIS3_N6thrust23THRUST_200600_302600_NS6detail15normal_iteratorINS9_10device_ptrIfEEEEPS5_jNS1_19radix_merge_compareILb0ELb0EfNS0_19identity_decomposerEEEEE10hipError_tT0_T1_T2_jT3_P12ihipStream_tbPNSt15iterator_traitsISK_E10value_typeEPNSQ_ISL_E10value_typeEPSM_NS1_7vsmem_tEENKUlT_SK_SL_SM_E_clISE_PfSF_SF_EESJ_SZ_SK_SL_SM_EUlSZ_E0_NS1_11comp_targetILNS1_3genE3ELNS1_11target_archE908ELNS1_3gpuE7ELNS1_3repE0EEENS1_38merge_mergepath_config_static_selectorELNS0_4arch9wavefront6targetE1EEEvSL_
; %bb.0:
	.section	.rodata,"a",@progbits
	.p2align	6, 0x0
	.amdhsa_kernel _ZN7rocprim17ROCPRIM_400000_NS6detail17trampoline_kernelINS0_14default_configENS1_38merge_sort_block_merge_config_selectorIfNS0_10empty_typeEEEZZNS1_27merge_sort_block_merge_implIS3_N6thrust23THRUST_200600_302600_NS6detail15normal_iteratorINS9_10device_ptrIfEEEEPS5_jNS1_19radix_merge_compareILb0ELb0EfNS0_19identity_decomposerEEEEE10hipError_tT0_T1_T2_jT3_P12ihipStream_tbPNSt15iterator_traitsISK_E10value_typeEPNSQ_ISL_E10value_typeEPSM_NS1_7vsmem_tEENKUlT_SK_SL_SM_E_clISE_PfSF_SF_EESJ_SZ_SK_SL_SM_EUlSZ_E0_NS1_11comp_targetILNS1_3genE3ELNS1_11target_archE908ELNS1_3gpuE7ELNS1_3repE0EEENS1_38merge_mergepath_config_static_selectorELNS0_4arch9wavefront6targetE1EEEvSL_
		.amdhsa_group_segment_fixed_size 0
		.amdhsa_private_segment_fixed_size 0
		.amdhsa_kernarg_size 64
		.amdhsa_user_sgpr_count 2
		.amdhsa_user_sgpr_dispatch_ptr 0
		.amdhsa_user_sgpr_queue_ptr 0
		.amdhsa_user_sgpr_kernarg_segment_ptr 1
		.amdhsa_user_sgpr_dispatch_id 0
		.amdhsa_user_sgpr_kernarg_preload_length 0
		.amdhsa_user_sgpr_kernarg_preload_offset 0
		.amdhsa_user_sgpr_private_segment_size 0
		.amdhsa_uses_dynamic_stack 0
		.amdhsa_enable_private_segment 0
		.amdhsa_system_sgpr_workgroup_id_x 1
		.amdhsa_system_sgpr_workgroup_id_y 0
		.amdhsa_system_sgpr_workgroup_id_z 0
		.amdhsa_system_sgpr_workgroup_info 0
		.amdhsa_system_vgpr_workitem_id 0
		.amdhsa_next_free_vgpr 1
		.amdhsa_next_free_sgpr 0
		.amdhsa_accum_offset 4
		.amdhsa_reserve_vcc 0
		.amdhsa_float_round_mode_32 0
		.amdhsa_float_round_mode_16_64 0
		.amdhsa_float_denorm_mode_32 3
		.amdhsa_float_denorm_mode_16_64 3
		.amdhsa_dx10_clamp 1
		.amdhsa_ieee_mode 1
		.amdhsa_fp16_overflow 0
		.amdhsa_tg_split 0
		.amdhsa_exception_fp_ieee_invalid_op 0
		.amdhsa_exception_fp_denorm_src 0
		.amdhsa_exception_fp_ieee_div_zero 0
		.amdhsa_exception_fp_ieee_overflow 0
		.amdhsa_exception_fp_ieee_underflow 0
		.amdhsa_exception_fp_ieee_inexact 0
		.amdhsa_exception_int_div_zero 0
	.end_amdhsa_kernel
	.section	.text._ZN7rocprim17ROCPRIM_400000_NS6detail17trampoline_kernelINS0_14default_configENS1_38merge_sort_block_merge_config_selectorIfNS0_10empty_typeEEEZZNS1_27merge_sort_block_merge_implIS3_N6thrust23THRUST_200600_302600_NS6detail15normal_iteratorINS9_10device_ptrIfEEEEPS5_jNS1_19radix_merge_compareILb0ELb0EfNS0_19identity_decomposerEEEEE10hipError_tT0_T1_T2_jT3_P12ihipStream_tbPNSt15iterator_traitsISK_E10value_typeEPNSQ_ISL_E10value_typeEPSM_NS1_7vsmem_tEENKUlT_SK_SL_SM_E_clISE_PfSF_SF_EESJ_SZ_SK_SL_SM_EUlSZ_E0_NS1_11comp_targetILNS1_3genE3ELNS1_11target_archE908ELNS1_3gpuE7ELNS1_3repE0EEENS1_38merge_mergepath_config_static_selectorELNS0_4arch9wavefront6targetE1EEEvSL_,"axG",@progbits,_ZN7rocprim17ROCPRIM_400000_NS6detail17trampoline_kernelINS0_14default_configENS1_38merge_sort_block_merge_config_selectorIfNS0_10empty_typeEEEZZNS1_27merge_sort_block_merge_implIS3_N6thrust23THRUST_200600_302600_NS6detail15normal_iteratorINS9_10device_ptrIfEEEEPS5_jNS1_19radix_merge_compareILb0ELb0EfNS0_19identity_decomposerEEEEE10hipError_tT0_T1_T2_jT3_P12ihipStream_tbPNSt15iterator_traitsISK_E10value_typeEPNSQ_ISL_E10value_typeEPSM_NS1_7vsmem_tEENKUlT_SK_SL_SM_E_clISE_PfSF_SF_EESJ_SZ_SK_SL_SM_EUlSZ_E0_NS1_11comp_targetILNS1_3genE3ELNS1_11target_archE908ELNS1_3gpuE7ELNS1_3repE0EEENS1_38merge_mergepath_config_static_selectorELNS0_4arch9wavefront6targetE1EEEvSL_,comdat
.Lfunc_end511:
	.size	_ZN7rocprim17ROCPRIM_400000_NS6detail17trampoline_kernelINS0_14default_configENS1_38merge_sort_block_merge_config_selectorIfNS0_10empty_typeEEEZZNS1_27merge_sort_block_merge_implIS3_N6thrust23THRUST_200600_302600_NS6detail15normal_iteratorINS9_10device_ptrIfEEEEPS5_jNS1_19radix_merge_compareILb0ELb0EfNS0_19identity_decomposerEEEEE10hipError_tT0_T1_T2_jT3_P12ihipStream_tbPNSt15iterator_traitsISK_E10value_typeEPNSQ_ISL_E10value_typeEPSM_NS1_7vsmem_tEENKUlT_SK_SL_SM_E_clISE_PfSF_SF_EESJ_SZ_SK_SL_SM_EUlSZ_E0_NS1_11comp_targetILNS1_3genE3ELNS1_11target_archE908ELNS1_3gpuE7ELNS1_3repE0EEENS1_38merge_mergepath_config_static_selectorELNS0_4arch9wavefront6targetE1EEEvSL_, .Lfunc_end511-_ZN7rocprim17ROCPRIM_400000_NS6detail17trampoline_kernelINS0_14default_configENS1_38merge_sort_block_merge_config_selectorIfNS0_10empty_typeEEEZZNS1_27merge_sort_block_merge_implIS3_N6thrust23THRUST_200600_302600_NS6detail15normal_iteratorINS9_10device_ptrIfEEEEPS5_jNS1_19radix_merge_compareILb0ELb0EfNS0_19identity_decomposerEEEEE10hipError_tT0_T1_T2_jT3_P12ihipStream_tbPNSt15iterator_traitsISK_E10value_typeEPNSQ_ISL_E10value_typeEPSM_NS1_7vsmem_tEENKUlT_SK_SL_SM_E_clISE_PfSF_SF_EESJ_SZ_SK_SL_SM_EUlSZ_E0_NS1_11comp_targetILNS1_3genE3ELNS1_11target_archE908ELNS1_3gpuE7ELNS1_3repE0EEENS1_38merge_mergepath_config_static_selectorELNS0_4arch9wavefront6targetE1EEEvSL_
                                        ; -- End function
	.set _ZN7rocprim17ROCPRIM_400000_NS6detail17trampoline_kernelINS0_14default_configENS1_38merge_sort_block_merge_config_selectorIfNS0_10empty_typeEEEZZNS1_27merge_sort_block_merge_implIS3_N6thrust23THRUST_200600_302600_NS6detail15normal_iteratorINS9_10device_ptrIfEEEEPS5_jNS1_19radix_merge_compareILb0ELb0EfNS0_19identity_decomposerEEEEE10hipError_tT0_T1_T2_jT3_P12ihipStream_tbPNSt15iterator_traitsISK_E10value_typeEPNSQ_ISL_E10value_typeEPSM_NS1_7vsmem_tEENKUlT_SK_SL_SM_E_clISE_PfSF_SF_EESJ_SZ_SK_SL_SM_EUlSZ_E0_NS1_11comp_targetILNS1_3genE3ELNS1_11target_archE908ELNS1_3gpuE7ELNS1_3repE0EEENS1_38merge_mergepath_config_static_selectorELNS0_4arch9wavefront6targetE1EEEvSL_.num_vgpr, 0
	.set _ZN7rocprim17ROCPRIM_400000_NS6detail17trampoline_kernelINS0_14default_configENS1_38merge_sort_block_merge_config_selectorIfNS0_10empty_typeEEEZZNS1_27merge_sort_block_merge_implIS3_N6thrust23THRUST_200600_302600_NS6detail15normal_iteratorINS9_10device_ptrIfEEEEPS5_jNS1_19radix_merge_compareILb0ELb0EfNS0_19identity_decomposerEEEEE10hipError_tT0_T1_T2_jT3_P12ihipStream_tbPNSt15iterator_traitsISK_E10value_typeEPNSQ_ISL_E10value_typeEPSM_NS1_7vsmem_tEENKUlT_SK_SL_SM_E_clISE_PfSF_SF_EESJ_SZ_SK_SL_SM_EUlSZ_E0_NS1_11comp_targetILNS1_3genE3ELNS1_11target_archE908ELNS1_3gpuE7ELNS1_3repE0EEENS1_38merge_mergepath_config_static_selectorELNS0_4arch9wavefront6targetE1EEEvSL_.num_agpr, 0
	.set _ZN7rocprim17ROCPRIM_400000_NS6detail17trampoline_kernelINS0_14default_configENS1_38merge_sort_block_merge_config_selectorIfNS0_10empty_typeEEEZZNS1_27merge_sort_block_merge_implIS3_N6thrust23THRUST_200600_302600_NS6detail15normal_iteratorINS9_10device_ptrIfEEEEPS5_jNS1_19radix_merge_compareILb0ELb0EfNS0_19identity_decomposerEEEEE10hipError_tT0_T1_T2_jT3_P12ihipStream_tbPNSt15iterator_traitsISK_E10value_typeEPNSQ_ISL_E10value_typeEPSM_NS1_7vsmem_tEENKUlT_SK_SL_SM_E_clISE_PfSF_SF_EESJ_SZ_SK_SL_SM_EUlSZ_E0_NS1_11comp_targetILNS1_3genE3ELNS1_11target_archE908ELNS1_3gpuE7ELNS1_3repE0EEENS1_38merge_mergepath_config_static_selectorELNS0_4arch9wavefront6targetE1EEEvSL_.numbered_sgpr, 0
	.set _ZN7rocprim17ROCPRIM_400000_NS6detail17trampoline_kernelINS0_14default_configENS1_38merge_sort_block_merge_config_selectorIfNS0_10empty_typeEEEZZNS1_27merge_sort_block_merge_implIS3_N6thrust23THRUST_200600_302600_NS6detail15normal_iteratorINS9_10device_ptrIfEEEEPS5_jNS1_19radix_merge_compareILb0ELb0EfNS0_19identity_decomposerEEEEE10hipError_tT0_T1_T2_jT3_P12ihipStream_tbPNSt15iterator_traitsISK_E10value_typeEPNSQ_ISL_E10value_typeEPSM_NS1_7vsmem_tEENKUlT_SK_SL_SM_E_clISE_PfSF_SF_EESJ_SZ_SK_SL_SM_EUlSZ_E0_NS1_11comp_targetILNS1_3genE3ELNS1_11target_archE908ELNS1_3gpuE7ELNS1_3repE0EEENS1_38merge_mergepath_config_static_selectorELNS0_4arch9wavefront6targetE1EEEvSL_.num_named_barrier, 0
	.set _ZN7rocprim17ROCPRIM_400000_NS6detail17trampoline_kernelINS0_14default_configENS1_38merge_sort_block_merge_config_selectorIfNS0_10empty_typeEEEZZNS1_27merge_sort_block_merge_implIS3_N6thrust23THRUST_200600_302600_NS6detail15normal_iteratorINS9_10device_ptrIfEEEEPS5_jNS1_19radix_merge_compareILb0ELb0EfNS0_19identity_decomposerEEEEE10hipError_tT0_T1_T2_jT3_P12ihipStream_tbPNSt15iterator_traitsISK_E10value_typeEPNSQ_ISL_E10value_typeEPSM_NS1_7vsmem_tEENKUlT_SK_SL_SM_E_clISE_PfSF_SF_EESJ_SZ_SK_SL_SM_EUlSZ_E0_NS1_11comp_targetILNS1_3genE3ELNS1_11target_archE908ELNS1_3gpuE7ELNS1_3repE0EEENS1_38merge_mergepath_config_static_selectorELNS0_4arch9wavefront6targetE1EEEvSL_.private_seg_size, 0
	.set _ZN7rocprim17ROCPRIM_400000_NS6detail17trampoline_kernelINS0_14default_configENS1_38merge_sort_block_merge_config_selectorIfNS0_10empty_typeEEEZZNS1_27merge_sort_block_merge_implIS3_N6thrust23THRUST_200600_302600_NS6detail15normal_iteratorINS9_10device_ptrIfEEEEPS5_jNS1_19radix_merge_compareILb0ELb0EfNS0_19identity_decomposerEEEEE10hipError_tT0_T1_T2_jT3_P12ihipStream_tbPNSt15iterator_traitsISK_E10value_typeEPNSQ_ISL_E10value_typeEPSM_NS1_7vsmem_tEENKUlT_SK_SL_SM_E_clISE_PfSF_SF_EESJ_SZ_SK_SL_SM_EUlSZ_E0_NS1_11comp_targetILNS1_3genE3ELNS1_11target_archE908ELNS1_3gpuE7ELNS1_3repE0EEENS1_38merge_mergepath_config_static_selectorELNS0_4arch9wavefront6targetE1EEEvSL_.uses_vcc, 0
	.set _ZN7rocprim17ROCPRIM_400000_NS6detail17trampoline_kernelINS0_14default_configENS1_38merge_sort_block_merge_config_selectorIfNS0_10empty_typeEEEZZNS1_27merge_sort_block_merge_implIS3_N6thrust23THRUST_200600_302600_NS6detail15normal_iteratorINS9_10device_ptrIfEEEEPS5_jNS1_19radix_merge_compareILb0ELb0EfNS0_19identity_decomposerEEEEE10hipError_tT0_T1_T2_jT3_P12ihipStream_tbPNSt15iterator_traitsISK_E10value_typeEPNSQ_ISL_E10value_typeEPSM_NS1_7vsmem_tEENKUlT_SK_SL_SM_E_clISE_PfSF_SF_EESJ_SZ_SK_SL_SM_EUlSZ_E0_NS1_11comp_targetILNS1_3genE3ELNS1_11target_archE908ELNS1_3gpuE7ELNS1_3repE0EEENS1_38merge_mergepath_config_static_selectorELNS0_4arch9wavefront6targetE1EEEvSL_.uses_flat_scratch, 0
	.set _ZN7rocprim17ROCPRIM_400000_NS6detail17trampoline_kernelINS0_14default_configENS1_38merge_sort_block_merge_config_selectorIfNS0_10empty_typeEEEZZNS1_27merge_sort_block_merge_implIS3_N6thrust23THRUST_200600_302600_NS6detail15normal_iteratorINS9_10device_ptrIfEEEEPS5_jNS1_19radix_merge_compareILb0ELb0EfNS0_19identity_decomposerEEEEE10hipError_tT0_T1_T2_jT3_P12ihipStream_tbPNSt15iterator_traitsISK_E10value_typeEPNSQ_ISL_E10value_typeEPSM_NS1_7vsmem_tEENKUlT_SK_SL_SM_E_clISE_PfSF_SF_EESJ_SZ_SK_SL_SM_EUlSZ_E0_NS1_11comp_targetILNS1_3genE3ELNS1_11target_archE908ELNS1_3gpuE7ELNS1_3repE0EEENS1_38merge_mergepath_config_static_selectorELNS0_4arch9wavefront6targetE1EEEvSL_.has_dyn_sized_stack, 0
	.set _ZN7rocprim17ROCPRIM_400000_NS6detail17trampoline_kernelINS0_14default_configENS1_38merge_sort_block_merge_config_selectorIfNS0_10empty_typeEEEZZNS1_27merge_sort_block_merge_implIS3_N6thrust23THRUST_200600_302600_NS6detail15normal_iteratorINS9_10device_ptrIfEEEEPS5_jNS1_19radix_merge_compareILb0ELb0EfNS0_19identity_decomposerEEEEE10hipError_tT0_T1_T2_jT3_P12ihipStream_tbPNSt15iterator_traitsISK_E10value_typeEPNSQ_ISL_E10value_typeEPSM_NS1_7vsmem_tEENKUlT_SK_SL_SM_E_clISE_PfSF_SF_EESJ_SZ_SK_SL_SM_EUlSZ_E0_NS1_11comp_targetILNS1_3genE3ELNS1_11target_archE908ELNS1_3gpuE7ELNS1_3repE0EEENS1_38merge_mergepath_config_static_selectorELNS0_4arch9wavefront6targetE1EEEvSL_.has_recursion, 0
	.set _ZN7rocprim17ROCPRIM_400000_NS6detail17trampoline_kernelINS0_14default_configENS1_38merge_sort_block_merge_config_selectorIfNS0_10empty_typeEEEZZNS1_27merge_sort_block_merge_implIS3_N6thrust23THRUST_200600_302600_NS6detail15normal_iteratorINS9_10device_ptrIfEEEEPS5_jNS1_19radix_merge_compareILb0ELb0EfNS0_19identity_decomposerEEEEE10hipError_tT0_T1_T2_jT3_P12ihipStream_tbPNSt15iterator_traitsISK_E10value_typeEPNSQ_ISL_E10value_typeEPSM_NS1_7vsmem_tEENKUlT_SK_SL_SM_E_clISE_PfSF_SF_EESJ_SZ_SK_SL_SM_EUlSZ_E0_NS1_11comp_targetILNS1_3genE3ELNS1_11target_archE908ELNS1_3gpuE7ELNS1_3repE0EEENS1_38merge_mergepath_config_static_selectorELNS0_4arch9wavefront6targetE1EEEvSL_.has_indirect_call, 0
	.section	.AMDGPU.csdata,"",@progbits
; Kernel info:
; codeLenInByte = 0
; TotalNumSgprs: 6
; NumVgprs: 0
; NumAgprs: 0
; TotalNumVgprs: 0
; ScratchSize: 0
; MemoryBound: 0
; FloatMode: 240
; IeeeMode: 1
; LDSByteSize: 0 bytes/workgroup (compile time only)
; SGPRBlocks: 0
; VGPRBlocks: 0
; NumSGPRsForWavesPerEU: 6
; NumVGPRsForWavesPerEU: 1
; AccumOffset: 4
; Occupancy: 8
; WaveLimiterHint : 0
; COMPUTE_PGM_RSRC2:SCRATCH_EN: 0
; COMPUTE_PGM_RSRC2:USER_SGPR: 2
; COMPUTE_PGM_RSRC2:TRAP_HANDLER: 0
; COMPUTE_PGM_RSRC2:TGID_X_EN: 1
; COMPUTE_PGM_RSRC2:TGID_Y_EN: 0
; COMPUTE_PGM_RSRC2:TGID_Z_EN: 0
; COMPUTE_PGM_RSRC2:TIDIG_COMP_CNT: 0
; COMPUTE_PGM_RSRC3_GFX90A:ACCUM_OFFSET: 0
; COMPUTE_PGM_RSRC3_GFX90A:TG_SPLIT: 0
	.section	.text._ZN7rocprim17ROCPRIM_400000_NS6detail17trampoline_kernelINS0_14default_configENS1_38merge_sort_block_merge_config_selectorIfNS0_10empty_typeEEEZZNS1_27merge_sort_block_merge_implIS3_N6thrust23THRUST_200600_302600_NS6detail15normal_iteratorINS9_10device_ptrIfEEEEPS5_jNS1_19radix_merge_compareILb0ELb0EfNS0_19identity_decomposerEEEEE10hipError_tT0_T1_T2_jT3_P12ihipStream_tbPNSt15iterator_traitsISK_E10value_typeEPNSQ_ISL_E10value_typeEPSM_NS1_7vsmem_tEENKUlT_SK_SL_SM_E_clISE_PfSF_SF_EESJ_SZ_SK_SL_SM_EUlSZ_E0_NS1_11comp_targetILNS1_3genE2ELNS1_11target_archE906ELNS1_3gpuE6ELNS1_3repE0EEENS1_38merge_mergepath_config_static_selectorELNS0_4arch9wavefront6targetE1EEEvSL_,"axG",@progbits,_ZN7rocprim17ROCPRIM_400000_NS6detail17trampoline_kernelINS0_14default_configENS1_38merge_sort_block_merge_config_selectorIfNS0_10empty_typeEEEZZNS1_27merge_sort_block_merge_implIS3_N6thrust23THRUST_200600_302600_NS6detail15normal_iteratorINS9_10device_ptrIfEEEEPS5_jNS1_19radix_merge_compareILb0ELb0EfNS0_19identity_decomposerEEEEE10hipError_tT0_T1_T2_jT3_P12ihipStream_tbPNSt15iterator_traitsISK_E10value_typeEPNSQ_ISL_E10value_typeEPSM_NS1_7vsmem_tEENKUlT_SK_SL_SM_E_clISE_PfSF_SF_EESJ_SZ_SK_SL_SM_EUlSZ_E0_NS1_11comp_targetILNS1_3genE2ELNS1_11target_archE906ELNS1_3gpuE6ELNS1_3repE0EEENS1_38merge_mergepath_config_static_selectorELNS0_4arch9wavefront6targetE1EEEvSL_,comdat
	.protected	_ZN7rocprim17ROCPRIM_400000_NS6detail17trampoline_kernelINS0_14default_configENS1_38merge_sort_block_merge_config_selectorIfNS0_10empty_typeEEEZZNS1_27merge_sort_block_merge_implIS3_N6thrust23THRUST_200600_302600_NS6detail15normal_iteratorINS9_10device_ptrIfEEEEPS5_jNS1_19radix_merge_compareILb0ELb0EfNS0_19identity_decomposerEEEEE10hipError_tT0_T1_T2_jT3_P12ihipStream_tbPNSt15iterator_traitsISK_E10value_typeEPNSQ_ISL_E10value_typeEPSM_NS1_7vsmem_tEENKUlT_SK_SL_SM_E_clISE_PfSF_SF_EESJ_SZ_SK_SL_SM_EUlSZ_E0_NS1_11comp_targetILNS1_3genE2ELNS1_11target_archE906ELNS1_3gpuE6ELNS1_3repE0EEENS1_38merge_mergepath_config_static_selectorELNS0_4arch9wavefront6targetE1EEEvSL_ ; -- Begin function _ZN7rocprim17ROCPRIM_400000_NS6detail17trampoline_kernelINS0_14default_configENS1_38merge_sort_block_merge_config_selectorIfNS0_10empty_typeEEEZZNS1_27merge_sort_block_merge_implIS3_N6thrust23THRUST_200600_302600_NS6detail15normal_iteratorINS9_10device_ptrIfEEEEPS5_jNS1_19radix_merge_compareILb0ELb0EfNS0_19identity_decomposerEEEEE10hipError_tT0_T1_T2_jT3_P12ihipStream_tbPNSt15iterator_traitsISK_E10value_typeEPNSQ_ISL_E10value_typeEPSM_NS1_7vsmem_tEENKUlT_SK_SL_SM_E_clISE_PfSF_SF_EESJ_SZ_SK_SL_SM_EUlSZ_E0_NS1_11comp_targetILNS1_3genE2ELNS1_11target_archE906ELNS1_3gpuE6ELNS1_3repE0EEENS1_38merge_mergepath_config_static_selectorELNS0_4arch9wavefront6targetE1EEEvSL_
	.globl	_ZN7rocprim17ROCPRIM_400000_NS6detail17trampoline_kernelINS0_14default_configENS1_38merge_sort_block_merge_config_selectorIfNS0_10empty_typeEEEZZNS1_27merge_sort_block_merge_implIS3_N6thrust23THRUST_200600_302600_NS6detail15normal_iteratorINS9_10device_ptrIfEEEEPS5_jNS1_19radix_merge_compareILb0ELb0EfNS0_19identity_decomposerEEEEE10hipError_tT0_T1_T2_jT3_P12ihipStream_tbPNSt15iterator_traitsISK_E10value_typeEPNSQ_ISL_E10value_typeEPSM_NS1_7vsmem_tEENKUlT_SK_SL_SM_E_clISE_PfSF_SF_EESJ_SZ_SK_SL_SM_EUlSZ_E0_NS1_11comp_targetILNS1_3genE2ELNS1_11target_archE906ELNS1_3gpuE6ELNS1_3repE0EEENS1_38merge_mergepath_config_static_selectorELNS0_4arch9wavefront6targetE1EEEvSL_
	.p2align	8
	.type	_ZN7rocprim17ROCPRIM_400000_NS6detail17trampoline_kernelINS0_14default_configENS1_38merge_sort_block_merge_config_selectorIfNS0_10empty_typeEEEZZNS1_27merge_sort_block_merge_implIS3_N6thrust23THRUST_200600_302600_NS6detail15normal_iteratorINS9_10device_ptrIfEEEEPS5_jNS1_19radix_merge_compareILb0ELb0EfNS0_19identity_decomposerEEEEE10hipError_tT0_T1_T2_jT3_P12ihipStream_tbPNSt15iterator_traitsISK_E10value_typeEPNSQ_ISL_E10value_typeEPSM_NS1_7vsmem_tEENKUlT_SK_SL_SM_E_clISE_PfSF_SF_EESJ_SZ_SK_SL_SM_EUlSZ_E0_NS1_11comp_targetILNS1_3genE2ELNS1_11target_archE906ELNS1_3gpuE6ELNS1_3repE0EEENS1_38merge_mergepath_config_static_selectorELNS0_4arch9wavefront6targetE1EEEvSL_,@function
_ZN7rocprim17ROCPRIM_400000_NS6detail17trampoline_kernelINS0_14default_configENS1_38merge_sort_block_merge_config_selectorIfNS0_10empty_typeEEEZZNS1_27merge_sort_block_merge_implIS3_N6thrust23THRUST_200600_302600_NS6detail15normal_iteratorINS9_10device_ptrIfEEEEPS5_jNS1_19radix_merge_compareILb0ELb0EfNS0_19identity_decomposerEEEEE10hipError_tT0_T1_T2_jT3_P12ihipStream_tbPNSt15iterator_traitsISK_E10value_typeEPNSQ_ISL_E10value_typeEPSM_NS1_7vsmem_tEENKUlT_SK_SL_SM_E_clISE_PfSF_SF_EESJ_SZ_SK_SL_SM_EUlSZ_E0_NS1_11comp_targetILNS1_3genE2ELNS1_11target_archE906ELNS1_3gpuE6ELNS1_3repE0EEENS1_38merge_mergepath_config_static_selectorELNS0_4arch9wavefront6targetE1EEEvSL_: ; @_ZN7rocprim17ROCPRIM_400000_NS6detail17trampoline_kernelINS0_14default_configENS1_38merge_sort_block_merge_config_selectorIfNS0_10empty_typeEEEZZNS1_27merge_sort_block_merge_implIS3_N6thrust23THRUST_200600_302600_NS6detail15normal_iteratorINS9_10device_ptrIfEEEEPS5_jNS1_19radix_merge_compareILb0ELb0EfNS0_19identity_decomposerEEEEE10hipError_tT0_T1_T2_jT3_P12ihipStream_tbPNSt15iterator_traitsISK_E10value_typeEPNSQ_ISL_E10value_typeEPSM_NS1_7vsmem_tEENKUlT_SK_SL_SM_E_clISE_PfSF_SF_EESJ_SZ_SK_SL_SM_EUlSZ_E0_NS1_11comp_targetILNS1_3genE2ELNS1_11target_archE906ELNS1_3gpuE6ELNS1_3repE0EEENS1_38merge_mergepath_config_static_selectorELNS0_4arch9wavefront6targetE1EEEvSL_
; %bb.0:
	.section	.rodata,"a",@progbits
	.p2align	6, 0x0
	.amdhsa_kernel _ZN7rocprim17ROCPRIM_400000_NS6detail17trampoline_kernelINS0_14default_configENS1_38merge_sort_block_merge_config_selectorIfNS0_10empty_typeEEEZZNS1_27merge_sort_block_merge_implIS3_N6thrust23THRUST_200600_302600_NS6detail15normal_iteratorINS9_10device_ptrIfEEEEPS5_jNS1_19radix_merge_compareILb0ELb0EfNS0_19identity_decomposerEEEEE10hipError_tT0_T1_T2_jT3_P12ihipStream_tbPNSt15iterator_traitsISK_E10value_typeEPNSQ_ISL_E10value_typeEPSM_NS1_7vsmem_tEENKUlT_SK_SL_SM_E_clISE_PfSF_SF_EESJ_SZ_SK_SL_SM_EUlSZ_E0_NS1_11comp_targetILNS1_3genE2ELNS1_11target_archE906ELNS1_3gpuE6ELNS1_3repE0EEENS1_38merge_mergepath_config_static_selectorELNS0_4arch9wavefront6targetE1EEEvSL_
		.amdhsa_group_segment_fixed_size 0
		.amdhsa_private_segment_fixed_size 0
		.amdhsa_kernarg_size 64
		.amdhsa_user_sgpr_count 2
		.amdhsa_user_sgpr_dispatch_ptr 0
		.amdhsa_user_sgpr_queue_ptr 0
		.amdhsa_user_sgpr_kernarg_segment_ptr 1
		.amdhsa_user_sgpr_dispatch_id 0
		.amdhsa_user_sgpr_kernarg_preload_length 0
		.amdhsa_user_sgpr_kernarg_preload_offset 0
		.amdhsa_user_sgpr_private_segment_size 0
		.amdhsa_uses_dynamic_stack 0
		.amdhsa_enable_private_segment 0
		.amdhsa_system_sgpr_workgroup_id_x 1
		.amdhsa_system_sgpr_workgroup_id_y 0
		.amdhsa_system_sgpr_workgroup_id_z 0
		.amdhsa_system_sgpr_workgroup_info 0
		.amdhsa_system_vgpr_workitem_id 0
		.amdhsa_next_free_vgpr 1
		.amdhsa_next_free_sgpr 0
		.amdhsa_accum_offset 4
		.amdhsa_reserve_vcc 0
		.amdhsa_float_round_mode_32 0
		.amdhsa_float_round_mode_16_64 0
		.amdhsa_float_denorm_mode_32 3
		.amdhsa_float_denorm_mode_16_64 3
		.amdhsa_dx10_clamp 1
		.amdhsa_ieee_mode 1
		.amdhsa_fp16_overflow 0
		.amdhsa_tg_split 0
		.amdhsa_exception_fp_ieee_invalid_op 0
		.amdhsa_exception_fp_denorm_src 0
		.amdhsa_exception_fp_ieee_div_zero 0
		.amdhsa_exception_fp_ieee_overflow 0
		.amdhsa_exception_fp_ieee_underflow 0
		.amdhsa_exception_fp_ieee_inexact 0
		.amdhsa_exception_int_div_zero 0
	.end_amdhsa_kernel
	.section	.text._ZN7rocprim17ROCPRIM_400000_NS6detail17trampoline_kernelINS0_14default_configENS1_38merge_sort_block_merge_config_selectorIfNS0_10empty_typeEEEZZNS1_27merge_sort_block_merge_implIS3_N6thrust23THRUST_200600_302600_NS6detail15normal_iteratorINS9_10device_ptrIfEEEEPS5_jNS1_19radix_merge_compareILb0ELb0EfNS0_19identity_decomposerEEEEE10hipError_tT0_T1_T2_jT3_P12ihipStream_tbPNSt15iterator_traitsISK_E10value_typeEPNSQ_ISL_E10value_typeEPSM_NS1_7vsmem_tEENKUlT_SK_SL_SM_E_clISE_PfSF_SF_EESJ_SZ_SK_SL_SM_EUlSZ_E0_NS1_11comp_targetILNS1_3genE2ELNS1_11target_archE906ELNS1_3gpuE6ELNS1_3repE0EEENS1_38merge_mergepath_config_static_selectorELNS0_4arch9wavefront6targetE1EEEvSL_,"axG",@progbits,_ZN7rocprim17ROCPRIM_400000_NS6detail17trampoline_kernelINS0_14default_configENS1_38merge_sort_block_merge_config_selectorIfNS0_10empty_typeEEEZZNS1_27merge_sort_block_merge_implIS3_N6thrust23THRUST_200600_302600_NS6detail15normal_iteratorINS9_10device_ptrIfEEEEPS5_jNS1_19radix_merge_compareILb0ELb0EfNS0_19identity_decomposerEEEEE10hipError_tT0_T1_T2_jT3_P12ihipStream_tbPNSt15iterator_traitsISK_E10value_typeEPNSQ_ISL_E10value_typeEPSM_NS1_7vsmem_tEENKUlT_SK_SL_SM_E_clISE_PfSF_SF_EESJ_SZ_SK_SL_SM_EUlSZ_E0_NS1_11comp_targetILNS1_3genE2ELNS1_11target_archE906ELNS1_3gpuE6ELNS1_3repE0EEENS1_38merge_mergepath_config_static_selectorELNS0_4arch9wavefront6targetE1EEEvSL_,comdat
.Lfunc_end512:
	.size	_ZN7rocprim17ROCPRIM_400000_NS6detail17trampoline_kernelINS0_14default_configENS1_38merge_sort_block_merge_config_selectorIfNS0_10empty_typeEEEZZNS1_27merge_sort_block_merge_implIS3_N6thrust23THRUST_200600_302600_NS6detail15normal_iteratorINS9_10device_ptrIfEEEEPS5_jNS1_19radix_merge_compareILb0ELb0EfNS0_19identity_decomposerEEEEE10hipError_tT0_T1_T2_jT3_P12ihipStream_tbPNSt15iterator_traitsISK_E10value_typeEPNSQ_ISL_E10value_typeEPSM_NS1_7vsmem_tEENKUlT_SK_SL_SM_E_clISE_PfSF_SF_EESJ_SZ_SK_SL_SM_EUlSZ_E0_NS1_11comp_targetILNS1_3genE2ELNS1_11target_archE906ELNS1_3gpuE6ELNS1_3repE0EEENS1_38merge_mergepath_config_static_selectorELNS0_4arch9wavefront6targetE1EEEvSL_, .Lfunc_end512-_ZN7rocprim17ROCPRIM_400000_NS6detail17trampoline_kernelINS0_14default_configENS1_38merge_sort_block_merge_config_selectorIfNS0_10empty_typeEEEZZNS1_27merge_sort_block_merge_implIS3_N6thrust23THRUST_200600_302600_NS6detail15normal_iteratorINS9_10device_ptrIfEEEEPS5_jNS1_19radix_merge_compareILb0ELb0EfNS0_19identity_decomposerEEEEE10hipError_tT0_T1_T2_jT3_P12ihipStream_tbPNSt15iterator_traitsISK_E10value_typeEPNSQ_ISL_E10value_typeEPSM_NS1_7vsmem_tEENKUlT_SK_SL_SM_E_clISE_PfSF_SF_EESJ_SZ_SK_SL_SM_EUlSZ_E0_NS1_11comp_targetILNS1_3genE2ELNS1_11target_archE906ELNS1_3gpuE6ELNS1_3repE0EEENS1_38merge_mergepath_config_static_selectorELNS0_4arch9wavefront6targetE1EEEvSL_
                                        ; -- End function
	.set _ZN7rocprim17ROCPRIM_400000_NS6detail17trampoline_kernelINS0_14default_configENS1_38merge_sort_block_merge_config_selectorIfNS0_10empty_typeEEEZZNS1_27merge_sort_block_merge_implIS3_N6thrust23THRUST_200600_302600_NS6detail15normal_iteratorINS9_10device_ptrIfEEEEPS5_jNS1_19radix_merge_compareILb0ELb0EfNS0_19identity_decomposerEEEEE10hipError_tT0_T1_T2_jT3_P12ihipStream_tbPNSt15iterator_traitsISK_E10value_typeEPNSQ_ISL_E10value_typeEPSM_NS1_7vsmem_tEENKUlT_SK_SL_SM_E_clISE_PfSF_SF_EESJ_SZ_SK_SL_SM_EUlSZ_E0_NS1_11comp_targetILNS1_3genE2ELNS1_11target_archE906ELNS1_3gpuE6ELNS1_3repE0EEENS1_38merge_mergepath_config_static_selectorELNS0_4arch9wavefront6targetE1EEEvSL_.num_vgpr, 0
	.set _ZN7rocprim17ROCPRIM_400000_NS6detail17trampoline_kernelINS0_14default_configENS1_38merge_sort_block_merge_config_selectorIfNS0_10empty_typeEEEZZNS1_27merge_sort_block_merge_implIS3_N6thrust23THRUST_200600_302600_NS6detail15normal_iteratorINS9_10device_ptrIfEEEEPS5_jNS1_19radix_merge_compareILb0ELb0EfNS0_19identity_decomposerEEEEE10hipError_tT0_T1_T2_jT3_P12ihipStream_tbPNSt15iterator_traitsISK_E10value_typeEPNSQ_ISL_E10value_typeEPSM_NS1_7vsmem_tEENKUlT_SK_SL_SM_E_clISE_PfSF_SF_EESJ_SZ_SK_SL_SM_EUlSZ_E0_NS1_11comp_targetILNS1_3genE2ELNS1_11target_archE906ELNS1_3gpuE6ELNS1_3repE0EEENS1_38merge_mergepath_config_static_selectorELNS0_4arch9wavefront6targetE1EEEvSL_.num_agpr, 0
	.set _ZN7rocprim17ROCPRIM_400000_NS6detail17trampoline_kernelINS0_14default_configENS1_38merge_sort_block_merge_config_selectorIfNS0_10empty_typeEEEZZNS1_27merge_sort_block_merge_implIS3_N6thrust23THRUST_200600_302600_NS6detail15normal_iteratorINS9_10device_ptrIfEEEEPS5_jNS1_19radix_merge_compareILb0ELb0EfNS0_19identity_decomposerEEEEE10hipError_tT0_T1_T2_jT3_P12ihipStream_tbPNSt15iterator_traitsISK_E10value_typeEPNSQ_ISL_E10value_typeEPSM_NS1_7vsmem_tEENKUlT_SK_SL_SM_E_clISE_PfSF_SF_EESJ_SZ_SK_SL_SM_EUlSZ_E0_NS1_11comp_targetILNS1_3genE2ELNS1_11target_archE906ELNS1_3gpuE6ELNS1_3repE0EEENS1_38merge_mergepath_config_static_selectorELNS0_4arch9wavefront6targetE1EEEvSL_.numbered_sgpr, 0
	.set _ZN7rocprim17ROCPRIM_400000_NS6detail17trampoline_kernelINS0_14default_configENS1_38merge_sort_block_merge_config_selectorIfNS0_10empty_typeEEEZZNS1_27merge_sort_block_merge_implIS3_N6thrust23THRUST_200600_302600_NS6detail15normal_iteratorINS9_10device_ptrIfEEEEPS5_jNS1_19radix_merge_compareILb0ELb0EfNS0_19identity_decomposerEEEEE10hipError_tT0_T1_T2_jT3_P12ihipStream_tbPNSt15iterator_traitsISK_E10value_typeEPNSQ_ISL_E10value_typeEPSM_NS1_7vsmem_tEENKUlT_SK_SL_SM_E_clISE_PfSF_SF_EESJ_SZ_SK_SL_SM_EUlSZ_E0_NS1_11comp_targetILNS1_3genE2ELNS1_11target_archE906ELNS1_3gpuE6ELNS1_3repE0EEENS1_38merge_mergepath_config_static_selectorELNS0_4arch9wavefront6targetE1EEEvSL_.num_named_barrier, 0
	.set _ZN7rocprim17ROCPRIM_400000_NS6detail17trampoline_kernelINS0_14default_configENS1_38merge_sort_block_merge_config_selectorIfNS0_10empty_typeEEEZZNS1_27merge_sort_block_merge_implIS3_N6thrust23THRUST_200600_302600_NS6detail15normal_iteratorINS9_10device_ptrIfEEEEPS5_jNS1_19radix_merge_compareILb0ELb0EfNS0_19identity_decomposerEEEEE10hipError_tT0_T1_T2_jT3_P12ihipStream_tbPNSt15iterator_traitsISK_E10value_typeEPNSQ_ISL_E10value_typeEPSM_NS1_7vsmem_tEENKUlT_SK_SL_SM_E_clISE_PfSF_SF_EESJ_SZ_SK_SL_SM_EUlSZ_E0_NS1_11comp_targetILNS1_3genE2ELNS1_11target_archE906ELNS1_3gpuE6ELNS1_3repE0EEENS1_38merge_mergepath_config_static_selectorELNS0_4arch9wavefront6targetE1EEEvSL_.private_seg_size, 0
	.set _ZN7rocprim17ROCPRIM_400000_NS6detail17trampoline_kernelINS0_14default_configENS1_38merge_sort_block_merge_config_selectorIfNS0_10empty_typeEEEZZNS1_27merge_sort_block_merge_implIS3_N6thrust23THRUST_200600_302600_NS6detail15normal_iteratorINS9_10device_ptrIfEEEEPS5_jNS1_19radix_merge_compareILb0ELb0EfNS0_19identity_decomposerEEEEE10hipError_tT0_T1_T2_jT3_P12ihipStream_tbPNSt15iterator_traitsISK_E10value_typeEPNSQ_ISL_E10value_typeEPSM_NS1_7vsmem_tEENKUlT_SK_SL_SM_E_clISE_PfSF_SF_EESJ_SZ_SK_SL_SM_EUlSZ_E0_NS1_11comp_targetILNS1_3genE2ELNS1_11target_archE906ELNS1_3gpuE6ELNS1_3repE0EEENS1_38merge_mergepath_config_static_selectorELNS0_4arch9wavefront6targetE1EEEvSL_.uses_vcc, 0
	.set _ZN7rocprim17ROCPRIM_400000_NS6detail17trampoline_kernelINS0_14default_configENS1_38merge_sort_block_merge_config_selectorIfNS0_10empty_typeEEEZZNS1_27merge_sort_block_merge_implIS3_N6thrust23THRUST_200600_302600_NS6detail15normal_iteratorINS9_10device_ptrIfEEEEPS5_jNS1_19radix_merge_compareILb0ELb0EfNS0_19identity_decomposerEEEEE10hipError_tT0_T1_T2_jT3_P12ihipStream_tbPNSt15iterator_traitsISK_E10value_typeEPNSQ_ISL_E10value_typeEPSM_NS1_7vsmem_tEENKUlT_SK_SL_SM_E_clISE_PfSF_SF_EESJ_SZ_SK_SL_SM_EUlSZ_E0_NS1_11comp_targetILNS1_3genE2ELNS1_11target_archE906ELNS1_3gpuE6ELNS1_3repE0EEENS1_38merge_mergepath_config_static_selectorELNS0_4arch9wavefront6targetE1EEEvSL_.uses_flat_scratch, 0
	.set _ZN7rocprim17ROCPRIM_400000_NS6detail17trampoline_kernelINS0_14default_configENS1_38merge_sort_block_merge_config_selectorIfNS0_10empty_typeEEEZZNS1_27merge_sort_block_merge_implIS3_N6thrust23THRUST_200600_302600_NS6detail15normal_iteratorINS9_10device_ptrIfEEEEPS5_jNS1_19radix_merge_compareILb0ELb0EfNS0_19identity_decomposerEEEEE10hipError_tT0_T1_T2_jT3_P12ihipStream_tbPNSt15iterator_traitsISK_E10value_typeEPNSQ_ISL_E10value_typeEPSM_NS1_7vsmem_tEENKUlT_SK_SL_SM_E_clISE_PfSF_SF_EESJ_SZ_SK_SL_SM_EUlSZ_E0_NS1_11comp_targetILNS1_3genE2ELNS1_11target_archE906ELNS1_3gpuE6ELNS1_3repE0EEENS1_38merge_mergepath_config_static_selectorELNS0_4arch9wavefront6targetE1EEEvSL_.has_dyn_sized_stack, 0
	.set _ZN7rocprim17ROCPRIM_400000_NS6detail17trampoline_kernelINS0_14default_configENS1_38merge_sort_block_merge_config_selectorIfNS0_10empty_typeEEEZZNS1_27merge_sort_block_merge_implIS3_N6thrust23THRUST_200600_302600_NS6detail15normal_iteratorINS9_10device_ptrIfEEEEPS5_jNS1_19radix_merge_compareILb0ELb0EfNS0_19identity_decomposerEEEEE10hipError_tT0_T1_T2_jT3_P12ihipStream_tbPNSt15iterator_traitsISK_E10value_typeEPNSQ_ISL_E10value_typeEPSM_NS1_7vsmem_tEENKUlT_SK_SL_SM_E_clISE_PfSF_SF_EESJ_SZ_SK_SL_SM_EUlSZ_E0_NS1_11comp_targetILNS1_3genE2ELNS1_11target_archE906ELNS1_3gpuE6ELNS1_3repE0EEENS1_38merge_mergepath_config_static_selectorELNS0_4arch9wavefront6targetE1EEEvSL_.has_recursion, 0
	.set _ZN7rocprim17ROCPRIM_400000_NS6detail17trampoline_kernelINS0_14default_configENS1_38merge_sort_block_merge_config_selectorIfNS0_10empty_typeEEEZZNS1_27merge_sort_block_merge_implIS3_N6thrust23THRUST_200600_302600_NS6detail15normal_iteratorINS9_10device_ptrIfEEEEPS5_jNS1_19radix_merge_compareILb0ELb0EfNS0_19identity_decomposerEEEEE10hipError_tT0_T1_T2_jT3_P12ihipStream_tbPNSt15iterator_traitsISK_E10value_typeEPNSQ_ISL_E10value_typeEPSM_NS1_7vsmem_tEENKUlT_SK_SL_SM_E_clISE_PfSF_SF_EESJ_SZ_SK_SL_SM_EUlSZ_E0_NS1_11comp_targetILNS1_3genE2ELNS1_11target_archE906ELNS1_3gpuE6ELNS1_3repE0EEENS1_38merge_mergepath_config_static_selectorELNS0_4arch9wavefront6targetE1EEEvSL_.has_indirect_call, 0
	.section	.AMDGPU.csdata,"",@progbits
; Kernel info:
; codeLenInByte = 0
; TotalNumSgprs: 6
; NumVgprs: 0
; NumAgprs: 0
; TotalNumVgprs: 0
; ScratchSize: 0
; MemoryBound: 0
; FloatMode: 240
; IeeeMode: 1
; LDSByteSize: 0 bytes/workgroup (compile time only)
; SGPRBlocks: 0
; VGPRBlocks: 0
; NumSGPRsForWavesPerEU: 6
; NumVGPRsForWavesPerEU: 1
; AccumOffset: 4
; Occupancy: 8
; WaveLimiterHint : 0
; COMPUTE_PGM_RSRC2:SCRATCH_EN: 0
; COMPUTE_PGM_RSRC2:USER_SGPR: 2
; COMPUTE_PGM_RSRC2:TRAP_HANDLER: 0
; COMPUTE_PGM_RSRC2:TGID_X_EN: 1
; COMPUTE_PGM_RSRC2:TGID_Y_EN: 0
; COMPUTE_PGM_RSRC2:TGID_Z_EN: 0
; COMPUTE_PGM_RSRC2:TIDIG_COMP_CNT: 0
; COMPUTE_PGM_RSRC3_GFX90A:ACCUM_OFFSET: 0
; COMPUTE_PGM_RSRC3_GFX90A:TG_SPLIT: 0
	.section	.text._ZN7rocprim17ROCPRIM_400000_NS6detail17trampoline_kernelINS0_14default_configENS1_38merge_sort_block_merge_config_selectorIfNS0_10empty_typeEEEZZNS1_27merge_sort_block_merge_implIS3_N6thrust23THRUST_200600_302600_NS6detail15normal_iteratorINS9_10device_ptrIfEEEEPS5_jNS1_19radix_merge_compareILb0ELb0EfNS0_19identity_decomposerEEEEE10hipError_tT0_T1_T2_jT3_P12ihipStream_tbPNSt15iterator_traitsISK_E10value_typeEPNSQ_ISL_E10value_typeEPSM_NS1_7vsmem_tEENKUlT_SK_SL_SM_E_clISE_PfSF_SF_EESJ_SZ_SK_SL_SM_EUlSZ_E0_NS1_11comp_targetILNS1_3genE9ELNS1_11target_archE1100ELNS1_3gpuE3ELNS1_3repE0EEENS1_38merge_mergepath_config_static_selectorELNS0_4arch9wavefront6targetE1EEEvSL_,"axG",@progbits,_ZN7rocprim17ROCPRIM_400000_NS6detail17trampoline_kernelINS0_14default_configENS1_38merge_sort_block_merge_config_selectorIfNS0_10empty_typeEEEZZNS1_27merge_sort_block_merge_implIS3_N6thrust23THRUST_200600_302600_NS6detail15normal_iteratorINS9_10device_ptrIfEEEEPS5_jNS1_19radix_merge_compareILb0ELb0EfNS0_19identity_decomposerEEEEE10hipError_tT0_T1_T2_jT3_P12ihipStream_tbPNSt15iterator_traitsISK_E10value_typeEPNSQ_ISL_E10value_typeEPSM_NS1_7vsmem_tEENKUlT_SK_SL_SM_E_clISE_PfSF_SF_EESJ_SZ_SK_SL_SM_EUlSZ_E0_NS1_11comp_targetILNS1_3genE9ELNS1_11target_archE1100ELNS1_3gpuE3ELNS1_3repE0EEENS1_38merge_mergepath_config_static_selectorELNS0_4arch9wavefront6targetE1EEEvSL_,comdat
	.protected	_ZN7rocprim17ROCPRIM_400000_NS6detail17trampoline_kernelINS0_14default_configENS1_38merge_sort_block_merge_config_selectorIfNS0_10empty_typeEEEZZNS1_27merge_sort_block_merge_implIS3_N6thrust23THRUST_200600_302600_NS6detail15normal_iteratorINS9_10device_ptrIfEEEEPS5_jNS1_19radix_merge_compareILb0ELb0EfNS0_19identity_decomposerEEEEE10hipError_tT0_T1_T2_jT3_P12ihipStream_tbPNSt15iterator_traitsISK_E10value_typeEPNSQ_ISL_E10value_typeEPSM_NS1_7vsmem_tEENKUlT_SK_SL_SM_E_clISE_PfSF_SF_EESJ_SZ_SK_SL_SM_EUlSZ_E0_NS1_11comp_targetILNS1_3genE9ELNS1_11target_archE1100ELNS1_3gpuE3ELNS1_3repE0EEENS1_38merge_mergepath_config_static_selectorELNS0_4arch9wavefront6targetE1EEEvSL_ ; -- Begin function _ZN7rocprim17ROCPRIM_400000_NS6detail17trampoline_kernelINS0_14default_configENS1_38merge_sort_block_merge_config_selectorIfNS0_10empty_typeEEEZZNS1_27merge_sort_block_merge_implIS3_N6thrust23THRUST_200600_302600_NS6detail15normal_iteratorINS9_10device_ptrIfEEEEPS5_jNS1_19radix_merge_compareILb0ELb0EfNS0_19identity_decomposerEEEEE10hipError_tT0_T1_T2_jT3_P12ihipStream_tbPNSt15iterator_traitsISK_E10value_typeEPNSQ_ISL_E10value_typeEPSM_NS1_7vsmem_tEENKUlT_SK_SL_SM_E_clISE_PfSF_SF_EESJ_SZ_SK_SL_SM_EUlSZ_E0_NS1_11comp_targetILNS1_3genE9ELNS1_11target_archE1100ELNS1_3gpuE3ELNS1_3repE0EEENS1_38merge_mergepath_config_static_selectorELNS0_4arch9wavefront6targetE1EEEvSL_
	.globl	_ZN7rocprim17ROCPRIM_400000_NS6detail17trampoline_kernelINS0_14default_configENS1_38merge_sort_block_merge_config_selectorIfNS0_10empty_typeEEEZZNS1_27merge_sort_block_merge_implIS3_N6thrust23THRUST_200600_302600_NS6detail15normal_iteratorINS9_10device_ptrIfEEEEPS5_jNS1_19radix_merge_compareILb0ELb0EfNS0_19identity_decomposerEEEEE10hipError_tT0_T1_T2_jT3_P12ihipStream_tbPNSt15iterator_traitsISK_E10value_typeEPNSQ_ISL_E10value_typeEPSM_NS1_7vsmem_tEENKUlT_SK_SL_SM_E_clISE_PfSF_SF_EESJ_SZ_SK_SL_SM_EUlSZ_E0_NS1_11comp_targetILNS1_3genE9ELNS1_11target_archE1100ELNS1_3gpuE3ELNS1_3repE0EEENS1_38merge_mergepath_config_static_selectorELNS0_4arch9wavefront6targetE1EEEvSL_
	.p2align	8
	.type	_ZN7rocprim17ROCPRIM_400000_NS6detail17trampoline_kernelINS0_14default_configENS1_38merge_sort_block_merge_config_selectorIfNS0_10empty_typeEEEZZNS1_27merge_sort_block_merge_implIS3_N6thrust23THRUST_200600_302600_NS6detail15normal_iteratorINS9_10device_ptrIfEEEEPS5_jNS1_19radix_merge_compareILb0ELb0EfNS0_19identity_decomposerEEEEE10hipError_tT0_T1_T2_jT3_P12ihipStream_tbPNSt15iterator_traitsISK_E10value_typeEPNSQ_ISL_E10value_typeEPSM_NS1_7vsmem_tEENKUlT_SK_SL_SM_E_clISE_PfSF_SF_EESJ_SZ_SK_SL_SM_EUlSZ_E0_NS1_11comp_targetILNS1_3genE9ELNS1_11target_archE1100ELNS1_3gpuE3ELNS1_3repE0EEENS1_38merge_mergepath_config_static_selectorELNS0_4arch9wavefront6targetE1EEEvSL_,@function
_ZN7rocprim17ROCPRIM_400000_NS6detail17trampoline_kernelINS0_14default_configENS1_38merge_sort_block_merge_config_selectorIfNS0_10empty_typeEEEZZNS1_27merge_sort_block_merge_implIS3_N6thrust23THRUST_200600_302600_NS6detail15normal_iteratorINS9_10device_ptrIfEEEEPS5_jNS1_19radix_merge_compareILb0ELb0EfNS0_19identity_decomposerEEEEE10hipError_tT0_T1_T2_jT3_P12ihipStream_tbPNSt15iterator_traitsISK_E10value_typeEPNSQ_ISL_E10value_typeEPSM_NS1_7vsmem_tEENKUlT_SK_SL_SM_E_clISE_PfSF_SF_EESJ_SZ_SK_SL_SM_EUlSZ_E0_NS1_11comp_targetILNS1_3genE9ELNS1_11target_archE1100ELNS1_3gpuE3ELNS1_3repE0EEENS1_38merge_mergepath_config_static_selectorELNS0_4arch9wavefront6targetE1EEEvSL_: ; @_ZN7rocprim17ROCPRIM_400000_NS6detail17trampoline_kernelINS0_14default_configENS1_38merge_sort_block_merge_config_selectorIfNS0_10empty_typeEEEZZNS1_27merge_sort_block_merge_implIS3_N6thrust23THRUST_200600_302600_NS6detail15normal_iteratorINS9_10device_ptrIfEEEEPS5_jNS1_19radix_merge_compareILb0ELb0EfNS0_19identity_decomposerEEEEE10hipError_tT0_T1_T2_jT3_P12ihipStream_tbPNSt15iterator_traitsISK_E10value_typeEPNSQ_ISL_E10value_typeEPSM_NS1_7vsmem_tEENKUlT_SK_SL_SM_E_clISE_PfSF_SF_EESJ_SZ_SK_SL_SM_EUlSZ_E0_NS1_11comp_targetILNS1_3genE9ELNS1_11target_archE1100ELNS1_3gpuE3ELNS1_3repE0EEENS1_38merge_mergepath_config_static_selectorELNS0_4arch9wavefront6targetE1EEEvSL_
; %bb.0:
	.section	.rodata,"a",@progbits
	.p2align	6, 0x0
	.amdhsa_kernel _ZN7rocprim17ROCPRIM_400000_NS6detail17trampoline_kernelINS0_14default_configENS1_38merge_sort_block_merge_config_selectorIfNS0_10empty_typeEEEZZNS1_27merge_sort_block_merge_implIS3_N6thrust23THRUST_200600_302600_NS6detail15normal_iteratorINS9_10device_ptrIfEEEEPS5_jNS1_19radix_merge_compareILb0ELb0EfNS0_19identity_decomposerEEEEE10hipError_tT0_T1_T2_jT3_P12ihipStream_tbPNSt15iterator_traitsISK_E10value_typeEPNSQ_ISL_E10value_typeEPSM_NS1_7vsmem_tEENKUlT_SK_SL_SM_E_clISE_PfSF_SF_EESJ_SZ_SK_SL_SM_EUlSZ_E0_NS1_11comp_targetILNS1_3genE9ELNS1_11target_archE1100ELNS1_3gpuE3ELNS1_3repE0EEENS1_38merge_mergepath_config_static_selectorELNS0_4arch9wavefront6targetE1EEEvSL_
		.amdhsa_group_segment_fixed_size 0
		.amdhsa_private_segment_fixed_size 0
		.amdhsa_kernarg_size 64
		.amdhsa_user_sgpr_count 2
		.amdhsa_user_sgpr_dispatch_ptr 0
		.amdhsa_user_sgpr_queue_ptr 0
		.amdhsa_user_sgpr_kernarg_segment_ptr 1
		.amdhsa_user_sgpr_dispatch_id 0
		.amdhsa_user_sgpr_kernarg_preload_length 0
		.amdhsa_user_sgpr_kernarg_preload_offset 0
		.amdhsa_user_sgpr_private_segment_size 0
		.amdhsa_uses_dynamic_stack 0
		.amdhsa_enable_private_segment 0
		.amdhsa_system_sgpr_workgroup_id_x 1
		.amdhsa_system_sgpr_workgroup_id_y 0
		.amdhsa_system_sgpr_workgroup_id_z 0
		.amdhsa_system_sgpr_workgroup_info 0
		.amdhsa_system_vgpr_workitem_id 0
		.amdhsa_next_free_vgpr 1
		.amdhsa_next_free_sgpr 0
		.amdhsa_accum_offset 4
		.amdhsa_reserve_vcc 0
		.amdhsa_float_round_mode_32 0
		.amdhsa_float_round_mode_16_64 0
		.amdhsa_float_denorm_mode_32 3
		.amdhsa_float_denorm_mode_16_64 3
		.amdhsa_dx10_clamp 1
		.amdhsa_ieee_mode 1
		.amdhsa_fp16_overflow 0
		.amdhsa_tg_split 0
		.amdhsa_exception_fp_ieee_invalid_op 0
		.amdhsa_exception_fp_denorm_src 0
		.amdhsa_exception_fp_ieee_div_zero 0
		.amdhsa_exception_fp_ieee_overflow 0
		.amdhsa_exception_fp_ieee_underflow 0
		.amdhsa_exception_fp_ieee_inexact 0
		.amdhsa_exception_int_div_zero 0
	.end_amdhsa_kernel
	.section	.text._ZN7rocprim17ROCPRIM_400000_NS6detail17trampoline_kernelINS0_14default_configENS1_38merge_sort_block_merge_config_selectorIfNS0_10empty_typeEEEZZNS1_27merge_sort_block_merge_implIS3_N6thrust23THRUST_200600_302600_NS6detail15normal_iteratorINS9_10device_ptrIfEEEEPS5_jNS1_19radix_merge_compareILb0ELb0EfNS0_19identity_decomposerEEEEE10hipError_tT0_T1_T2_jT3_P12ihipStream_tbPNSt15iterator_traitsISK_E10value_typeEPNSQ_ISL_E10value_typeEPSM_NS1_7vsmem_tEENKUlT_SK_SL_SM_E_clISE_PfSF_SF_EESJ_SZ_SK_SL_SM_EUlSZ_E0_NS1_11comp_targetILNS1_3genE9ELNS1_11target_archE1100ELNS1_3gpuE3ELNS1_3repE0EEENS1_38merge_mergepath_config_static_selectorELNS0_4arch9wavefront6targetE1EEEvSL_,"axG",@progbits,_ZN7rocprim17ROCPRIM_400000_NS6detail17trampoline_kernelINS0_14default_configENS1_38merge_sort_block_merge_config_selectorIfNS0_10empty_typeEEEZZNS1_27merge_sort_block_merge_implIS3_N6thrust23THRUST_200600_302600_NS6detail15normal_iteratorINS9_10device_ptrIfEEEEPS5_jNS1_19radix_merge_compareILb0ELb0EfNS0_19identity_decomposerEEEEE10hipError_tT0_T1_T2_jT3_P12ihipStream_tbPNSt15iterator_traitsISK_E10value_typeEPNSQ_ISL_E10value_typeEPSM_NS1_7vsmem_tEENKUlT_SK_SL_SM_E_clISE_PfSF_SF_EESJ_SZ_SK_SL_SM_EUlSZ_E0_NS1_11comp_targetILNS1_3genE9ELNS1_11target_archE1100ELNS1_3gpuE3ELNS1_3repE0EEENS1_38merge_mergepath_config_static_selectorELNS0_4arch9wavefront6targetE1EEEvSL_,comdat
.Lfunc_end513:
	.size	_ZN7rocprim17ROCPRIM_400000_NS6detail17trampoline_kernelINS0_14default_configENS1_38merge_sort_block_merge_config_selectorIfNS0_10empty_typeEEEZZNS1_27merge_sort_block_merge_implIS3_N6thrust23THRUST_200600_302600_NS6detail15normal_iteratorINS9_10device_ptrIfEEEEPS5_jNS1_19radix_merge_compareILb0ELb0EfNS0_19identity_decomposerEEEEE10hipError_tT0_T1_T2_jT3_P12ihipStream_tbPNSt15iterator_traitsISK_E10value_typeEPNSQ_ISL_E10value_typeEPSM_NS1_7vsmem_tEENKUlT_SK_SL_SM_E_clISE_PfSF_SF_EESJ_SZ_SK_SL_SM_EUlSZ_E0_NS1_11comp_targetILNS1_3genE9ELNS1_11target_archE1100ELNS1_3gpuE3ELNS1_3repE0EEENS1_38merge_mergepath_config_static_selectorELNS0_4arch9wavefront6targetE1EEEvSL_, .Lfunc_end513-_ZN7rocprim17ROCPRIM_400000_NS6detail17trampoline_kernelINS0_14default_configENS1_38merge_sort_block_merge_config_selectorIfNS0_10empty_typeEEEZZNS1_27merge_sort_block_merge_implIS3_N6thrust23THRUST_200600_302600_NS6detail15normal_iteratorINS9_10device_ptrIfEEEEPS5_jNS1_19radix_merge_compareILb0ELb0EfNS0_19identity_decomposerEEEEE10hipError_tT0_T1_T2_jT3_P12ihipStream_tbPNSt15iterator_traitsISK_E10value_typeEPNSQ_ISL_E10value_typeEPSM_NS1_7vsmem_tEENKUlT_SK_SL_SM_E_clISE_PfSF_SF_EESJ_SZ_SK_SL_SM_EUlSZ_E0_NS1_11comp_targetILNS1_3genE9ELNS1_11target_archE1100ELNS1_3gpuE3ELNS1_3repE0EEENS1_38merge_mergepath_config_static_selectorELNS0_4arch9wavefront6targetE1EEEvSL_
                                        ; -- End function
	.set _ZN7rocprim17ROCPRIM_400000_NS6detail17trampoline_kernelINS0_14default_configENS1_38merge_sort_block_merge_config_selectorIfNS0_10empty_typeEEEZZNS1_27merge_sort_block_merge_implIS3_N6thrust23THRUST_200600_302600_NS6detail15normal_iteratorINS9_10device_ptrIfEEEEPS5_jNS1_19radix_merge_compareILb0ELb0EfNS0_19identity_decomposerEEEEE10hipError_tT0_T1_T2_jT3_P12ihipStream_tbPNSt15iterator_traitsISK_E10value_typeEPNSQ_ISL_E10value_typeEPSM_NS1_7vsmem_tEENKUlT_SK_SL_SM_E_clISE_PfSF_SF_EESJ_SZ_SK_SL_SM_EUlSZ_E0_NS1_11comp_targetILNS1_3genE9ELNS1_11target_archE1100ELNS1_3gpuE3ELNS1_3repE0EEENS1_38merge_mergepath_config_static_selectorELNS0_4arch9wavefront6targetE1EEEvSL_.num_vgpr, 0
	.set _ZN7rocprim17ROCPRIM_400000_NS6detail17trampoline_kernelINS0_14default_configENS1_38merge_sort_block_merge_config_selectorIfNS0_10empty_typeEEEZZNS1_27merge_sort_block_merge_implIS3_N6thrust23THRUST_200600_302600_NS6detail15normal_iteratorINS9_10device_ptrIfEEEEPS5_jNS1_19radix_merge_compareILb0ELb0EfNS0_19identity_decomposerEEEEE10hipError_tT0_T1_T2_jT3_P12ihipStream_tbPNSt15iterator_traitsISK_E10value_typeEPNSQ_ISL_E10value_typeEPSM_NS1_7vsmem_tEENKUlT_SK_SL_SM_E_clISE_PfSF_SF_EESJ_SZ_SK_SL_SM_EUlSZ_E0_NS1_11comp_targetILNS1_3genE9ELNS1_11target_archE1100ELNS1_3gpuE3ELNS1_3repE0EEENS1_38merge_mergepath_config_static_selectorELNS0_4arch9wavefront6targetE1EEEvSL_.num_agpr, 0
	.set _ZN7rocprim17ROCPRIM_400000_NS6detail17trampoline_kernelINS0_14default_configENS1_38merge_sort_block_merge_config_selectorIfNS0_10empty_typeEEEZZNS1_27merge_sort_block_merge_implIS3_N6thrust23THRUST_200600_302600_NS6detail15normal_iteratorINS9_10device_ptrIfEEEEPS5_jNS1_19radix_merge_compareILb0ELb0EfNS0_19identity_decomposerEEEEE10hipError_tT0_T1_T2_jT3_P12ihipStream_tbPNSt15iterator_traitsISK_E10value_typeEPNSQ_ISL_E10value_typeEPSM_NS1_7vsmem_tEENKUlT_SK_SL_SM_E_clISE_PfSF_SF_EESJ_SZ_SK_SL_SM_EUlSZ_E0_NS1_11comp_targetILNS1_3genE9ELNS1_11target_archE1100ELNS1_3gpuE3ELNS1_3repE0EEENS1_38merge_mergepath_config_static_selectorELNS0_4arch9wavefront6targetE1EEEvSL_.numbered_sgpr, 0
	.set _ZN7rocprim17ROCPRIM_400000_NS6detail17trampoline_kernelINS0_14default_configENS1_38merge_sort_block_merge_config_selectorIfNS0_10empty_typeEEEZZNS1_27merge_sort_block_merge_implIS3_N6thrust23THRUST_200600_302600_NS6detail15normal_iteratorINS9_10device_ptrIfEEEEPS5_jNS1_19radix_merge_compareILb0ELb0EfNS0_19identity_decomposerEEEEE10hipError_tT0_T1_T2_jT3_P12ihipStream_tbPNSt15iterator_traitsISK_E10value_typeEPNSQ_ISL_E10value_typeEPSM_NS1_7vsmem_tEENKUlT_SK_SL_SM_E_clISE_PfSF_SF_EESJ_SZ_SK_SL_SM_EUlSZ_E0_NS1_11comp_targetILNS1_3genE9ELNS1_11target_archE1100ELNS1_3gpuE3ELNS1_3repE0EEENS1_38merge_mergepath_config_static_selectorELNS0_4arch9wavefront6targetE1EEEvSL_.num_named_barrier, 0
	.set _ZN7rocprim17ROCPRIM_400000_NS6detail17trampoline_kernelINS0_14default_configENS1_38merge_sort_block_merge_config_selectorIfNS0_10empty_typeEEEZZNS1_27merge_sort_block_merge_implIS3_N6thrust23THRUST_200600_302600_NS6detail15normal_iteratorINS9_10device_ptrIfEEEEPS5_jNS1_19radix_merge_compareILb0ELb0EfNS0_19identity_decomposerEEEEE10hipError_tT0_T1_T2_jT3_P12ihipStream_tbPNSt15iterator_traitsISK_E10value_typeEPNSQ_ISL_E10value_typeEPSM_NS1_7vsmem_tEENKUlT_SK_SL_SM_E_clISE_PfSF_SF_EESJ_SZ_SK_SL_SM_EUlSZ_E0_NS1_11comp_targetILNS1_3genE9ELNS1_11target_archE1100ELNS1_3gpuE3ELNS1_3repE0EEENS1_38merge_mergepath_config_static_selectorELNS0_4arch9wavefront6targetE1EEEvSL_.private_seg_size, 0
	.set _ZN7rocprim17ROCPRIM_400000_NS6detail17trampoline_kernelINS0_14default_configENS1_38merge_sort_block_merge_config_selectorIfNS0_10empty_typeEEEZZNS1_27merge_sort_block_merge_implIS3_N6thrust23THRUST_200600_302600_NS6detail15normal_iteratorINS9_10device_ptrIfEEEEPS5_jNS1_19radix_merge_compareILb0ELb0EfNS0_19identity_decomposerEEEEE10hipError_tT0_T1_T2_jT3_P12ihipStream_tbPNSt15iterator_traitsISK_E10value_typeEPNSQ_ISL_E10value_typeEPSM_NS1_7vsmem_tEENKUlT_SK_SL_SM_E_clISE_PfSF_SF_EESJ_SZ_SK_SL_SM_EUlSZ_E0_NS1_11comp_targetILNS1_3genE9ELNS1_11target_archE1100ELNS1_3gpuE3ELNS1_3repE0EEENS1_38merge_mergepath_config_static_selectorELNS0_4arch9wavefront6targetE1EEEvSL_.uses_vcc, 0
	.set _ZN7rocprim17ROCPRIM_400000_NS6detail17trampoline_kernelINS0_14default_configENS1_38merge_sort_block_merge_config_selectorIfNS0_10empty_typeEEEZZNS1_27merge_sort_block_merge_implIS3_N6thrust23THRUST_200600_302600_NS6detail15normal_iteratorINS9_10device_ptrIfEEEEPS5_jNS1_19radix_merge_compareILb0ELb0EfNS0_19identity_decomposerEEEEE10hipError_tT0_T1_T2_jT3_P12ihipStream_tbPNSt15iterator_traitsISK_E10value_typeEPNSQ_ISL_E10value_typeEPSM_NS1_7vsmem_tEENKUlT_SK_SL_SM_E_clISE_PfSF_SF_EESJ_SZ_SK_SL_SM_EUlSZ_E0_NS1_11comp_targetILNS1_3genE9ELNS1_11target_archE1100ELNS1_3gpuE3ELNS1_3repE0EEENS1_38merge_mergepath_config_static_selectorELNS0_4arch9wavefront6targetE1EEEvSL_.uses_flat_scratch, 0
	.set _ZN7rocprim17ROCPRIM_400000_NS6detail17trampoline_kernelINS0_14default_configENS1_38merge_sort_block_merge_config_selectorIfNS0_10empty_typeEEEZZNS1_27merge_sort_block_merge_implIS3_N6thrust23THRUST_200600_302600_NS6detail15normal_iteratorINS9_10device_ptrIfEEEEPS5_jNS1_19radix_merge_compareILb0ELb0EfNS0_19identity_decomposerEEEEE10hipError_tT0_T1_T2_jT3_P12ihipStream_tbPNSt15iterator_traitsISK_E10value_typeEPNSQ_ISL_E10value_typeEPSM_NS1_7vsmem_tEENKUlT_SK_SL_SM_E_clISE_PfSF_SF_EESJ_SZ_SK_SL_SM_EUlSZ_E0_NS1_11comp_targetILNS1_3genE9ELNS1_11target_archE1100ELNS1_3gpuE3ELNS1_3repE0EEENS1_38merge_mergepath_config_static_selectorELNS0_4arch9wavefront6targetE1EEEvSL_.has_dyn_sized_stack, 0
	.set _ZN7rocprim17ROCPRIM_400000_NS6detail17trampoline_kernelINS0_14default_configENS1_38merge_sort_block_merge_config_selectorIfNS0_10empty_typeEEEZZNS1_27merge_sort_block_merge_implIS3_N6thrust23THRUST_200600_302600_NS6detail15normal_iteratorINS9_10device_ptrIfEEEEPS5_jNS1_19radix_merge_compareILb0ELb0EfNS0_19identity_decomposerEEEEE10hipError_tT0_T1_T2_jT3_P12ihipStream_tbPNSt15iterator_traitsISK_E10value_typeEPNSQ_ISL_E10value_typeEPSM_NS1_7vsmem_tEENKUlT_SK_SL_SM_E_clISE_PfSF_SF_EESJ_SZ_SK_SL_SM_EUlSZ_E0_NS1_11comp_targetILNS1_3genE9ELNS1_11target_archE1100ELNS1_3gpuE3ELNS1_3repE0EEENS1_38merge_mergepath_config_static_selectorELNS0_4arch9wavefront6targetE1EEEvSL_.has_recursion, 0
	.set _ZN7rocprim17ROCPRIM_400000_NS6detail17trampoline_kernelINS0_14default_configENS1_38merge_sort_block_merge_config_selectorIfNS0_10empty_typeEEEZZNS1_27merge_sort_block_merge_implIS3_N6thrust23THRUST_200600_302600_NS6detail15normal_iteratorINS9_10device_ptrIfEEEEPS5_jNS1_19radix_merge_compareILb0ELb0EfNS0_19identity_decomposerEEEEE10hipError_tT0_T1_T2_jT3_P12ihipStream_tbPNSt15iterator_traitsISK_E10value_typeEPNSQ_ISL_E10value_typeEPSM_NS1_7vsmem_tEENKUlT_SK_SL_SM_E_clISE_PfSF_SF_EESJ_SZ_SK_SL_SM_EUlSZ_E0_NS1_11comp_targetILNS1_3genE9ELNS1_11target_archE1100ELNS1_3gpuE3ELNS1_3repE0EEENS1_38merge_mergepath_config_static_selectorELNS0_4arch9wavefront6targetE1EEEvSL_.has_indirect_call, 0
	.section	.AMDGPU.csdata,"",@progbits
; Kernel info:
; codeLenInByte = 0
; TotalNumSgprs: 6
; NumVgprs: 0
; NumAgprs: 0
; TotalNumVgprs: 0
; ScratchSize: 0
; MemoryBound: 0
; FloatMode: 240
; IeeeMode: 1
; LDSByteSize: 0 bytes/workgroup (compile time only)
; SGPRBlocks: 0
; VGPRBlocks: 0
; NumSGPRsForWavesPerEU: 6
; NumVGPRsForWavesPerEU: 1
; AccumOffset: 4
; Occupancy: 8
; WaveLimiterHint : 0
; COMPUTE_PGM_RSRC2:SCRATCH_EN: 0
; COMPUTE_PGM_RSRC2:USER_SGPR: 2
; COMPUTE_PGM_RSRC2:TRAP_HANDLER: 0
; COMPUTE_PGM_RSRC2:TGID_X_EN: 1
; COMPUTE_PGM_RSRC2:TGID_Y_EN: 0
; COMPUTE_PGM_RSRC2:TGID_Z_EN: 0
; COMPUTE_PGM_RSRC2:TIDIG_COMP_CNT: 0
; COMPUTE_PGM_RSRC3_GFX90A:ACCUM_OFFSET: 0
; COMPUTE_PGM_RSRC3_GFX90A:TG_SPLIT: 0
	.section	.text._ZN7rocprim17ROCPRIM_400000_NS6detail17trampoline_kernelINS0_14default_configENS1_38merge_sort_block_merge_config_selectorIfNS0_10empty_typeEEEZZNS1_27merge_sort_block_merge_implIS3_N6thrust23THRUST_200600_302600_NS6detail15normal_iteratorINS9_10device_ptrIfEEEEPS5_jNS1_19radix_merge_compareILb0ELb0EfNS0_19identity_decomposerEEEEE10hipError_tT0_T1_T2_jT3_P12ihipStream_tbPNSt15iterator_traitsISK_E10value_typeEPNSQ_ISL_E10value_typeEPSM_NS1_7vsmem_tEENKUlT_SK_SL_SM_E_clISE_PfSF_SF_EESJ_SZ_SK_SL_SM_EUlSZ_E0_NS1_11comp_targetILNS1_3genE8ELNS1_11target_archE1030ELNS1_3gpuE2ELNS1_3repE0EEENS1_38merge_mergepath_config_static_selectorELNS0_4arch9wavefront6targetE1EEEvSL_,"axG",@progbits,_ZN7rocprim17ROCPRIM_400000_NS6detail17trampoline_kernelINS0_14default_configENS1_38merge_sort_block_merge_config_selectorIfNS0_10empty_typeEEEZZNS1_27merge_sort_block_merge_implIS3_N6thrust23THRUST_200600_302600_NS6detail15normal_iteratorINS9_10device_ptrIfEEEEPS5_jNS1_19radix_merge_compareILb0ELb0EfNS0_19identity_decomposerEEEEE10hipError_tT0_T1_T2_jT3_P12ihipStream_tbPNSt15iterator_traitsISK_E10value_typeEPNSQ_ISL_E10value_typeEPSM_NS1_7vsmem_tEENKUlT_SK_SL_SM_E_clISE_PfSF_SF_EESJ_SZ_SK_SL_SM_EUlSZ_E0_NS1_11comp_targetILNS1_3genE8ELNS1_11target_archE1030ELNS1_3gpuE2ELNS1_3repE0EEENS1_38merge_mergepath_config_static_selectorELNS0_4arch9wavefront6targetE1EEEvSL_,comdat
	.protected	_ZN7rocprim17ROCPRIM_400000_NS6detail17trampoline_kernelINS0_14default_configENS1_38merge_sort_block_merge_config_selectorIfNS0_10empty_typeEEEZZNS1_27merge_sort_block_merge_implIS3_N6thrust23THRUST_200600_302600_NS6detail15normal_iteratorINS9_10device_ptrIfEEEEPS5_jNS1_19radix_merge_compareILb0ELb0EfNS0_19identity_decomposerEEEEE10hipError_tT0_T1_T2_jT3_P12ihipStream_tbPNSt15iterator_traitsISK_E10value_typeEPNSQ_ISL_E10value_typeEPSM_NS1_7vsmem_tEENKUlT_SK_SL_SM_E_clISE_PfSF_SF_EESJ_SZ_SK_SL_SM_EUlSZ_E0_NS1_11comp_targetILNS1_3genE8ELNS1_11target_archE1030ELNS1_3gpuE2ELNS1_3repE0EEENS1_38merge_mergepath_config_static_selectorELNS0_4arch9wavefront6targetE1EEEvSL_ ; -- Begin function _ZN7rocprim17ROCPRIM_400000_NS6detail17trampoline_kernelINS0_14default_configENS1_38merge_sort_block_merge_config_selectorIfNS0_10empty_typeEEEZZNS1_27merge_sort_block_merge_implIS3_N6thrust23THRUST_200600_302600_NS6detail15normal_iteratorINS9_10device_ptrIfEEEEPS5_jNS1_19radix_merge_compareILb0ELb0EfNS0_19identity_decomposerEEEEE10hipError_tT0_T1_T2_jT3_P12ihipStream_tbPNSt15iterator_traitsISK_E10value_typeEPNSQ_ISL_E10value_typeEPSM_NS1_7vsmem_tEENKUlT_SK_SL_SM_E_clISE_PfSF_SF_EESJ_SZ_SK_SL_SM_EUlSZ_E0_NS1_11comp_targetILNS1_3genE8ELNS1_11target_archE1030ELNS1_3gpuE2ELNS1_3repE0EEENS1_38merge_mergepath_config_static_selectorELNS0_4arch9wavefront6targetE1EEEvSL_
	.globl	_ZN7rocprim17ROCPRIM_400000_NS6detail17trampoline_kernelINS0_14default_configENS1_38merge_sort_block_merge_config_selectorIfNS0_10empty_typeEEEZZNS1_27merge_sort_block_merge_implIS3_N6thrust23THRUST_200600_302600_NS6detail15normal_iteratorINS9_10device_ptrIfEEEEPS5_jNS1_19radix_merge_compareILb0ELb0EfNS0_19identity_decomposerEEEEE10hipError_tT0_T1_T2_jT3_P12ihipStream_tbPNSt15iterator_traitsISK_E10value_typeEPNSQ_ISL_E10value_typeEPSM_NS1_7vsmem_tEENKUlT_SK_SL_SM_E_clISE_PfSF_SF_EESJ_SZ_SK_SL_SM_EUlSZ_E0_NS1_11comp_targetILNS1_3genE8ELNS1_11target_archE1030ELNS1_3gpuE2ELNS1_3repE0EEENS1_38merge_mergepath_config_static_selectorELNS0_4arch9wavefront6targetE1EEEvSL_
	.p2align	8
	.type	_ZN7rocprim17ROCPRIM_400000_NS6detail17trampoline_kernelINS0_14default_configENS1_38merge_sort_block_merge_config_selectorIfNS0_10empty_typeEEEZZNS1_27merge_sort_block_merge_implIS3_N6thrust23THRUST_200600_302600_NS6detail15normal_iteratorINS9_10device_ptrIfEEEEPS5_jNS1_19radix_merge_compareILb0ELb0EfNS0_19identity_decomposerEEEEE10hipError_tT0_T1_T2_jT3_P12ihipStream_tbPNSt15iterator_traitsISK_E10value_typeEPNSQ_ISL_E10value_typeEPSM_NS1_7vsmem_tEENKUlT_SK_SL_SM_E_clISE_PfSF_SF_EESJ_SZ_SK_SL_SM_EUlSZ_E0_NS1_11comp_targetILNS1_3genE8ELNS1_11target_archE1030ELNS1_3gpuE2ELNS1_3repE0EEENS1_38merge_mergepath_config_static_selectorELNS0_4arch9wavefront6targetE1EEEvSL_,@function
_ZN7rocprim17ROCPRIM_400000_NS6detail17trampoline_kernelINS0_14default_configENS1_38merge_sort_block_merge_config_selectorIfNS0_10empty_typeEEEZZNS1_27merge_sort_block_merge_implIS3_N6thrust23THRUST_200600_302600_NS6detail15normal_iteratorINS9_10device_ptrIfEEEEPS5_jNS1_19radix_merge_compareILb0ELb0EfNS0_19identity_decomposerEEEEE10hipError_tT0_T1_T2_jT3_P12ihipStream_tbPNSt15iterator_traitsISK_E10value_typeEPNSQ_ISL_E10value_typeEPSM_NS1_7vsmem_tEENKUlT_SK_SL_SM_E_clISE_PfSF_SF_EESJ_SZ_SK_SL_SM_EUlSZ_E0_NS1_11comp_targetILNS1_3genE8ELNS1_11target_archE1030ELNS1_3gpuE2ELNS1_3repE0EEENS1_38merge_mergepath_config_static_selectorELNS0_4arch9wavefront6targetE1EEEvSL_: ; @_ZN7rocprim17ROCPRIM_400000_NS6detail17trampoline_kernelINS0_14default_configENS1_38merge_sort_block_merge_config_selectorIfNS0_10empty_typeEEEZZNS1_27merge_sort_block_merge_implIS3_N6thrust23THRUST_200600_302600_NS6detail15normal_iteratorINS9_10device_ptrIfEEEEPS5_jNS1_19radix_merge_compareILb0ELb0EfNS0_19identity_decomposerEEEEE10hipError_tT0_T1_T2_jT3_P12ihipStream_tbPNSt15iterator_traitsISK_E10value_typeEPNSQ_ISL_E10value_typeEPSM_NS1_7vsmem_tEENKUlT_SK_SL_SM_E_clISE_PfSF_SF_EESJ_SZ_SK_SL_SM_EUlSZ_E0_NS1_11comp_targetILNS1_3genE8ELNS1_11target_archE1030ELNS1_3gpuE2ELNS1_3repE0EEENS1_38merge_mergepath_config_static_selectorELNS0_4arch9wavefront6targetE1EEEvSL_
; %bb.0:
	.section	.rodata,"a",@progbits
	.p2align	6, 0x0
	.amdhsa_kernel _ZN7rocprim17ROCPRIM_400000_NS6detail17trampoline_kernelINS0_14default_configENS1_38merge_sort_block_merge_config_selectorIfNS0_10empty_typeEEEZZNS1_27merge_sort_block_merge_implIS3_N6thrust23THRUST_200600_302600_NS6detail15normal_iteratorINS9_10device_ptrIfEEEEPS5_jNS1_19radix_merge_compareILb0ELb0EfNS0_19identity_decomposerEEEEE10hipError_tT0_T1_T2_jT3_P12ihipStream_tbPNSt15iterator_traitsISK_E10value_typeEPNSQ_ISL_E10value_typeEPSM_NS1_7vsmem_tEENKUlT_SK_SL_SM_E_clISE_PfSF_SF_EESJ_SZ_SK_SL_SM_EUlSZ_E0_NS1_11comp_targetILNS1_3genE8ELNS1_11target_archE1030ELNS1_3gpuE2ELNS1_3repE0EEENS1_38merge_mergepath_config_static_selectorELNS0_4arch9wavefront6targetE1EEEvSL_
		.amdhsa_group_segment_fixed_size 0
		.amdhsa_private_segment_fixed_size 0
		.amdhsa_kernarg_size 64
		.amdhsa_user_sgpr_count 2
		.amdhsa_user_sgpr_dispatch_ptr 0
		.amdhsa_user_sgpr_queue_ptr 0
		.amdhsa_user_sgpr_kernarg_segment_ptr 1
		.amdhsa_user_sgpr_dispatch_id 0
		.amdhsa_user_sgpr_kernarg_preload_length 0
		.amdhsa_user_sgpr_kernarg_preload_offset 0
		.amdhsa_user_sgpr_private_segment_size 0
		.amdhsa_uses_dynamic_stack 0
		.amdhsa_enable_private_segment 0
		.amdhsa_system_sgpr_workgroup_id_x 1
		.amdhsa_system_sgpr_workgroup_id_y 0
		.amdhsa_system_sgpr_workgroup_id_z 0
		.amdhsa_system_sgpr_workgroup_info 0
		.amdhsa_system_vgpr_workitem_id 0
		.amdhsa_next_free_vgpr 1
		.amdhsa_next_free_sgpr 0
		.amdhsa_accum_offset 4
		.amdhsa_reserve_vcc 0
		.amdhsa_float_round_mode_32 0
		.amdhsa_float_round_mode_16_64 0
		.amdhsa_float_denorm_mode_32 3
		.amdhsa_float_denorm_mode_16_64 3
		.amdhsa_dx10_clamp 1
		.amdhsa_ieee_mode 1
		.amdhsa_fp16_overflow 0
		.amdhsa_tg_split 0
		.amdhsa_exception_fp_ieee_invalid_op 0
		.amdhsa_exception_fp_denorm_src 0
		.amdhsa_exception_fp_ieee_div_zero 0
		.amdhsa_exception_fp_ieee_overflow 0
		.amdhsa_exception_fp_ieee_underflow 0
		.amdhsa_exception_fp_ieee_inexact 0
		.amdhsa_exception_int_div_zero 0
	.end_amdhsa_kernel
	.section	.text._ZN7rocprim17ROCPRIM_400000_NS6detail17trampoline_kernelINS0_14default_configENS1_38merge_sort_block_merge_config_selectorIfNS0_10empty_typeEEEZZNS1_27merge_sort_block_merge_implIS3_N6thrust23THRUST_200600_302600_NS6detail15normal_iteratorINS9_10device_ptrIfEEEEPS5_jNS1_19radix_merge_compareILb0ELb0EfNS0_19identity_decomposerEEEEE10hipError_tT0_T1_T2_jT3_P12ihipStream_tbPNSt15iterator_traitsISK_E10value_typeEPNSQ_ISL_E10value_typeEPSM_NS1_7vsmem_tEENKUlT_SK_SL_SM_E_clISE_PfSF_SF_EESJ_SZ_SK_SL_SM_EUlSZ_E0_NS1_11comp_targetILNS1_3genE8ELNS1_11target_archE1030ELNS1_3gpuE2ELNS1_3repE0EEENS1_38merge_mergepath_config_static_selectorELNS0_4arch9wavefront6targetE1EEEvSL_,"axG",@progbits,_ZN7rocprim17ROCPRIM_400000_NS6detail17trampoline_kernelINS0_14default_configENS1_38merge_sort_block_merge_config_selectorIfNS0_10empty_typeEEEZZNS1_27merge_sort_block_merge_implIS3_N6thrust23THRUST_200600_302600_NS6detail15normal_iteratorINS9_10device_ptrIfEEEEPS5_jNS1_19radix_merge_compareILb0ELb0EfNS0_19identity_decomposerEEEEE10hipError_tT0_T1_T2_jT3_P12ihipStream_tbPNSt15iterator_traitsISK_E10value_typeEPNSQ_ISL_E10value_typeEPSM_NS1_7vsmem_tEENKUlT_SK_SL_SM_E_clISE_PfSF_SF_EESJ_SZ_SK_SL_SM_EUlSZ_E0_NS1_11comp_targetILNS1_3genE8ELNS1_11target_archE1030ELNS1_3gpuE2ELNS1_3repE0EEENS1_38merge_mergepath_config_static_selectorELNS0_4arch9wavefront6targetE1EEEvSL_,comdat
.Lfunc_end514:
	.size	_ZN7rocprim17ROCPRIM_400000_NS6detail17trampoline_kernelINS0_14default_configENS1_38merge_sort_block_merge_config_selectorIfNS0_10empty_typeEEEZZNS1_27merge_sort_block_merge_implIS3_N6thrust23THRUST_200600_302600_NS6detail15normal_iteratorINS9_10device_ptrIfEEEEPS5_jNS1_19radix_merge_compareILb0ELb0EfNS0_19identity_decomposerEEEEE10hipError_tT0_T1_T2_jT3_P12ihipStream_tbPNSt15iterator_traitsISK_E10value_typeEPNSQ_ISL_E10value_typeEPSM_NS1_7vsmem_tEENKUlT_SK_SL_SM_E_clISE_PfSF_SF_EESJ_SZ_SK_SL_SM_EUlSZ_E0_NS1_11comp_targetILNS1_3genE8ELNS1_11target_archE1030ELNS1_3gpuE2ELNS1_3repE0EEENS1_38merge_mergepath_config_static_selectorELNS0_4arch9wavefront6targetE1EEEvSL_, .Lfunc_end514-_ZN7rocprim17ROCPRIM_400000_NS6detail17trampoline_kernelINS0_14default_configENS1_38merge_sort_block_merge_config_selectorIfNS0_10empty_typeEEEZZNS1_27merge_sort_block_merge_implIS3_N6thrust23THRUST_200600_302600_NS6detail15normal_iteratorINS9_10device_ptrIfEEEEPS5_jNS1_19radix_merge_compareILb0ELb0EfNS0_19identity_decomposerEEEEE10hipError_tT0_T1_T2_jT3_P12ihipStream_tbPNSt15iterator_traitsISK_E10value_typeEPNSQ_ISL_E10value_typeEPSM_NS1_7vsmem_tEENKUlT_SK_SL_SM_E_clISE_PfSF_SF_EESJ_SZ_SK_SL_SM_EUlSZ_E0_NS1_11comp_targetILNS1_3genE8ELNS1_11target_archE1030ELNS1_3gpuE2ELNS1_3repE0EEENS1_38merge_mergepath_config_static_selectorELNS0_4arch9wavefront6targetE1EEEvSL_
                                        ; -- End function
	.set _ZN7rocprim17ROCPRIM_400000_NS6detail17trampoline_kernelINS0_14default_configENS1_38merge_sort_block_merge_config_selectorIfNS0_10empty_typeEEEZZNS1_27merge_sort_block_merge_implIS3_N6thrust23THRUST_200600_302600_NS6detail15normal_iteratorINS9_10device_ptrIfEEEEPS5_jNS1_19radix_merge_compareILb0ELb0EfNS0_19identity_decomposerEEEEE10hipError_tT0_T1_T2_jT3_P12ihipStream_tbPNSt15iterator_traitsISK_E10value_typeEPNSQ_ISL_E10value_typeEPSM_NS1_7vsmem_tEENKUlT_SK_SL_SM_E_clISE_PfSF_SF_EESJ_SZ_SK_SL_SM_EUlSZ_E0_NS1_11comp_targetILNS1_3genE8ELNS1_11target_archE1030ELNS1_3gpuE2ELNS1_3repE0EEENS1_38merge_mergepath_config_static_selectorELNS0_4arch9wavefront6targetE1EEEvSL_.num_vgpr, 0
	.set _ZN7rocprim17ROCPRIM_400000_NS6detail17trampoline_kernelINS0_14default_configENS1_38merge_sort_block_merge_config_selectorIfNS0_10empty_typeEEEZZNS1_27merge_sort_block_merge_implIS3_N6thrust23THRUST_200600_302600_NS6detail15normal_iteratorINS9_10device_ptrIfEEEEPS5_jNS1_19radix_merge_compareILb0ELb0EfNS0_19identity_decomposerEEEEE10hipError_tT0_T1_T2_jT3_P12ihipStream_tbPNSt15iterator_traitsISK_E10value_typeEPNSQ_ISL_E10value_typeEPSM_NS1_7vsmem_tEENKUlT_SK_SL_SM_E_clISE_PfSF_SF_EESJ_SZ_SK_SL_SM_EUlSZ_E0_NS1_11comp_targetILNS1_3genE8ELNS1_11target_archE1030ELNS1_3gpuE2ELNS1_3repE0EEENS1_38merge_mergepath_config_static_selectorELNS0_4arch9wavefront6targetE1EEEvSL_.num_agpr, 0
	.set _ZN7rocprim17ROCPRIM_400000_NS6detail17trampoline_kernelINS0_14default_configENS1_38merge_sort_block_merge_config_selectorIfNS0_10empty_typeEEEZZNS1_27merge_sort_block_merge_implIS3_N6thrust23THRUST_200600_302600_NS6detail15normal_iteratorINS9_10device_ptrIfEEEEPS5_jNS1_19radix_merge_compareILb0ELb0EfNS0_19identity_decomposerEEEEE10hipError_tT0_T1_T2_jT3_P12ihipStream_tbPNSt15iterator_traitsISK_E10value_typeEPNSQ_ISL_E10value_typeEPSM_NS1_7vsmem_tEENKUlT_SK_SL_SM_E_clISE_PfSF_SF_EESJ_SZ_SK_SL_SM_EUlSZ_E0_NS1_11comp_targetILNS1_3genE8ELNS1_11target_archE1030ELNS1_3gpuE2ELNS1_3repE0EEENS1_38merge_mergepath_config_static_selectorELNS0_4arch9wavefront6targetE1EEEvSL_.numbered_sgpr, 0
	.set _ZN7rocprim17ROCPRIM_400000_NS6detail17trampoline_kernelINS0_14default_configENS1_38merge_sort_block_merge_config_selectorIfNS0_10empty_typeEEEZZNS1_27merge_sort_block_merge_implIS3_N6thrust23THRUST_200600_302600_NS6detail15normal_iteratorINS9_10device_ptrIfEEEEPS5_jNS1_19radix_merge_compareILb0ELb0EfNS0_19identity_decomposerEEEEE10hipError_tT0_T1_T2_jT3_P12ihipStream_tbPNSt15iterator_traitsISK_E10value_typeEPNSQ_ISL_E10value_typeEPSM_NS1_7vsmem_tEENKUlT_SK_SL_SM_E_clISE_PfSF_SF_EESJ_SZ_SK_SL_SM_EUlSZ_E0_NS1_11comp_targetILNS1_3genE8ELNS1_11target_archE1030ELNS1_3gpuE2ELNS1_3repE0EEENS1_38merge_mergepath_config_static_selectorELNS0_4arch9wavefront6targetE1EEEvSL_.num_named_barrier, 0
	.set _ZN7rocprim17ROCPRIM_400000_NS6detail17trampoline_kernelINS0_14default_configENS1_38merge_sort_block_merge_config_selectorIfNS0_10empty_typeEEEZZNS1_27merge_sort_block_merge_implIS3_N6thrust23THRUST_200600_302600_NS6detail15normal_iteratorINS9_10device_ptrIfEEEEPS5_jNS1_19radix_merge_compareILb0ELb0EfNS0_19identity_decomposerEEEEE10hipError_tT0_T1_T2_jT3_P12ihipStream_tbPNSt15iterator_traitsISK_E10value_typeEPNSQ_ISL_E10value_typeEPSM_NS1_7vsmem_tEENKUlT_SK_SL_SM_E_clISE_PfSF_SF_EESJ_SZ_SK_SL_SM_EUlSZ_E0_NS1_11comp_targetILNS1_3genE8ELNS1_11target_archE1030ELNS1_3gpuE2ELNS1_3repE0EEENS1_38merge_mergepath_config_static_selectorELNS0_4arch9wavefront6targetE1EEEvSL_.private_seg_size, 0
	.set _ZN7rocprim17ROCPRIM_400000_NS6detail17trampoline_kernelINS0_14default_configENS1_38merge_sort_block_merge_config_selectorIfNS0_10empty_typeEEEZZNS1_27merge_sort_block_merge_implIS3_N6thrust23THRUST_200600_302600_NS6detail15normal_iteratorINS9_10device_ptrIfEEEEPS5_jNS1_19radix_merge_compareILb0ELb0EfNS0_19identity_decomposerEEEEE10hipError_tT0_T1_T2_jT3_P12ihipStream_tbPNSt15iterator_traitsISK_E10value_typeEPNSQ_ISL_E10value_typeEPSM_NS1_7vsmem_tEENKUlT_SK_SL_SM_E_clISE_PfSF_SF_EESJ_SZ_SK_SL_SM_EUlSZ_E0_NS1_11comp_targetILNS1_3genE8ELNS1_11target_archE1030ELNS1_3gpuE2ELNS1_3repE0EEENS1_38merge_mergepath_config_static_selectorELNS0_4arch9wavefront6targetE1EEEvSL_.uses_vcc, 0
	.set _ZN7rocprim17ROCPRIM_400000_NS6detail17trampoline_kernelINS0_14default_configENS1_38merge_sort_block_merge_config_selectorIfNS0_10empty_typeEEEZZNS1_27merge_sort_block_merge_implIS3_N6thrust23THRUST_200600_302600_NS6detail15normal_iteratorINS9_10device_ptrIfEEEEPS5_jNS1_19radix_merge_compareILb0ELb0EfNS0_19identity_decomposerEEEEE10hipError_tT0_T1_T2_jT3_P12ihipStream_tbPNSt15iterator_traitsISK_E10value_typeEPNSQ_ISL_E10value_typeEPSM_NS1_7vsmem_tEENKUlT_SK_SL_SM_E_clISE_PfSF_SF_EESJ_SZ_SK_SL_SM_EUlSZ_E0_NS1_11comp_targetILNS1_3genE8ELNS1_11target_archE1030ELNS1_3gpuE2ELNS1_3repE0EEENS1_38merge_mergepath_config_static_selectorELNS0_4arch9wavefront6targetE1EEEvSL_.uses_flat_scratch, 0
	.set _ZN7rocprim17ROCPRIM_400000_NS6detail17trampoline_kernelINS0_14default_configENS1_38merge_sort_block_merge_config_selectorIfNS0_10empty_typeEEEZZNS1_27merge_sort_block_merge_implIS3_N6thrust23THRUST_200600_302600_NS6detail15normal_iteratorINS9_10device_ptrIfEEEEPS5_jNS1_19radix_merge_compareILb0ELb0EfNS0_19identity_decomposerEEEEE10hipError_tT0_T1_T2_jT3_P12ihipStream_tbPNSt15iterator_traitsISK_E10value_typeEPNSQ_ISL_E10value_typeEPSM_NS1_7vsmem_tEENKUlT_SK_SL_SM_E_clISE_PfSF_SF_EESJ_SZ_SK_SL_SM_EUlSZ_E0_NS1_11comp_targetILNS1_3genE8ELNS1_11target_archE1030ELNS1_3gpuE2ELNS1_3repE0EEENS1_38merge_mergepath_config_static_selectorELNS0_4arch9wavefront6targetE1EEEvSL_.has_dyn_sized_stack, 0
	.set _ZN7rocprim17ROCPRIM_400000_NS6detail17trampoline_kernelINS0_14default_configENS1_38merge_sort_block_merge_config_selectorIfNS0_10empty_typeEEEZZNS1_27merge_sort_block_merge_implIS3_N6thrust23THRUST_200600_302600_NS6detail15normal_iteratorINS9_10device_ptrIfEEEEPS5_jNS1_19radix_merge_compareILb0ELb0EfNS0_19identity_decomposerEEEEE10hipError_tT0_T1_T2_jT3_P12ihipStream_tbPNSt15iterator_traitsISK_E10value_typeEPNSQ_ISL_E10value_typeEPSM_NS1_7vsmem_tEENKUlT_SK_SL_SM_E_clISE_PfSF_SF_EESJ_SZ_SK_SL_SM_EUlSZ_E0_NS1_11comp_targetILNS1_3genE8ELNS1_11target_archE1030ELNS1_3gpuE2ELNS1_3repE0EEENS1_38merge_mergepath_config_static_selectorELNS0_4arch9wavefront6targetE1EEEvSL_.has_recursion, 0
	.set _ZN7rocprim17ROCPRIM_400000_NS6detail17trampoline_kernelINS0_14default_configENS1_38merge_sort_block_merge_config_selectorIfNS0_10empty_typeEEEZZNS1_27merge_sort_block_merge_implIS3_N6thrust23THRUST_200600_302600_NS6detail15normal_iteratorINS9_10device_ptrIfEEEEPS5_jNS1_19radix_merge_compareILb0ELb0EfNS0_19identity_decomposerEEEEE10hipError_tT0_T1_T2_jT3_P12ihipStream_tbPNSt15iterator_traitsISK_E10value_typeEPNSQ_ISL_E10value_typeEPSM_NS1_7vsmem_tEENKUlT_SK_SL_SM_E_clISE_PfSF_SF_EESJ_SZ_SK_SL_SM_EUlSZ_E0_NS1_11comp_targetILNS1_3genE8ELNS1_11target_archE1030ELNS1_3gpuE2ELNS1_3repE0EEENS1_38merge_mergepath_config_static_selectorELNS0_4arch9wavefront6targetE1EEEvSL_.has_indirect_call, 0
	.section	.AMDGPU.csdata,"",@progbits
; Kernel info:
; codeLenInByte = 0
; TotalNumSgprs: 6
; NumVgprs: 0
; NumAgprs: 0
; TotalNumVgprs: 0
; ScratchSize: 0
; MemoryBound: 0
; FloatMode: 240
; IeeeMode: 1
; LDSByteSize: 0 bytes/workgroup (compile time only)
; SGPRBlocks: 0
; VGPRBlocks: 0
; NumSGPRsForWavesPerEU: 6
; NumVGPRsForWavesPerEU: 1
; AccumOffset: 4
; Occupancy: 8
; WaveLimiterHint : 0
; COMPUTE_PGM_RSRC2:SCRATCH_EN: 0
; COMPUTE_PGM_RSRC2:USER_SGPR: 2
; COMPUTE_PGM_RSRC2:TRAP_HANDLER: 0
; COMPUTE_PGM_RSRC2:TGID_X_EN: 1
; COMPUTE_PGM_RSRC2:TGID_Y_EN: 0
; COMPUTE_PGM_RSRC2:TGID_Z_EN: 0
; COMPUTE_PGM_RSRC2:TIDIG_COMP_CNT: 0
; COMPUTE_PGM_RSRC3_GFX90A:ACCUM_OFFSET: 0
; COMPUTE_PGM_RSRC3_GFX90A:TG_SPLIT: 0
	.section	.text._ZN7rocprim17ROCPRIM_400000_NS6detail17trampoline_kernelINS0_14default_configENS1_38merge_sort_block_merge_config_selectorIfNS0_10empty_typeEEEZZNS1_27merge_sort_block_merge_implIS3_N6thrust23THRUST_200600_302600_NS6detail15normal_iteratorINS9_10device_ptrIfEEEEPS5_jNS1_19radix_merge_compareILb0ELb0EfNS0_19identity_decomposerEEEEE10hipError_tT0_T1_T2_jT3_P12ihipStream_tbPNSt15iterator_traitsISK_E10value_typeEPNSQ_ISL_E10value_typeEPSM_NS1_7vsmem_tEENKUlT_SK_SL_SM_E_clISE_PfSF_SF_EESJ_SZ_SK_SL_SM_EUlSZ_E1_NS1_11comp_targetILNS1_3genE0ELNS1_11target_archE4294967295ELNS1_3gpuE0ELNS1_3repE0EEENS1_36merge_oddeven_config_static_selectorELNS0_4arch9wavefront6targetE1EEEvSL_,"axG",@progbits,_ZN7rocprim17ROCPRIM_400000_NS6detail17trampoline_kernelINS0_14default_configENS1_38merge_sort_block_merge_config_selectorIfNS0_10empty_typeEEEZZNS1_27merge_sort_block_merge_implIS3_N6thrust23THRUST_200600_302600_NS6detail15normal_iteratorINS9_10device_ptrIfEEEEPS5_jNS1_19radix_merge_compareILb0ELb0EfNS0_19identity_decomposerEEEEE10hipError_tT0_T1_T2_jT3_P12ihipStream_tbPNSt15iterator_traitsISK_E10value_typeEPNSQ_ISL_E10value_typeEPSM_NS1_7vsmem_tEENKUlT_SK_SL_SM_E_clISE_PfSF_SF_EESJ_SZ_SK_SL_SM_EUlSZ_E1_NS1_11comp_targetILNS1_3genE0ELNS1_11target_archE4294967295ELNS1_3gpuE0ELNS1_3repE0EEENS1_36merge_oddeven_config_static_selectorELNS0_4arch9wavefront6targetE1EEEvSL_,comdat
	.protected	_ZN7rocprim17ROCPRIM_400000_NS6detail17trampoline_kernelINS0_14default_configENS1_38merge_sort_block_merge_config_selectorIfNS0_10empty_typeEEEZZNS1_27merge_sort_block_merge_implIS3_N6thrust23THRUST_200600_302600_NS6detail15normal_iteratorINS9_10device_ptrIfEEEEPS5_jNS1_19radix_merge_compareILb0ELb0EfNS0_19identity_decomposerEEEEE10hipError_tT0_T1_T2_jT3_P12ihipStream_tbPNSt15iterator_traitsISK_E10value_typeEPNSQ_ISL_E10value_typeEPSM_NS1_7vsmem_tEENKUlT_SK_SL_SM_E_clISE_PfSF_SF_EESJ_SZ_SK_SL_SM_EUlSZ_E1_NS1_11comp_targetILNS1_3genE0ELNS1_11target_archE4294967295ELNS1_3gpuE0ELNS1_3repE0EEENS1_36merge_oddeven_config_static_selectorELNS0_4arch9wavefront6targetE1EEEvSL_ ; -- Begin function _ZN7rocprim17ROCPRIM_400000_NS6detail17trampoline_kernelINS0_14default_configENS1_38merge_sort_block_merge_config_selectorIfNS0_10empty_typeEEEZZNS1_27merge_sort_block_merge_implIS3_N6thrust23THRUST_200600_302600_NS6detail15normal_iteratorINS9_10device_ptrIfEEEEPS5_jNS1_19radix_merge_compareILb0ELb0EfNS0_19identity_decomposerEEEEE10hipError_tT0_T1_T2_jT3_P12ihipStream_tbPNSt15iterator_traitsISK_E10value_typeEPNSQ_ISL_E10value_typeEPSM_NS1_7vsmem_tEENKUlT_SK_SL_SM_E_clISE_PfSF_SF_EESJ_SZ_SK_SL_SM_EUlSZ_E1_NS1_11comp_targetILNS1_3genE0ELNS1_11target_archE4294967295ELNS1_3gpuE0ELNS1_3repE0EEENS1_36merge_oddeven_config_static_selectorELNS0_4arch9wavefront6targetE1EEEvSL_
	.globl	_ZN7rocprim17ROCPRIM_400000_NS6detail17trampoline_kernelINS0_14default_configENS1_38merge_sort_block_merge_config_selectorIfNS0_10empty_typeEEEZZNS1_27merge_sort_block_merge_implIS3_N6thrust23THRUST_200600_302600_NS6detail15normal_iteratorINS9_10device_ptrIfEEEEPS5_jNS1_19radix_merge_compareILb0ELb0EfNS0_19identity_decomposerEEEEE10hipError_tT0_T1_T2_jT3_P12ihipStream_tbPNSt15iterator_traitsISK_E10value_typeEPNSQ_ISL_E10value_typeEPSM_NS1_7vsmem_tEENKUlT_SK_SL_SM_E_clISE_PfSF_SF_EESJ_SZ_SK_SL_SM_EUlSZ_E1_NS1_11comp_targetILNS1_3genE0ELNS1_11target_archE4294967295ELNS1_3gpuE0ELNS1_3repE0EEENS1_36merge_oddeven_config_static_selectorELNS0_4arch9wavefront6targetE1EEEvSL_
	.p2align	8
	.type	_ZN7rocprim17ROCPRIM_400000_NS6detail17trampoline_kernelINS0_14default_configENS1_38merge_sort_block_merge_config_selectorIfNS0_10empty_typeEEEZZNS1_27merge_sort_block_merge_implIS3_N6thrust23THRUST_200600_302600_NS6detail15normal_iteratorINS9_10device_ptrIfEEEEPS5_jNS1_19radix_merge_compareILb0ELb0EfNS0_19identity_decomposerEEEEE10hipError_tT0_T1_T2_jT3_P12ihipStream_tbPNSt15iterator_traitsISK_E10value_typeEPNSQ_ISL_E10value_typeEPSM_NS1_7vsmem_tEENKUlT_SK_SL_SM_E_clISE_PfSF_SF_EESJ_SZ_SK_SL_SM_EUlSZ_E1_NS1_11comp_targetILNS1_3genE0ELNS1_11target_archE4294967295ELNS1_3gpuE0ELNS1_3repE0EEENS1_36merge_oddeven_config_static_selectorELNS0_4arch9wavefront6targetE1EEEvSL_,@function
_ZN7rocprim17ROCPRIM_400000_NS6detail17trampoline_kernelINS0_14default_configENS1_38merge_sort_block_merge_config_selectorIfNS0_10empty_typeEEEZZNS1_27merge_sort_block_merge_implIS3_N6thrust23THRUST_200600_302600_NS6detail15normal_iteratorINS9_10device_ptrIfEEEEPS5_jNS1_19radix_merge_compareILb0ELb0EfNS0_19identity_decomposerEEEEE10hipError_tT0_T1_T2_jT3_P12ihipStream_tbPNSt15iterator_traitsISK_E10value_typeEPNSQ_ISL_E10value_typeEPSM_NS1_7vsmem_tEENKUlT_SK_SL_SM_E_clISE_PfSF_SF_EESJ_SZ_SK_SL_SM_EUlSZ_E1_NS1_11comp_targetILNS1_3genE0ELNS1_11target_archE4294967295ELNS1_3gpuE0ELNS1_3repE0EEENS1_36merge_oddeven_config_static_selectorELNS0_4arch9wavefront6targetE1EEEvSL_: ; @_ZN7rocprim17ROCPRIM_400000_NS6detail17trampoline_kernelINS0_14default_configENS1_38merge_sort_block_merge_config_selectorIfNS0_10empty_typeEEEZZNS1_27merge_sort_block_merge_implIS3_N6thrust23THRUST_200600_302600_NS6detail15normal_iteratorINS9_10device_ptrIfEEEEPS5_jNS1_19radix_merge_compareILb0ELb0EfNS0_19identity_decomposerEEEEE10hipError_tT0_T1_T2_jT3_P12ihipStream_tbPNSt15iterator_traitsISK_E10value_typeEPNSQ_ISL_E10value_typeEPSM_NS1_7vsmem_tEENKUlT_SK_SL_SM_E_clISE_PfSF_SF_EESJ_SZ_SK_SL_SM_EUlSZ_E1_NS1_11comp_targetILNS1_3genE0ELNS1_11target_archE4294967295ELNS1_3gpuE0ELNS1_3repE0EEENS1_36merge_oddeven_config_static_selectorELNS0_4arch9wavefront6targetE1EEEvSL_
; %bb.0:
	s_load_dword s16, s[0:1], 0x20
	s_waitcnt lgkmcnt(0)
	s_lshr_b32 s3, s16, 8
	s_cmp_lg_u32 s2, s3
	s_cselect_b64 s[12:13], -1, 0
	s_cmp_eq_u32 s2, s3
	s_cselect_b64 s[6:7], -1, 0
	s_lshl_b32 s14, s2, 8
	s_sub_i32 s3, s16, s14
	v_cmp_gt_u32_e64 s[4:5], s3, v0
	s_or_b64 s[8:9], s[12:13], s[4:5]
	s_and_saveexec_b64 s[10:11], s[8:9]
	s_cbranch_execz .LBB515_20
; %bb.1:
	s_load_dwordx4 s[8:11], s[0:1], 0x0
	s_load_dword s17, s[0:1], 0x24
	s_mov_b32 s15, 0
	s_lshl_b64 s[0:1], s[14:15], 2
	v_lshlrev_b32_e32 v1, 2, v0
	s_waitcnt lgkmcnt(0)
	s_add_u32 s0, s8, s0
	s_addc_u32 s1, s9, s1
	global_load_dword v2, v1, s[0:1]
	s_lshr_b32 s0, s17, 8
	s_sub_i32 s1, 0, s0
	s_and_b32 s1, s2, s1
	s_and_b32 s0, s1, s0
	s_lshl_b32 s18, s1, 8
	s_sub_i32 s15, 0, s17
	s_cmp_eq_u32 s0, 0
	s_cselect_b64 s[0:1], -1, 0
	s_and_b64 s[2:3], s[0:1], exec
	s_cselect_b32 s15, s17, s15
	s_add_i32 s15, s15, s18
	s_cmp_gt_u32 s16, s15
	v_add_u32_e32 v0, s14, v0
	s_cbranch_scc1 .LBB515_3
; %bb.2:
	v_cmp_gt_u32_e32 vcc, s16, v0
	s_or_b64 s[2:3], vcc, s[12:13]
	s_and_b64 s[2:3], s[2:3], exec
	s_cbranch_execz .LBB515_4
	s_branch .LBB515_18
.LBB515_3:
	s_mov_b64 s[2:3], 0
.LBB515_4:
	s_min_u32 s12, s15, s16
	s_min_u32 s14, s18, s12
	s_add_i32 s18, s18, s12
	v_subrev_u32_e32 v0, s18, v0
	v_add_u32_e32 v3, s14, v0
	s_waitcnt vmcnt(0)
	v_add_f32_e32 v0, 0, v2
	s_add_i32 s13, s12, s17
	v_ashrrev_i32_e32 v1, 31, v0
	s_brev_b32 s14, 1
	s_min_u32 s13, s13, s16
	v_bitop3_b32 v4, v1, v0, s14 bitop3:0x36
	s_and_b64 vcc, exec, s[6:7]
	s_cbranch_vccz .LBB515_12
; %bb.5:
                                        ; implicit-def: $vgpr0
	s_and_saveexec_b64 s[6:7], s[4:5]
	s_cbranch_execz .LBB515_11
; %bb.6:
	s_cmp_ge_u32 s15, s13
	v_mov_b32_e32 v5, s12
	s_cbranch_scc1 .LBB515_10
; %bb.7:
	s_mov_b64 s[4:5], 0
	v_mov_b32_e32 v6, s13
	v_mov_b32_e32 v5, s12
	;; [unrolled: 1-line block ×3, first 2 shown]
.LBB515_8:                              ; =>This Inner Loop Header: Depth=1
	v_add_u32_e32 v0, v5, v6
	v_lshrrev_b32_e32 v0, 1, v0
	v_lshl_add_u64 v[8:9], v[0:1], 2, s[8:9]
	global_load_dword v7, v[8:9], off
	v_add_u32_e32 v8, 1, v0
	s_waitcnt vmcnt(0)
	v_add_f32_e32 v7, 0, v7
	v_ashrrev_i32_e32 v9, 31, v7
	v_bitop3_b32 v7, v9, v7, s14 bitop3:0x36
	v_cmp_gt_u32_e32 vcc, v4, v7
	s_nop 1
	v_cndmask_b32_e64 v9, 0, 1, vcc
	v_cmp_le_u32_e32 vcc, v7, v4
	s_nop 1
	v_cndmask_b32_e64 v7, 0, 1, vcc
	v_cndmask_b32_e64 v7, v7, v9, s[0:1]
	v_and_b32_e32 v7, 1, v7
	v_cmp_eq_u32_e32 vcc, 1, v7
	s_nop 1
	v_cndmask_b32_e32 v6, v0, v6, vcc
	v_cndmask_b32_e32 v5, v5, v8, vcc
	v_cmp_ge_u32_e32 vcc, v5, v6
	s_or_b64 s[4:5], vcc, s[4:5]
	s_andn2_b64 exec, exec, s[4:5]
	s_cbranch_execnz .LBB515_8
; %bb.9:
	s_or_b64 exec, exec, s[4:5]
.LBB515_10:
	v_add_u32_e32 v0, v5, v3
	s_or_b64 s[2:3], s[2:3], exec
.LBB515_11:
	s_or_b64 exec, exec, s[6:7]
	s_branch .LBB515_18
.LBB515_12:
                                        ; implicit-def: $vgpr0
	s_cbranch_execz .LBB515_18
; %bb.13:
	s_cmp_ge_u32 s15, s13
	v_mov_b32_e32 v5, s12
	s_cbranch_scc1 .LBB515_17
; %bb.14:
	s_mov_b64 s[2:3], 0
	v_mov_b32_e32 v6, s13
	v_mov_b32_e32 v5, s12
	v_mov_b32_e32 v1, 0
	s_brev_b32 s4, 1
.LBB515_15:                             ; =>This Inner Loop Header: Depth=1
	v_add_u32_e32 v0, v5, v6
	v_lshrrev_b32_e32 v0, 1, v0
	v_lshl_add_u64 v[8:9], v[0:1], 2, s[8:9]
	global_load_dword v7, v[8:9], off
	v_add_u32_e32 v8, 1, v0
	s_waitcnt vmcnt(0)
	v_add_f32_e32 v7, 0, v7
	v_ashrrev_i32_e32 v9, 31, v7
	v_bitop3_b32 v7, v9, v7, s4 bitop3:0x36
	v_cmp_gt_u32_e32 vcc, v4, v7
	s_nop 1
	v_cndmask_b32_e64 v9, 0, 1, vcc
	v_cmp_le_u32_e32 vcc, v7, v4
	s_nop 1
	v_cndmask_b32_e64 v7, 0, 1, vcc
	v_cndmask_b32_e64 v7, v7, v9, s[0:1]
	v_and_b32_e32 v7, 1, v7
	v_cmp_eq_u32_e32 vcc, 1, v7
	s_nop 1
	v_cndmask_b32_e32 v6, v0, v6, vcc
	v_cndmask_b32_e32 v5, v5, v8, vcc
	v_cmp_ge_u32_e32 vcc, v5, v6
	s_or_b64 s[2:3], vcc, s[2:3]
	s_andn2_b64 exec, exec, s[2:3]
	s_cbranch_execnz .LBB515_15
; %bb.16:
	s_or_b64 exec, exec, s[2:3]
.LBB515_17:
	v_add_u32_e32 v0, v5, v3
	s_mov_b64 s[2:3], -1
.LBB515_18:
	s_and_b64 exec, exec, s[2:3]
	s_cbranch_execz .LBB515_20
; %bb.19:
	v_mov_b32_e32 v4, s10
	v_mov_b32_e32 v5, s11
	;; [unrolled: 1-line block ×3, first 2 shown]
	v_lshl_add_u64 v[0:1], v[0:1], 2, v[4:5]
	s_waitcnt vmcnt(0)
	global_store_dword v[0:1], v2, off
.LBB515_20:
	s_endpgm
	.section	.rodata,"a",@progbits
	.p2align	6, 0x0
	.amdhsa_kernel _ZN7rocprim17ROCPRIM_400000_NS6detail17trampoline_kernelINS0_14default_configENS1_38merge_sort_block_merge_config_selectorIfNS0_10empty_typeEEEZZNS1_27merge_sort_block_merge_implIS3_N6thrust23THRUST_200600_302600_NS6detail15normal_iteratorINS9_10device_ptrIfEEEEPS5_jNS1_19radix_merge_compareILb0ELb0EfNS0_19identity_decomposerEEEEE10hipError_tT0_T1_T2_jT3_P12ihipStream_tbPNSt15iterator_traitsISK_E10value_typeEPNSQ_ISL_E10value_typeEPSM_NS1_7vsmem_tEENKUlT_SK_SL_SM_E_clISE_PfSF_SF_EESJ_SZ_SK_SL_SM_EUlSZ_E1_NS1_11comp_targetILNS1_3genE0ELNS1_11target_archE4294967295ELNS1_3gpuE0ELNS1_3repE0EEENS1_36merge_oddeven_config_static_selectorELNS0_4arch9wavefront6targetE1EEEvSL_
		.amdhsa_group_segment_fixed_size 0
		.amdhsa_private_segment_fixed_size 0
		.amdhsa_kernarg_size 48
		.amdhsa_user_sgpr_count 2
		.amdhsa_user_sgpr_dispatch_ptr 0
		.amdhsa_user_sgpr_queue_ptr 0
		.amdhsa_user_sgpr_kernarg_segment_ptr 1
		.amdhsa_user_sgpr_dispatch_id 0
		.amdhsa_user_sgpr_kernarg_preload_length 0
		.amdhsa_user_sgpr_kernarg_preload_offset 0
		.amdhsa_user_sgpr_private_segment_size 0
		.amdhsa_uses_dynamic_stack 0
		.amdhsa_enable_private_segment 0
		.amdhsa_system_sgpr_workgroup_id_x 1
		.amdhsa_system_sgpr_workgroup_id_y 0
		.amdhsa_system_sgpr_workgroup_id_z 0
		.amdhsa_system_sgpr_workgroup_info 0
		.amdhsa_system_vgpr_workitem_id 0
		.amdhsa_next_free_vgpr 10
		.amdhsa_next_free_sgpr 19
		.amdhsa_accum_offset 12
		.amdhsa_reserve_vcc 1
		.amdhsa_float_round_mode_32 0
		.amdhsa_float_round_mode_16_64 0
		.amdhsa_float_denorm_mode_32 3
		.amdhsa_float_denorm_mode_16_64 3
		.amdhsa_dx10_clamp 1
		.amdhsa_ieee_mode 1
		.amdhsa_fp16_overflow 0
		.amdhsa_tg_split 0
		.amdhsa_exception_fp_ieee_invalid_op 0
		.amdhsa_exception_fp_denorm_src 0
		.amdhsa_exception_fp_ieee_div_zero 0
		.amdhsa_exception_fp_ieee_overflow 0
		.amdhsa_exception_fp_ieee_underflow 0
		.amdhsa_exception_fp_ieee_inexact 0
		.amdhsa_exception_int_div_zero 0
	.end_amdhsa_kernel
	.section	.text._ZN7rocprim17ROCPRIM_400000_NS6detail17trampoline_kernelINS0_14default_configENS1_38merge_sort_block_merge_config_selectorIfNS0_10empty_typeEEEZZNS1_27merge_sort_block_merge_implIS3_N6thrust23THRUST_200600_302600_NS6detail15normal_iteratorINS9_10device_ptrIfEEEEPS5_jNS1_19radix_merge_compareILb0ELb0EfNS0_19identity_decomposerEEEEE10hipError_tT0_T1_T2_jT3_P12ihipStream_tbPNSt15iterator_traitsISK_E10value_typeEPNSQ_ISL_E10value_typeEPSM_NS1_7vsmem_tEENKUlT_SK_SL_SM_E_clISE_PfSF_SF_EESJ_SZ_SK_SL_SM_EUlSZ_E1_NS1_11comp_targetILNS1_3genE0ELNS1_11target_archE4294967295ELNS1_3gpuE0ELNS1_3repE0EEENS1_36merge_oddeven_config_static_selectorELNS0_4arch9wavefront6targetE1EEEvSL_,"axG",@progbits,_ZN7rocprim17ROCPRIM_400000_NS6detail17trampoline_kernelINS0_14default_configENS1_38merge_sort_block_merge_config_selectorIfNS0_10empty_typeEEEZZNS1_27merge_sort_block_merge_implIS3_N6thrust23THRUST_200600_302600_NS6detail15normal_iteratorINS9_10device_ptrIfEEEEPS5_jNS1_19radix_merge_compareILb0ELb0EfNS0_19identity_decomposerEEEEE10hipError_tT0_T1_T2_jT3_P12ihipStream_tbPNSt15iterator_traitsISK_E10value_typeEPNSQ_ISL_E10value_typeEPSM_NS1_7vsmem_tEENKUlT_SK_SL_SM_E_clISE_PfSF_SF_EESJ_SZ_SK_SL_SM_EUlSZ_E1_NS1_11comp_targetILNS1_3genE0ELNS1_11target_archE4294967295ELNS1_3gpuE0ELNS1_3repE0EEENS1_36merge_oddeven_config_static_selectorELNS0_4arch9wavefront6targetE1EEEvSL_,comdat
.Lfunc_end515:
	.size	_ZN7rocprim17ROCPRIM_400000_NS6detail17trampoline_kernelINS0_14default_configENS1_38merge_sort_block_merge_config_selectorIfNS0_10empty_typeEEEZZNS1_27merge_sort_block_merge_implIS3_N6thrust23THRUST_200600_302600_NS6detail15normal_iteratorINS9_10device_ptrIfEEEEPS5_jNS1_19radix_merge_compareILb0ELb0EfNS0_19identity_decomposerEEEEE10hipError_tT0_T1_T2_jT3_P12ihipStream_tbPNSt15iterator_traitsISK_E10value_typeEPNSQ_ISL_E10value_typeEPSM_NS1_7vsmem_tEENKUlT_SK_SL_SM_E_clISE_PfSF_SF_EESJ_SZ_SK_SL_SM_EUlSZ_E1_NS1_11comp_targetILNS1_3genE0ELNS1_11target_archE4294967295ELNS1_3gpuE0ELNS1_3repE0EEENS1_36merge_oddeven_config_static_selectorELNS0_4arch9wavefront6targetE1EEEvSL_, .Lfunc_end515-_ZN7rocprim17ROCPRIM_400000_NS6detail17trampoline_kernelINS0_14default_configENS1_38merge_sort_block_merge_config_selectorIfNS0_10empty_typeEEEZZNS1_27merge_sort_block_merge_implIS3_N6thrust23THRUST_200600_302600_NS6detail15normal_iteratorINS9_10device_ptrIfEEEEPS5_jNS1_19radix_merge_compareILb0ELb0EfNS0_19identity_decomposerEEEEE10hipError_tT0_T1_T2_jT3_P12ihipStream_tbPNSt15iterator_traitsISK_E10value_typeEPNSQ_ISL_E10value_typeEPSM_NS1_7vsmem_tEENKUlT_SK_SL_SM_E_clISE_PfSF_SF_EESJ_SZ_SK_SL_SM_EUlSZ_E1_NS1_11comp_targetILNS1_3genE0ELNS1_11target_archE4294967295ELNS1_3gpuE0ELNS1_3repE0EEENS1_36merge_oddeven_config_static_selectorELNS0_4arch9wavefront6targetE1EEEvSL_
                                        ; -- End function
	.set _ZN7rocprim17ROCPRIM_400000_NS6detail17trampoline_kernelINS0_14default_configENS1_38merge_sort_block_merge_config_selectorIfNS0_10empty_typeEEEZZNS1_27merge_sort_block_merge_implIS3_N6thrust23THRUST_200600_302600_NS6detail15normal_iteratorINS9_10device_ptrIfEEEEPS5_jNS1_19radix_merge_compareILb0ELb0EfNS0_19identity_decomposerEEEEE10hipError_tT0_T1_T2_jT3_P12ihipStream_tbPNSt15iterator_traitsISK_E10value_typeEPNSQ_ISL_E10value_typeEPSM_NS1_7vsmem_tEENKUlT_SK_SL_SM_E_clISE_PfSF_SF_EESJ_SZ_SK_SL_SM_EUlSZ_E1_NS1_11comp_targetILNS1_3genE0ELNS1_11target_archE4294967295ELNS1_3gpuE0ELNS1_3repE0EEENS1_36merge_oddeven_config_static_selectorELNS0_4arch9wavefront6targetE1EEEvSL_.num_vgpr, 10
	.set _ZN7rocprim17ROCPRIM_400000_NS6detail17trampoline_kernelINS0_14default_configENS1_38merge_sort_block_merge_config_selectorIfNS0_10empty_typeEEEZZNS1_27merge_sort_block_merge_implIS3_N6thrust23THRUST_200600_302600_NS6detail15normal_iteratorINS9_10device_ptrIfEEEEPS5_jNS1_19radix_merge_compareILb0ELb0EfNS0_19identity_decomposerEEEEE10hipError_tT0_T1_T2_jT3_P12ihipStream_tbPNSt15iterator_traitsISK_E10value_typeEPNSQ_ISL_E10value_typeEPSM_NS1_7vsmem_tEENKUlT_SK_SL_SM_E_clISE_PfSF_SF_EESJ_SZ_SK_SL_SM_EUlSZ_E1_NS1_11comp_targetILNS1_3genE0ELNS1_11target_archE4294967295ELNS1_3gpuE0ELNS1_3repE0EEENS1_36merge_oddeven_config_static_selectorELNS0_4arch9wavefront6targetE1EEEvSL_.num_agpr, 0
	.set _ZN7rocprim17ROCPRIM_400000_NS6detail17trampoline_kernelINS0_14default_configENS1_38merge_sort_block_merge_config_selectorIfNS0_10empty_typeEEEZZNS1_27merge_sort_block_merge_implIS3_N6thrust23THRUST_200600_302600_NS6detail15normal_iteratorINS9_10device_ptrIfEEEEPS5_jNS1_19radix_merge_compareILb0ELb0EfNS0_19identity_decomposerEEEEE10hipError_tT0_T1_T2_jT3_P12ihipStream_tbPNSt15iterator_traitsISK_E10value_typeEPNSQ_ISL_E10value_typeEPSM_NS1_7vsmem_tEENKUlT_SK_SL_SM_E_clISE_PfSF_SF_EESJ_SZ_SK_SL_SM_EUlSZ_E1_NS1_11comp_targetILNS1_3genE0ELNS1_11target_archE4294967295ELNS1_3gpuE0ELNS1_3repE0EEENS1_36merge_oddeven_config_static_selectorELNS0_4arch9wavefront6targetE1EEEvSL_.numbered_sgpr, 19
	.set _ZN7rocprim17ROCPRIM_400000_NS6detail17trampoline_kernelINS0_14default_configENS1_38merge_sort_block_merge_config_selectorIfNS0_10empty_typeEEEZZNS1_27merge_sort_block_merge_implIS3_N6thrust23THRUST_200600_302600_NS6detail15normal_iteratorINS9_10device_ptrIfEEEEPS5_jNS1_19radix_merge_compareILb0ELb0EfNS0_19identity_decomposerEEEEE10hipError_tT0_T1_T2_jT3_P12ihipStream_tbPNSt15iterator_traitsISK_E10value_typeEPNSQ_ISL_E10value_typeEPSM_NS1_7vsmem_tEENKUlT_SK_SL_SM_E_clISE_PfSF_SF_EESJ_SZ_SK_SL_SM_EUlSZ_E1_NS1_11comp_targetILNS1_3genE0ELNS1_11target_archE4294967295ELNS1_3gpuE0ELNS1_3repE0EEENS1_36merge_oddeven_config_static_selectorELNS0_4arch9wavefront6targetE1EEEvSL_.num_named_barrier, 0
	.set _ZN7rocprim17ROCPRIM_400000_NS6detail17trampoline_kernelINS0_14default_configENS1_38merge_sort_block_merge_config_selectorIfNS0_10empty_typeEEEZZNS1_27merge_sort_block_merge_implIS3_N6thrust23THRUST_200600_302600_NS6detail15normal_iteratorINS9_10device_ptrIfEEEEPS5_jNS1_19radix_merge_compareILb0ELb0EfNS0_19identity_decomposerEEEEE10hipError_tT0_T1_T2_jT3_P12ihipStream_tbPNSt15iterator_traitsISK_E10value_typeEPNSQ_ISL_E10value_typeEPSM_NS1_7vsmem_tEENKUlT_SK_SL_SM_E_clISE_PfSF_SF_EESJ_SZ_SK_SL_SM_EUlSZ_E1_NS1_11comp_targetILNS1_3genE0ELNS1_11target_archE4294967295ELNS1_3gpuE0ELNS1_3repE0EEENS1_36merge_oddeven_config_static_selectorELNS0_4arch9wavefront6targetE1EEEvSL_.private_seg_size, 0
	.set _ZN7rocprim17ROCPRIM_400000_NS6detail17trampoline_kernelINS0_14default_configENS1_38merge_sort_block_merge_config_selectorIfNS0_10empty_typeEEEZZNS1_27merge_sort_block_merge_implIS3_N6thrust23THRUST_200600_302600_NS6detail15normal_iteratorINS9_10device_ptrIfEEEEPS5_jNS1_19radix_merge_compareILb0ELb0EfNS0_19identity_decomposerEEEEE10hipError_tT0_T1_T2_jT3_P12ihipStream_tbPNSt15iterator_traitsISK_E10value_typeEPNSQ_ISL_E10value_typeEPSM_NS1_7vsmem_tEENKUlT_SK_SL_SM_E_clISE_PfSF_SF_EESJ_SZ_SK_SL_SM_EUlSZ_E1_NS1_11comp_targetILNS1_3genE0ELNS1_11target_archE4294967295ELNS1_3gpuE0ELNS1_3repE0EEENS1_36merge_oddeven_config_static_selectorELNS0_4arch9wavefront6targetE1EEEvSL_.uses_vcc, 1
	.set _ZN7rocprim17ROCPRIM_400000_NS6detail17trampoline_kernelINS0_14default_configENS1_38merge_sort_block_merge_config_selectorIfNS0_10empty_typeEEEZZNS1_27merge_sort_block_merge_implIS3_N6thrust23THRUST_200600_302600_NS6detail15normal_iteratorINS9_10device_ptrIfEEEEPS5_jNS1_19radix_merge_compareILb0ELb0EfNS0_19identity_decomposerEEEEE10hipError_tT0_T1_T2_jT3_P12ihipStream_tbPNSt15iterator_traitsISK_E10value_typeEPNSQ_ISL_E10value_typeEPSM_NS1_7vsmem_tEENKUlT_SK_SL_SM_E_clISE_PfSF_SF_EESJ_SZ_SK_SL_SM_EUlSZ_E1_NS1_11comp_targetILNS1_3genE0ELNS1_11target_archE4294967295ELNS1_3gpuE0ELNS1_3repE0EEENS1_36merge_oddeven_config_static_selectorELNS0_4arch9wavefront6targetE1EEEvSL_.uses_flat_scratch, 0
	.set _ZN7rocprim17ROCPRIM_400000_NS6detail17trampoline_kernelINS0_14default_configENS1_38merge_sort_block_merge_config_selectorIfNS0_10empty_typeEEEZZNS1_27merge_sort_block_merge_implIS3_N6thrust23THRUST_200600_302600_NS6detail15normal_iteratorINS9_10device_ptrIfEEEEPS5_jNS1_19radix_merge_compareILb0ELb0EfNS0_19identity_decomposerEEEEE10hipError_tT0_T1_T2_jT3_P12ihipStream_tbPNSt15iterator_traitsISK_E10value_typeEPNSQ_ISL_E10value_typeEPSM_NS1_7vsmem_tEENKUlT_SK_SL_SM_E_clISE_PfSF_SF_EESJ_SZ_SK_SL_SM_EUlSZ_E1_NS1_11comp_targetILNS1_3genE0ELNS1_11target_archE4294967295ELNS1_3gpuE0ELNS1_3repE0EEENS1_36merge_oddeven_config_static_selectorELNS0_4arch9wavefront6targetE1EEEvSL_.has_dyn_sized_stack, 0
	.set _ZN7rocprim17ROCPRIM_400000_NS6detail17trampoline_kernelINS0_14default_configENS1_38merge_sort_block_merge_config_selectorIfNS0_10empty_typeEEEZZNS1_27merge_sort_block_merge_implIS3_N6thrust23THRUST_200600_302600_NS6detail15normal_iteratorINS9_10device_ptrIfEEEEPS5_jNS1_19radix_merge_compareILb0ELb0EfNS0_19identity_decomposerEEEEE10hipError_tT0_T1_T2_jT3_P12ihipStream_tbPNSt15iterator_traitsISK_E10value_typeEPNSQ_ISL_E10value_typeEPSM_NS1_7vsmem_tEENKUlT_SK_SL_SM_E_clISE_PfSF_SF_EESJ_SZ_SK_SL_SM_EUlSZ_E1_NS1_11comp_targetILNS1_3genE0ELNS1_11target_archE4294967295ELNS1_3gpuE0ELNS1_3repE0EEENS1_36merge_oddeven_config_static_selectorELNS0_4arch9wavefront6targetE1EEEvSL_.has_recursion, 0
	.set _ZN7rocprim17ROCPRIM_400000_NS6detail17trampoline_kernelINS0_14default_configENS1_38merge_sort_block_merge_config_selectorIfNS0_10empty_typeEEEZZNS1_27merge_sort_block_merge_implIS3_N6thrust23THRUST_200600_302600_NS6detail15normal_iteratorINS9_10device_ptrIfEEEEPS5_jNS1_19radix_merge_compareILb0ELb0EfNS0_19identity_decomposerEEEEE10hipError_tT0_T1_T2_jT3_P12ihipStream_tbPNSt15iterator_traitsISK_E10value_typeEPNSQ_ISL_E10value_typeEPSM_NS1_7vsmem_tEENKUlT_SK_SL_SM_E_clISE_PfSF_SF_EESJ_SZ_SK_SL_SM_EUlSZ_E1_NS1_11comp_targetILNS1_3genE0ELNS1_11target_archE4294967295ELNS1_3gpuE0ELNS1_3repE0EEENS1_36merge_oddeven_config_static_selectorELNS0_4arch9wavefront6targetE1EEEvSL_.has_indirect_call, 0
	.section	.AMDGPU.csdata,"",@progbits
; Kernel info:
; codeLenInByte = 644
; TotalNumSgprs: 25
; NumVgprs: 10
; NumAgprs: 0
; TotalNumVgprs: 10
; ScratchSize: 0
; MemoryBound: 0
; FloatMode: 240
; IeeeMode: 1
; LDSByteSize: 0 bytes/workgroup (compile time only)
; SGPRBlocks: 3
; VGPRBlocks: 1
; NumSGPRsForWavesPerEU: 25
; NumVGPRsForWavesPerEU: 10
; AccumOffset: 12
; Occupancy: 8
; WaveLimiterHint : 0
; COMPUTE_PGM_RSRC2:SCRATCH_EN: 0
; COMPUTE_PGM_RSRC2:USER_SGPR: 2
; COMPUTE_PGM_RSRC2:TRAP_HANDLER: 0
; COMPUTE_PGM_RSRC2:TGID_X_EN: 1
; COMPUTE_PGM_RSRC2:TGID_Y_EN: 0
; COMPUTE_PGM_RSRC2:TGID_Z_EN: 0
; COMPUTE_PGM_RSRC2:TIDIG_COMP_CNT: 0
; COMPUTE_PGM_RSRC3_GFX90A:ACCUM_OFFSET: 2
; COMPUTE_PGM_RSRC3_GFX90A:TG_SPLIT: 0
	.section	.text._ZN7rocprim17ROCPRIM_400000_NS6detail17trampoline_kernelINS0_14default_configENS1_38merge_sort_block_merge_config_selectorIfNS0_10empty_typeEEEZZNS1_27merge_sort_block_merge_implIS3_N6thrust23THRUST_200600_302600_NS6detail15normal_iteratorINS9_10device_ptrIfEEEEPS5_jNS1_19radix_merge_compareILb0ELb0EfNS0_19identity_decomposerEEEEE10hipError_tT0_T1_T2_jT3_P12ihipStream_tbPNSt15iterator_traitsISK_E10value_typeEPNSQ_ISL_E10value_typeEPSM_NS1_7vsmem_tEENKUlT_SK_SL_SM_E_clISE_PfSF_SF_EESJ_SZ_SK_SL_SM_EUlSZ_E1_NS1_11comp_targetILNS1_3genE10ELNS1_11target_archE1201ELNS1_3gpuE5ELNS1_3repE0EEENS1_36merge_oddeven_config_static_selectorELNS0_4arch9wavefront6targetE1EEEvSL_,"axG",@progbits,_ZN7rocprim17ROCPRIM_400000_NS6detail17trampoline_kernelINS0_14default_configENS1_38merge_sort_block_merge_config_selectorIfNS0_10empty_typeEEEZZNS1_27merge_sort_block_merge_implIS3_N6thrust23THRUST_200600_302600_NS6detail15normal_iteratorINS9_10device_ptrIfEEEEPS5_jNS1_19radix_merge_compareILb0ELb0EfNS0_19identity_decomposerEEEEE10hipError_tT0_T1_T2_jT3_P12ihipStream_tbPNSt15iterator_traitsISK_E10value_typeEPNSQ_ISL_E10value_typeEPSM_NS1_7vsmem_tEENKUlT_SK_SL_SM_E_clISE_PfSF_SF_EESJ_SZ_SK_SL_SM_EUlSZ_E1_NS1_11comp_targetILNS1_3genE10ELNS1_11target_archE1201ELNS1_3gpuE5ELNS1_3repE0EEENS1_36merge_oddeven_config_static_selectorELNS0_4arch9wavefront6targetE1EEEvSL_,comdat
	.protected	_ZN7rocprim17ROCPRIM_400000_NS6detail17trampoline_kernelINS0_14default_configENS1_38merge_sort_block_merge_config_selectorIfNS0_10empty_typeEEEZZNS1_27merge_sort_block_merge_implIS3_N6thrust23THRUST_200600_302600_NS6detail15normal_iteratorINS9_10device_ptrIfEEEEPS5_jNS1_19radix_merge_compareILb0ELb0EfNS0_19identity_decomposerEEEEE10hipError_tT0_T1_T2_jT3_P12ihipStream_tbPNSt15iterator_traitsISK_E10value_typeEPNSQ_ISL_E10value_typeEPSM_NS1_7vsmem_tEENKUlT_SK_SL_SM_E_clISE_PfSF_SF_EESJ_SZ_SK_SL_SM_EUlSZ_E1_NS1_11comp_targetILNS1_3genE10ELNS1_11target_archE1201ELNS1_3gpuE5ELNS1_3repE0EEENS1_36merge_oddeven_config_static_selectorELNS0_4arch9wavefront6targetE1EEEvSL_ ; -- Begin function _ZN7rocprim17ROCPRIM_400000_NS6detail17trampoline_kernelINS0_14default_configENS1_38merge_sort_block_merge_config_selectorIfNS0_10empty_typeEEEZZNS1_27merge_sort_block_merge_implIS3_N6thrust23THRUST_200600_302600_NS6detail15normal_iteratorINS9_10device_ptrIfEEEEPS5_jNS1_19radix_merge_compareILb0ELb0EfNS0_19identity_decomposerEEEEE10hipError_tT0_T1_T2_jT3_P12ihipStream_tbPNSt15iterator_traitsISK_E10value_typeEPNSQ_ISL_E10value_typeEPSM_NS1_7vsmem_tEENKUlT_SK_SL_SM_E_clISE_PfSF_SF_EESJ_SZ_SK_SL_SM_EUlSZ_E1_NS1_11comp_targetILNS1_3genE10ELNS1_11target_archE1201ELNS1_3gpuE5ELNS1_3repE0EEENS1_36merge_oddeven_config_static_selectorELNS0_4arch9wavefront6targetE1EEEvSL_
	.globl	_ZN7rocprim17ROCPRIM_400000_NS6detail17trampoline_kernelINS0_14default_configENS1_38merge_sort_block_merge_config_selectorIfNS0_10empty_typeEEEZZNS1_27merge_sort_block_merge_implIS3_N6thrust23THRUST_200600_302600_NS6detail15normal_iteratorINS9_10device_ptrIfEEEEPS5_jNS1_19radix_merge_compareILb0ELb0EfNS0_19identity_decomposerEEEEE10hipError_tT0_T1_T2_jT3_P12ihipStream_tbPNSt15iterator_traitsISK_E10value_typeEPNSQ_ISL_E10value_typeEPSM_NS1_7vsmem_tEENKUlT_SK_SL_SM_E_clISE_PfSF_SF_EESJ_SZ_SK_SL_SM_EUlSZ_E1_NS1_11comp_targetILNS1_3genE10ELNS1_11target_archE1201ELNS1_3gpuE5ELNS1_3repE0EEENS1_36merge_oddeven_config_static_selectorELNS0_4arch9wavefront6targetE1EEEvSL_
	.p2align	8
	.type	_ZN7rocprim17ROCPRIM_400000_NS6detail17trampoline_kernelINS0_14default_configENS1_38merge_sort_block_merge_config_selectorIfNS0_10empty_typeEEEZZNS1_27merge_sort_block_merge_implIS3_N6thrust23THRUST_200600_302600_NS6detail15normal_iteratorINS9_10device_ptrIfEEEEPS5_jNS1_19radix_merge_compareILb0ELb0EfNS0_19identity_decomposerEEEEE10hipError_tT0_T1_T2_jT3_P12ihipStream_tbPNSt15iterator_traitsISK_E10value_typeEPNSQ_ISL_E10value_typeEPSM_NS1_7vsmem_tEENKUlT_SK_SL_SM_E_clISE_PfSF_SF_EESJ_SZ_SK_SL_SM_EUlSZ_E1_NS1_11comp_targetILNS1_3genE10ELNS1_11target_archE1201ELNS1_3gpuE5ELNS1_3repE0EEENS1_36merge_oddeven_config_static_selectorELNS0_4arch9wavefront6targetE1EEEvSL_,@function
_ZN7rocprim17ROCPRIM_400000_NS6detail17trampoline_kernelINS0_14default_configENS1_38merge_sort_block_merge_config_selectorIfNS0_10empty_typeEEEZZNS1_27merge_sort_block_merge_implIS3_N6thrust23THRUST_200600_302600_NS6detail15normal_iteratorINS9_10device_ptrIfEEEEPS5_jNS1_19radix_merge_compareILb0ELb0EfNS0_19identity_decomposerEEEEE10hipError_tT0_T1_T2_jT3_P12ihipStream_tbPNSt15iterator_traitsISK_E10value_typeEPNSQ_ISL_E10value_typeEPSM_NS1_7vsmem_tEENKUlT_SK_SL_SM_E_clISE_PfSF_SF_EESJ_SZ_SK_SL_SM_EUlSZ_E1_NS1_11comp_targetILNS1_3genE10ELNS1_11target_archE1201ELNS1_3gpuE5ELNS1_3repE0EEENS1_36merge_oddeven_config_static_selectorELNS0_4arch9wavefront6targetE1EEEvSL_: ; @_ZN7rocprim17ROCPRIM_400000_NS6detail17trampoline_kernelINS0_14default_configENS1_38merge_sort_block_merge_config_selectorIfNS0_10empty_typeEEEZZNS1_27merge_sort_block_merge_implIS3_N6thrust23THRUST_200600_302600_NS6detail15normal_iteratorINS9_10device_ptrIfEEEEPS5_jNS1_19radix_merge_compareILb0ELb0EfNS0_19identity_decomposerEEEEE10hipError_tT0_T1_T2_jT3_P12ihipStream_tbPNSt15iterator_traitsISK_E10value_typeEPNSQ_ISL_E10value_typeEPSM_NS1_7vsmem_tEENKUlT_SK_SL_SM_E_clISE_PfSF_SF_EESJ_SZ_SK_SL_SM_EUlSZ_E1_NS1_11comp_targetILNS1_3genE10ELNS1_11target_archE1201ELNS1_3gpuE5ELNS1_3repE0EEENS1_36merge_oddeven_config_static_selectorELNS0_4arch9wavefront6targetE1EEEvSL_
; %bb.0:
	.section	.rodata,"a",@progbits
	.p2align	6, 0x0
	.amdhsa_kernel _ZN7rocprim17ROCPRIM_400000_NS6detail17trampoline_kernelINS0_14default_configENS1_38merge_sort_block_merge_config_selectorIfNS0_10empty_typeEEEZZNS1_27merge_sort_block_merge_implIS3_N6thrust23THRUST_200600_302600_NS6detail15normal_iteratorINS9_10device_ptrIfEEEEPS5_jNS1_19radix_merge_compareILb0ELb0EfNS0_19identity_decomposerEEEEE10hipError_tT0_T1_T2_jT3_P12ihipStream_tbPNSt15iterator_traitsISK_E10value_typeEPNSQ_ISL_E10value_typeEPSM_NS1_7vsmem_tEENKUlT_SK_SL_SM_E_clISE_PfSF_SF_EESJ_SZ_SK_SL_SM_EUlSZ_E1_NS1_11comp_targetILNS1_3genE10ELNS1_11target_archE1201ELNS1_3gpuE5ELNS1_3repE0EEENS1_36merge_oddeven_config_static_selectorELNS0_4arch9wavefront6targetE1EEEvSL_
		.amdhsa_group_segment_fixed_size 0
		.amdhsa_private_segment_fixed_size 0
		.amdhsa_kernarg_size 48
		.amdhsa_user_sgpr_count 2
		.amdhsa_user_sgpr_dispatch_ptr 0
		.amdhsa_user_sgpr_queue_ptr 0
		.amdhsa_user_sgpr_kernarg_segment_ptr 1
		.amdhsa_user_sgpr_dispatch_id 0
		.amdhsa_user_sgpr_kernarg_preload_length 0
		.amdhsa_user_sgpr_kernarg_preload_offset 0
		.amdhsa_user_sgpr_private_segment_size 0
		.amdhsa_uses_dynamic_stack 0
		.amdhsa_enable_private_segment 0
		.amdhsa_system_sgpr_workgroup_id_x 1
		.amdhsa_system_sgpr_workgroup_id_y 0
		.amdhsa_system_sgpr_workgroup_id_z 0
		.amdhsa_system_sgpr_workgroup_info 0
		.amdhsa_system_vgpr_workitem_id 0
		.amdhsa_next_free_vgpr 1
		.amdhsa_next_free_sgpr 0
		.amdhsa_accum_offset 4
		.amdhsa_reserve_vcc 0
		.amdhsa_float_round_mode_32 0
		.amdhsa_float_round_mode_16_64 0
		.amdhsa_float_denorm_mode_32 3
		.amdhsa_float_denorm_mode_16_64 3
		.amdhsa_dx10_clamp 1
		.amdhsa_ieee_mode 1
		.amdhsa_fp16_overflow 0
		.amdhsa_tg_split 0
		.amdhsa_exception_fp_ieee_invalid_op 0
		.amdhsa_exception_fp_denorm_src 0
		.amdhsa_exception_fp_ieee_div_zero 0
		.amdhsa_exception_fp_ieee_overflow 0
		.amdhsa_exception_fp_ieee_underflow 0
		.amdhsa_exception_fp_ieee_inexact 0
		.amdhsa_exception_int_div_zero 0
	.end_amdhsa_kernel
	.section	.text._ZN7rocprim17ROCPRIM_400000_NS6detail17trampoline_kernelINS0_14default_configENS1_38merge_sort_block_merge_config_selectorIfNS0_10empty_typeEEEZZNS1_27merge_sort_block_merge_implIS3_N6thrust23THRUST_200600_302600_NS6detail15normal_iteratorINS9_10device_ptrIfEEEEPS5_jNS1_19radix_merge_compareILb0ELb0EfNS0_19identity_decomposerEEEEE10hipError_tT0_T1_T2_jT3_P12ihipStream_tbPNSt15iterator_traitsISK_E10value_typeEPNSQ_ISL_E10value_typeEPSM_NS1_7vsmem_tEENKUlT_SK_SL_SM_E_clISE_PfSF_SF_EESJ_SZ_SK_SL_SM_EUlSZ_E1_NS1_11comp_targetILNS1_3genE10ELNS1_11target_archE1201ELNS1_3gpuE5ELNS1_3repE0EEENS1_36merge_oddeven_config_static_selectorELNS0_4arch9wavefront6targetE1EEEvSL_,"axG",@progbits,_ZN7rocprim17ROCPRIM_400000_NS6detail17trampoline_kernelINS0_14default_configENS1_38merge_sort_block_merge_config_selectorIfNS0_10empty_typeEEEZZNS1_27merge_sort_block_merge_implIS3_N6thrust23THRUST_200600_302600_NS6detail15normal_iteratorINS9_10device_ptrIfEEEEPS5_jNS1_19radix_merge_compareILb0ELb0EfNS0_19identity_decomposerEEEEE10hipError_tT0_T1_T2_jT3_P12ihipStream_tbPNSt15iterator_traitsISK_E10value_typeEPNSQ_ISL_E10value_typeEPSM_NS1_7vsmem_tEENKUlT_SK_SL_SM_E_clISE_PfSF_SF_EESJ_SZ_SK_SL_SM_EUlSZ_E1_NS1_11comp_targetILNS1_3genE10ELNS1_11target_archE1201ELNS1_3gpuE5ELNS1_3repE0EEENS1_36merge_oddeven_config_static_selectorELNS0_4arch9wavefront6targetE1EEEvSL_,comdat
.Lfunc_end516:
	.size	_ZN7rocprim17ROCPRIM_400000_NS6detail17trampoline_kernelINS0_14default_configENS1_38merge_sort_block_merge_config_selectorIfNS0_10empty_typeEEEZZNS1_27merge_sort_block_merge_implIS3_N6thrust23THRUST_200600_302600_NS6detail15normal_iteratorINS9_10device_ptrIfEEEEPS5_jNS1_19radix_merge_compareILb0ELb0EfNS0_19identity_decomposerEEEEE10hipError_tT0_T1_T2_jT3_P12ihipStream_tbPNSt15iterator_traitsISK_E10value_typeEPNSQ_ISL_E10value_typeEPSM_NS1_7vsmem_tEENKUlT_SK_SL_SM_E_clISE_PfSF_SF_EESJ_SZ_SK_SL_SM_EUlSZ_E1_NS1_11comp_targetILNS1_3genE10ELNS1_11target_archE1201ELNS1_3gpuE5ELNS1_3repE0EEENS1_36merge_oddeven_config_static_selectorELNS0_4arch9wavefront6targetE1EEEvSL_, .Lfunc_end516-_ZN7rocprim17ROCPRIM_400000_NS6detail17trampoline_kernelINS0_14default_configENS1_38merge_sort_block_merge_config_selectorIfNS0_10empty_typeEEEZZNS1_27merge_sort_block_merge_implIS3_N6thrust23THRUST_200600_302600_NS6detail15normal_iteratorINS9_10device_ptrIfEEEEPS5_jNS1_19radix_merge_compareILb0ELb0EfNS0_19identity_decomposerEEEEE10hipError_tT0_T1_T2_jT3_P12ihipStream_tbPNSt15iterator_traitsISK_E10value_typeEPNSQ_ISL_E10value_typeEPSM_NS1_7vsmem_tEENKUlT_SK_SL_SM_E_clISE_PfSF_SF_EESJ_SZ_SK_SL_SM_EUlSZ_E1_NS1_11comp_targetILNS1_3genE10ELNS1_11target_archE1201ELNS1_3gpuE5ELNS1_3repE0EEENS1_36merge_oddeven_config_static_selectorELNS0_4arch9wavefront6targetE1EEEvSL_
                                        ; -- End function
	.set _ZN7rocprim17ROCPRIM_400000_NS6detail17trampoline_kernelINS0_14default_configENS1_38merge_sort_block_merge_config_selectorIfNS0_10empty_typeEEEZZNS1_27merge_sort_block_merge_implIS3_N6thrust23THRUST_200600_302600_NS6detail15normal_iteratorINS9_10device_ptrIfEEEEPS5_jNS1_19radix_merge_compareILb0ELb0EfNS0_19identity_decomposerEEEEE10hipError_tT0_T1_T2_jT3_P12ihipStream_tbPNSt15iterator_traitsISK_E10value_typeEPNSQ_ISL_E10value_typeEPSM_NS1_7vsmem_tEENKUlT_SK_SL_SM_E_clISE_PfSF_SF_EESJ_SZ_SK_SL_SM_EUlSZ_E1_NS1_11comp_targetILNS1_3genE10ELNS1_11target_archE1201ELNS1_3gpuE5ELNS1_3repE0EEENS1_36merge_oddeven_config_static_selectorELNS0_4arch9wavefront6targetE1EEEvSL_.num_vgpr, 0
	.set _ZN7rocprim17ROCPRIM_400000_NS6detail17trampoline_kernelINS0_14default_configENS1_38merge_sort_block_merge_config_selectorIfNS0_10empty_typeEEEZZNS1_27merge_sort_block_merge_implIS3_N6thrust23THRUST_200600_302600_NS6detail15normal_iteratorINS9_10device_ptrIfEEEEPS5_jNS1_19radix_merge_compareILb0ELb0EfNS0_19identity_decomposerEEEEE10hipError_tT0_T1_T2_jT3_P12ihipStream_tbPNSt15iterator_traitsISK_E10value_typeEPNSQ_ISL_E10value_typeEPSM_NS1_7vsmem_tEENKUlT_SK_SL_SM_E_clISE_PfSF_SF_EESJ_SZ_SK_SL_SM_EUlSZ_E1_NS1_11comp_targetILNS1_3genE10ELNS1_11target_archE1201ELNS1_3gpuE5ELNS1_3repE0EEENS1_36merge_oddeven_config_static_selectorELNS0_4arch9wavefront6targetE1EEEvSL_.num_agpr, 0
	.set _ZN7rocprim17ROCPRIM_400000_NS6detail17trampoline_kernelINS0_14default_configENS1_38merge_sort_block_merge_config_selectorIfNS0_10empty_typeEEEZZNS1_27merge_sort_block_merge_implIS3_N6thrust23THRUST_200600_302600_NS6detail15normal_iteratorINS9_10device_ptrIfEEEEPS5_jNS1_19radix_merge_compareILb0ELb0EfNS0_19identity_decomposerEEEEE10hipError_tT0_T1_T2_jT3_P12ihipStream_tbPNSt15iterator_traitsISK_E10value_typeEPNSQ_ISL_E10value_typeEPSM_NS1_7vsmem_tEENKUlT_SK_SL_SM_E_clISE_PfSF_SF_EESJ_SZ_SK_SL_SM_EUlSZ_E1_NS1_11comp_targetILNS1_3genE10ELNS1_11target_archE1201ELNS1_3gpuE5ELNS1_3repE0EEENS1_36merge_oddeven_config_static_selectorELNS0_4arch9wavefront6targetE1EEEvSL_.numbered_sgpr, 0
	.set _ZN7rocprim17ROCPRIM_400000_NS6detail17trampoline_kernelINS0_14default_configENS1_38merge_sort_block_merge_config_selectorIfNS0_10empty_typeEEEZZNS1_27merge_sort_block_merge_implIS3_N6thrust23THRUST_200600_302600_NS6detail15normal_iteratorINS9_10device_ptrIfEEEEPS5_jNS1_19radix_merge_compareILb0ELb0EfNS0_19identity_decomposerEEEEE10hipError_tT0_T1_T2_jT3_P12ihipStream_tbPNSt15iterator_traitsISK_E10value_typeEPNSQ_ISL_E10value_typeEPSM_NS1_7vsmem_tEENKUlT_SK_SL_SM_E_clISE_PfSF_SF_EESJ_SZ_SK_SL_SM_EUlSZ_E1_NS1_11comp_targetILNS1_3genE10ELNS1_11target_archE1201ELNS1_3gpuE5ELNS1_3repE0EEENS1_36merge_oddeven_config_static_selectorELNS0_4arch9wavefront6targetE1EEEvSL_.num_named_barrier, 0
	.set _ZN7rocprim17ROCPRIM_400000_NS6detail17trampoline_kernelINS0_14default_configENS1_38merge_sort_block_merge_config_selectorIfNS0_10empty_typeEEEZZNS1_27merge_sort_block_merge_implIS3_N6thrust23THRUST_200600_302600_NS6detail15normal_iteratorINS9_10device_ptrIfEEEEPS5_jNS1_19radix_merge_compareILb0ELb0EfNS0_19identity_decomposerEEEEE10hipError_tT0_T1_T2_jT3_P12ihipStream_tbPNSt15iterator_traitsISK_E10value_typeEPNSQ_ISL_E10value_typeEPSM_NS1_7vsmem_tEENKUlT_SK_SL_SM_E_clISE_PfSF_SF_EESJ_SZ_SK_SL_SM_EUlSZ_E1_NS1_11comp_targetILNS1_3genE10ELNS1_11target_archE1201ELNS1_3gpuE5ELNS1_3repE0EEENS1_36merge_oddeven_config_static_selectorELNS0_4arch9wavefront6targetE1EEEvSL_.private_seg_size, 0
	.set _ZN7rocprim17ROCPRIM_400000_NS6detail17trampoline_kernelINS0_14default_configENS1_38merge_sort_block_merge_config_selectorIfNS0_10empty_typeEEEZZNS1_27merge_sort_block_merge_implIS3_N6thrust23THRUST_200600_302600_NS6detail15normal_iteratorINS9_10device_ptrIfEEEEPS5_jNS1_19radix_merge_compareILb0ELb0EfNS0_19identity_decomposerEEEEE10hipError_tT0_T1_T2_jT3_P12ihipStream_tbPNSt15iterator_traitsISK_E10value_typeEPNSQ_ISL_E10value_typeEPSM_NS1_7vsmem_tEENKUlT_SK_SL_SM_E_clISE_PfSF_SF_EESJ_SZ_SK_SL_SM_EUlSZ_E1_NS1_11comp_targetILNS1_3genE10ELNS1_11target_archE1201ELNS1_3gpuE5ELNS1_3repE0EEENS1_36merge_oddeven_config_static_selectorELNS0_4arch9wavefront6targetE1EEEvSL_.uses_vcc, 0
	.set _ZN7rocprim17ROCPRIM_400000_NS6detail17trampoline_kernelINS0_14default_configENS1_38merge_sort_block_merge_config_selectorIfNS0_10empty_typeEEEZZNS1_27merge_sort_block_merge_implIS3_N6thrust23THRUST_200600_302600_NS6detail15normal_iteratorINS9_10device_ptrIfEEEEPS5_jNS1_19radix_merge_compareILb0ELb0EfNS0_19identity_decomposerEEEEE10hipError_tT0_T1_T2_jT3_P12ihipStream_tbPNSt15iterator_traitsISK_E10value_typeEPNSQ_ISL_E10value_typeEPSM_NS1_7vsmem_tEENKUlT_SK_SL_SM_E_clISE_PfSF_SF_EESJ_SZ_SK_SL_SM_EUlSZ_E1_NS1_11comp_targetILNS1_3genE10ELNS1_11target_archE1201ELNS1_3gpuE5ELNS1_3repE0EEENS1_36merge_oddeven_config_static_selectorELNS0_4arch9wavefront6targetE1EEEvSL_.uses_flat_scratch, 0
	.set _ZN7rocprim17ROCPRIM_400000_NS6detail17trampoline_kernelINS0_14default_configENS1_38merge_sort_block_merge_config_selectorIfNS0_10empty_typeEEEZZNS1_27merge_sort_block_merge_implIS3_N6thrust23THRUST_200600_302600_NS6detail15normal_iteratorINS9_10device_ptrIfEEEEPS5_jNS1_19radix_merge_compareILb0ELb0EfNS0_19identity_decomposerEEEEE10hipError_tT0_T1_T2_jT3_P12ihipStream_tbPNSt15iterator_traitsISK_E10value_typeEPNSQ_ISL_E10value_typeEPSM_NS1_7vsmem_tEENKUlT_SK_SL_SM_E_clISE_PfSF_SF_EESJ_SZ_SK_SL_SM_EUlSZ_E1_NS1_11comp_targetILNS1_3genE10ELNS1_11target_archE1201ELNS1_3gpuE5ELNS1_3repE0EEENS1_36merge_oddeven_config_static_selectorELNS0_4arch9wavefront6targetE1EEEvSL_.has_dyn_sized_stack, 0
	.set _ZN7rocprim17ROCPRIM_400000_NS6detail17trampoline_kernelINS0_14default_configENS1_38merge_sort_block_merge_config_selectorIfNS0_10empty_typeEEEZZNS1_27merge_sort_block_merge_implIS3_N6thrust23THRUST_200600_302600_NS6detail15normal_iteratorINS9_10device_ptrIfEEEEPS5_jNS1_19radix_merge_compareILb0ELb0EfNS0_19identity_decomposerEEEEE10hipError_tT0_T1_T2_jT3_P12ihipStream_tbPNSt15iterator_traitsISK_E10value_typeEPNSQ_ISL_E10value_typeEPSM_NS1_7vsmem_tEENKUlT_SK_SL_SM_E_clISE_PfSF_SF_EESJ_SZ_SK_SL_SM_EUlSZ_E1_NS1_11comp_targetILNS1_3genE10ELNS1_11target_archE1201ELNS1_3gpuE5ELNS1_3repE0EEENS1_36merge_oddeven_config_static_selectorELNS0_4arch9wavefront6targetE1EEEvSL_.has_recursion, 0
	.set _ZN7rocprim17ROCPRIM_400000_NS6detail17trampoline_kernelINS0_14default_configENS1_38merge_sort_block_merge_config_selectorIfNS0_10empty_typeEEEZZNS1_27merge_sort_block_merge_implIS3_N6thrust23THRUST_200600_302600_NS6detail15normal_iteratorINS9_10device_ptrIfEEEEPS5_jNS1_19radix_merge_compareILb0ELb0EfNS0_19identity_decomposerEEEEE10hipError_tT0_T1_T2_jT3_P12ihipStream_tbPNSt15iterator_traitsISK_E10value_typeEPNSQ_ISL_E10value_typeEPSM_NS1_7vsmem_tEENKUlT_SK_SL_SM_E_clISE_PfSF_SF_EESJ_SZ_SK_SL_SM_EUlSZ_E1_NS1_11comp_targetILNS1_3genE10ELNS1_11target_archE1201ELNS1_3gpuE5ELNS1_3repE0EEENS1_36merge_oddeven_config_static_selectorELNS0_4arch9wavefront6targetE1EEEvSL_.has_indirect_call, 0
	.section	.AMDGPU.csdata,"",@progbits
; Kernel info:
; codeLenInByte = 0
; TotalNumSgprs: 6
; NumVgprs: 0
; NumAgprs: 0
; TotalNumVgprs: 0
; ScratchSize: 0
; MemoryBound: 0
; FloatMode: 240
; IeeeMode: 1
; LDSByteSize: 0 bytes/workgroup (compile time only)
; SGPRBlocks: 0
; VGPRBlocks: 0
; NumSGPRsForWavesPerEU: 6
; NumVGPRsForWavesPerEU: 1
; AccumOffset: 4
; Occupancy: 8
; WaveLimiterHint : 0
; COMPUTE_PGM_RSRC2:SCRATCH_EN: 0
; COMPUTE_PGM_RSRC2:USER_SGPR: 2
; COMPUTE_PGM_RSRC2:TRAP_HANDLER: 0
; COMPUTE_PGM_RSRC2:TGID_X_EN: 1
; COMPUTE_PGM_RSRC2:TGID_Y_EN: 0
; COMPUTE_PGM_RSRC2:TGID_Z_EN: 0
; COMPUTE_PGM_RSRC2:TIDIG_COMP_CNT: 0
; COMPUTE_PGM_RSRC3_GFX90A:ACCUM_OFFSET: 0
; COMPUTE_PGM_RSRC3_GFX90A:TG_SPLIT: 0
	.section	.text._ZN7rocprim17ROCPRIM_400000_NS6detail17trampoline_kernelINS0_14default_configENS1_38merge_sort_block_merge_config_selectorIfNS0_10empty_typeEEEZZNS1_27merge_sort_block_merge_implIS3_N6thrust23THRUST_200600_302600_NS6detail15normal_iteratorINS9_10device_ptrIfEEEEPS5_jNS1_19radix_merge_compareILb0ELb0EfNS0_19identity_decomposerEEEEE10hipError_tT0_T1_T2_jT3_P12ihipStream_tbPNSt15iterator_traitsISK_E10value_typeEPNSQ_ISL_E10value_typeEPSM_NS1_7vsmem_tEENKUlT_SK_SL_SM_E_clISE_PfSF_SF_EESJ_SZ_SK_SL_SM_EUlSZ_E1_NS1_11comp_targetILNS1_3genE5ELNS1_11target_archE942ELNS1_3gpuE9ELNS1_3repE0EEENS1_36merge_oddeven_config_static_selectorELNS0_4arch9wavefront6targetE1EEEvSL_,"axG",@progbits,_ZN7rocprim17ROCPRIM_400000_NS6detail17trampoline_kernelINS0_14default_configENS1_38merge_sort_block_merge_config_selectorIfNS0_10empty_typeEEEZZNS1_27merge_sort_block_merge_implIS3_N6thrust23THRUST_200600_302600_NS6detail15normal_iteratorINS9_10device_ptrIfEEEEPS5_jNS1_19radix_merge_compareILb0ELb0EfNS0_19identity_decomposerEEEEE10hipError_tT0_T1_T2_jT3_P12ihipStream_tbPNSt15iterator_traitsISK_E10value_typeEPNSQ_ISL_E10value_typeEPSM_NS1_7vsmem_tEENKUlT_SK_SL_SM_E_clISE_PfSF_SF_EESJ_SZ_SK_SL_SM_EUlSZ_E1_NS1_11comp_targetILNS1_3genE5ELNS1_11target_archE942ELNS1_3gpuE9ELNS1_3repE0EEENS1_36merge_oddeven_config_static_selectorELNS0_4arch9wavefront6targetE1EEEvSL_,comdat
	.protected	_ZN7rocprim17ROCPRIM_400000_NS6detail17trampoline_kernelINS0_14default_configENS1_38merge_sort_block_merge_config_selectorIfNS0_10empty_typeEEEZZNS1_27merge_sort_block_merge_implIS3_N6thrust23THRUST_200600_302600_NS6detail15normal_iteratorINS9_10device_ptrIfEEEEPS5_jNS1_19radix_merge_compareILb0ELb0EfNS0_19identity_decomposerEEEEE10hipError_tT0_T1_T2_jT3_P12ihipStream_tbPNSt15iterator_traitsISK_E10value_typeEPNSQ_ISL_E10value_typeEPSM_NS1_7vsmem_tEENKUlT_SK_SL_SM_E_clISE_PfSF_SF_EESJ_SZ_SK_SL_SM_EUlSZ_E1_NS1_11comp_targetILNS1_3genE5ELNS1_11target_archE942ELNS1_3gpuE9ELNS1_3repE0EEENS1_36merge_oddeven_config_static_selectorELNS0_4arch9wavefront6targetE1EEEvSL_ ; -- Begin function _ZN7rocprim17ROCPRIM_400000_NS6detail17trampoline_kernelINS0_14default_configENS1_38merge_sort_block_merge_config_selectorIfNS0_10empty_typeEEEZZNS1_27merge_sort_block_merge_implIS3_N6thrust23THRUST_200600_302600_NS6detail15normal_iteratorINS9_10device_ptrIfEEEEPS5_jNS1_19radix_merge_compareILb0ELb0EfNS0_19identity_decomposerEEEEE10hipError_tT0_T1_T2_jT3_P12ihipStream_tbPNSt15iterator_traitsISK_E10value_typeEPNSQ_ISL_E10value_typeEPSM_NS1_7vsmem_tEENKUlT_SK_SL_SM_E_clISE_PfSF_SF_EESJ_SZ_SK_SL_SM_EUlSZ_E1_NS1_11comp_targetILNS1_3genE5ELNS1_11target_archE942ELNS1_3gpuE9ELNS1_3repE0EEENS1_36merge_oddeven_config_static_selectorELNS0_4arch9wavefront6targetE1EEEvSL_
	.globl	_ZN7rocprim17ROCPRIM_400000_NS6detail17trampoline_kernelINS0_14default_configENS1_38merge_sort_block_merge_config_selectorIfNS0_10empty_typeEEEZZNS1_27merge_sort_block_merge_implIS3_N6thrust23THRUST_200600_302600_NS6detail15normal_iteratorINS9_10device_ptrIfEEEEPS5_jNS1_19radix_merge_compareILb0ELb0EfNS0_19identity_decomposerEEEEE10hipError_tT0_T1_T2_jT3_P12ihipStream_tbPNSt15iterator_traitsISK_E10value_typeEPNSQ_ISL_E10value_typeEPSM_NS1_7vsmem_tEENKUlT_SK_SL_SM_E_clISE_PfSF_SF_EESJ_SZ_SK_SL_SM_EUlSZ_E1_NS1_11comp_targetILNS1_3genE5ELNS1_11target_archE942ELNS1_3gpuE9ELNS1_3repE0EEENS1_36merge_oddeven_config_static_selectorELNS0_4arch9wavefront6targetE1EEEvSL_
	.p2align	8
	.type	_ZN7rocprim17ROCPRIM_400000_NS6detail17trampoline_kernelINS0_14default_configENS1_38merge_sort_block_merge_config_selectorIfNS0_10empty_typeEEEZZNS1_27merge_sort_block_merge_implIS3_N6thrust23THRUST_200600_302600_NS6detail15normal_iteratorINS9_10device_ptrIfEEEEPS5_jNS1_19radix_merge_compareILb0ELb0EfNS0_19identity_decomposerEEEEE10hipError_tT0_T1_T2_jT3_P12ihipStream_tbPNSt15iterator_traitsISK_E10value_typeEPNSQ_ISL_E10value_typeEPSM_NS1_7vsmem_tEENKUlT_SK_SL_SM_E_clISE_PfSF_SF_EESJ_SZ_SK_SL_SM_EUlSZ_E1_NS1_11comp_targetILNS1_3genE5ELNS1_11target_archE942ELNS1_3gpuE9ELNS1_3repE0EEENS1_36merge_oddeven_config_static_selectorELNS0_4arch9wavefront6targetE1EEEvSL_,@function
_ZN7rocprim17ROCPRIM_400000_NS6detail17trampoline_kernelINS0_14default_configENS1_38merge_sort_block_merge_config_selectorIfNS0_10empty_typeEEEZZNS1_27merge_sort_block_merge_implIS3_N6thrust23THRUST_200600_302600_NS6detail15normal_iteratorINS9_10device_ptrIfEEEEPS5_jNS1_19radix_merge_compareILb0ELb0EfNS0_19identity_decomposerEEEEE10hipError_tT0_T1_T2_jT3_P12ihipStream_tbPNSt15iterator_traitsISK_E10value_typeEPNSQ_ISL_E10value_typeEPSM_NS1_7vsmem_tEENKUlT_SK_SL_SM_E_clISE_PfSF_SF_EESJ_SZ_SK_SL_SM_EUlSZ_E1_NS1_11comp_targetILNS1_3genE5ELNS1_11target_archE942ELNS1_3gpuE9ELNS1_3repE0EEENS1_36merge_oddeven_config_static_selectorELNS0_4arch9wavefront6targetE1EEEvSL_: ; @_ZN7rocprim17ROCPRIM_400000_NS6detail17trampoline_kernelINS0_14default_configENS1_38merge_sort_block_merge_config_selectorIfNS0_10empty_typeEEEZZNS1_27merge_sort_block_merge_implIS3_N6thrust23THRUST_200600_302600_NS6detail15normal_iteratorINS9_10device_ptrIfEEEEPS5_jNS1_19radix_merge_compareILb0ELb0EfNS0_19identity_decomposerEEEEE10hipError_tT0_T1_T2_jT3_P12ihipStream_tbPNSt15iterator_traitsISK_E10value_typeEPNSQ_ISL_E10value_typeEPSM_NS1_7vsmem_tEENKUlT_SK_SL_SM_E_clISE_PfSF_SF_EESJ_SZ_SK_SL_SM_EUlSZ_E1_NS1_11comp_targetILNS1_3genE5ELNS1_11target_archE942ELNS1_3gpuE9ELNS1_3repE0EEENS1_36merge_oddeven_config_static_selectorELNS0_4arch9wavefront6targetE1EEEvSL_
; %bb.0:
	.section	.rodata,"a",@progbits
	.p2align	6, 0x0
	.amdhsa_kernel _ZN7rocprim17ROCPRIM_400000_NS6detail17trampoline_kernelINS0_14default_configENS1_38merge_sort_block_merge_config_selectorIfNS0_10empty_typeEEEZZNS1_27merge_sort_block_merge_implIS3_N6thrust23THRUST_200600_302600_NS6detail15normal_iteratorINS9_10device_ptrIfEEEEPS5_jNS1_19radix_merge_compareILb0ELb0EfNS0_19identity_decomposerEEEEE10hipError_tT0_T1_T2_jT3_P12ihipStream_tbPNSt15iterator_traitsISK_E10value_typeEPNSQ_ISL_E10value_typeEPSM_NS1_7vsmem_tEENKUlT_SK_SL_SM_E_clISE_PfSF_SF_EESJ_SZ_SK_SL_SM_EUlSZ_E1_NS1_11comp_targetILNS1_3genE5ELNS1_11target_archE942ELNS1_3gpuE9ELNS1_3repE0EEENS1_36merge_oddeven_config_static_selectorELNS0_4arch9wavefront6targetE1EEEvSL_
		.amdhsa_group_segment_fixed_size 0
		.amdhsa_private_segment_fixed_size 0
		.amdhsa_kernarg_size 48
		.amdhsa_user_sgpr_count 2
		.amdhsa_user_sgpr_dispatch_ptr 0
		.amdhsa_user_sgpr_queue_ptr 0
		.amdhsa_user_sgpr_kernarg_segment_ptr 1
		.amdhsa_user_sgpr_dispatch_id 0
		.amdhsa_user_sgpr_kernarg_preload_length 0
		.amdhsa_user_sgpr_kernarg_preload_offset 0
		.amdhsa_user_sgpr_private_segment_size 0
		.amdhsa_uses_dynamic_stack 0
		.amdhsa_enable_private_segment 0
		.amdhsa_system_sgpr_workgroup_id_x 1
		.amdhsa_system_sgpr_workgroup_id_y 0
		.amdhsa_system_sgpr_workgroup_id_z 0
		.amdhsa_system_sgpr_workgroup_info 0
		.amdhsa_system_vgpr_workitem_id 0
		.amdhsa_next_free_vgpr 1
		.amdhsa_next_free_sgpr 0
		.amdhsa_accum_offset 4
		.amdhsa_reserve_vcc 0
		.amdhsa_float_round_mode_32 0
		.amdhsa_float_round_mode_16_64 0
		.amdhsa_float_denorm_mode_32 3
		.amdhsa_float_denorm_mode_16_64 3
		.amdhsa_dx10_clamp 1
		.amdhsa_ieee_mode 1
		.amdhsa_fp16_overflow 0
		.amdhsa_tg_split 0
		.amdhsa_exception_fp_ieee_invalid_op 0
		.amdhsa_exception_fp_denorm_src 0
		.amdhsa_exception_fp_ieee_div_zero 0
		.amdhsa_exception_fp_ieee_overflow 0
		.amdhsa_exception_fp_ieee_underflow 0
		.amdhsa_exception_fp_ieee_inexact 0
		.amdhsa_exception_int_div_zero 0
	.end_amdhsa_kernel
	.section	.text._ZN7rocprim17ROCPRIM_400000_NS6detail17trampoline_kernelINS0_14default_configENS1_38merge_sort_block_merge_config_selectorIfNS0_10empty_typeEEEZZNS1_27merge_sort_block_merge_implIS3_N6thrust23THRUST_200600_302600_NS6detail15normal_iteratorINS9_10device_ptrIfEEEEPS5_jNS1_19radix_merge_compareILb0ELb0EfNS0_19identity_decomposerEEEEE10hipError_tT0_T1_T2_jT3_P12ihipStream_tbPNSt15iterator_traitsISK_E10value_typeEPNSQ_ISL_E10value_typeEPSM_NS1_7vsmem_tEENKUlT_SK_SL_SM_E_clISE_PfSF_SF_EESJ_SZ_SK_SL_SM_EUlSZ_E1_NS1_11comp_targetILNS1_3genE5ELNS1_11target_archE942ELNS1_3gpuE9ELNS1_3repE0EEENS1_36merge_oddeven_config_static_selectorELNS0_4arch9wavefront6targetE1EEEvSL_,"axG",@progbits,_ZN7rocprim17ROCPRIM_400000_NS6detail17trampoline_kernelINS0_14default_configENS1_38merge_sort_block_merge_config_selectorIfNS0_10empty_typeEEEZZNS1_27merge_sort_block_merge_implIS3_N6thrust23THRUST_200600_302600_NS6detail15normal_iteratorINS9_10device_ptrIfEEEEPS5_jNS1_19radix_merge_compareILb0ELb0EfNS0_19identity_decomposerEEEEE10hipError_tT0_T1_T2_jT3_P12ihipStream_tbPNSt15iterator_traitsISK_E10value_typeEPNSQ_ISL_E10value_typeEPSM_NS1_7vsmem_tEENKUlT_SK_SL_SM_E_clISE_PfSF_SF_EESJ_SZ_SK_SL_SM_EUlSZ_E1_NS1_11comp_targetILNS1_3genE5ELNS1_11target_archE942ELNS1_3gpuE9ELNS1_3repE0EEENS1_36merge_oddeven_config_static_selectorELNS0_4arch9wavefront6targetE1EEEvSL_,comdat
.Lfunc_end517:
	.size	_ZN7rocprim17ROCPRIM_400000_NS6detail17trampoline_kernelINS0_14default_configENS1_38merge_sort_block_merge_config_selectorIfNS0_10empty_typeEEEZZNS1_27merge_sort_block_merge_implIS3_N6thrust23THRUST_200600_302600_NS6detail15normal_iteratorINS9_10device_ptrIfEEEEPS5_jNS1_19radix_merge_compareILb0ELb0EfNS0_19identity_decomposerEEEEE10hipError_tT0_T1_T2_jT3_P12ihipStream_tbPNSt15iterator_traitsISK_E10value_typeEPNSQ_ISL_E10value_typeEPSM_NS1_7vsmem_tEENKUlT_SK_SL_SM_E_clISE_PfSF_SF_EESJ_SZ_SK_SL_SM_EUlSZ_E1_NS1_11comp_targetILNS1_3genE5ELNS1_11target_archE942ELNS1_3gpuE9ELNS1_3repE0EEENS1_36merge_oddeven_config_static_selectorELNS0_4arch9wavefront6targetE1EEEvSL_, .Lfunc_end517-_ZN7rocprim17ROCPRIM_400000_NS6detail17trampoline_kernelINS0_14default_configENS1_38merge_sort_block_merge_config_selectorIfNS0_10empty_typeEEEZZNS1_27merge_sort_block_merge_implIS3_N6thrust23THRUST_200600_302600_NS6detail15normal_iteratorINS9_10device_ptrIfEEEEPS5_jNS1_19radix_merge_compareILb0ELb0EfNS0_19identity_decomposerEEEEE10hipError_tT0_T1_T2_jT3_P12ihipStream_tbPNSt15iterator_traitsISK_E10value_typeEPNSQ_ISL_E10value_typeEPSM_NS1_7vsmem_tEENKUlT_SK_SL_SM_E_clISE_PfSF_SF_EESJ_SZ_SK_SL_SM_EUlSZ_E1_NS1_11comp_targetILNS1_3genE5ELNS1_11target_archE942ELNS1_3gpuE9ELNS1_3repE0EEENS1_36merge_oddeven_config_static_selectorELNS0_4arch9wavefront6targetE1EEEvSL_
                                        ; -- End function
	.set _ZN7rocprim17ROCPRIM_400000_NS6detail17trampoline_kernelINS0_14default_configENS1_38merge_sort_block_merge_config_selectorIfNS0_10empty_typeEEEZZNS1_27merge_sort_block_merge_implIS3_N6thrust23THRUST_200600_302600_NS6detail15normal_iteratorINS9_10device_ptrIfEEEEPS5_jNS1_19radix_merge_compareILb0ELb0EfNS0_19identity_decomposerEEEEE10hipError_tT0_T1_T2_jT3_P12ihipStream_tbPNSt15iterator_traitsISK_E10value_typeEPNSQ_ISL_E10value_typeEPSM_NS1_7vsmem_tEENKUlT_SK_SL_SM_E_clISE_PfSF_SF_EESJ_SZ_SK_SL_SM_EUlSZ_E1_NS1_11comp_targetILNS1_3genE5ELNS1_11target_archE942ELNS1_3gpuE9ELNS1_3repE0EEENS1_36merge_oddeven_config_static_selectorELNS0_4arch9wavefront6targetE1EEEvSL_.num_vgpr, 0
	.set _ZN7rocprim17ROCPRIM_400000_NS6detail17trampoline_kernelINS0_14default_configENS1_38merge_sort_block_merge_config_selectorIfNS0_10empty_typeEEEZZNS1_27merge_sort_block_merge_implIS3_N6thrust23THRUST_200600_302600_NS6detail15normal_iteratorINS9_10device_ptrIfEEEEPS5_jNS1_19radix_merge_compareILb0ELb0EfNS0_19identity_decomposerEEEEE10hipError_tT0_T1_T2_jT3_P12ihipStream_tbPNSt15iterator_traitsISK_E10value_typeEPNSQ_ISL_E10value_typeEPSM_NS1_7vsmem_tEENKUlT_SK_SL_SM_E_clISE_PfSF_SF_EESJ_SZ_SK_SL_SM_EUlSZ_E1_NS1_11comp_targetILNS1_3genE5ELNS1_11target_archE942ELNS1_3gpuE9ELNS1_3repE0EEENS1_36merge_oddeven_config_static_selectorELNS0_4arch9wavefront6targetE1EEEvSL_.num_agpr, 0
	.set _ZN7rocprim17ROCPRIM_400000_NS6detail17trampoline_kernelINS0_14default_configENS1_38merge_sort_block_merge_config_selectorIfNS0_10empty_typeEEEZZNS1_27merge_sort_block_merge_implIS3_N6thrust23THRUST_200600_302600_NS6detail15normal_iteratorINS9_10device_ptrIfEEEEPS5_jNS1_19radix_merge_compareILb0ELb0EfNS0_19identity_decomposerEEEEE10hipError_tT0_T1_T2_jT3_P12ihipStream_tbPNSt15iterator_traitsISK_E10value_typeEPNSQ_ISL_E10value_typeEPSM_NS1_7vsmem_tEENKUlT_SK_SL_SM_E_clISE_PfSF_SF_EESJ_SZ_SK_SL_SM_EUlSZ_E1_NS1_11comp_targetILNS1_3genE5ELNS1_11target_archE942ELNS1_3gpuE9ELNS1_3repE0EEENS1_36merge_oddeven_config_static_selectorELNS0_4arch9wavefront6targetE1EEEvSL_.numbered_sgpr, 0
	.set _ZN7rocprim17ROCPRIM_400000_NS6detail17trampoline_kernelINS0_14default_configENS1_38merge_sort_block_merge_config_selectorIfNS0_10empty_typeEEEZZNS1_27merge_sort_block_merge_implIS3_N6thrust23THRUST_200600_302600_NS6detail15normal_iteratorINS9_10device_ptrIfEEEEPS5_jNS1_19radix_merge_compareILb0ELb0EfNS0_19identity_decomposerEEEEE10hipError_tT0_T1_T2_jT3_P12ihipStream_tbPNSt15iterator_traitsISK_E10value_typeEPNSQ_ISL_E10value_typeEPSM_NS1_7vsmem_tEENKUlT_SK_SL_SM_E_clISE_PfSF_SF_EESJ_SZ_SK_SL_SM_EUlSZ_E1_NS1_11comp_targetILNS1_3genE5ELNS1_11target_archE942ELNS1_3gpuE9ELNS1_3repE0EEENS1_36merge_oddeven_config_static_selectorELNS0_4arch9wavefront6targetE1EEEvSL_.num_named_barrier, 0
	.set _ZN7rocprim17ROCPRIM_400000_NS6detail17trampoline_kernelINS0_14default_configENS1_38merge_sort_block_merge_config_selectorIfNS0_10empty_typeEEEZZNS1_27merge_sort_block_merge_implIS3_N6thrust23THRUST_200600_302600_NS6detail15normal_iteratorINS9_10device_ptrIfEEEEPS5_jNS1_19radix_merge_compareILb0ELb0EfNS0_19identity_decomposerEEEEE10hipError_tT0_T1_T2_jT3_P12ihipStream_tbPNSt15iterator_traitsISK_E10value_typeEPNSQ_ISL_E10value_typeEPSM_NS1_7vsmem_tEENKUlT_SK_SL_SM_E_clISE_PfSF_SF_EESJ_SZ_SK_SL_SM_EUlSZ_E1_NS1_11comp_targetILNS1_3genE5ELNS1_11target_archE942ELNS1_3gpuE9ELNS1_3repE0EEENS1_36merge_oddeven_config_static_selectorELNS0_4arch9wavefront6targetE1EEEvSL_.private_seg_size, 0
	.set _ZN7rocprim17ROCPRIM_400000_NS6detail17trampoline_kernelINS0_14default_configENS1_38merge_sort_block_merge_config_selectorIfNS0_10empty_typeEEEZZNS1_27merge_sort_block_merge_implIS3_N6thrust23THRUST_200600_302600_NS6detail15normal_iteratorINS9_10device_ptrIfEEEEPS5_jNS1_19radix_merge_compareILb0ELb0EfNS0_19identity_decomposerEEEEE10hipError_tT0_T1_T2_jT3_P12ihipStream_tbPNSt15iterator_traitsISK_E10value_typeEPNSQ_ISL_E10value_typeEPSM_NS1_7vsmem_tEENKUlT_SK_SL_SM_E_clISE_PfSF_SF_EESJ_SZ_SK_SL_SM_EUlSZ_E1_NS1_11comp_targetILNS1_3genE5ELNS1_11target_archE942ELNS1_3gpuE9ELNS1_3repE0EEENS1_36merge_oddeven_config_static_selectorELNS0_4arch9wavefront6targetE1EEEvSL_.uses_vcc, 0
	.set _ZN7rocprim17ROCPRIM_400000_NS6detail17trampoline_kernelINS0_14default_configENS1_38merge_sort_block_merge_config_selectorIfNS0_10empty_typeEEEZZNS1_27merge_sort_block_merge_implIS3_N6thrust23THRUST_200600_302600_NS6detail15normal_iteratorINS9_10device_ptrIfEEEEPS5_jNS1_19radix_merge_compareILb0ELb0EfNS0_19identity_decomposerEEEEE10hipError_tT0_T1_T2_jT3_P12ihipStream_tbPNSt15iterator_traitsISK_E10value_typeEPNSQ_ISL_E10value_typeEPSM_NS1_7vsmem_tEENKUlT_SK_SL_SM_E_clISE_PfSF_SF_EESJ_SZ_SK_SL_SM_EUlSZ_E1_NS1_11comp_targetILNS1_3genE5ELNS1_11target_archE942ELNS1_3gpuE9ELNS1_3repE0EEENS1_36merge_oddeven_config_static_selectorELNS0_4arch9wavefront6targetE1EEEvSL_.uses_flat_scratch, 0
	.set _ZN7rocprim17ROCPRIM_400000_NS6detail17trampoline_kernelINS0_14default_configENS1_38merge_sort_block_merge_config_selectorIfNS0_10empty_typeEEEZZNS1_27merge_sort_block_merge_implIS3_N6thrust23THRUST_200600_302600_NS6detail15normal_iteratorINS9_10device_ptrIfEEEEPS5_jNS1_19radix_merge_compareILb0ELb0EfNS0_19identity_decomposerEEEEE10hipError_tT0_T1_T2_jT3_P12ihipStream_tbPNSt15iterator_traitsISK_E10value_typeEPNSQ_ISL_E10value_typeEPSM_NS1_7vsmem_tEENKUlT_SK_SL_SM_E_clISE_PfSF_SF_EESJ_SZ_SK_SL_SM_EUlSZ_E1_NS1_11comp_targetILNS1_3genE5ELNS1_11target_archE942ELNS1_3gpuE9ELNS1_3repE0EEENS1_36merge_oddeven_config_static_selectorELNS0_4arch9wavefront6targetE1EEEvSL_.has_dyn_sized_stack, 0
	.set _ZN7rocprim17ROCPRIM_400000_NS6detail17trampoline_kernelINS0_14default_configENS1_38merge_sort_block_merge_config_selectorIfNS0_10empty_typeEEEZZNS1_27merge_sort_block_merge_implIS3_N6thrust23THRUST_200600_302600_NS6detail15normal_iteratorINS9_10device_ptrIfEEEEPS5_jNS1_19radix_merge_compareILb0ELb0EfNS0_19identity_decomposerEEEEE10hipError_tT0_T1_T2_jT3_P12ihipStream_tbPNSt15iterator_traitsISK_E10value_typeEPNSQ_ISL_E10value_typeEPSM_NS1_7vsmem_tEENKUlT_SK_SL_SM_E_clISE_PfSF_SF_EESJ_SZ_SK_SL_SM_EUlSZ_E1_NS1_11comp_targetILNS1_3genE5ELNS1_11target_archE942ELNS1_3gpuE9ELNS1_3repE0EEENS1_36merge_oddeven_config_static_selectorELNS0_4arch9wavefront6targetE1EEEvSL_.has_recursion, 0
	.set _ZN7rocprim17ROCPRIM_400000_NS6detail17trampoline_kernelINS0_14default_configENS1_38merge_sort_block_merge_config_selectorIfNS0_10empty_typeEEEZZNS1_27merge_sort_block_merge_implIS3_N6thrust23THRUST_200600_302600_NS6detail15normal_iteratorINS9_10device_ptrIfEEEEPS5_jNS1_19radix_merge_compareILb0ELb0EfNS0_19identity_decomposerEEEEE10hipError_tT0_T1_T2_jT3_P12ihipStream_tbPNSt15iterator_traitsISK_E10value_typeEPNSQ_ISL_E10value_typeEPSM_NS1_7vsmem_tEENKUlT_SK_SL_SM_E_clISE_PfSF_SF_EESJ_SZ_SK_SL_SM_EUlSZ_E1_NS1_11comp_targetILNS1_3genE5ELNS1_11target_archE942ELNS1_3gpuE9ELNS1_3repE0EEENS1_36merge_oddeven_config_static_selectorELNS0_4arch9wavefront6targetE1EEEvSL_.has_indirect_call, 0
	.section	.AMDGPU.csdata,"",@progbits
; Kernel info:
; codeLenInByte = 0
; TotalNumSgprs: 6
; NumVgprs: 0
; NumAgprs: 0
; TotalNumVgprs: 0
; ScratchSize: 0
; MemoryBound: 0
; FloatMode: 240
; IeeeMode: 1
; LDSByteSize: 0 bytes/workgroup (compile time only)
; SGPRBlocks: 0
; VGPRBlocks: 0
; NumSGPRsForWavesPerEU: 6
; NumVGPRsForWavesPerEU: 1
; AccumOffset: 4
; Occupancy: 8
; WaveLimiterHint : 0
; COMPUTE_PGM_RSRC2:SCRATCH_EN: 0
; COMPUTE_PGM_RSRC2:USER_SGPR: 2
; COMPUTE_PGM_RSRC2:TRAP_HANDLER: 0
; COMPUTE_PGM_RSRC2:TGID_X_EN: 1
; COMPUTE_PGM_RSRC2:TGID_Y_EN: 0
; COMPUTE_PGM_RSRC2:TGID_Z_EN: 0
; COMPUTE_PGM_RSRC2:TIDIG_COMP_CNT: 0
; COMPUTE_PGM_RSRC3_GFX90A:ACCUM_OFFSET: 0
; COMPUTE_PGM_RSRC3_GFX90A:TG_SPLIT: 0
	.section	.text._ZN7rocprim17ROCPRIM_400000_NS6detail17trampoline_kernelINS0_14default_configENS1_38merge_sort_block_merge_config_selectorIfNS0_10empty_typeEEEZZNS1_27merge_sort_block_merge_implIS3_N6thrust23THRUST_200600_302600_NS6detail15normal_iteratorINS9_10device_ptrIfEEEEPS5_jNS1_19radix_merge_compareILb0ELb0EfNS0_19identity_decomposerEEEEE10hipError_tT0_T1_T2_jT3_P12ihipStream_tbPNSt15iterator_traitsISK_E10value_typeEPNSQ_ISL_E10value_typeEPSM_NS1_7vsmem_tEENKUlT_SK_SL_SM_E_clISE_PfSF_SF_EESJ_SZ_SK_SL_SM_EUlSZ_E1_NS1_11comp_targetILNS1_3genE4ELNS1_11target_archE910ELNS1_3gpuE8ELNS1_3repE0EEENS1_36merge_oddeven_config_static_selectorELNS0_4arch9wavefront6targetE1EEEvSL_,"axG",@progbits,_ZN7rocprim17ROCPRIM_400000_NS6detail17trampoline_kernelINS0_14default_configENS1_38merge_sort_block_merge_config_selectorIfNS0_10empty_typeEEEZZNS1_27merge_sort_block_merge_implIS3_N6thrust23THRUST_200600_302600_NS6detail15normal_iteratorINS9_10device_ptrIfEEEEPS5_jNS1_19radix_merge_compareILb0ELb0EfNS0_19identity_decomposerEEEEE10hipError_tT0_T1_T2_jT3_P12ihipStream_tbPNSt15iterator_traitsISK_E10value_typeEPNSQ_ISL_E10value_typeEPSM_NS1_7vsmem_tEENKUlT_SK_SL_SM_E_clISE_PfSF_SF_EESJ_SZ_SK_SL_SM_EUlSZ_E1_NS1_11comp_targetILNS1_3genE4ELNS1_11target_archE910ELNS1_3gpuE8ELNS1_3repE0EEENS1_36merge_oddeven_config_static_selectorELNS0_4arch9wavefront6targetE1EEEvSL_,comdat
	.protected	_ZN7rocprim17ROCPRIM_400000_NS6detail17trampoline_kernelINS0_14default_configENS1_38merge_sort_block_merge_config_selectorIfNS0_10empty_typeEEEZZNS1_27merge_sort_block_merge_implIS3_N6thrust23THRUST_200600_302600_NS6detail15normal_iteratorINS9_10device_ptrIfEEEEPS5_jNS1_19radix_merge_compareILb0ELb0EfNS0_19identity_decomposerEEEEE10hipError_tT0_T1_T2_jT3_P12ihipStream_tbPNSt15iterator_traitsISK_E10value_typeEPNSQ_ISL_E10value_typeEPSM_NS1_7vsmem_tEENKUlT_SK_SL_SM_E_clISE_PfSF_SF_EESJ_SZ_SK_SL_SM_EUlSZ_E1_NS1_11comp_targetILNS1_3genE4ELNS1_11target_archE910ELNS1_3gpuE8ELNS1_3repE0EEENS1_36merge_oddeven_config_static_selectorELNS0_4arch9wavefront6targetE1EEEvSL_ ; -- Begin function _ZN7rocprim17ROCPRIM_400000_NS6detail17trampoline_kernelINS0_14default_configENS1_38merge_sort_block_merge_config_selectorIfNS0_10empty_typeEEEZZNS1_27merge_sort_block_merge_implIS3_N6thrust23THRUST_200600_302600_NS6detail15normal_iteratorINS9_10device_ptrIfEEEEPS5_jNS1_19radix_merge_compareILb0ELb0EfNS0_19identity_decomposerEEEEE10hipError_tT0_T1_T2_jT3_P12ihipStream_tbPNSt15iterator_traitsISK_E10value_typeEPNSQ_ISL_E10value_typeEPSM_NS1_7vsmem_tEENKUlT_SK_SL_SM_E_clISE_PfSF_SF_EESJ_SZ_SK_SL_SM_EUlSZ_E1_NS1_11comp_targetILNS1_3genE4ELNS1_11target_archE910ELNS1_3gpuE8ELNS1_3repE0EEENS1_36merge_oddeven_config_static_selectorELNS0_4arch9wavefront6targetE1EEEvSL_
	.globl	_ZN7rocprim17ROCPRIM_400000_NS6detail17trampoline_kernelINS0_14default_configENS1_38merge_sort_block_merge_config_selectorIfNS0_10empty_typeEEEZZNS1_27merge_sort_block_merge_implIS3_N6thrust23THRUST_200600_302600_NS6detail15normal_iteratorINS9_10device_ptrIfEEEEPS5_jNS1_19radix_merge_compareILb0ELb0EfNS0_19identity_decomposerEEEEE10hipError_tT0_T1_T2_jT3_P12ihipStream_tbPNSt15iterator_traitsISK_E10value_typeEPNSQ_ISL_E10value_typeEPSM_NS1_7vsmem_tEENKUlT_SK_SL_SM_E_clISE_PfSF_SF_EESJ_SZ_SK_SL_SM_EUlSZ_E1_NS1_11comp_targetILNS1_3genE4ELNS1_11target_archE910ELNS1_3gpuE8ELNS1_3repE0EEENS1_36merge_oddeven_config_static_selectorELNS0_4arch9wavefront6targetE1EEEvSL_
	.p2align	8
	.type	_ZN7rocprim17ROCPRIM_400000_NS6detail17trampoline_kernelINS0_14default_configENS1_38merge_sort_block_merge_config_selectorIfNS0_10empty_typeEEEZZNS1_27merge_sort_block_merge_implIS3_N6thrust23THRUST_200600_302600_NS6detail15normal_iteratorINS9_10device_ptrIfEEEEPS5_jNS1_19radix_merge_compareILb0ELb0EfNS0_19identity_decomposerEEEEE10hipError_tT0_T1_T2_jT3_P12ihipStream_tbPNSt15iterator_traitsISK_E10value_typeEPNSQ_ISL_E10value_typeEPSM_NS1_7vsmem_tEENKUlT_SK_SL_SM_E_clISE_PfSF_SF_EESJ_SZ_SK_SL_SM_EUlSZ_E1_NS1_11comp_targetILNS1_3genE4ELNS1_11target_archE910ELNS1_3gpuE8ELNS1_3repE0EEENS1_36merge_oddeven_config_static_selectorELNS0_4arch9wavefront6targetE1EEEvSL_,@function
_ZN7rocprim17ROCPRIM_400000_NS6detail17trampoline_kernelINS0_14default_configENS1_38merge_sort_block_merge_config_selectorIfNS0_10empty_typeEEEZZNS1_27merge_sort_block_merge_implIS3_N6thrust23THRUST_200600_302600_NS6detail15normal_iteratorINS9_10device_ptrIfEEEEPS5_jNS1_19radix_merge_compareILb0ELb0EfNS0_19identity_decomposerEEEEE10hipError_tT0_T1_T2_jT3_P12ihipStream_tbPNSt15iterator_traitsISK_E10value_typeEPNSQ_ISL_E10value_typeEPSM_NS1_7vsmem_tEENKUlT_SK_SL_SM_E_clISE_PfSF_SF_EESJ_SZ_SK_SL_SM_EUlSZ_E1_NS1_11comp_targetILNS1_3genE4ELNS1_11target_archE910ELNS1_3gpuE8ELNS1_3repE0EEENS1_36merge_oddeven_config_static_selectorELNS0_4arch9wavefront6targetE1EEEvSL_: ; @_ZN7rocprim17ROCPRIM_400000_NS6detail17trampoline_kernelINS0_14default_configENS1_38merge_sort_block_merge_config_selectorIfNS0_10empty_typeEEEZZNS1_27merge_sort_block_merge_implIS3_N6thrust23THRUST_200600_302600_NS6detail15normal_iteratorINS9_10device_ptrIfEEEEPS5_jNS1_19radix_merge_compareILb0ELb0EfNS0_19identity_decomposerEEEEE10hipError_tT0_T1_T2_jT3_P12ihipStream_tbPNSt15iterator_traitsISK_E10value_typeEPNSQ_ISL_E10value_typeEPSM_NS1_7vsmem_tEENKUlT_SK_SL_SM_E_clISE_PfSF_SF_EESJ_SZ_SK_SL_SM_EUlSZ_E1_NS1_11comp_targetILNS1_3genE4ELNS1_11target_archE910ELNS1_3gpuE8ELNS1_3repE0EEENS1_36merge_oddeven_config_static_selectorELNS0_4arch9wavefront6targetE1EEEvSL_
; %bb.0:
	.section	.rodata,"a",@progbits
	.p2align	6, 0x0
	.amdhsa_kernel _ZN7rocprim17ROCPRIM_400000_NS6detail17trampoline_kernelINS0_14default_configENS1_38merge_sort_block_merge_config_selectorIfNS0_10empty_typeEEEZZNS1_27merge_sort_block_merge_implIS3_N6thrust23THRUST_200600_302600_NS6detail15normal_iteratorINS9_10device_ptrIfEEEEPS5_jNS1_19radix_merge_compareILb0ELb0EfNS0_19identity_decomposerEEEEE10hipError_tT0_T1_T2_jT3_P12ihipStream_tbPNSt15iterator_traitsISK_E10value_typeEPNSQ_ISL_E10value_typeEPSM_NS1_7vsmem_tEENKUlT_SK_SL_SM_E_clISE_PfSF_SF_EESJ_SZ_SK_SL_SM_EUlSZ_E1_NS1_11comp_targetILNS1_3genE4ELNS1_11target_archE910ELNS1_3gpuE8ELNS1_3repE0EEENS1_36merge_oddeven_config_static_selectorELNS0_4arch9wavefront6targetE1EEEvSL_
		.amdhsa_group_segment_fixed_size 0
		.amdhsa_private_segment_fixed_size 0
		.amdhsa_kernarg_size 48
		.amdhsa_user_sgpr_count 2
		.amdhsa_user_sgpr_dispatch_ptr 0
		.amdhsa_user_sgpr_queue_ptr 0
		.amdhsa_user_sgpr_kernarg_segment_ptr 1
		.amdhsa_user_sgpr_dispatch_id 0
		.amdhsa_user_sgpr_kernarg_preload_length 0
		.amdhsa_user_sgpr_kernarg_preload_offset 0
		.amdhsa_user_sgpr_private_segment_size 0
		.amdhsa_uses_dynamic_stack 0
		.amdhsa_enable_private_segment 0
		.amdhsa_system_sgpr_workgroup_id_x 1
		.amdhsa_system_sgpr_workgroup_id_y 0
		.amdhsa_system_sgpr_workgroup_id_z 0
		.amdhsa_system_sgpr_workgroup_info 0
		.amdhsa_system_vgpr_workitem_id 0
		.amdhsa_next_free_vgpr 1
		.amdhsa_next_free_sgpr 0
		.amdhsa_accum_offset 4
		.amdhsa_reserve_vcc 0
		.amdhsa_float_round_mode_32 0
		.amdhsa_float_round_mode_16_64 0
		.amdhsa_float_denorm_mode_32 3
		.amdhsa_float_denorm_mode_16_64 3
		.amdhsa_dx10_clamp 1
		.amdhsa_ieee_mode 1
		.amdhsa_fp16_overflow 0
		.amdhsa_tg_split 0
		.amdhsa_exception_fp_ieee_invalid_op 0
		.amdhsa_exception_fp_denorm_src 0
		.amdhsa_exception_fp_ieee_div_zero 0
		.amdhsa_exception_fp_ieee_overflow 0
		.amdhsa_exception_fp_ieee_underflow 0
		.amdhsa_exception_fp_ieee_inexact 0
		.amdhsa_exception_int_div_zero 0
	.end_amdhsa_kernel
	.section	.text._ZN7rocprim17ROCPRIM_400000_NS6detail17trampoline_kernelINS0_14default_configENS1_38merge_sort_block_merge_config_selectorIfNS0_10empty_typeEEEZZNS1_27merge_sort_block_merge_implIS3_N6thrust23THRUST_200600_302600_NS6detail15normal_iteratorINS9_10device_ptrIfEEEEPS5_jNS1_19radix_merge_compareILb0ELb0EfNS0_19identity_decomposerEEEEE10hipError_tT0_T1_T2_jT3_P12ihipStream_tbPNSt15iterator_traitsISK_E10value_typeEPNSQ_ISL_E10value_typeEPSM_NS1_7vsmem_tEENKUlT_SK_SL_SM_E_clISE_PfSF_SF_EESJ_SZ_SK_SL_SM_EUlSZ_E1_NS1_11comp_targetILNS1_3genE4ELNS1_11target_archE910ELNS1_3gpuE8ELNS1_3repE0EEENS1_36merge_oddeven_config_static_selectorELNS0_4arch9wavefront6targetE1EEEvSL_,"axG",@progbits,_ZN7rocprim17ROCPRIM_400000_NS6detail17trampoline_kernelINS0_14default_configENS1_38merge_sort_block_merge_config_selectorIfNS0_10empty_typeEEEZZNS1_27merge_sort_block_merge_implIS3_N6thrust23THRUST_200600_302600_NS6detail15normal_iteratorINS9_10device_ptrIfEEEEPS5_jNS1_19radix_merge_compareILb0ELb0EfNS0_19identity_decomposerEEEEE10hipError_tT0_T1_T2_jT3_P12ihipStream_tbPNSt15iterator_traitsISK_E10value_typeEPNSQ_ISL_E10value_typeEPSM_NS1_7vsmem_tEENKUlT_SK_SL_SM_E_clISE_PfSF_SF_EESJ_SZ_SK_SL_SM_EUlSZ_E1_NS1_11comp_targetILNS1_3genE4ELNS1_11target_archE910ELNS1_3gpuE8ELNS1_3repE0EEENS1_36merge_oddeven_config_static_selectorELNS0_4arch9wavefront6targetE1EEEvSL_,comdat
.Lfunc_end518:
	.size	_ZN7rocprim17ROCPRIM_400000_NS6detail17trampoline_kernelINS0_14default_configENS1_38merge_sort_block_merge_config_selectorIfNS0_10empty_typeEEEZZNS1_27merge_sort_block_merge_implIS3_N6thrust23THRUST_200600_302600_NS6detail15normal_iteratorINS9_10device_ptrIfEEEEPS5_jNS1_19radix_merge_compareILb0ELb0EfNS0_19identity_decomposerEEEEE10hipError_tT0_T1_T2_jT3_P12ihipStream_tbPNSt15iterator_traitsISK_E10value_typeEPNSQ_ISL_E10value_typeEPSM_NS1_7vsmem_tEENKUlT_SK_SL_SM_E_clISE_PfSF_SF_EESJ_SZ_SK_SL_SM_EUlSZ_E1_NS1_11comp_targetILNS1_3genE4ELNS1_11target_archE910ELNS1_3gpuE8ELNS1_3repE0EEENS1_36merge_oddeven_config_static_selectorELNS0_4arch9wavefront6targetE1EEEvSL_, .Lfunc_end518-_ZN7rocprim17ROCPRIM_400000_NS6detail17trampoline_kernelINS0_14default_configENS1_38merge_sort_block_merge_config_selectorIfNS0_10empty_typeEEEZZNS1_27merge_sort_block_merge_implIS3_N6thrust23THRUST_200600_302600_NS6detail15normal_iteratorINS9_10device_ptrIfEEEEPS5_jNS1_19radix_merge_compareILb0ELb0EfNS0_19identity_decomposerEEEEE10hipError_tT0_T1_T2_jT3_P12ihipStream_tbPNSt15iterator_traitsISK_E10value_typeEPNSQ_ISL_E10value_typeEPSM_NS1_7vsmem_tEENKUlT_SK_SL_SM_E_clISE_PfSF_SF_EESJ_SZ_SK_SL_SM_EUlSZ_E1_NS1_11comp_targetILNS1_3genE4ELNS1_11target_archE910ELNS1_3gpuE8ELNS1_3repE0EEENS1_36merge_oddeven_config_static_selectorELNS0_4arch9wavefront6targetE1EEEvSL_
                                        ; -- End function
	.set _ZN7rocprim17ROCPRIM_400000_NS6detail17trampoline_kernelINS0_14default_configENS1_38merge_sort_block_merge_config_selectorIfNS0_10empty_typeEEEZZNS1_27merge_sort_block_merge_implIS3_N6thrust23THRUST_200600_302600_NS6detail15normal_iteratorINS9_10device_ptrIfEEEEPS5_jNS1_19radix_merge_compareILb0ELb0EfNS0_19identity_decomposerEEEEE10hipError_tT0_T1_T2_jT3_P12ihipStream_tbPNSt15iterator_traitsISK_E10value_typeEPNSQ_ISL_E10value_typeEPSM_NS1_7vsmem_tEENKUlT_SK_SL_SM_E_clISE_PfSF_SF_EESJ_SZ_SK_SL_SM_EUlSZ_E1_NS1_11comp_targetILNS1_3genE4ELNS1_11target_archE910ELNS1_3gpuE8ELNS1_3repE0EEENS1_36merge_oddeven_config_static_selectorELNS0_4arch9wavefront6targetE1EEEvSL_.num_vgpr, 0
	.set _ZN7rocprim17ROCPRIM_400000_NS6detail17trampoline_kernelINS0_14default_configENS1_38merge_sort_block_merge_config_selectorIfNS0_10empty_typeEEEZZNS1_27merge_sort_block_merge_implIS3_N6thrust23THRUST_200600_302600_NS6detail15normal_iteratorINS9_10device_ptrIfEEEEPS5_jNS1_19radix_merge_compareILb0ELb0EfNS0_19identity_decomposerEEEEE10hipError_tT0_T1_T2_jT3_P12ihipStream_tbPNSt15iterator_traitsISK_E10value_typeEPNSQ_ISL_E10value_typeEPSM_NS1_7vsmem_tEENKUlT_SK_SL_SM_E_clISE_PfSF_SF_EESJ_SZ_SK_SL_SM_EUlSZ_E1_NS1_11comp_targetILNS1_3genE4ELNS1_11target_archE910ELNS1_3gpuE8ELNS1_3repE0EEENS1_36merge_oddeven_config_static_selectorELNS0_4arch9wavefront6targetE1EEEvSL_.num_agpr, 0
	.set _ZN7rocprim17ROCPRIM_400000_NS6detail17trampoline_kernelINS0_14default_configENS1_38merge_sort_block_merge_config_selectorIfNS0_10empty_typeEEEZZNS1_27merge_sort_block_merge_implIS3_N6thrust23THRUST_200600_302600_NS6detail15normal_iteratorINS9_10device_ptrIfEEEEPS5_jNS1_19radix_merge_compareILb0ELb0EfNS0_19identity_decomposerEEEEE10hipError_tT0_T1_T2_jT3_P12ihipStream_tbPNSt15iterator_traitsISK_E10value_typeEPNSQ_ISL_E10value_typeEPSM_NS1_7vsmem_tEENKUlT_SK_SL_SM_E_clISE_PfSF_SF_EESJ_SZ_SK_SL_SM_EUlSZ_E1_NS1_11comp_targetILNS1_3genE4ELNS1_11target_archE910ELNS1_3gpuE8ELNS1_3repE0EEENS1_36merge_oddeven_config_static_selectorELNS0_4arch9wavefront6targetE1EEEvSL_.numbered_sgpr, 0
	.set _ZN7rocprim17ROCPRIM_400000_NS6detail17trampoline_kernelINS0_14default_configENS1_38merge_sort_block_merge_config_selectorIfNS0_10empty_typeEEEZZNS1_27merge_sort_block_merge_implIS3_N6thrust23THRUST_200600_302600_NS6detail15normal_iteratorINS9_10device_ptrIfEEEEPS5_jNS1_19radix_merge_compareILb0ELb0EfNS0_19identity_decomposerEEEEE10hipError_tT0_T1_T2_jT3_P12ihipStream_tbPNSt15iterator_traitsISK_E10value_typeEPNSQ_ISL_E10value_typeEPSM_NS1_7vsmem_tEENKUlT_SK_SL_SM_E_clISE_PfSF_SF_EESJ_SZ_SK_SL_SM_EUlSZ_E1_NS1_11comp_targetILNS1_3genE4ELNS1_11target_archE910ELNS1_3gpuE8ELNS1_3repE0EEENS1_36merge_oddeven_config_static_selectorELNS0_4arch9wavefront6targetE1EEEvSL_.num_named_barrier, 0
	.set _ZN7rocprim17ROCPRIM_400000_NS6detail17trampoline_kernelINS0_14default_configENS1_38merge_sort_block_merge_config_selectorIfNS0_10empty_typeEEEZZNS1_27merge_sort_block_merge_implIS3_N6thrust23THRUST_200600_302600_NS6detail15normal_iteratorINS9_10device_ptrIfEEEEPS5_jNS1_19radix_merge_compareILb0ELb0EfNS0_19identity_decomposerEEEEE10hipError_tT0_T1_T2_jT3_P12ihipStream_tbPNSt15iterator_traitsISK_E10value_typeEPNSQ_ISL_E10value_typeEPSM_NS1_7vsmem_tEENKUlT_SK_SL_SM_E_clISE_PfSF_SF_EESJ_SZ_SK_SL_SM_EUlSZ_E1_NS1_11comp_targetILNS1_3genE4ELNS1_11target_archE910ELNS1_3gpuE8ELNS1_3repE0EEENS1_36merge_oddeven_config_static_selectorELNS0_4arch9wavefront6targetE1EEEvSL_.private_seg_size, 0
	.set _ZN7rocprim17ROCPRIM_400000_NS6detail17trampoline_kernelINS0_14default_configENS1_38merge_sort_block_merge_config_selectorIfNS0_10empty_typeEEEZZNS1_27merge_sort_block_merge_implIS3_N6thrust23THRUST_200600_302600_NS6detail15normal_iteratorINS9_10device_ptrIfEEEEPS5_jNS1_19radix_merge_compareILb0ELb0EfNS0_19identity_decomposerEEEEE10hipError_tT0_T1_T2_jT3_P12ihipStream_tbPNSt15iterator_traitsISK_E10value_typeEPNSQ_ISL_E10value_typeEPSM_NS1_7vsmem_tEENKUlT_SK_SL_SM_E_clISE_PfSF_SF_EESJ_SZ_SK_SL_SM_EUlSZ_E1_NS1_11comp_targetILNS1_3genE4ELNS1_11target_archE910ELNS1_3gpuE8ELNS1_3repE0EEENS1_36merge_oddeven_config_static_selectorELNS0_4arch9wavefront6targetE1EEEvSL_.uses_vcc, 0
	.set _ZN7rocprim17ROCPRIM_400000_NS6detail17trampoline_kernelINS0_14default_configENS1_38merge_sort_block_merge_config_selectorIfNS0_10empty_typeEEEZZNS1_27merge_sort_block_merge_implIS3_N6thrust23THRUST_200600_302600_NS6detail15normal_iteratorINS9_10device_ptrIfEEEEPS5_jNS1_19radix_merge_compareILb0ELb0EfNS0_19identity_decomposerEEEEE10hipError_tT0_T1_T2_jT3_P12ihipStream_tbPNSt15iterator_traitsISK_E10value_typeEPNSQ_ISL_E10value_typeEPSM_NS1_7vsmem_tEENKUlT_SK_SL_SM_E_clISE_PfSF_SF_EESJ_SZ_SK_SL_SM_EUlSZ_E1_NS1_11comp_targetILNS1_3genE4ELNS1_11target_archE910ELNS1_3gpuE8ELNS1_3repE0EEENS1_36merge_oddeven_config_static_selectorELNS0_4arch9wavefront6targetE1EEEvSL_.uses_flat_scratch, 0
	.set _ZN7rocprim17ROCPRIM_400000_NS6detail17trampoline_kernelINS0_14default_configENS1_38merge_sort_block_merge_config_selectorIfNS0_10empty_typeEEEZZNS1_27merge_sort_block_merge_implIS3_N6thrust23THRUST_200600_302600_NS6detail15normal_iteratorINS9_10device_ptrIfEEEEPS5_jNS1_19radix_merge_compareILb0ELb0EfNS0_19identity_decomposerEEEEE10hipError_tT0_T1_T2_jT3_P12ihipStream_tbPNSt15iterator_traitsISK_E10value_typeEPNSQ_ISL_E10value_typeEPSM_NS1_7vsmem_tEENKUlT_SK_SL_SM_E_clISE_PfSF_SF_EESJ_SZ_SK_SL_SM_EUlSZ_E1_NS1_11comp_targetILNS1_3genE4ELNS1_11target_archE910ELNS1_3gpuE8ELNS1_3repE0EEENS1_36merge_oddeven_config_static_selectorELNS0_4arch9wavefront6targetE1EEEvSL_.has_dyn_sized_stack, 0
	.set _ZN7rocprim17ROCPRIM_400000_NS6detail17trampoline_kernelINS0_14default_configENS1_38merge_sort_block_merge_config_selectorIfNS0_10empty_typeEEEZZNS1_27merge_sort_block_merge_implIS3_N6thrust23THRUST_200600_302600_NS6detail15normal_iteratorINS9_10device_ptrIfEEEEPS5_jNS1_19radix_merge_compareILb0ELb0EfNS0_19identity_decomposerEEEEE10hipError_tT0_T1_T2_jT3_P12ihipStream_tbPNSt15iterator_traitsISK_E10value_typeEPNSQ_ISL_E10value_typeEPSM_NS1_7vsmem_tEENKUlT_SK_SL_SM_E_clISE_PfSF_SF_EESJ_SZ_SK_SL_SM_EUlSZ_E1_NS1_11comp_targetILNS1_3genE4ELNS1_11target_archE910ELNS1_3gpuE8ELNS1_3repE0EEENS1_36merge_oddeven_config_static_selectorELNS0_4arch9wavefront6targetE1EEEvSL_.has_recursion, 0
	.set _ZN7rocprim17ROCPRIM_400000_NS6detail17trampoline_kernelINS0_14default_configENS1_38merge_sort_block_merge_config_selectorIfNS0_10empty_typeEEEZZNS1_27merge_sort_block_merge_implIS3_N6thrust23THRUST_200600_302600_NS6detail15normal_iteratorINS9_10device_ptrIfEEEEPS5_jNS1_19radix_merge_compareILb0ELb0EfNS0_19identity_decomposerEEEEE10hipError_tT0_T1_T2_jT3_P12ihipStream_tbPNSt15iterator_traitsISK_E10value_typeEPNSQ_ISL_E10value_typeEPSM_NS1_7vsmem_tEENKUlT_SK_SL_SM_E_clISE_PfSF_SF_EESJ_SZ_SK_SL_SM_EUlSZ_E1_NS1_11comp_targetILNS1_3genE4ELNS1_11target_archE910ELNS1_3gpuE8ELNS1_3repE0EEENS1_36merge_oddeven_config_static_selectorELNS0_4arch9wavefront6targetE1EEEvSL_.has_indirect_call, 0
	.section	.AMDGPU.csdata,"",@progbits
; Kernel info:
; codeLenInByte = 0
; TotalNumSgprs: 6
; NumVgprs: 0
; NumAgprs: 0
; TotalNumVgprs: 0
; ScratchSize: 0
; MemoryBound: 0
; FloatMode: 240
; IeeeMode: 1
; LDSByteSize: 0 bytes/workgroup (compile time only)
; SGPRBlocks: 0
; VGPRBlocks: 0
; NumSGPRsForWavesPerEU: 6
; NumVGPRsForWavesPerEU: 1
; AccumOffset: 4
; Occupancy: 8
; WaveLimiterHint : 0
; COMPUTE_PGM_RSRC2:SCRATCH_EN: 0
; COMPUTE_PGM_RSRC2:USER_SGPR: 2
; COMPUTE_PGM_RSRC2:TRAP_HANDLER: 0
; COMPUTE_PGM_RSRC2:TGID_X_EN: 1
; COMPUTE_PGM_RSRC2:TGID_Y_EN: 0
; COMPUTE_PGM_RSRC2:TGID_Z_EN: 0
; COMPUTE_PGM_RSRC2:TIDIG_COMP_CNT: 0
; COMPUTE_PGM_RSRC3_GFX90A:ACCUM_OFFSET: 0
; COMPUTE_PGM_RSRC3_GFX90A:TG_SPLIT: 0
	.section	.text._ZN7rocprim17ROCPRIM_400000_NS6detail17trampoline_kernelINS0_14default_configENS1_38merge_sort_block_merge_config_selectorIfNS0_10empty_typeEEEZZNS1_27merge_sort_block_merge_implIS3_N6thrust23THRUST_200600_302600_NS6detail15normal_iteratorINS9_10device_ptrIfEEEEPS5_jNS1_19radix_merge_compareILb0ELb0EfNS0_19identity_decomposerEEEEE10hipError_tT0_T1_T2_jT3_P12ihipStream_tbPNSt15iterator_traitsISK_E10value_typeEPNSQ_ISL_E10value_typeEPSM_NS1_7vsmem_tEENKUlT_SK_SL_SM_E_clISE_PfSF_SF_EESJ_SZ_SK_SL_SM_EUlSZ_E1_NS1_11comp_targetILNS1_3genE3ELNS1_11target_archE908ELNS1_3gpuE7ELNS1_3repE0EEENS1_36merge_oddeven_config_static_selectorELNS0_4arch9wavefront6targetE1EEEvSL_,"axG",@progbits,_ZN7rocprim17ROCPRIM_400000_NS6detail17trampoline_kernelINS0_14default_configENS1_38merge_sort_block_merge_config_selectorIfNS0_10empty_typeEEEZZNS1_27merge_sort_block_merge_implIS3_N6thrust23THRUST_200600_302600_NS6detail15normal_iteratorINS9_10device_ptrIfEEEEPS5_jNS1_19radix_merge_compareILb0ELb0EfNS0_19identity_decomposerEEEEE10hipError_tT0_T1_T2_jT3_P12ihipStream_tbPNSt15iterator_traitsISK_E10value_typeEPNSQ_ISL_E10value_typeEPSM_NS1_7vsmem_tEENKUlT_SK_SL_SM_E_clISE_PfSF_SF_EESJ_SZ_SK_SL_SM_EUlSZ_E1_NS1_11comp_targetILNS1_3genE3ELNS1_11target_archE908ELNS1_3gpuE7ELNS1_3repE0EEENS1_36merge_oddeven_config_static_selectorELNS0_4arch9wavefront6targetE1EEEvSL_,comdat
	.protected	_ZN7rocprim17ROCPRIM_400000_NS6detail17trampoline_kernelINS0_14default_configENS1_38merge_sort_block_merge_config_selectorIfNS0_10empty_typeEEEZZNS1_27merge_sort_block_merge_implIS3_N6thrust23THRUST_200600_302600_NS6detail15normal_iteratorINS9_10device_ptrIfEEEEPS5_jNS1_19radix_merge_compareILb0ELb0EfNS0_19identity_decomposerEEEEE10hipError_tT0_T1_T2_jT3_P12ihipStream_tbPNSt15iterator_traitsISK_E10value_typeEPNSQ_ISL_E10value_typeEPSM_NS1_7vsmem_tEENKUlT_SK_SL_SM_E_clISE_PfSF_SF_EESJ_SZ_SK_SL_SM_EUlSZ_E1_NS1_11comp_targetILNS1_3genE3ELNS1_11target_archE908ELNS1_3gpuE7ELNS1_3repE0EEENS1_36merge_oddeven_config_static_selectorELNS0_4arch9wavefront6targetE1EEEvSL_ ; -- Begin function _ZN7rocprim17ROCPRIM_400000_NS6detail17trampoline_kernelINS0_14default_configENS1_38merge_sort_block_merge_config_selectorIfNS0_10empty_typeEEEZZNS1_27merge_sort_block_merge_implIS3_N6thrust23THRUST_200600_302600_NS6detail15normal_iteratorINS9_10device_ptrIfEEEEPS5_jNS1_19radix_merge_compareILb0ELb0EfNS0_19identity_decomposerEEEEE10hipError_tT0_T1_T2_jT3_P12ihipStream_tbPNSt15iterator_traitsISK_E10value_typeEPNSQ_ISL_E10value_typeEPSM_NS1_7vsmem_tEENKUlT_SK_SL_SM_E_clISE_PfSF_SF_EESJ_SZ_SK_SL_SM_EUlSZ_E1_NS1_11comp_targetILNS1_3genE3ELNS1_11target_archE908ELNS1_3gpuE7ELNS1_3repE0EEENS1_36merge_oddeven_config_static_selectorELNS0_4arch9wavefront6targetE1EEEvSL_
	.globl	_ZN7rocprim17ROCPRIM_400000_NS6detail17trampoline_kernelINS0_14default_configENS1_38merge_sort_block_merge_config_selectorIfNS0_10empty_typeEEEZZNS1_27merge_sort_block_merge_implIS3_N6thrust23THRUST_200600_302600_NS6detail15normal_iteratorINS9_10device_ptrIfEEEEPS5_jNS1_19radix_merge_compareILb0ELb0EfNS0_19identity_decomposerEEEEE10hipError_tT0_T1_T2_jT3_P12ihipStream_tbPNSt15iterator_traitsISK_E10value_typeEPNSQ_ISL_E10value_typeEPSM_NS1_7vsmem_tEENKUlT_SK_SL_SM_E_clISE_PfSF_SF_EESJ_SZ_SK_SL_SM_EUlSZ_E1_NS1_11comp_targetILNS1_3genE3ELNS1_11target_archE908ELNS1_3gpuE7ELNS1_3repE0EEENS1_36merge_oddeven_config_static_selectorELNS0_4arch9wavefront6targetE1EEEvSL_
	.p2align	8
	.type	_ZN7rocprim17ROCPRIM_400000_NS6detail17trampoline_kernelINS0_14default_configENS1_38merge_sort_block_merge_config_selectorIfNS0_10empty_typeEEEZZNS1_27merge_sort_block_merge_implIS3_N6thrust23THRUST_200600_302600_NS6detail15normal_iteratorINS9_10device_ptrIfEEEEPS5_jNS1_19radix_merge_compareILb0ELb0EfNS0_19identity_decomposerEEEEE10hipError_tT0_T1_T2_jT3_P12ihipStream_tbPNSt15iterator_traitsISK_E10value_typeEPNSQ_ISL_E10value_typeEPSM_NS1_7vsmem_tEENKUlT_SK_SL_SM_E_clISE_PfSF_SF_EESJ_SZ_SK_SL_SM_EUlSZ_E1_NS1_11comp_targetILNS1_3genE3ELNS1_11target_archE908ELNS1_3gpuE7ELNS1_3repE0EEENS1_36merge_oddeven_config_static_selectorELNS0_4arch9wavefront6targetE1EEEvSL_,@function
_ZN7rocprim17ROCPRIM_400000_NS6detail17trampoline_kernelINS0_14default_configENS1_38merge_sort_block_merge_config_selectorIfNS0_10empty_typeEEEZZNS1_27merge_sort_block_merge_implIS3_N6thrust23THRUST_200600_302600_NS6detail15normal_iteratorINS9_10device_ptrIfEEEEPS5_jNS1_19radix_merge_compareILb0ELb0EfNS0_19identity_decomposerEEEEE10hipError_tT0_T1_T2_jT3_P12ihipStream_tbPNSt15iterator_traitsISK_E10value_typeEPNSQ_ISL_E10value_typeEPSM_NS1_7vsmem_tEENKUlT_SK_SL_SM_E_clISE_PfSF_SF_EESJ_SZ_SK_SL_SM_EUlSZ_E1_NS1_11comp_targetILNS1_3genE3ELNS1_11target_archE908ELNS1_3gpuE7ELNS1_3repE0EEENS1_36merge_oddeven_config_static_selectorELNS0_4arch9wavefront6targetE1EEEvSL_: ; @_ZN7rocprim17ROCPRIM_400000_NS6detail17trampoline_kernelINS0_14default_configENS1_38merge_sort_block_merge_config_selectorIfNS0_10empty_typeEEEZZNS1_27merge_sort_block_merge_implIS3_N6thrust23THRUST_200600_302600_NS6detail15normal_iteratorINS9_10device_ptrIfEEEEPS5_jNS1_19radix_merge_compareILb0ELb0EfNS0_19identity_decomposerEEEEE10hipError_tT0_T1_T2_jT3_P12ihipStream_tbPNSt15iterator_traitsISK_E10value_typeEPNSQ_ISL_E10value_typeEPSM_NS1_7vsmem_tEENKUlT_SK_SL_SM_E_clISE_PfSF_SF_EESJ_SZ_SK_SL_SM_EUlSZ_E1_NS1_11comp_targetILNS1_3genE3ELNS1_11target_archE908ELNS1_3gpuE7ELNS1_3repE0EEENS1_36merge_oddeven_config_static_selectorELNS0_4arch9wavefront6targetE1EEEvSL_
; %bb.0:
	.section	.rodata,"a",@progbits
	.p2align	6, 0x0
	.amdhsa_kernel _ZN7rocprim17ROCPRIM_400000_NS6detail17trampoline_kernelINS0_14default_configENS1_38merge_sort_block_merge_config_selectorIfNS0_10empty_typeEEEZZNS1_27merge_sort_block_merge_implIS3_N6thrust23THRUST_200600_302600_NS6detail15normal_iteratorINS9_10device_ptrIfEEEEPS5_jNS1_19radix_merge_compareILb0ELb0EfNS0_19identity_decomposerEEEEE10hipError_tT0_T1_T2_jT3_P12ihipStream_tbPNSt15iterator_traitsISK_E10value_typeEPNSQ_ISL_E10value_typeEPSM_NS1_7vsmem_tEENKUlT_SK_SL_SM_E_clISE_PfSF_SF_EESJ_SZ_SK_SL_SM_EUlSZ_E1_NS1_11comp_targetILNS1_3genE3ELNS1_11target_archE908ELNS1_3gpuE7ELNS1_3repE0EEENS1_36merge_oddeven_config_static_selectorELNS0_4arch9wavefront6targetE1EEEvSL_
		.amdhsa_group_segment_fixed_size 0
		.amdhsa_private_segment_fixed_size 0
		.amdhsa_kernarg_size 48
		.amdhsa_user_sgpr_count 2
		.amdhsa_user_sgpr_dispatch_ptr 0
		.amdhsa_user_sgpr_queue_ptr 0
		.amdhsa_user_sgpr_kernarg_segment_ptr 1
		.amdhsa_user_sgpr_dispatch_id 0
		.amdhsa_user_sgpr_kernarg_preload_length 0
		.amdhsa_user_sgpr_kernarg_preload_offset 0
		.amdhsa_user_sgpr_private_segment_size 0
		.amdhsa_uses_dynamic_stack 0
		.amdhsa_enable_private_segment 0
		.amdhsa_system_sgpr_workgroup_id_x 1
		.amdhsa_system_sgpr_workgroup_id_y 0
		.amdhsa_system_sgpr_workgroup_id_z 0
		.amdhsa_system_sgpr_workgroup_info 0
		.amdhsa_system_vgpr_workitem_id 0
		.amdhsa_next_free_vgpr 1
		.amdhsa_next_free_sgpr 0
		.amdhsa_accum_offset 4
		.amdhsa_reserve_vcc 0
		.amdhsa_float_round_mode_32 0
		.amdhsa_float_round_mode_16_64 0
		.amdhsa_float_denorm_mode_32 3
		.amdhsa_float_denorm_mode_16_64 3
		.amdhsa_dx10_clamp 1
		.amdhsa_ieee_mode 1
		.amdhsa_fp16_overflow 0
		.amdhsa_tg_split 0
		.amdhsa_exception_fp_ieee_invalid_op 0
		.amdhsa_exception_fp_denorm_src 0
		.amdhsa_exception_fp_ieee_div_zero 0
		.amdhsa_exception_fp_ieee_overflow 0
		.amdhsa_exception_fp_ieee_underflow 0
		.amdhsa_exception_fp_ieee_inexact 0
		.amdhsa_exception_int_div_zero 0
	.end_amdhsa_kernel
	.section	.text._ZN7rocprim17ROCPRIM_400000_NS6detail17trampoline_kernelINS0_14default_configENS1_38merge_sort_block_merge_config_selectorIfNS0_10empty_typeEEEZZNS1_27merge_sort_block_merge_implIS3_N6thrust23THRUST_200600_302600_NS6detail15normal_iteratorINS9_10device_ptrIfEEEEPS5_jNS1_19radix_merge_compareILb0ELb0EfNS0_19identity_decomposerEEEEE10hipError_tT0_T1_T2_jT3_P12ihipStream_tbPNSt15iterator_traitsISK_E10value_typeEPNSQ_ISL_E10value_typeEPSM_NS1_7vsmem_tEENKUlT_SK_SL_SM_E_clISE_PfSF_SF_EESJ_SZ_SK_SL_SM_EUlSZ_E1_NS1_11comp_targetILNS1_3genE3ELNS1_11target_archE908ELNS1_3gpuE7ELNS1_3repE0EEENS1_36merge_oddeven_config_static_selectorELNS0_4arch9wavefront6targetE1EEEvSL_,"axG",@progbits,_ZN7rocprim17ROCPRIM_400000_NS6detail17trampoline_kernelINS0_14default_configENS1_38merge_sort_block_merge_config_selectorIfNS0_10empty_typeEEEZZNS1_27merge_sort_block_merge_implIS3_N6thrust23THRUST_200600_302600_NS6detail15normal_iteratorINS9_10device_ptrIfEEEEPS5_jNS1_19radix_merge_compareILb0ELb0EfNS0_19identity_decomposerEEEEE10hipError_tT0_T1_T2_jT3_P12ihipStream_tbPNSt15iterator_traitsISK_E10value_typeEPNSQ_ISL_E10value_typeEPSM_NS1_7vsmem_tEENKUlT_SK_SL_SM_E_clISE_PfSF_SF_EESJ_SZ_SK_SL_SM_EUlSZ_E1_NS1_11comp_targetILNS1_3genE3ELNS1_11target_archE908ELNS1_3gpuE7ELNS1_3repE0EEENS1_36merge_oddeven_config_static_selectorELNS0_4arch9wavefront6targetE1EEEvSL_,comdat
.Lfunc_end519:
	.size	_ZN7rocprim17ROCPRIM_400000_NS6detail17trampoline_kernelINS0_14default_configENS1_38merge_sort_block_merge_config_selectorIfNS0_10empty_typeEEEZZNS1_27merge_sort_block_merge_implIS3_N6thrust23THRUST_200600_302600_NS6detail15normal_iteratorINS9_10device_ptrIfEEEEPS5_jNS1_19radix_merge_compareILb0ELb0EfNS0_19identity_decomposerEEEEE10hipError_tT0_T1_T2_jT3_P12ihipStream_tbPNSt15iterator_traitsISK_E10value_typeEPNSQ_ISL_E10value_typeEPSM_NS1_7vsmem_tEENKUlT_SK_SL_SM_E_clISE_PfSF_SF_EESJ_SZ_SK_SL_SM_EUlSZ_E1_NS1_11comp_targetILNS1_3genE3ELNS1_11target_archE908ELNS1_3gpuE7ELNS1_3repE0EEENS1_36merge_oddeven_config_static_selectorELNS0_4arch9wavefront6targetE1EEEvSL_, .Lfunc_end519-_ZN7rocprim17ROCPRIM_400000_NS6detail17trampoline_kernelINS0_14default_configENS1_38merge_sort_block_merge_config_selectorIfNS0_10empty_typeEEEZZNS1_27merge_sort_block_merge_implIS3_N6thrust23THRUST_200600_302600_NS6detail15normal_iteratorINS9_10device_ptrIfEEEEPS5_jNS1_19radix_merge_compareILb0ELb0EfNS0_19identity_decomposerEEEEE10hipError_tT0_T1_T2_jT3_P12ihipStream_tbPNSt15iterator_traitsISK_E10value_typeEPNSQ_ISL_E10value_typeEPSM_NS1_7vsmem_tEENKUlT_SK_SL_SM_E_clISE_PfSF_SF_EESJ_SZ_SK_SL_SM_EUlSZ_E1_NS1_11comp_targetILNS1_3genE3ELNS1_11target_archE908ELNS1_3gpuE7ELNS1_3repE0EEENS1_36merge_oddeven_config_static_selectorELNS0_4arch9wavefront6targetE1EEEvSL_
                                        ; -- End function
	.set _ZN7rocprim17ROCPRIM_400000_NS6detail17trampoline_kernelINS0_14default_configENS1_38merge_sort_block_merge_config_selectorIfNS0_10empty_typeEEEZZNS1_27merge_sort_block_merge_implIS3_N6thrust23THRUST_200600_302600_NS6detail15normal_iteratorINS9_10device_ptrIfEEEEPS5_jNS1_19radix_merge_compareILb0ELb0EfNS0_19identity_decomposerEEEEE10hipError_tT0_T1_T2_jT3_P12ihipStream_tbPNSt15iterator_traitsISK_E10value_typeEPNSQ_ISL_E10value_typeEPSM_NS1_7vsmem_tEENKUlT_SK_SL_SM_E_clISE_PfSF_SF_EESJ_SZ_SK_SL_SM_EUlSZ_E1_NS1_11comp_targetILNS1_3genE3ELNS1_11target_archE908ELNS1_3gpuE7ELNS1_3repE0EEENS1_36merge_oddeven_config_static_selectorELNS0_4arch9wavefront6targetE1EEEvSL_.num_vgpr, 0
	.set _ZN7rocprim17ROCPRIM_400000_NS6detail17trampoline_kernelINS0_14default_configENS1_38merge_sort_block_merge_config_selectorIfNS0_10empty_typeEEEZZNS1_27merge_sort_block_merge_implIS3_N6thrust23THRUST_200600_302600_NS6detail15normal_iteratorINS9_10device_ptrIfEEEEPS5_jNS1_19radix_merge_compareILb0ELb0EfNS0_19identity_decomposerEEEEE10hipError_tT0_T1_T2_jT3_P12ihipStream_tbPNSt15iterator_traitsISK_E10value_typeEPNSQ_ISL_E10value_typeEPSM_NS1_7vsmem_tEENKUlT_SK_SL_SM_E_clISE_PfSF_SF_EESJ_SZ_SK_SL_SM_EUlSZ_E1_NS1_11comp_targetILNS1_3genE3ELNS1_11target_archE908ELNS1_3gpuE7ELNS1_3repE0EEENS1_36merge_oddeven_config_static_selectorELNS0_4arch9wavefront6targetE1EEEvSL_.num_agpr, 0
	.set _ZN7rocprim17ROCPRIM_400000_NS6detail17trampoline_kernelINS0_14default_configENS1_38merge_sort_block_merge_config_selectorIfNS0_10empty_typeEEEZZNS1_27merge_sort_block_merge_implIS3_N6thrust23THRUST_200600_302600_NS6detail15normal_iteratorINS9_10device_ptrIfEEEEPS5_jNS1_19radix_merge_compareILb0ELb0EfNS0_19identity_decomposerEEEEE10hipError_tT0_T1_T2_jT3_P12ihipStream_tbPNSt15iterator_traitsISK_E10value_typeEPNSQ_ISL_E10value_typeEPSM_NS1_7vsmem_tEENKUlT_SK_SL_SM_E_clISE_PfSF_SF_EESJ_SZ_SK_SL_SM_EUlSZ_E1_NS1_11comp_targetILNS1_3genE3ELNS1_11target_archE908ELNS1_3gpuE7ELNS1_3repE0EEENS1_36merge_oddeven_config_static_selectorELNS0_4arch9wavefront6targetE1EEEvSL_.numbered_sgpr, 0
	.set _ZN7rocprim17ROCPRIM_400000_NS6detail17trampoline_kernelINS0_14default_configENS1_38merge_sort_block_merge_config_selectorIfNS0_10empty_typeEEEZZNS1_27merge_sort_block_merge_implIS3_N6thrust23THRUST_200600_302600_NS6detail15normal_iteratorINS9_10device_ptrIfEEEEPS5_jNS1_19radix_merge_compareILb0ELb0EfNS0_19identity_decomposerEEEEE10hipError_tT0_T1_T2_jT3_P12ihipStream_tbPNSt15iterator_traitsISK_E10value_typeEPNSQ_ISL_E10value_typeEPSM_NS1_7vsmem_tEENKUlT_SK_SL_SM_E_clISE_PfSF_SF_EESJ_SZ_SK_SL_SM_EUlSZ_E1_NS1_11comp_targetILNS1_3genE3ELNS1_11target_archE908ELNS1_3gpuE7ELNS1_3repE0EEENS1_36merge_oddeven_config_static_selectorELNS0_4arch9wavefront6targetE1EEEvSL_.num_named_barrier, 0
	.set _ZN7rocprim17ROCPRIM_400000_NS6detail17trampoline_kernelINS0_14default_configENS1_38merge_sort_block_merge_config_selectorIfNS0_10empty_typeEEEZZNS1_27merge_sort_block_merge_implIS3_N6thrust23THRUST_200600_302600_NS6detail15normal_iteratorINS9_10device_ptrIfEEEEPS5_jNS1_19radix_merge_compareILb0ELb0EfNS0_19identity_decomposerEEEEE10hipError_tT0_T1_T2_jT3_P12ihipStream_tbPNSt15iterator_traitsISK_E10value_typeEPNSQ_ISL_E10value_typeEPSM_NS1_7vsmem_tEENKUlT_SK_SL_SM_E_clISE_PfSF_SF_EESJ_SZ_SK_SL_SM_EUlSZ_E1_NS1_11comp_targetILNS1_3genE3ELNS1_11target_archE908ELNS1_3gpuE7ELNS1_3repE0EEENS1_36merge_oddeven_config_static_selectorELNS0_4arch9wavefront6targetE1EEEvSL_.private_seg_size, 0
	.set _ZN7rocprim17ROCPRIM_400000_NS6detail17trampoline_kernelINS0_14default_configENS1_38merge_sort_block_merge_config_selectorIfNS0_10empty_typeEEEZZNS1_27merge_sort_block_merge_implIS3_N6thrust23THRUST_200600_302600_NS6detail15normal_iteratorINS9_10device_ptrIfEEEEPS5_jNS1_19radix_merge_compareILb0ELb0EfNS0_19identity_decomposerEEEEE10hipError_tT0_T1_T2_jT3_P12ihipStream_tbPNSt15iterator_traitsISK_E10value_typeEPNSQ_ISL_E10value_typeEPSM_NS1_7vsmem_tEENKUlT_SK_SL_SM_E_clISE_PfSF_SF_EESJ_SZ_SK_SL_SM_EUlSZ_E1_NS1_11comp_targetILNS1_3genE3ELNS1_11target_archE908ELNS1_3gpuE7ELNS1_3repE0EEENS1_36merge_oddeven_config_static_selectorELNS0_4arch9wavefront6targetE1EEEvSL_.uses_vcc, 0
	.set _ZN7rocprim17ROCPRIM_400000_NS6detail17trampoline_kernelINS0_14default_configENS1_38merge_sort_block_merge_config_selectorIfNS0_10empty_typeEEEZZNS1_27merge_sort_block_merge_implIS3_N6thrust23THRUST_200600_302600_NS6detail15normal_iteratorINS9_10device_ptrIfEEEEPS5_jNS1_19radix_merge_compareILb0ELb0EfNS0_19identity_decomposerEEEEE10hipError_tT0_T1_T2_jT3_P12ihipStream_tbPNSt15iterator_traitsISK_E10value_typeEPNSQ_ISL_E10value_typeEPSM_NS1_7vsmem_tEENKUlT_SK_SL_SM_E_clISE_PfSF_SF_EESJ_SZ_SK_SL_SM_EUlSZ_E1_NS1_11comp_targetILNS1_3genE3ELNS1_11target_archE908ELNS1_3gpuE7ELNS1_3repE0EEENS1_36merge_oddeven_config_static_selectorELNS0_4arch9wavefront6targetE1EEEvSL_.uses_flat_scratch, 0
	.set _ZN7rocprim17ROCPRIM_400000_NS6detail17trampoline_kernelINS0_14default_configENS1_38merge_sort_block_merge_config_selectorIfNS0_10empty_typeEEEZZNS1_27merge_sort_block_merge_implIS3_N6thrust23THRUST_200600_302600_NS6detail15normal_iteratorINS9_10device_ptrIfEEEEPS5_jNS1_19radix_merge_compareILb0ELb0EfNS0_19identity_decomposerEEEEE10hipError_tT0_T1_T2_jT3_P12ihipStream_tbPNSt15iterator_traitsISK_E10value_typeEPNSQ_ISL_E10value_typeEPSM_NS1_7vsmem_tEENKUlT_SK_SL_SM_E_clISE_PfSF_SF_EESJ_SZ_SK_SL_SM_EUlSZ_E1_NS1_11comp_targetILNS1_3genE3ELNS1_11target_archE908ELNS1_3gpuE7ELNS1_3repE0EEENS1_36merge_oddeven_config_static_selectorELNS0_4arch9wavefront6targetE1EEEvSL_.has_dyn_sized_stack, 0
	.set _ZN7rocprim17ROCPRIM_400000_NS6detail17trampoline_kernelINS0_14default_configENS1_38merge_sort_block_merge_config_selectorIfNS0_10empty_typeEEEZZNS1_27merge_sort_block_merge_implIS3_N6thrust23THRUST_200600_302600_NS6detail15normal_iteratorINS9_10device_ptrIfEEEEPS5_jNS1_19radix_merge_compareILb0ELb0EfNS0_19identity_decomposerEEEEE10hipError_tT0_T1_T2_jT3_P12ihipStream_tbPNSt15iterator_traitsISK_E10value_typeEPNSQ_ISL_E10value_typeEPSM_NS1_7vsmem_tEENKUlT_SK_SL_SM_E_clISE_PfSF_SF_EESJ_SZ_SK_SL_SM_EUlSZ_E1_NS1_11comp_targetILNS1_3genE3ELNS1_11target_archE908ELNS1_3gpuE7ELNS1_3repE0EEENS1_36merge_oddeven_config_static_selectorELNS0_4arch9wavefront6targetE1EEEvSL_.has_recursion, 0
	.set _ZN7rocprim17ROCPRIM_400000_NS6detail17trampoline_kernelINS0_14default_configENS1_38merge_sort_block_merge_config_selectorIfNS0_10empty_typeEEEZZNS1_27merge_sort_block_merge_implIS3_N6thrust23THRUST_200600_302600_NS6detail15normal_iteratorINS9_10device_ptrIfEEEEPS5_jNS1_19radix_merge_compareILb0ELb0EfNS0_19identity_decomposerEEEEE10hipError_tT0_T1_T2_jT3_P12ihipStream_tbPNSt15iterator_traitsISK_E10value_typeEPNSQ_ISL_E10value_typeEPSM_NS1_7vsmem_tEENKUlT_SK_SL_SM_E_clISE_PfSF_SF_EESJ_SZ_SK_SL_SM_EUlSZ_E1_NS1_11comp_targetILNS1_3genE3ELNS1_11target_archE908ELNS1_3gpuE7ELNS1_3repE0EEENS1_36merge_oddeven_config_static_selectorELNS0_4arch9wavefront6targetE1EEEvSL_.has_indirect_call, 0
	.section	.AMDGPU.csdata,"",@progbits
; Kernel info:
; codeLenInByte = 0
; TotalNumSgprs: 6
; NumVgprs: 0
; NumAgprs: 0
; TotalNumVgprs: 0
; ScratchSize: 0
; MemoryBound: 0
; FloatMode: 240
; IeeeMode: 1
; LDSByteSize: 0 bytes/workgroup (compile time only)
; SGPRBlocks: 0
; VGPRBlocks: 0
; NumSGPRsForWavesPerEU: 6
; NumVGPRsForWavesPerEU: 1
; AccumOffset: 4
; Occupancy: 8
; WaveLimiterHint : 0
; COMPUTE_PGM_RSRC2:SCRATCH_EN: 0
; COMPUTE_PGM_RSRC2:USER_SGPR: 2
; COMPUTE_PGM_RSRC2:TRAP_HANDLER: 0
; COMPUTE_PGM_RSRC2:TGID_X_EN: 1
; COMPUTE_PGM_RSRC2:TGID_Y_EN: 0
; COMPUTE_PGM_RSRC2:TGID_Z_EN: 0
; COMPUTE_PGM_RSRC2:TIDIG_COMP_CNT: 0
; COMPUTE_PGM_RSRC3_GFX90A:ACCUM_OFFSET: 0
; COMPUTE_PGM_RSRC3_GFX90A:TG_SPLIT: 0
	.section	.text._ZN7rocprim17ROCPRIM_400000_NS6detail17trampoline_kernelINS0_14default_configENS1_38merge_sort_block_merge_config_selectorIfNS0_10empty_typeEEEZZNS1_27merge_sort_block_merge_implIS3_N6thrust23THRUST_200600_302600_NS6detail15normal_iteratorINS9_10device_ptrIfEEEEPS5_jNS1_19radix_merge_compareILb0ELb0EfNS0_19identity_decomposerEEEEE10hipError_tT0_T1_T2_jT3_P12ihipStream_tbPNSt15iterator_traitsISK_E10value_typeEPNSQ_ISL_E10value_typeEPSM_NS1_7vsmem_tEENKUlT_SK_SL_SM_E_clISE_PfSF_SF_EESJ_SZ_SK_SL_SM_EUlSZ_E1_NS1_11comp_targetILNS1_3genE2ELNS1_11target_archE906ELNS1_3gpuE6ELNS1_3repE0EEENS1_36merge_oddeven_config_static_selectorELNS0_4arch9wavefront6targetE1EEEvSL_,"axG",@progbits,_ZN7rocprim17ROCPRIM_400000_NS6detail17trampoline_kernelINS0_14default_configENS1_38merge_sort_block_merge_config_selectorIfNS0_10empty_typeEEEZZNS1_27merge_sort_block_merge_implIS3_N6thrust23THRUST_200600_302600_NS6detail15normal_iteratorINS9_10device_ptrIfEEEEPS5_jNS1_19radix_merge_compareILb0ELb0EfNS0_19identity_decomposerEEEEE10hipError_tT0_T1_T2_jT3_P12ihipStream_tbPNSt15iterator_traitsISK_E10value_typeEPNSQ_ISL_E10value_typeEPSM_NS1_7vsmem_tEENKUlT_SK_SL_SM_E_clISE_PfSF_SF_EESJ_SZ_SK_SL_SM_EUlSZ_E1_NS1_11comp_targetILNS1_3genE2ELNS1_11target_archE906ELNS1_3gpuE6ELNS1_3repE0EEENS1_36merge_oddeven_config_static_selectorELNS0_4arch9wavefront6targetE1EEEvSL_,comdat
	.protected	_ZN7rocprim17ROCPRIM_400000_NS6detail17trampoline_kernelINS0_14default_configENS1_38merge_sort_block_merge_config_selectorIfNS0_10empty_typeEEEZZNS1_27merge_sort_block_merge_implIS3_N6thrust23THRUST_200600_302600_NS6detail15normal_iteratorINS9_10device_ptrIfEEEEPS5_jNS1_19radix_merge_compareILb0ELb0EfNS0_19identity_decomposerEEEEE10hipError_tT0_T1_T2_jT3_P12ihipStream_tbPNSt15iterator_traitsISK_E10value_typeEPNSQ_ISL_E10value_typeEPSM_NS1_7vsmem_tEENKUlT_SK_SL_SM_E_clISE_PfSF_SF_EESJ_SZ_SK_SL_SM_EUlSZ_E1_NS1_11comp_targetILNS1_3genE2ELNS1_11target_archE906ELNS1_3gpuE6ELNS1_3repE0EEENS1_36merge_oddeven_config_static_selectorELNS0_4arch9wavefront6targetE1EEEvSL_ ; -- Begin function _ZN7rocprim17ROCPRIM_400000_NS6detail17trampoline_kernelINS0_14default_configENS1_38merge_sort_block_merge_config_selectorIfNS0_10empty_typeEEEZZNS1_27merge_sort_block_merge_implIS3_N6thrust23THRUST_200600_302600_NS6detail15normal_iteratorINS9_10device_ptrIfEEEEPS5_jNS1_19radix_merge_compareILb0ELb0EfNS0_19identity_decomposerEEEEE10hipError_tT0_T1_T2_jT3_P12ihipStream_tbPNSt15iterator_traitsISK_E10value_typeEPNSQ_ISL_E10value_typeEPSM_NS1_7vsmem_tEENKUlT_SK_SL_SM_E_clISE_PfSF_SF_EESJ_SZ_SK_SL_SM_EUlSZ_E1_NS1_11comp_targetILNS1_3genE2ELNS1_11target_archE906ELNS1_3gpuE6ELNS1_3repE0EEENS1_36merge_oddeven_config_static_selectorELNS0_4arch9wavefront6targetE1EEEvSL_
	.globl	_ZN7rocprim17ROCPRIM_400000_NS6detail17trampoline_kernelINS0_14default_configENS1_38merge_sort_block_merge_config_selectorIfNS0_10empty_typeEEEZZNS1_27merge_sort_block_merge_implIS3_N6thrust23THRUST_200600_302600_NS6detail15normal_iteratorINS9_10device_ptrIfEEEEPS5_jNS1_19radix_merge_compareILb0ELb0EfNS0_19identity_decomposerEEEEE10hipError_tT0_T1_T2_jT3_P12ihipStream_tbPNSt15iterator_traitsISK_E10value_typeEPNSQ_ISL_E10value_typeEPSM_NS1_7vsmem_tEENKUlT_SK_SL_SM_E_clISE_PfSF_SF_EESJ_SZ_SK_SL_SM_EUlSZ_E1_NS1_11comp_targetILNS1_3genE2ELNS1_11target_archE906ELNS1_3gpuE6ELNS1_3repE0EEENS1_36merge_oddeven_config_static_selectorELNS0_4arch9wavefront6targetE1EEEvSL_
	.p2align	8
	.type	_ZN7rocprim17ROCPRIM_400000_NS6detail17trampoline_kernelINS0_14default_configENS1_38merge_sort_block_merge_config_selectorIfNS0_10empty_typeEEEZZNS1_27merge_sort_block_merge_implIS3_N6thrust23THRUST_200600_302600_NS6detail15normal_iteratorINS9_10device_ptrIfEEEEPS5_jNS1_19radix_merge_compareILb0ELb0EfNS0_19identity_decomposerEEEEE10hipError_tT0_T1_T2_jT3_P12ihipStream_tbPNSt15iterator_traitsISK_E10value_typeEPNSQ_ISL_E10value_typeEPSM_NS1_7vsmem_tEENKUlT_SK_SL_SM_E_clISE_PfSF_SF_EESJ_SZ_SK_SL_SM_EUlSZ_E1_NS1_11comp_targetILNS1_3genE2ELNS1_11target_archE906ELNS1_3gpuE6ELNS1_3repE0EEENS1_36merge_oddeven_config_static_selectorELNS0_4arch9wavefront6targetE1EEEvSL_,@function
_ZN7rocprim17ROCPRIM_400000_NS6detail17trampoline_kernelINS0_14default_configENS1_38merge_sort_block_merge_config_selectorIfNS0_10empty_typeEEEZZNS1_27merge_sort_block_merge_implIS3_N6thrust23THRUST_200600_302600_NS6detail15normal_iteratorINS9_10device_ptrIfEEEEPS5_jNS1_19radix_merge_compareILb0ELb0EfNS0_19identity_decomposerEEEEE10hipError_tT0_T1_T2_jT3_P12ihipStream_tbPNSt15iterator_traitsISK_E10value_typeEPNSQ_ISL_E10value_typeEPSM_NS1_7vsmem_tEENKUlT_SK_SL_SM_E_clISE_PfSF_SF_EESJ_SZ_SK_SL_SM_EUlSZ_E1_NS1_11comp_targetILNS1_3genE2ELNS1_11target_archE906ELNS1_3gpuE6ELNS1_3repE0EEENS1_36merge_oddeven_config_static_selectorELNS0_4arch9wavefront6targetE1EEEvSL_: ; @_ZN7rocprim17ROCPRIM_400000_NS6detail17trampoline_kernelINS0_14default_configENS1_38merge_sort_block_merge_config_selectorIfNS0_10empty_typeEEEZZNS1_27merge_sort_block_merge_implIS3_N6thrust23THRUST_200600_302600_NS6detail15normal_iteratorINS9_10device_ptrIfEEEEPS5_jNS1_19radix_merge_compareILb0ELb0EfNS0_19identity_decomposerEEEEE10hipError_tT0_T1_T2_jT3_P12ihipStream_tbPNSt15iterator_traitsISK_E10value_typeEPNSQ_ISL_E10value_typeEPSM_NS1_7vsmem_tEENKUlT_SK_SL_SM_E_clISE_PfSF_SF_EESJ_SZ_SK_SL_SM_EUlSZ_E1_NS1_11comp_targetILNS1_3genE2ELNS1_11target_archE906ELNS1_3gpuE6ELNS1_3repE0EEENS1_36merge_oddeven_config_static_selectorELNS0_4arch9wavefront6targetE1EEEvSL_
; %bb.0:
	.section	.rodata,"a",@progbits
	.p2align	6, 0x0
	.amdhsa_kernel _ZN7rocprim17ROCPRIM_400000_NS6detail17trampoline_kernelINS0_14default_configENS1_38merge_sort_block_merge_config_selectorIfNS0_10empty_typeEEEZZNS1_27merge_sort_block_merge_implIS3_N6thrust23THRUST_200600_302600_NS6detail15normal_iteratorINS9_10device_ptrIfEEEEPS5_jNS1_19radix_merge_compareILb0ELb0EfNS0_19identity_decomposerEEEEE10hipError_tT0_T1_T2_jT3_P12ihipStream_tbPNSt15iterator_traitsISK_E10value_typeEPNSQ_ISL_E10value_typeEPSM_NS1_7vsmem_tEENKUlT_SK_SL_SM_E_clISE_PfSF_SF_EESJ_SZ_SK_SL_SM_EUlSZ_E1_NS1_11comp_targetILNS1_3genE2ELNS1_11target_archE906ELNS1_3gpuE6ELNS1_3repE0EEENS1_36merge_oddeven_config_static_selectorELNS0_4arch9wavefront6targetE1EEEvSL_
		.amdhsa_group_segment_fixed_size 0
		.amdhsa_private_segment_fixed_size 0
		.amdhsa_kernarg_size 48
		.amdhsa_user_sgpr_count 2
		.amdhsa_user_sgpr_dispatch_ptr 0
		.amdhsa_user_sgpr_queue_ptr 0
		.amdhsa_user_sgpr_kernarg_segment_ptr 1
		.amdhsa_user_sgpr_dispatch_id 0
		.amdhsa_user_sgpr_kernarg_preload_length 0
		.amdhsa_user_sgpr_kernarg_preload_offset 0
		.amdhsa_user_sgpr_private_segment_size 0
		.amdhsa_uses_dynamic_stack 0
		.amdhsa_enable_private_segment 0
		.amdhsa_system_sgpr_workgroup_id_x 1
		.amdhsa_system_sgpr_workgroup_id_y 0
		.amdhsa_system_sgpr_workgroup_id_z 0
		.amdhsa_system_sgpr_workgroup_info 0
		.amdhsa_system_vgpr_workitem_id 0
		.amdhsa_next_free_vgpr 1
		.amdhsa_next_free_sgpr 0
		.amdhsa_accum_offset 4
		.amdhsa_reserve_vcc 0
		.amdhsa_float_round_mode_32 0
		.amdhsa_float_round_mode_16_64 0
		.amdhsa_float_denorm_mode_32 3
		.amdhsa_float_denorm_mode_16_64 3
		.amdhsa_dx10_clamp 1
		.amdhsa_ieee_mode 1
		.amdhsa_fp16_overflow 0
		.amdhsa_tg_split 0
		.amdhsa_exception_fp_ieee_invalid_op 0
		.amdhsa_exception_fp_denorm_src 0
		.amdhsa_exception_fp_ieee_div_zero 0
		.amdhsa_exception_fp_ieee_overflow 0
		.amdhsa_exception_fp_ieee_underflow 0
		.amdhsa_exception_fp_ieee_inexact 0
		.amdhsa_exception_int_div_zero 0
	.end_amdhsa_kernel
	.section	.text._ZN7rocprim17ROCPRIM_400000_NS6detail17trampoline_kernelINS0_14default_configENS1_38merge_sort_block_merge_config_selectorIfNS0_10empty_typeEEEZZNS1_27merge_sort_block_merge_implIS3_N6thrust23THRUST_200600_302600_NS6detail15normal_iteratorINS9_10device_ptrIfEEEEPS5_jNS1_19radix_merge_compareILb0ELb0EfNS0_19identity_decomposerEEEEE10hipError_tT0_T1_T2_jT3_P12ihipStream_tbPNSt15iterator_traitsISK_E10value_typeEPNSQ_ISL_E10value_typeEPSM_NS1_7vsmem_tEENKUlT_SK_SL_SM_E_clISE_PfSF_SF_EESJ_SZ_SK_SL_SM_EUlSZ_E1_NS1_11comp_targetILNS1_3genE2ELNS1_11target_archE906ELNS1_3gpuE6ELNS1_3repE0EEENS1_36merge_oddeven_config_static_selectorELNS0_4arch9wavefront6targetE1EEEvSL_,"axG",@progbits,_ZN7rocprim17ROCPRIM_400000_NS6detail17trampoline_kernelINS0_14default_configENS1_38merge_sort_block_merge_config_selectorIfNS0_10empty_typeEEEZZNS1_27merge_sort_block_merge_implIS3_N6thrust23THRUST_200600_302600_NS6detail15normal_iteratorINS9_10device_ptrIfEEEEPS5_jNS1_19radix_merge_compareILb0ELb0EfNS0_19identity_decomposerEEEEE10hipError_tT0_T1_T2_jT3_P12ihipStream_tbPNSt15iterator_traitsISK_E10value_typeEPNSQ_ISL_E10value_typeEPSM_NS1_7vsmem_tEENKUlT_SK_SL_SM_E_clISE_PfSF_SF_EESJ_SZ_SK_SL_SM_EUlSZ_E1_NS1_11comp_targetILNS1_3genE2ELNS1_11target_archE906ELNS1_3gpuE6ELNS1_3repE0EEENS1_36merge_oddeven_config_static_selectorELNS0_4arch9wavefront6targetE1EEEvSL_,comdat
.Lfunc_end520:
	.size	_ZN7rocprim17ROCPRIM_400000_NS6detail17trampoline_kernelINS0_14default_configENS1_38merge_sort_block_merge_config_selectorIfNS0_10empty_typeEEEZZNS1_27merge_sort_block_merge_implIS3_N6thrust23THRUST_200600_302600_NS6detail15normal_iteratorINS9_10device_ptrIfEEEEPS5_jNS1_19radix_merge_compareILb0ELb0EfNS0_19identity_decomposerEEEEE10hipError_tT0_T1_T2_jT3_P12ihipStream_tbPNSt15iterator_traitsISK_E10value_typeEPNSQ_ISL_E10value_typeEPSM_NS1_7vsmem_tEENKUlT_SK_SL_SM_E_clISE_PfSF_SF_EESJ_SZ_SK_SL_SM_EUlSZ_E1_NS1_11comp_targetILNS1_3genE2ELNS1_11target_archE906ELNS1_3gpuE6ELNS1_3repE0EEENS1_36merge_oddeven_config_static_selectorELNS0_4arch9wavefront6targetE1EEEvSL_, .Lfunc_end520-_ZN7rocprim17ROCPRIM_400000_NS6detail17trampoline_kernelINS0_14default_configENS1_38merge_sort_block_merge_config_selectorIfNS0_10empty_typeEEEZZNS1_27merge_sort_block_merge_implIS3_N6thrust23THRUST_200600_302600_NS6detail15normal_iteratorINS9_10device_ptrIfEEEEPS5_jNS1_19radix_merge_compareILb0ELb0EfNS0_19identity_decomposerEEEEE10hipError_tT0_T1_T2_jT3_P12ihipStream_tbPNSt15iterator_traitsISK_E10value_typeEPNSQ_ISL_E10value_typeEPSM_NS1_7vsmem_tEENKUlT_SK_SL_SM_E_clISE_PfSF_SF_EESJ_SZ_SK_SL_SM_EUlSZ_E1_NS1_11comp_targetILNS1_3genE2ELNS1_11target_archE906ELNS1_3gpuE6ELNS1_3repE0EEENS1_36merge_oddeven_config_static_selectorELNS0_4arch9wavefront6targetE1EEEvSL_
                                        ; -- End function
	.set _ZN7rocprim17ROCPRIM_400000_NS6detail17trampoline_kernelINS0_14default_configENS1_38merge_sort_block_merge_config_selectorIfNS0_10empty_typeEEEZZNS1_27merge_sort_block_merge_implIS3_N6thrust23THRUST_200600_302600_NS6detail15normal_iteratorINS9_10device_ptrIfEEEEPS5_jNS1_19radix_merge_compareILb0ELb0EfNS0_19identity_decomposerEEEEE10hipError_tT0_T1_T2_jT3_P12ihipStream_tbPNSt15iterator_traitsISK_E10value_typeEPNSQ_ISL_E10value_typeEPSM_NS1_7vsmem_tEENKUlT_SK_SL_SM_E_clISE_PfSF_SF_EESJ_SZ_SK_SL_SM_EUlSZ_E1_NS1_11comp_targetILNS1_3genE2ELNS1_11target_archE906ELNS1_3gpuE6ELNS1_3repE0EEENS1_36merge_oddeven_config_static_selectorELNS0_4arch9wavefront6targetE1EEEvSL_.num_vgpr, 0
	.set _ZN7rocprim17ROCPRIM_400000_NS6detail17trampoline_kernelINS0_14default_configENS1_38merge_sort_block_merge_config_selectorIfNS0_10empty_typeEEEZZNS1_27merge_sort_block_merge_implIS3_N6thrust23THRUST_200600_302600_NS6detail15normal_iteratorINS9_10device_ptrIfEEEEPS5_jNS1_19radix_merge_compareILb0ELb0EfNS0_19identity_decomposerEEEEE10hipError_tT0_T1_T2_jT3_P12ihipStream_tbPNSt15iterator_traitsISK_E10value_typeEPNSQ_ISL_E10value_typeEPSM_NS1_7vsmem_tEENKUlT_SK_SL_SM_E_clISE_PfSF_SF_EESJ_SZ_SK_SL_SM_EUlSZ_E1_NS1_11comp_targetILNS1_3genE2ELNS1_11target_archE906ELNS1_3gpuE6ELNS1_3repE0EEENS1_36merge_oddeven_config_static_selectorELNS0_4arch9wavefront6targetE1EEEvSL_.num_agpr, 0
	.set _ZN7rocprim17ROCPRIM_400000_NS6detail17trampoline_kernelINS0_14default_configENS1_38merge_sort_block_merge_config_selectorIfNS0_10empty_typeEEEZZNS1_27merge_sort_block_merge_implIS3_N6thrust23THRUST_200600_302600_NS6detail15normal_iteratorINS9_10device_ptrIfEEEEPS5_jNS1_19radix_merge_compareILb0ELb0EfNS0_19identity_decomposerEEEEE10hipError_tT0_T1_T2_jT3_P12ihipStream_tbPNSt15iterator_traitsISK_E10value_typeEPNSQ_ISL_E10value_typeEPSM_NS1_7vsmem_tEENKUlT_SK_SL_SM_E_clISE_PfSF_SF_EESJ_SZ_SK_SL_SM_EUlSZ_E1_NS1_11comp_targetILNS1_3genE2ELNS1_11target_archE906ELNS1_3gpuE6ELNS1_3repE0EEENS1_36merge_oddeven_config_static_selectorELNS0_4arch9wavefront6targetE1EEEvSL_.numbered_sgpr, 0
	.set _ZN7rocprim17ROCPRIM_400000_NS6detail17trampoline_kernelINS0_14default_configENS1_38merge_sort_block_merge_config_selectorIfNS0_10empty_typeEEEZZNS1_27merge_sort_block_merge_implIS3_N6thrust23THRUST_200600_302600_NS6detail15normal_iteratorINS9_10device_ptrIfEEEEPS5_jNS1_19radix_merge_compareILb0ELb0EfNS0_19identity_decomposerEEEEE10hipError_tT0_T1_T2_jT3_P12ihipStream_tbPNSt15iterator_traitsISK_E10value_typeEPNSQ_ISL_E10value_typeEPSM_NS1_7vsmem_tEENKUlT_SK_SL_SM_E_clISE_PfSF_SF_EESJ_SZ_SK_SL_SM_EUlSZ_E1_NS1_11comp_targetILNS1_3genE2ELNS1_11target_archE906ELNS1_3gpuE6ELNS1_3repE0EEENS1_36merge_oddeven_config_static_selectorELNS0_4arch9wavefront6targetE1EEEvSL_.num_named_barrier, 0
	.set _ZN7rocprim17ROCPRIM_400000_NS6detail17trampoline_kernelINS0_14default_configENS1_38merge_sort_block_merge_config_selectorIfNS0_10empty_typeEEEZZNS1_27merge_sort_block_merge_implIS3_N6thrust23THRUST_200600_302600_NS6detail15normal_iteratorINS9_10device_ptrIfEEEEPS5_jNS1_19radix_merge_compareILb0ELb0EfNS0_19identity_decomposerEEEEE10hipError_tT0_T1_T2_jT3_P12ihipStream_tbPNSt15iterator_traitsISK_E10value_typeEPNSQ_ISL_E10value_typeEPSM_NS1_7vsmem_tEENKUlT_SK_SL_SM_E_clISE_PfSF_SF_EESJ_SZ_SK_SL_SM_EUlSZ_E1_NS1_11comp_targetILNS1_3genE2ELNS1_11target_archE906ELNS1_3gpuE6ELNS1_3repE0EEENS1_36merge_oddeven_config_static_selectorELNS0_4arch9wavefront6targetE1EEEvSL_.private_seg_size, 0
	.set _ZN7rocprim17ROCPRIM_400000_NS6detail17trampoline_kernelINS0_14default_configENS1_38merge_sort_block_merge_config_selectorIfNS0_10empty_typeEEEZZNS1_27merge_sort_block_merge_implIS3_N6thrust23THRUST_200600_302600_NS6detail15normal_iteratorINS9_10device_ptrIfEEEEPS5_jNS1_19radix_merge_compareILb0ELb0EfNS0_19identity_decomposerEEEEE10hipError_tT0_T1_T2_jT3_P12ihipStream_tbPNSt15iterator_traitsISK_E10value_typeEPNSQ_ISL_E10value_typeEPSM_NS1_7vsmem_tEENKUlT_SK_SL_SM_E_clISE_PfSF_SF_EESJ_SZ_SK_SL_SM_EUlSZ_E1_NS1_11comp_targetILNS1_3genE2ELNS1_11target_archE906ELNS1_3gpuE6ELNS1_3repE0EEENS1_36merge_oddeven_config_static_selectorELNS0_4arch9wavefront6targetE1EEEvSL_.uses_vcc, 0
	.set _ZN7rocprim17ROCPRIM_400000_NS6detail17trampoline_kernelINS0_14default_configENS1_38merge_sort_block_merge_config_selectorIfNS0_10empty_typeEEEZZNS1_27merge_sort_block_merge_implIS3_N6thrust23THRUST_200600_302600_NS6detail15normal_iteratorINS9_10device_ptrIfEEEEPS5_jNS1_19radix_merge_compareILb0ELb0EfNS0_19identity_decomposerEEEEE10hipError_tT0_T1_T2_jT3_P12ihipStream_tbPNSt15iterator_traitsISK_E10value_typeEPNSQ_ISL_E10value_typeEPSM_NS1_7vsmem_tEENKUlT_SK_SL_SM_E_clISE_PfSF_SF_EESJ_SZ_SK_SL_SM_EUlSZ_E1_NS1_11comp_targetILNS1_3genE2ELNS1_11target_archE906ELNS1_3gpuE6ELNS1_3repE0EEENS1_36merge_oddeven_config_static_selectorELNS0_4arch9wavefront6targetE1EEEvSL_.uses_flat_scratch, 0
	.set _ZN7rocprim17ROCPRIM_400000_NS6detail17trampoline_kernelINS0_14default_configENS1_38merge_sort_block_merge_config_selectorIfNS0_10empty_typeEEEZZNS1_27merge_sort_block_merge_implIS3_N6thrust23THRUST_200600_302600_NS6detail15normal_iteratorINS9_10device_ptrIfEEEEPS5_jNS1_19radix_merge_compareILb0ELb0EfNS0_19identity_decomposerEEEEE10hipError_tT0_T1_T2_jT3_P12ihipStream_tbPNSt15iterator_traitsISK_E10value_typeEPNSQ_ISL_E10value_typeEPSM_NS1_7vsmem_tEENKUlT_SK_SL_SM_E_clISE_PfSF_SF_EESJ_SZ_SK_SL_SM_EUlSZ_E1_NS1_11comp_targetILNS1_3genE2ELNS1_11target_archE906ELNS1_3gpuE6ELNS1_3repE0EEENS1_36merge_oddeven_config_static_selectorELNS0_4arch9wavefront6targetE1EEEvSL_.has_dyn_sized_stack, 0
	.set _ZN7rocprim17ROCPRIM_400000_NS6detail17trampoline_kernelINS0_14default_configENS1_38merge_sort_block_merge_config_selectorIfNS0_10empty_typeEEEZZNS1_27merge_sort_block_merge_implIS3_N6thrust23THRUST_200600_302600_NS6detail15normal_iteratorINS9_10device_ptrIfEEEEPS5_jNS1_19radix_merge_compareILb0ELb0EfNS0_19identity_decomposerEEEEE10hipError_tT0_T1_T2_jT3_P12ihipStream_tbPNSt15iterator_traitsISK_E10value_typeEPNSQ_ISL_E10value_typeEPSM_NS1_7vsmem_tEENKUlT_SK_SL_SM_E_clISE_PfSF_SF_EESJ_SZ_SK_SL_SM_EUlSZ_E1_NS1_11comp_targetILNS1_3genE2ELNS1_11target_archE906ELNS1_3gpuE6ELNS1_3repE0EEENS1_36merge_oddeven_config_static_selectorELNS0_4arch9wavefront6targetE1EEEvSL_.has_recursion, 0
	.set _ZN7rocprim17ROCPRIM_400000_NS6detail17trampoline_kernelINS0_14default_configENS1_38merge_sort_block_merge_config_selectorIfNS0_10empty_typeEEEZZNS1_27merge_sort_block_merge_implIS3_N6thrust23THRUST_200600_302600_NS6detail15normal_iteratorINS9_10device_ptrIfEEEEPS5_jNS1_19radix_merge_compareILb0ELb0EfNS0_19identity_decomposerEEEEE10hipError_tT0_T1_T2_jT3_P12ihipStream_tbPNSt15iterator_traitsISK_E10value_typeEPNSQ_ISL_E10value_typeEPSM_NS1_7vsmem_tEENKUlT_SK_SL_SM_E_clISE_PfSF_SF_EESJ_SZ_SK_SL_SM_EUlSZ_E1_NS1_11comp_targetILNS1_3genE2ELNS1_11target_archE906ELNS1_3gpuE6ELNS1_3repE0EEENS1_36merge_oddeven_config_static_selectorELNS0_4arch9wavefront6targetE1EEEvSL_.has_indirect_call, 0
	.section	.AMDGPU.csdata,"",@progbits
; Kernel info:
; codeLenInByte = 0
; TotalNumSgprs: 6
; NumVgprs: 0
; NumAgprs: 0
; TotalNumVgprs: 0
; ScratchSize: 0
; MemoryBound: 0
; FloatMode: 240
; IeeeMode: 1
; LDSByteSize: 0 bytes/workgroup (compile time only)
; SGPRBlocks: 0
; VGPRBlocks: 0
; NumSGPRsForWavesPerEU: 6
; NumVGPRsForWavesPerEU: 1
; AccumOffset: 4
; Occupancy: 8
; WaveLimiterHint : 0
; COMPUTE_PGM_RSRC2:SCRATCH_EN: 0
; COMPUTE_PGM_RSRC2:USER_SGPR: 2
; COMPUTE_PGM_RSRC2:TRAP_HANDLER: 0
; COMPUTE_PGM_RSRC2:TGID_X_EN: 1
; COMPUTE_PGM_RSRC2:TGID_Y_EN: 0
; COMPUTE_PGM_RSRC2:TGID_Z_EN: 0
; COMPUTE_PGM_RSRC2:TIDIG_COMP_CNT: 0
; COMPUTE_PGM_RSRC3_GFX90A:ACCUM_OFFSET: 0
; COMPUTE_PGM_RSRC3_GFX90A:TG_SPLIT: 0
	.section	.text._ZN7rocprim17ROCPRIM_400000_NS6detail17trampoline_kernelINS0_14default_configENS1_38merge_sort_block_merge_config_selectorIfNS0_10empty_typeEEEZZNS1_27merge_sort_block_merge_implIS3_N6thrust23THRUST_200600_302600_NS6detail15normal_iteratorINS9_10device_ptrIfEEEEPS5_jNS1_19radix_merge_compareILb0ELb0EfNS0_19identity_decomposerEEEEE10hipError_tT0_T1_T2_jT3_P12ihipStream_tbPNSt15iterator_traitsISK_E10value_typeEPNSQ_ISL_E10value_typeEPSM_NS1_7vsmem_tEENKUlT_SK_SL_SM_E_clISE_PfSF_SF_EESJ_SZ_SK_SL_SM_EUlSZ_E1_NS1_11comp_targetILNS1_3genE9ELNS1_11target_archE1100ELNS1_3gpuE3ELNS1_3repE0EEENS1_36merge_oddeven_config_static_selectorELNS0_4arch9wavefront6targetE1EEEvSL_,"axG",@progbits,_ZN7rocprim17ROCPRIM_400000_NS6detail17trampoline_kernelINS0_14default_configENS1_38merge_sort_block_merge_config_selectorIfNS0_10empty_typeEEEZZNS1_27merge_sort_block_merge_implIS3_N6thrust23THRUST_200600_302600_NS6detail15normal_iteratorINS9_10device_ptrIfEEEEPS5_jNS1_19radix_merge_compareILb0ELb0EfNS0_19identity_decomposerEEEEE10hipError_tT0_T1_T2_jT3_P12ihipStream_tbPNSt15iterator_traitsISK_E10value_typeEPNSQ_ISL_E10value_typeEPSM_NS1_7vsmem_tEENKUlT_SK_SL_SM_E_clISE_PfSF_SF_EESJ_SZ_SK_SL_SM_EUlSZ_E1_NS1_11comp_targetILNS1_3genE9ELNS1_11target_archE1100ELNS1_3gpuE3ELNS1_3repE0EEENS1_36merge_oddeven_config_static_selectorELNS0_4arch9wavefront6targetE1EEEvSL_,comdat
	.protected	_ZN7rocprim17ROCPRIM_400000_NS6detail17trampoline_kernelINS0_14default_configENS1_38merge_sort_block_merge_config_selectorIfNS0_10empty_typeEEEZZNS1_27merge_sort_block_merge_implIS3_N6thrust23THRUST_200600_302600_NS6detail15normal_iteratorINS9_10device_ptrIfEEEEPS5_jNS1_19radix_merge_compareILb0ELb0EfNS0_19identity_decomposerEEEEE10hipError_tT0_T1_T2_jT3_P12ihipStream_tbPNSt15iterator_traitsISK_E10value_typeEPNSQ_ISL_E10value_typeEPSM_NS1_7vsmem_tEENKUlT_SK_SL_SM_E_clISE_PfSF_SF_EESJ_SZ_SK_SL_SM_EUlSZ_E1_NS1_11comp_targetILNS1_3genE9ELNS1_11target_archE1100ELNS1_3gpuE3ELNS1_3repE0EEENS1_36merge_oddeven_config_static_selectorELNS0_4arch9wavefront6targetE1EEEvSL_ ; -- Begin function _ZN7rocprim17ROCPRIM_400000_NS6detail17trampoline_kernelINS0_14default_configENS1_38merge_sort_block_merge_config_selectorIfNS0_10empty_typeEEEZZNS1_27merge_sort_block_merge_implIS3_N6thrust23THRUST_200600_302600_NS6detail15normal_iteratorINS9_10device_ptrIfEEEEPS5_jNS1_19radix_merge_compareILb0ELb0EfNS0_19identity_decomposerEEEEE10hipError_tT0_T1_T2_jT3_P12ihipStream_tbPNSt15iterator_traitsISK_E10value_typeEPNSQ_ISL_E10value_typeEPSM_NS1_7vsmem_tEENKUlT_SK_SL_SM_E_clISE_PfSF_SF_EESJ_SZ_SK_SL_SM_EUlSZ_E1_NS1_11comp_targetILNS1_3genE9ELNS1_11target_archE1100ELNS1_3gpuE3ELNS1_3repE0EEENS1_36merge_oddeven_config_static_selectorELNS0_4arch9wavefront6targetE1EEEvSL_
	.globl	_ZN7rocprim17ROCPRIM_400000_NS6detail17trampoline_kernelINS0_14default_configENS1_38merge_sort_block_merge_config_selectorIfNS0_10empty_typeEEEZZNS1_27merge_sort_block_merge_implIS3_N6thrust23THRUST_200600_302600_NS6detail15normal_iteratorINS9_10device_ptrIfEEEEPS5_jNS1_19radix_merge_compareILb0ELb0EfNS0_19identity_decomposerEEEEE10hipError_tT0_T1_T2_jT3_P12ihipStream_tbPNSt15iterator_traitsISK_E10value_typeEPNSQ_ISL_E10value_typeEPSM_NS1_7vsmem_tEENKUlT_SK_SL_SM_E_clISE_PfSF_SF_EESJ_SZ_SK_SL_SM_EUlSZ_E1_NS1_11comp_targetILNS1_3genE9ELNS1_11target_archE1100ELNS1_3gpuE3ELNS1_3repE0EEENS1_36merge_oddeven_config_static_selectorELNS0_4arch9wavefront6targetE1EEEvSL_
	.p2align	8
	.type	_ZN7rocprim17ROCPRIM_400000_NS6detail17trampoline_kernelINS0_14default_configENS1_38merge_sort_block_merge_config_selectorIfNS0_10empty_typeEEEZZNS1_27merge_sort_block_merge_implIS3_N6thrust23THRUST_200600_302600_NS6detail15normal_iteratorINS9_10device_ptrIfEEEEPS5_jNS1_19radix_merge_compareILb0ELb0EfNS0_19identity_decomposerEEEEE10hipError_tT0_T1_T2_jT3_P12ihipStream_tbPNSt15iterator_traitsISK_E10value_typeEPNSQ_ISL_E10value_typeEPSM_NS1_7vsmem_tEENKUlT_SK_SL_SM_E_clISE_PfSF_SF_EESJ_SZ_SK_SL_SM_EUlSZ_E1_NS1_11comp_targetILNS1_3genE9ELNS1_11target_archE1100ELNS1_3gpuE3ELNS1_3repE0EEENS1_36merge_oddeven_config_static_selectorELNS0_4arch9wavefront6targetE1EEEvSL_,@function
_ZN7rocprim17ROCPRIM_400000_NS6detail17trampoline_kernelINS0_14default_configENS1_38merge_sort_block_merge_config_selectorIfNS0_10empty_typeEEEZZNS1_27merge_sort_block_merge_implIS3_N6thrust23THRUST_200600_302600_NS6detail15normal_iteratorINS9_10device_ptrIfEEEEPS5_jNS1_19radix_merge_compareILb0ELb0EfNS0_19identity_decomposerEEEEE10hipError_tT0_T1_T2_jT3_P12ihipStream_tbPNSt15iterator_traitsISK_E10value_typeEPNSQ_ISL_E10value_typeEPSM_NS1_7vsmem_tEENKUlT_SK_SL_SM_E_clISE_PfSF_SF_EESJ_SZ_SK_SL_SM_EUlSZ_E1_NS1_11comp_targetILNS1_3genE9ELNS1_11target_archE1100ELNS1_3gpuE3ELNS1_3repE0EEENS1_36merge_oddeven_config_static_selectorELNS0_4arch9wavefront6targetE1EEEvSL_: ; @_ZN7rocprim17ROCPRIM_400000_NS6detail17trampoline_kernelINS0_14default_configENS1_38merge_sort_block_merge_config_selectorIfNS0_10empty_typeEEEZZNS1_27merge_sort_block_merge_implIS3_N6thrust23THRUST_200600_302600_NS6detail15normal_iteratorINS9_10device_ptrIfEEEEPS5_jNS1_19radix_merge_compareILb0ELb0EfNS0_19identity_decomposerEEEEE10hipError_tT0_T1_T2_jT3_P12ihipStream_tbPNSt15iterator_traitsISK_E10value_typeEPNSQ_ISL_E10value_typeEPSM_NS1_7vsmem_tEENKUlT_SK_SL_SM_E_clISE_PfSF_SF_EESJ_SZ_SK_SL_SM_EUlSZ_E1_NS1_11comp_targetILNS1_3genE9ELNS1_11target_archE1100ELNS1_3gpuE3ELNS1_3repE0EEENS1_36merge_oddeven_config_static_selectorELNS0_4arch9wavefront6targetE1EEEvSL_
; %bb.0:
	.section	.rodata,"a",@progbits
	.p2align	6, 0x0
	.amdhsa_kernel _ZN7rocprim17ROCPRIM_400000_NS6detail17trampoline_kernelINS0_14default_configENS1_38merge_sort_block_merge_config_selectorIfNS0_10empty_typeEEEZZNS1_27merge_sort_block_merge_implIS3_N6thrust23THRUST_200600_302600_NS6detail15normal_iteratorINS9_10device_ptrIfEEEEPS5_jNS1_19radix_merge_compareILb0ELb0EfNS0_19identity_decomposerEEEEE10hipError_tT0_T1_T2_jT3_P12ihipStream_tbPNSt15iterator_traitsISK_E10value_typeEPNSQ_ISL_E10value_typeEPSM_NS1_7vsmem_tEENKUlT_SK_SL_SM_E_clISE_PfSF_SF_EESJ_SZ_SK_SL_SM_EUlSZ_E1_NS1_11comp_targetILNS1_3genE9ELNS1_11target_archE1100ELNS1_3gpuE3ELNS1_3repE0EEENS1_36merge_oddeven_config_static_selectorELNS0_4arch9wavefront6targetE1EEEvSL_
		.amdhsa_group_segment_fixed_size 0
		.amdhsa_private_segment_fixed_size 0
		.amdhsa_kernarg_size 48
		.amdhsa_user_sgpr_count 2
		.amdhsa_user_sgpr_dispatch_ptr 0
		.amdhsa_user_sgpr_queue_ptr 0
		.amdhsa_user_sgpr_kernarg_segment_ptr 1
		.amdhsa_user_sgpr_dispatch_id 0
		.amdhsa_user_sgpr_kernarg_preload_length 0
		.amdhsa_user_sgpr_kernarg_preload_offset 0
		.amdhsa_user_sgpr_private_segment_size 0
		.amdhsa_uses_dynamic_stack 0
		.amdhsa_enable_private_segment 0
		.amdhsa_system_sgpr_workgroup_id_x 1
		.amdhsa_system_sgpr_workgroup_id_y 0
		.amdhsa_system_sgpr_workgroup_id_z 0
		.amdhsa_system_sgpr_workgroup_info 0
		.amdhsa_system_vgpr_workitem_id 0
		.amdhsa_next_free_vgpr 1
		.amdhsa_next_free_sgpr 0
		.amdhsa_accum_offset 4
		.amdhsa_reserve_vcc 0
		.amdhsa_float_round_mode_32 0
		.amdhsa_float_round_mode_16_64 0
		.amdhsa_float_denorm_mode_32 3
		.amdhsa_float_denorm_mode_16_64 3
		.amdhsa_dx10_clamp 1
		.amdhsa_ieee_mode 1
		.amdhsa_fp16_overflow 0
		.amdhsa_tg_split 0
		.amdhsa_exception_fp_ieee_invalid_op 0
		.amdhsa_exception_fp_denorm_src 0
		.amdhsa_exception_fp_ieee_div_zero 0
		.amdhsa_exception_fp_ieee_overflow 0
		.amdhsa_exception_fp_ieee_underflow 0
		.amdhsa_exception_fp_ieee_inexact 0
		.amdhsa_exception_int_div_zero 0
	.end_amdhsa_kernel
	.section	.text._ZN7rocprim17ROCPRIM_400000_NS6detail17trampoline_kernelINS0_14default_configENS1_38merge_sort_block_merge_config_selectorIfNS0_10empty_typeEEEZZNS1_27merge_sort_block_merge_implIS3_N6thrust23THRUST_200600_302600_NS6detail15normal_iteratorINS9_10device_ptrIfEEEEPS5_jNS1_19radix_merge_compareILb0ELb0EfNS0_19identity_decomposerEEEEE10hipError_tT0_T1_T2_jT3_P12ihipStream_tbPNSt15iterator_traitsISK_E10value_typeEPNSQ_ISL_E10value_typeEPSM_NS1_7vsmem_tEENKUlT_SK_SL_SM_E_clISE_PfSF_SF_EESJ_SZ_SK_SL_SM_EUlSZ_E1_NS1_11comp_targetILNS1_3genE9ELNS1_11target_archE1100ELNS1_3gpuE3ELNS1_3repE0EEENS1_36merge_oddeven_config_static_selectorELNS0_4arch9wavefront6targetE1EEEvSL_,"axG",@progbits,_ZN7rocprim17ROCPRIM_400000_NS6detail17trampoline_kernelINS0_14default_configENS1_38merge_sort_block_merge_config_selectorIfNS0_10empty_typeEEEZZNS1_27merge_sort_block_merge_implIS3_N6thrust23THRUST_200600_302600_NS6detail15normal_iteratorINS9_10device_ptrIfEEEEPS5_jNS1_19radix_merge_compareILb0ELb0EfNS0_19identity_decomposerEEEEE10hipError_tT0_T1_T2_jT3_P12ihipStream_tbPNSt15iterator_traitsISK_E10value_typeEPNSQ_ISL_E10value_typeEPSM_NS1_7vsmem_tEENKUlT_SK_SL_SM_E_clISE_PfSF_SF_EESJ_SZ_SK_SL_SM_EUlSZ_E1_NS1_11comp_targetILNS1_3genE9ELNS1_11target_archE1100ELNS1_3gpuE3ELNS1_3repE0EEENS1_36merge_oddeven_config_static_selectorELNS0_4arch9wavefront6targetE1EEEvSL_,comdat
.Lfunc_end521:
	.size	_ZN7rocprim17ROCPRIM_400000_NS6detail17trampoline_kernelINS0_14default_configENS1_38merge_sort_block_merge_config_selectorIfNS0_10empty_typeEEEZZNS1_27merge_sort_block_merge_implIS3_N6thrust23THRUST_200600_302600_NS6detail15normal_iteratorINS9_10device_ptrIfEEEEPS5_jNS1_19radix_merge_compareILb0ELb0EfNS0_19identity_decomposerEEEEE10hipError_tT0_T1_T2_jT3_P12ihipStream_tbPNSt15iterator_traitsISK_E10value_typeEPNSQ_ISL_E10value_typeEPSM_NS1_7vsmem_tEENKUlT_SK_SL_SM_E_clISE_PfSF_SF_EESJ_SZ_SK_SL_SM_EUlSZ_E1_NS1_11comp_targetILNS1_3genE9ELNS1_11target_archE1100ELNS1_3gpuE3ELNS1_3repE0EEENS1_36merge_oddeven_config_static_selectorELNS0_4arch9wavefront6targetE1EEEvSL_, .Lfunc_end521-_ZN7rocprim17ROCPRIM_400000_NS6detail17trampoline_kernelINS0_14default_configENS1_38merge_sort_block_merge_config_selectorIfNS0_10empty_typeEEEZZNS1_27merge_sort_block_merge_implIS3_N6thrust23THRUST_200600_302600_NS6detail15normal_iteratorINS9_10device_ptrIfEEEEPS5_jNS1_19radix_merge_compareILb0ELb0EfNS0_19identity_decomposerEEEEE10hipError_tT0_T1_T2_jT3_P12ihipStream_tbPNSt15iterator_traitsISK_E10value_typeEPNSQ_ISL_E10value_typeEPSM_NS1_7vsmem_tEENKUlT_SK_SL_SM_E_clISE_PfSF_SF_EESJ_SZ_SK_SL_SM_EUlSZ_E1_NS1_11comp_targetILNS1_3genE9ELNS1_11target_archE1100ELNS1_3gpuE3ELNS1_3repE0EEENS1_36merge_oddeven_config_static_selectorELNS0_4arch9wavefront6targetE1EEEvSL_
                                        ; -- End function
	.set _ZN7rocprim17ROCPRIM_400000_NS6detail17trampoline_kernelINS0_14default_configENS1_38merge_sort_block_merge_config_selectorIfNS0_10empty_typeEEEZZNS1_27merge_sort_block_merge_implIS3_N6thrust23THRUST_200600_302600_NS6detail15normal_iteratorINS9_10device_ptrIfEEEEPS5_jNS1_19radix_merge_compareILb0ELb0EfNS0_19identity_decomposerEEEEE10hipError_tT0_T1_T2_jT3_P12ihipStream_tbPNSt15iterator_traitsISK_E10value_typeEPNSQ_ISL_E10value_typeEPSM_NS1_7vsmem_tEENKUlT_SK_SL_SM_E_clISE_PfSF_SF_EESJ_SZ_SK_SL_SM_EUlSZ_E1_NS1_11comp_targetILNS1_3genE9ELNS1_11target_archE1100ELNS1_3gpuE3ELNS1_3repE0EEENS1_36merge_oddeven_config_static_selectorELNS0_4arch9wavefront6targetE1EEEvSL_.num_vgpr, 0
	.set _ZN7rocprim17ROCPRIM_400000_NS6detail17trampoline_kernelINS0_14default_configENS1_38merge_sort_block_merge_config_selectorIfNS0_10empty_typeEEEZZNS1_27merge_sort_block_merge_implIS3_N6thrust23THRUST_200600_302600_NS6detail15normal_iteratorINS9_10device_ptrIfEEEEPS5_jNS1_19radix_merge_compareILb0ELb0EfNS0_19identity_decomposerEEEEE10hipError_tT0_T1_T2_jT3_P12ihipStream_tbPNSt15iterator_traitsISK_E10value_typeEPNSQ_ISL_E10value_typeEPSM_NS1_7vsmem_tEENKUlT_SK_SL_SM_E_clISE_PfSF_SF_EESJ_SZ_SK_SL_SM_EUlSZ_E1_NS1_11comp_targetILNS1_3genE9ELNS1_11target_archE1100ELNS1_3gpuE3ELNS1_3repE0EEENS1_36merge_oddeven_config_static_selectorELNS0_4arch9wavefront6targetE1EEEvSL_.num_agpr, 0
	.set _ZN7rocprim17ROCPRIM_400000_NS6detail17trampoline_kernelINS0_14default_configENS1_38merge_sort_block_merge_config_selectorIfNS0_10empty_typeEEEZZNS1_27merge_sort_block_merge_implIS3_N6thrust23THRUST_200600_302600_NS6detail15normal_iteratorINS9_10device_ptrIfEEEEPS5_jNS1_19radix_merge_compareILb0ELb0EfNS0_19identity_decomposerEEEEE10hipError_tT0_T1_T2_jT3_P12ihipStream_tbPNSt15iterator_traitsISK_E10value_typeEPNSQ_ISL_E10value_typeEPSM_NS1_7vsmem_tEENKUlT_SK_SL_SM_E_clISE_PfSF_SF_EESJ_SZ_SK_SL_SM_EUlSZ_E1_NS1_11comp_targetILNS1_3genE9ELNS1_11target_archE1100ELNS1_3gpuE3ELNS1_3repE0EEENS1_36merge_oddeven_config_static_selectorELNS0_4arch9wavefront6targetE1EEEvSL_.numbered_sgpr, 0
	.set _ZN7rocprim17ROCPRIM_400000_NS6detail17trampoline_kernelINS0_14default_configENS1_38merge_sort_block_merge_config_selectorIfNS0_10empty_typeEEEZZNS1_27merge_sort_block_merge_implIS3_N6thrust23THRUST_200600_302600_NS6detail15normal_iteratorINS9_10device_ptrIfEEEEPS5_jNS1_19radix_merge_compareILb0ELb0EfNS0_19identity_decomposerEEEEE10hipError_tT0_T1_T2_jT3_P12ihipStream_tbPNSt15iterator_traitsISK_E10value_typeEPNSQ_ISL_E10value_typeEPSM_NS1_7vsmem_tEENKUlT_SK_SL_SM_E_clISE_PfSF_SF_EESJ_SZ_SK_SL_SM_EUlSZ_E1_NS1_11comp_targetILNS1_3genE9ELNS1_11target_archE1100ELNS1_3gpuE3ELNS1_3repE0EEENS1_36merge_oddeven_config_static_selectorELNS0_4arch9wavefront6targetE1EEEvSL_.num_named_barrier, 0
	.set _ZN7rocprim17ROCPRIM_400000_NS6detail17trampoline_kernelINS0_14default_configENS1_38merge_sort_block_merge_config_selectorIfNS0_10empty_typeEEEZZNS1_27merge_sort_block_merge_implIS3_N6thrust23THRUST_200600_302600_NS6detail15normal_iteratorINS9_10device_ptrIfEEEEPS5_jNS1_19radix_merge_compareILb0ELb0EfNS0_19identity_decomposerEEEEE10hipError_tT0_T1_T2_jT3_P12ihipStream_tbPNSt15iterator_traitsISK_E10value_typeEPNSQ_ISL_E10value_typeEPSM_NS1_7vsmem_tEENKUlT_SK_SL_SM_E_clISE_PfSF_SF_EESJ_SZ_SK_SL_SM_EUlSZ_E1_NS1_11comp_targetILNS1_3genE9ELNS1_11target_archE1100ELNS1_3gpuE3ELNS1_3repE0EEENS1_36merge_oddeven_config_static_selectorELNS0_4arch9wavefront6targetE1EEEvSL_.private_seg_size, 0
	.set _ZN7rocprim17ROCPRIM_400000_NS6detail17trampoline_kernelINS0_14default_configENS1_38merge_sort_block_merge_config_selectorIfNS0_10empty_typeEEEZZNS1_27merge_sort_block_merge_implIS3_N6thrust23THRUST_200600_302600_NS6detail15normal_iteratorINS9_10device_ptrIfEEEEPS5_jNS1_19radix_merge_compareILb0ELb0EfNS0_19identity_decomposerEEEEE10hipError_tT0_T1_T2_jT3_P12ihipStream_tbPNSt15iterator_traitsISK_E10value_typeEPNSQ_ISL_E10value_typeEPSM_NS1_7vsmem_tEENKUlT_SK_SL_SM_E_clISE_PfSF_SF_EESJ_SZ_SK_SL_SM_EUlSZ_E1_NS1_11comp_targetILNS1_3genE9ELNS1_11target_archE1100ELNS1_3gpuE3ELNS1_3repE0EEENS1_36merge_oddeven_config_static_selectorELNS0_4arch9wavefront6targetE1EEEvSL_.uses_vcc, 0
	.set _ZN7rocprim17ROCPRIM_400000_NS6detail17trampoline_kernelINS0_14default_configENS1_38merge_sort_block_merge_config_selectorIfNS0_10empty_typeEEEZZNS1_27merge_sort_block_merge_implIS3_N6thrust23THRUST_200600_302600_NS6detail15normal_iteratorINS9_10device_ptrIfEEEEPS5_jNS1_19radix_merge_compareILb0ELb0EfNS0_19identity_decomposerEEEEE10hipError_tT0_T1_T2_jT3_P12ihipStream_tbPNSt15iterator_traitsISK_E10value_typeEPNSQ_ISL_E10value_typeEPSM_NS1_7vsmem_tEENKUlT_SK_SL_SM_E_clISE_PfSF_SF_EESJ_SZ_SK_SL_SM_EUlSZ_E1_NS1_11comp_targetILNS1_3genE9ELNS1_11target_archE1100ELNS1_3gpuE3ELNS1_3repE0EEENS1_36merge_oddeven_config_static_selectorELNS0_4arch9wavefront6targetE1EEEvSL_.uses_flat_scratch, 0
	.set _ZN7rocprim17ROCPRIM_400000_NS6detail17trampoline_kernelINS0_14default_configENS1_38merge_sort_block_merge_config_selectorIfNS0_10empty_typeEEEZZNS1_27merge_sort_block_merge_implIS3_N6thrust23THRUST_200600_302600_NS6detail15normal_iteratorINS9_10device_ptrIfEEEEPS5_jNS1_19radix_merge_compareILb0ELb0EfNS0_19identity_decomposerEEEEE10hipError_tT0_T1_T2_jT3_P12ihipStream_tbPNSt15iterator_traitsISK_E10value_typeEPNSQ_ISL_E10value_typeEPSM_NS1_7vsmem_tEENKUlT_SK_SL_SM_E_clISE_PfSF_SF_EESJ_SZ_SK_SL_SM_EUlSZ_E1_NS1_11comp_targetILNS1_3genE9ELNS1_11target_archE1100ELNS1_3gpuE3ELNS1_3repE0EEENS1_36merge_oddeven_config_static_selectorELNS0_4arch9wavefront6targetE1EEEvSL_.has_dyn_sized_stack, 0
	.set _ZN7rocprim17ROCPRIM_400000_NS6detail17trampoline_kernelINS0_14default_configENS1_38merge_sort_block_merge_config_selectorIfNS0_10empty_typeEEEZZNS1_27merge_sort_block_merge_implIS3_N6thrust23THRUST_200600_302600_NS6detail15normal_iteratorINS9_10device_ptrIfEEEEPS5_jNS1_19radix_merge_compareILb0ELb0EfNS0_19identity_decomposerEEEEE10hipError_tT0_T1_T2_jT3_P12ihipStream_tbPNSt15iterator_traitsISK_E10value_typeEPNSQ_ISL_E10value_typeEPSM_NS1_7vsmem_tEENKUlT_SK_SL_SM_E_clISE_PfSF_SF_EESJ_SZ_SK_SL_SM_EUlSZ_E1_NS1_11comp_targetILNS1_3genE9ELNS1_11target_archE1100ELNS1_3gpuE3ELNS1_3repE0EEENS1_36merge_oddeven_config_static_selectorELNS0_4arch9wavefront6targetE1EEEvSL_.has_recursion, 0
	.set _ZN7rocprim17ROCPRIM_400000_NS6detail17trampoline_kernelINS0_14default_configENS1_38merge_sort_block_merge_config_selectorIfNS0_10empty_typeEEEZZNS1_27merge_sort_block_merge_implIS3_N6thrust23THRUST_200600_302600_NS6detail15normal_iteratorINS9_10device_ptrIfEEEEPS5_jNS1_19radix_merge_compareILb0ELb0EfNS0_19identity_decomposerEEEEE10hipError_tT0_T1_T2_jT3_P12ihipStream_tbPNSt15iterator_traitsISK_E10value_typeEPNSQ_ISL_E10value_typeEPSM_NS1_7vsmem_tEENKUlT_SK_SL_SM_E_clISE_PfSF_SF_EESJ_SZ_SK_SL_SM_EUlSZ_E1_NS1_11comp_targetILNS1_3genE9ELNS1_11target_archE1100ELNS1_3gpuE3ELNS1_3repE0EEENS1_36merge_oddeven_config_static_selectorELNS0_4arch9wavefront6targetE1EEEvSL_.has_indirect_call, 0
	.section	.AMDGPU.csdata,"",@progbits
; Kernel info:
; codeLenInByte = 0
; TotalNumSgprs: 6
; NumVgprs: 0
; NumAgprs: 0
; TotalNumVgprs: 0
; ScratchSize: 0
; MemoryBound: 0
; FloatMode: 240
; IeeeMode: 1
; LDSByteSize: 0 bytes/workgroup (compile time only)
; SGPRBlocks: 0
; VGPRBlocks: 0
; NumSGPRsForWavesPerEU: 6
; NumVGPRsForWavesPerEU: 1
; AccumOffset: 4
; Occupancy: 8
; WaveLimiterHint : 0
; COMPUTE_PGM_RSRC2:SCRATCH_EN: 0
; COMPUTE_PGM_RSRC2:USER_SGPR: 2
; COMPUTE_PGM_RSRC2:TRAP_HANDLER: 0
; COMPUTE_PGM_RSRC2:TGID_X_EN: 1
; COMPUTE_PGM_RSRC2:TGID_Y_EN: 0
; COMPUTE_PGM_RSRC2:TGID_Z_EN: 0
; COMPUTE_PGM_RSRC2:TIDIG_COMP_CNT: 0
; COMPUTE_PGM_RSRC3_GFX90A:ACCUM_OFFSET: 0
; COMPUTE_PGM_RSRC3_GFX90A:TG_SPLIT: 0
	.section	.text._ZN7rocprim17ROCPRIM_400000_NS6detail17trampoline_kernelINS0_14default_configENS1_38merge_sort_block_merge_config_selectorIfNS0_10empty_typeEEEZZNS1_27merge_sort_block_merge_implIS3_N6thrust23THRUST_200600_302600_NS6detail15normal_iteratorINS9_10device_ptrIfEEEEPS5_jNS1_19radix_merge_compareILb0ELb0EfNS0_19identity_decomposerEEEEE10hipError_tT0_T1_T2_jT3_P12ihipStream_tbPNSt15iterator_traitsISK_E10value_typeEPNSQ_ISL_E10value_typeEPSM_NS1_7vsmem_tEENKUlT_SK_SL_SM_E_clISE_PfSF_SF_EESJ_SZ_SK_SL_SM_EUlSZ_E1_NS1_11comp_targetILNS1_3genE8ELNS1_11target_archE1030ELNS1_3gpuE2ELNS1_3repE0EEENS1_36merge_oddeven_config_static_selectorELNS0_4arch9wavefront6targetE1EEEvSL_,"axG",@progbits,_ZN7rocprim17ROCPRIM_400000_NS6detail17trampoline_kernelINS0_14default_configENS1_38merge_sort_block_merge_config_selectorIfNS0_10empty_typeEEEZZNS1_27merge_sort_block_merge_implIS3_N6thrust23THRUST_200600_302600_NS6detail15normal_iteratorINS9_10device_ptrIfEEEEPS5_jNS1_19radix_merge_compareILb0ELb0EfNS0_19identity_decomposerEEEEE10hipError_tT0_T1_T2_jT3_P12ihipStream_tbPNSt15iterator_traitsISK_E10value_typeEPNSQ_ISL_E10value_typeEPSM_NS1_7vsmem_tEENKUlT_SK_SL_SM_E_clISE_PfSF_SF_EESJ_SZ_SK_SL_SM_EUlSZ_E1_NS1_11comp_targetILNS1_3genE8ELNS1_11target_archE1030ELNS1_3gpuE2ELNS1_3repE0EEENS1_36merge_oddeven_config_static_selectorELNS0_4arch9wavefront6targetE1EEEvSL_,comdat
	.protected	_ZN7rocprim17ROCPRIM_400000_NS6detail17trampoline_kernelINS0_14default_configENS1_38merge_sort_block_merge_config_selectorIfNS0_10empty_typeEEEZZNS1_27merge_sort_block_merge_implIS3_N6thrust23THRUST_200600_302600_NS6detail15normal_iteratorINS9_10device_ptrIfEEEEPS5_jNS1_19radix_merge_compareILb0ELb0EfNS0_19identity_decomposerEEEEE10hipError_tT0_T1_T2_jT3_P12ihipStream_tbPNSt15iterator_traitsISK_E10value_typeEPNSQ_ISL_E10value_typeEPSM_NS1_7vsmem_tEENKUlT_SK_SL_SM_E_clISE_PfSF_SF_EESJ_SZ_SK_SL_SM_EUlSZ_E1_NS1_11comp_targetILNS1_3genE8ELNS1_11target_archE1030ELNS1_3gpuE2ELNS1_3repE0EEENS1_36merge_oddeven_config_static_selectorELNS0_4arch9wavefront6targetE1EEEvSL_ ; -- Begin function _ZN7rocprim17ROCPRIM_400000_NS6detail17trampoline_kernelINS0_14default_configENS1_38merge_sort_block_merge_config_selectorIfNS0_10empty_typeEEEZZNS1_27merge_sort_block_merge_implIS3_N6thrust23THRUST_200600_302600_NS6detail15normal_iteratorINS9_10device_ptrIfEEEEPS5_jNS1_19radix_merge_compareILb0ELb0EfNS0_19identity_decomposerEEEEE10hipError_tT0_T1_T2_jT3_P12ihipStream_tbPNSt15iterator_traitsISK_E10value_typeEPNSQ_ISL_E10value_typeEPSM_NS1_7vsmem_tEENKUlT_SK_SL_SM_E_clISE_PfSF_SF_EESJ_SZ_SK_SL_SM_EUlSZ_E1_NS1_11comp_targetILNS1_3genE8ELNS1_11target_archE1030ELNS1_3gpuE2ELNS1_3repE0EEENS1_36merge_oddeven_config_static_selectorELNS0_4arch9wavefront6targetE1EEEvSL_
	.globl	_ZN7rocprim17ROCPRIM_400000_NS6detail17trampoline_kernelINS0_14default_configENS1_38merge_sort_block_merge_config_selectorIfNS0_10empty_typeEEEZZNS1_27merge_sort_block_merge_implIS3_N6thrust23THRUST_200600_302600_NS6detail15normal_iteratorINS9_10device_ptrIfEEEEPS5_jNS1_19radix_merge_compareILb0ELb0EfNS0_19identity_decomposerEEEEE10hipError_tT0_T1_T2_jT3_P12ihipStream_tbPNSt15iterator_traitsISK_E10value_typeEPNSQ_ISL_E10value_typeEPSM_NS1_7vsmem_tEENKUlT_SK_SL_SM_E_clISE_PfSF_SF_EESJ_SZ_SK_SL_SM_EUlSZ_E1_NS1_11comp_targetILNS1_3genE8ELNS1_11target_archE1030ELNS1_3gpuE2ELNS1_3repE0EEENS1_36merge_oddeven_config_static_selectorELNS0_4arch9wavefront6targetE1EEEvSL_
	.p2align	8
	.type	_ZN7rocprim17ROCPRIM_400000_NS6detail17trampoline_kernelINS0_14default_configENS1_38merge_sort_block_merge_config_selectorIfNS0_10empty_typeEEEZZNS1_27merge_sort_block_merge_implIS3_N6thrust23THRUST_200600_302600_NS6detail15normal_iteratorINS9_10device_ptrIfEEEEPS5_jNS1_19radix_merge_compareILb0ELb0EfNS0_19identity_decomposerEEEEE10hipError_tT0_T1_T2_jT3_P12ihipStream_tbPNSt15iterator_traitsISK_E10value_typeEPNSQ_ISL_E10value_typeEPSM_NS1_7vsmem_tEENKUlT_SK_SL_SM_E_clISE_PfSF_SF_EESJ_SZ_SK_SL_SM_EUlSZ_E1_NS1_11comp_targetILNS1_3genE8ELNS1_11target_archE1030ELNS1_3gpuE2ELNS1_3repE0EEENS1_36merge_oddeven_config_static_selectorELNS0_4arch9wavefront6targetE1EEEvSL_,@function
_ZN7rocprim17ROCPRIM_400000_NS6detail17trampoline_kernelINS0_14default_configENS1_38merge_sort_block_merge_config_selectorIfNS0_10empty_typeEEEZZNS1_27merge_sort_block_merge_implIS3_N6thrust23THRUST_200600_302600_NS6detail15normal_iteratorINS9_10device_ptrIfEEEEPS5_jNS1_19radix_merge_compareILb0ELb0EfNS0_19identity_decomposerEEEEE10hipError_tT0_T1_T2_jT3_P12ihipStream_tbPNSt15iterator_traitsISK_E10value_typeEPNSQ_ISL_E10value_typeEPSM_NS1_7vsmem_tEENKUlT_SK_SL_SM_E_clISE_PfSF_SF_EESJ_SZ_SK_SL_SM_EUlSZ_E1_NS1_11comp_targetILNS1_3genE8ELNS1_11target_archE1030ELNS1_3gpuE2ELNS1_3repE0EEENS1_36merge_oddeven_config_static_selectorELNS0_4arch9wavefront6targetE1EEEvSL_: ; @_ZN7rocprim17ROCPRIM_400000_NS6detail17trampoline_kernelINS0_14default_configENS1_38merge_sort_block_merge_config_selectorIfNS0_10empty_typeEEEZZNS1_27merge_sort_block_merge_implIS3_N6thrust23THRUST_200600_302600_NS6detail15normal_iteratorINS9_10device_ptrIfEEEEPS5_jNS1_19radix_merge_compareILb0ELb0EfNS0_19identity_decomposerEEEEE10hipError_tT0_T1_T2_jT3_P12ihipStream_tbPNSt15iterator_traitsISK_E10value_typeEPNSQ_ISL_E10value_typeEPSM_NS1_7vsmem_tEENKUlT_SK_SL_SM_E_clISE_PfSF_SF_EESJ_SZ_SK_SL_SM_EUlSZ_E1_NS1_11comp_targetILNS1_3genE8ELNS1_11target_archE1030ELNS1_3gpuE2ELNS1_3repE0EEENS1_36merge_oddeven_config_static_selectorELNS0_4arch9wavefront6targetE1EEEvSL_
; %bb.0:
	.section	.rodata,"a",@progbits
	.p2align	6, 0x0
	.amdhsa_kernel _ZN7rocprim17ROCPRIM_400000_NS6detail17trampoline_kernelINS0_14default_configENS1_38merge_sort_block_merge_config_selectorIfNS0_10empty_typeEEEZZNS1_27merge_sort_block_merge_implIS3_N6thrust23THRUST_200600_302600_NS6detail15normal_iteratorINS9_10device_ptrIfEEEEPS5_jNS1_19radix_merge_compareILb0ELb0EfNS0_19identity_decomposerEEEEE10hipError_tT0_T1_T2_jT3_P12ihipStream_tbPNSt15iterator_traitsISK_E10value_typeEPNSQ_ISL_E10value_typeEPSM_NS1_7vsmem_tEENKUlT_SK_SL_SM_E_clISE_PfSF_SF_EESJ_SZ_SK_SL_SM_EUlSZ_E1_NS1_11comp_targetILNS1_3genE8ELNS1_11target_archE1030ELNS1_3gpuE2ELNS1_3repE0EEENS1_36merge_oddeven_config_static_selectorELNS0_4arch9wavefront6targetE1EEEvSL_
		.amdhsa_group_segment_fixed_size 0
		.amdhsa_private_segment_fixed_size 0
		.amdhsa_kernarg_size 48
		.amdhsa_user_sgpr_count 2
		.amdhsa_user_sgpr_dispatch_ptr 0
		.amdhsa_user_sgpr_queue_ptr 0
		.amdhsa_user_sgpr_kernarg_segment_ptr 1
		.amdhsa_user_sgpr_dispatch_id 0
		.amdhsa_user_sgpr_kernarg_preload_length 0
		.amdhsa_user_sgpr_kernarg_preload_offset 0
		.amdhsa_user_sgpr_private_segment_size 0
		.amdhsa_uses_dynamic_stack 0
		.amdhsa_enable_private_segment 0
		.amdhsa_system_sgpr_workgroup_id_x 1
		.amdhsa_system_sgpr_workgroup_id_y 0
		.amdhsa_system_sgpr_workgroup_id_z 0
		.amdhsa_system_sgpr_workgroup_info 0
		.amdhsa_system_vgpr_workitem_id 0
		.amdhsa_next_free_vgpr 1
		.amdhsa_next_free_sgpr 0
		.amdhsa_accum_offset 4
		.amdhsa_reserve_vcc 0
		.amdhsa_float_round_mode_32 0
		.amdhsa_float_round_mode_16_64 0
		.amdhsa_float_denorm_mode_32 3
		.amdhsa_float_denorm_mode_16_64 3
		.amdhsa_dx10_clamp 1
		.amdhsa_ieee_mode 1
		.amdhsa_fp16_overflow 0
		.amdhsa_tg_split 0
		.amdhsa_exception_fp_ieee_invalid_op 0
		.amdhsa_exception_fp_denorm_src 0
		.amdhsa_exception_fp_ieee_div_zero 0
		.amdhsa_exception_fp_ieee_overflow 0
		.amdhsa_exception_fp_ieee_underflow 0
		.amdhsa_exception_fp_ieee_inexact 0
		.amdhsa_exception_int_div_zero 0
	.end_amdhsa_kernel
	.section	.text._ZN7rocprim17ROCPRIM_400000_NS6detail17trampoline_kernelINS0_14default_configENS1_38merge_sort_block_merge_config_selectorIfNS0_10empty_typeEEEZZNS1_27merge_sort_block_merge_implIS3_N6thrust23THRUST_200600_302600_NS6detail15normal_iteratorINS9_10device_ptrIfEEEEPS5_jNS1_19radix_merge_compareILb0ELb0EfNS0_19identity_decomposerEEEEE10hipError_tT0_T1_T2_jT3_P12ihipStream_tbPNSt15iterator_traitsISK_E10value_typeEPNSQ_ISL_E10value_typeEPSM_NS1_7vsmem_tEENKUlT_SK_SL_SM_E_clISE_PfSF_SF_EESJ_SZ_SK_SL_SM_EUlSZ_E1_NS1_11comp_targetILNS1_3genE8ELNS1_11target_archE1030ELNS1_3gpuE2ELNS1_3repE0EEENS1_36merge_oddeven_config_static_selectorELNS0_4arch9wavefront6targetE1EEEvSL_,"axG",@progbits,_ZN7rocprim17ROCPRIM_400000_NS6detail17trampoline_kernelINS0_14default_configENS1_38merge_sort_block_merge_config_selectorIfNS0_10empty_typeEEEZZNS1_27merge_sort_block_merge_implIS3_N6thrust23THRUST_200600_302600_NS6detail15normal_iteratorINS9_10device_ptrIfEEEEPS5_jNS1_19radix_merge_compareILb0ELb0EfNS0_19identity_decomposerEEEEE10hipError_tT0_T1_T2_jT3_P12ihipStream_tbPNSt15iterator_traitsISK_E10value_typeEPNSQ_ISL_E10value_typeEPSM_NS1_7vsmem_tEENKUlT_SK_SL_SM_E_clISE_PfSF_SF_EESJ_SZ_SK_SL_SM_EUlSZ_E1_NS1_11comp_targetILNS1_3genE8ELNS1_11target_archE1030ELNS1_3gpuE2ELNS1_3repE0EEENS1_36merge_oddeven_config_static_selectorELNS0_4arch9wavefront6targetE1EEEvSL_,comdat
.Lfunc_end522:
	.size	_ZN7rocprim17ROCPRIM_400000_NS6detail17trampoline_kernelINS0_14default_configENS1_38merge_sort_block_merge_config_selectorIfNS0_10empty_typeEEEZZNS1_27merge_sort_block_merge_implIS3_N6thrust23THRUST_200600_302600_NS6detail15normal_iteratorINS9_10device_ptrIfEEEEPS5_jNS1_19radix_merge_compareILb0ELb0EfNS0_19identity_decomposerEEEEE10hipError_tT0_T1_T2_jT3_P12ihipStream_tbPNSt15iterator_traitsISK_E10value_typeEPNSQ_ISL_E10value_typeEPSM_NS1_7vsmem_tEENKUlT_SK_SL_SM_E_clISE_PfSF_SF_EESJ_SZ_SK_SL_SM_EUlSZ_E1_NS1_11comp_targetILNS1_3genE8ELNS1_11target_archE1030ELNS1_3gpuE2ELNS1_3repE0EEENS1_36merge_oddeven_config_static_selectorELNS0_4arch9wavefront6targetE1EEEvSL_, .Lfunc_end522-_ZN7rocprim17ROCPRIM_400000_NS6detail17trampoline_kernelINS0_14default_configENS1_38merge_sort_block_merge_config_selectorIfNS0_10empty_typeEEEZZNS1_27merge_sort_block_merge_implIS3_N6thrust23THRUST_200600_302600_NS6detail15normal_iteratorINS9_10device_ptrIfEEEEPS5_jNS1_19radix_merge_compareILb0ELb0EfNS0_19identity_decomposerEEEEE10hipError_tT0_T1_T2_jT3_P12ihipStream_tbPNSt15iterator_traitsISK_E10value_typeEPNSQ_ISL_E10value_typeEPSM_NS1_7vsmem_tEENKUlT_SK_SL_SM_E_clISE_PfSF_SF_EESJ_SZ_SK_SL_SM_EUlSZ_E1_NS1_11comp_targetILNS1_3genE8ELNS1_11target_archE1030ELNS1_3gpuE2ELNS1_3repE0EEENS1_36merge_oddeven_config_static_selectorELNS0_4arch9wavefront6targetE1EEEvSL_
                                        ; -- End function
	.set _ZN7rocprim17ROCPRIM_400000_NS6detail17trampoline_kernelINS0_14default_configENS1_38merge_sort_block_merge_config_selectorIfNS0_10empty_typeEEEZZNS1_27merge_sort_block_merge_implIS3_N6thrust23THRUST_200600_302600_NS6detail15normal_iteratorINS9_10device_ptrIfEEEEPS5_jNS1_19radix_merge_compareILb0ELb0EfNS0_19identity_decomposerEEEEE10hipError_tT0_T1_T2_jT3_P12ihipStream_tbPNSt15iterator_traitsISK_E10value_typeEPNSQ_ISL_E10value_typeEPSM_NS1_7vsmem_tEENKUlT_SK_SL_SM_E_clISE_PfSF_SF_EESJ_SZ_SK_SL_SM_EUlSZ_E1_NS1_11comp_targetILNS1_3genE8ELNS1_11target_archE1030ELNS1_3gpuE2ELNS1_3repE0EEENS1_36merge_oddeven_config_static_selectorELNS0_4arch9wavefront6targetE1EEEvSL_.num_vgpr, 0
	.set _ZN7rocprim17ROCPRIM_400000_NS6detail17trampoline_kernelINS0_14default_configENS1_38merge_sort_block_merge_config_selectorIfNS0_10empty_typeEEEZZNS1_27merge_sort_block_merge_implIS3_N6thrust23THRUST_200600_302600_NS6detail15normal_iteratorINS9_10device_ptrIfEEEEPS5_jNS1_19radix_merge_compareILb0ELb0EfNS0_19identity_decomposerEEEEE10hipError_tT0_T1_T2_jT3_P12ihipStream_tbPNSt15iterator_traitsISK_E10value_typeEPNSQ_ISL_E10value_typeEPSM_NS1_7vsmem_tEENKUlT_SK_SL_SM_E_clISE_PfSF_SF_EESJ_SZ_SK_SL_SM_EUlSZ_E1_NS1_11comp_targetILNS1_3genE8ELNS1_11target_archE1030ELNS1_3gpuE2ELNS1_3repE0EEENS1_36merge_oddeven_config_static_selectorELNS0_4arch9wavefront6targetE1EEEvSL_.num_agpr, 0
	.set _ZN7rocprim17ROCPRIM_400000_NS6detail17trampoline_kernelINS0_14default_configENS1_38merge_sort_block_merge_config_selectorIfNS0_10empty_typeEEEZZNS1_27merge_sort_block_merge_implIS3_N6thrust23THRUST_200600_302600_NS6detail15normal_iteratorINS9_10device_ptrIfEEEEPS5_jNS1_19radix_merge_compareILb0ELb0EfNS0_19identity_decomposerEEEEE10hipError_tT0_T1_T2_jT3_P12ihipStream_tbPNSt15iterator_traitsISK_E10value_typeEPNSQ_ISL_E10value_typeEPSM_NS1_7vsmem_tEENKUlT_SK_SL_SM_E_clISE_PfSF_SF_EESJ_SZ_SK_SL_SM_EUlSZ_E1_NS1_11comp_targetILNS1_3genE8ELNS1_11target_archE1030ELNS1_3gpuE2ELNS1_3repE0EEENS1_36merge_oddeven_config_static_selectorELNS0_4arch9wavefront6targetE1EEEvSL_.numbered_sgpr, 0
	.set _ZN7rocprim17ROCPRIM_400000_NS6detail17trampoline_kernelINS0_14default_configENS1_38merge_sort_block_merge_config_selectorIfNS0_10empty_typeEEEZZNS1_27merge_sort_block_merge_implIS3_N6thrust23THRUST_200600_302600_NS6detail15normal_iteratorINS9_10device_ptrIfEEEEPS5_jNS1_19radix_merge_compareILb0ELb0EfNS0_19identity_decomposerEEEEE10hipError_tT0_T1_T2_jT3_P12ihipStream_tbPNSt15iterator_traitsISK_E10value_typeEPNSQ_ISL_E10value_typeEPSM_NS1_7vsmem_tEENKUlT_SK_SL_SM_E_clISE_PfSF_SF_EESJ_SZ_SK_SL_SM_EUlSZ_E1_NS1_11comp_targetILNS1_3genE8ELNS1_11target_archE1030ELNS1_3gpuE2ELNS1_3repE0EEENS1_36merge_oddeven_config_static_selectorELNS0_4arch9wavefront6targetE1EEEvSL_.num_named_barrier, 0
	.set _ZN7rocprim17ROCPRIM_400000_NS6detail17trampoline_kernelINS0_14default_configENS1_38merge_sort_block_merge_config_selectorIfNS0_10empty_typeEEEZZNS1_27merge_sort_block_merge_implIS3_N6thrust23THRUST_200600_302600_NS6detail15normal_iteratorINS9_10device_ptrIfEEEEPS5_jNS1_19radix_merge_compareILb0ELb0EfNS0_19identity_decomposerEEEEE10hipError_tT0_T1_T2_jT3_P12ihipStream_tbPNSt15iterator_traitsISK_E10value_typeEPNSQ_ISL_E10value_typeEPSM_NS1_7vsmem_tEENKUlT_SK_SL_SM_E_clISE_PfSF_SF_EESJ_SZ_SK_SL_SM_EUlSZ_E1_NS1_11comp_targetILNS1_3genE8ELNS1_11target_archE1030ELNS1_3gpuE2ELNS1_3repE0EEENS1_36merge_oddeven_config_static_selectorELNS0_4arch9wavefront6targetE1EEEvSL_.private_seg_size, 0
	.set _ZN7rocprim17ROCPRIM_400000_NS6detail17trampoline_kernelINS0_14default_configENS1_38merge_sort_block_merge_config_selectorIfNS0_10empty_typeEEEZZNS1_27merge_sort_block_merge_implIS3_N6thrust23THRUST_200600_302600_NS6detail15normal_iteratorINS9_10device_ptrIfEEEEPS5_jNS1_19radix_merge_compareILb0ELb0EfNS0_19identity_decomposerEEEEE10hipError_tT0_T1_T2_jT3_P12ihipStream_tbPNSt15iterator_traitsISK_E10value_typeEPNSQ_ISL_E10value_typeEPSM_NS1_7vsmem_tEENKUlT_SK_SL_SM_E_clISE_PfSF_SF_EESJ_SZ_SK_SL_SM_EUlSZ_E1_NS1_11comp_targetILNS1_3genE8ELNS1_11target_archE1030ELNS1_3gpuE2ELNS1_3repE0EEENS1_36merge_oddeven_config_static_selectorELNS0_4arch9wavefront6targetE1EEEvSL_.uses_vcc, 0
	.set _ZN7rocprim17ROCPRIM_400000_NS6detail17trampoline_kernelINS0_14default_configENS1_38merge_sort_block_merge_config_selectorIfNS0_10empty_typeEEEZZNS1_27merge_sort_block_merge_implIS3_N6thrust23THRUST_200600_302600_NS6detail15normal_iteratorINS9_10device_ptrIfEEEEPS5_jNS1_19radix_merge_compareILb0ELb0EfNS0_19identity_decomposerEEEEE10hipError_tT0_T1_T2_jT3_P12ihipStream_tbPNSt15iterator_traitsISK_E10value_typeEPNSQ_ISL_E10value_typeEPSM_NS1_7vsmem_tEENKUlT_SK_SL_SM_E_clISE_PfSF_SF_EESJ_SZ_SK_SL_SM_EUlSZ_E1_NS1_11comp_targetILNS1_3genE8ELNS1_11target_archE1030ELNS1_3gpuE2ELNS1_3repE0EEENS1_36merge_oddeven_config_static_selectorELNS0_4arch9wavefront6targetE1EEEvSL_.uses_flat_scratch, 0
	.set _ZN7rocprim17ROCPRIM_400000_NS6detail17trampoline_kernelINS0_14default_configENS1_38merge_sort_block_merge_config_selectorIfNS0_10empty_typeEEEZZNS1_27merge_sort_block_merge_implIS3_N6thrust23THRUST_200600_302600_NS6detail15normal_iteratorINS9_10device_ptrIfEEEEPS5_jNS1_19radix_merge_compareILb0ELb0EfNS0_19identity_decomposerEEEEE10hipError_tT0_T1_T2_jT3_P12ihipStream_tbPNSt15iterator_traitsISK_E10value_typeEPNSQ_ISL_E10value_typeEPSM_NS1_7vsmem_tEENKUlT_SK_SL_SM_E_clISE_PfSF_SF_EESJ_SZ_SK_SL_SM_EUlSZ_E1_NS1_11comp_targetILNS1_3genE8ELNS1_11target_archE1030ELNS1_3gpuE2ELNS1_3repE0EEENS1_36merge_oddeven_config_static_selectorELNS0_4arch9wavefront6targetE1EEEvSL_.has_dyn_sized_stack, 0
	.set _ZN7rocprim17ROCPRIM_400000_NS6detail17trampoline_kernelINS0_14default_configENS1_38merge_sort_block_merge_config_selectorIfNS0_10empty_typeEEEZZNS1_27merge_sort_block_merge_implIS3_N6thrust23THRUST_200600_302600_NS6detail15normal_iteratorINS9_10device_ptrIfEEEEPS5_jNS1_19radix_merge_compareILb0ELb0EfNS0_19identity_decomposerEEEEE10hipError_tT0_T1_T2_jT3_P12ihipStream_tbPNSt15iterator_traitsISK_E10value_typeEPNSQ_ISL_E10value_typeEPSM_NS1_7vsmem_tEENKUlT_SK_SL_SM_E_clISE_PfSF_SF_EESJ_SZ_SK_SL_SM_EUlSZ_E1_NS1_11comp_targetILNS1_3genE8ELNS1_11target_archE1030ELNS1_3gpuE2ELNS1_3repE0EEENS1_36merge_oddeven_config_static_selectorELNS0_4arch9wavefront6targetE1EEEvSL_.has_recursion, 0
	.set _ZN7rocprim17ROCPRIM_400000_NS6detail17trampoline_kernelINS0_14default_configENS1_38merge_sort_block_merge_config_selectorIfNS0_10empty_typeEEEZZNS1_27merge_sort_block_merge_implIS3_N6thrust23THRUST_200600_302600_NS6detail15normal_iteratorINS9_10device_ptrIfEEEEPS5_jNS1_19radix_merge_compareILb0ELb0EfNS0_19identity_decomposerEEEEE10hipError_tT0_T1_T2_jT3_P12ihipStream_tbPNSt15iterator_traitsISK_E10value_typeEPNSQ_ISL_E10value_typeEPSM_NS1_7vsmem_tEENKUlT_SK_SL_SM_E_clISE_PfSF_SF_EESJ_SZ_SK_SL_SM_EUlSZ_E1_NS1_11comp_targetILNS1_3genE8ELNS1_11target_archE1030ELNS1_3gpuE2ELNS1_3repE0EEENS1_36merge_oddeven_config_static_selectorELNS0_4arch9wavefront6targetE1EEEvSL_.has_indirect_call, 0
	.section	.AMDGPU.csdata,"",@progbits
; Kernel info:
; codeLenInByte = 0
; TotalNumSgprs: 6
; NumVgprs: 0
; NumAgprs: 0
; TotalNumVgprs: 0
; ScratchSize: 0
; MemoryBound: 0
; FloatMode: 240
; IeeeMode: 1
; LDSByteSize: 0 bytes/workgroup (compile time only)
; SGPRBlocks: 0
; VGPRBlocks: 0
; NumSGPRsForWavesPerEU: 6
; NumVGPRsForWavesPerEU: 1
; AccumOffset: 4
; Occupancy: 8
; WaveLimiterHint : 0
; COMPUTE_PGM_RSRC2:SCRATCH_EN: 0
; COMPUTE_PGM_RSRC2:USER_SGPR: 2
; COMPUTE_PGM_RSRC2:TRAP_HANDLER: 0
; COMPUTE_PGM_RSRC2:TGID_X_EN: 1
; COMPUTE_PGM_RSRC2:TGID_Y_EN: 0
; COMPUTE_PGM_RSRC2:TGID_Z_EN: 0
; COMPUTE_PGM_RSRC2:TIDIG_COMP_CNT: 0
; COMPUTE_PGM_RSRC3_GFX90A:ACCUM_OFFSET: 0
; COMPUTE_PGM_RSRC3_GFX90A:TG_SPLIT: 0
	.section	.text._ZN7rocprim17ROCPRIM_400000_NS6detail17trampoline_kernelINS0_14default_configENS1_25transform_config_selectorIfLb0EEEZNS1_14transform_implILb0ES3_S5_PfN6thrust23THRUST_200600_302600_NS6detail15normal_iteratorINS9_10device_ptrIfEEEENS0_8identityIfEEEE10hipError_tT2_T3_mT4_P12ihipStream_tbEUlT_E_NS1_11comp_targetILNS1_3genE0ELNS1_11target_archE4294967295ELNS1_3gpuE0ELNS1_3repE0EEENS1_30default_config_static_selectorELNS0_4arch9wavefront6targetE1EEEvT1_,"axG",@progbits,_ZN7rocprim17ROCPRIM_400000_NS6detail17trampoline_kernelINS0_14default_configENS1_25transform_config_selectorIfLb0EEEZNS1_14transform_implILb0ES3_S5_PfN6thrust23THRUST_200600_302600_NS6detail15normal_iteratorINS9_10device_ptrIfEEEENS0_8identityIfEEEE10hipError_tT2_T3_mT4_P12ihipStream_tbEUlT_E_NS1_11comp_targetILNS1_3genE0ELNS1_11target_archE4294967295ELNS1_3gpuE0ELNS1_3repE0EEENS1_30default_config_static_selectorELNS0_4arch9wavefront6targetE1EEEvT1_,comdat
	.protected	_ZN7rocprim17ROCPRIM_400000_NS6detail17trampoline_kernelINS0_14default_configENS1_25transform_config_selectorIfLb0EEEZNS1_14transform_implILb0ES3_S5_PfN6thrust23THRUST_200600_302600_NS6detail15normal_iteratorINS9_10device_ptrIfEEEENS0_8identityIfEEEE10hipError_tT2_T3_mT4_P12ihipStream_tbEUlT_E_NS1_11comp_targetILNS1_3genE0ELNS1_11target_archE4294967295ELNS1_3gpuE0ELNS1_3repE0EEENS1_30default_config_static_selectorELNS0_4arch9wavefront6targetE1EEEvT1_ ; -- Begin function _ZN7rocprim17ROCPRIM_400000_NS6detail17trampoline_kernelINS0_14default_configENS1_25transform_config_selectorIfLb0EEEZNS1_14transform_implILb0ES3_S5_PfN6thrust23THRUST_200600_302600_NS6detail15normal_iteratorINS9_10device_ptrIfEEEENS0_8identityIfEEEE10hipError_tT2_T3_mT4_P12ihipStream_tbEUlT_E_NS1_11comp_targetILNS1_3genE0ELNS1_11target_archE4294967295ELNS1_3gpuE0ELNS1_3repE0EEENS1_30default_config_static_selectorELNS0_4arch9wavefront6targetE1EEEvT1_
	.globl	_ZN7rocprim17ROCPRIM_400000_NS6detail17trampoline_kernelINS0_14default_configENS1_25transform_config_selectorIfLb0EEEZNS1_14transform_implILb0ES3_S5_PfN6thrust23THRUST_200600_302600_NS6detail15normal_iteratorINS9_10device_ptrIfEEEENS0_8identityIfEEEE10hipError_tT2_T3_mT4_P12ihipStream_tbEUlT_E_NS1_11comp_targetILNS1_3genE0ELNS1_11target_archE4294967295ELNS1_3gpuE0ELNS1_3repE0EEENS1_30default_config_static_selectorELNS0_4arch9wavefront6targetE1EEEvT1_
	.p2align	8
	.type	_ZN7rocprim17ROCPRIM_400000_NS6detail17trampoline_kernelINS0_14default_configENS1_25transform_config_selectorIfLb0EEEZNS1_14transform_implILb0ES3_S5_PfN6thrust23THRUST_200600_302600_NS6detail15normal_iteratorINS9_10device_ptrIfEEEENS0_8identityIfEEEE10hipError_tT2_T3_mT4_P12ihipStream_tbEUlT_E_NS1_11comp_targetILNS1_3genE0ELNS1_11target_archE4294967295ELNS1_3gpuE0ELNS1_3repE0EEENS1_30default_config_static_selectorELNS0_4arch9wavefront6targetE1EEEvT1_,@function
_ZN7rocprim17ROCPRIM_400000_NS6detail17trampoline_kernelINS0_14default_configENS1_25transform_config_selectorIfLb0EEEZNS1_14transform_implILb0ES3_S5_PfN6thrust23THRUST_200600_302600_NS6detail15normal_iteratorINS9_10device_ptrIfEEEENS0_8identityIfEEEE10hipError_tT2_T3_mT4_P12ihipStream_tbEUlT_E_NS1_11comp_targetILNS1_3genE0ELNS1_11target_archE4294967295ELNS1_3gpuE0ELNS1_3repE0EEENS1_30default_config_static_selectorELNS0_4arch9wavefront6targetE1EEEvT1_: ; @_ZN7rocprim17ROCPRIM_400000_NS6detail17trampoline_kernelINS0_14default_configENS1_25transform_config_selectorIfLb0EEEZNS1_14transform_implILb0ES3_S5_PfN6thrust23THRUST_200600_302600_NS6detail15normal_iteratorINS9_10device_ptrIfEEEENS0_8identityIfEEEE10hipError_tT2_T3_mT4_P12ihipStream_tbEUlT_E_NS1_11comp_targetILNS1_3genE0ELNS1_11target_archE4294967295ELNS1_3gpuE0ELNS1_3repE0EEENS1_30default_config_static_selectorELNS0_4arch9wavefront6targetE1EEEvT1_
; %bb.0:
	s_load_dwordx8 s[4:11], s[0:1], 0x0
	s_load_dword s3, s[0:1], 0x28
	s_waitcnt lgkmcnt(0)
	s_lshl_b64 s[0:1], s[6:7], 2
	s_add_u32 s4, s4, s0
	s_addc_u32 s5, s5, s1
	s_add_u32 s9, s10, s0
	s_addc_u32 s12, s11, s1
	s_lshl_b32 s0, s2, 8
	s_mov_b32 s1, 0
	s_add_i32 s3, s3, -1
	s_lshl_b64 s[6:7], s[0:1], 2
	s_add_u32 s10, s4, s6
	s_addc_u32 s11, s5, s7
	s_cmp_lg_u32 s2, s3
	s_cbranch_scc0 .LBB523_2
; %bb.1:
	v_lshlrev_b32_e32 v2, 2, v0
	global_load_dword v6, v2, s[10:11]
	global_load_dword v1, v2, s[10:11] offset:512
	s_add_u32 s4, s9, s6
	v_mov_b32_e32 v3, 0
	s_addc_u32 s5, s12, s7
	v_lshl_add_u64 v[4:5], s[4:5], 0, v[2:3]
	s_mov_b64 s[4:5], -1
	s_waitcnt vmcnt(1)
	flat_store_dword v[4:5], v6
	s_cbranch_execz .LBB523_3
	s_branch .LBB523_12
.LBB523_2:
	s_mov_b64 s[4:5], 0
                                        ; implicit-def: $vgpr1
                                        ; implicit-def: $vgpr4_vgpr5
.LBB523_3:
	s_sub_i32 s2, s8, s0
	v_mov_b32_e32 v2, 0
	v_cmp_gt_u32_e32 vcc, s2, v0
	v_mov_b32_e32 v3, v2
	s_and_saveexec_b64 s[0:1], vcc
	s_cbranch_execz .LBB523_5
; %bb.4:
	s_waitcnt vmcnt(0)
	v_lshlrev_b32_e32 v1, 2, v0
	global_load_dword v4, v1, s[10:11]
	v_mov_b32_e32 v5, v2
	s_waitcnt vmcnt(0)
	v_mov_b64_e32 v[2:3], v[4:5]
.LBB523_5:
	s_or_b64 exec, exec, s[0:1]
	s_waitcnt vmcnt(0)
	v_or_b32_e32 v1, 0x80, v0
	v_cmp_gt_u32_e64 s[0:1], s2, v1
	v_cmp_le_u32_e64 s[2:3], s2, v1
	s_and_saveexec_b64 s[14:15], s[2:3]
	s_xor_b64 s[2:3], exec, s[14:15]
	s_andn2_saveexec_b64 s[2:3], s[2:3]
	s_cbranch_execz .LBB523_7
; %bb.6:
	v_lshlrev_b32_e32 v1, 2, v0
	global_load_dword v3, v1, s[10:11] offset:512
.LBB523_7:
	s_or_b64 exec, exec, s[2:3]
	s_add_u32 s2, s9, s6
	v_mov_b32_e32 v5, 0
	s_addc_u32 s3, s12, s7
	v_lshlrev_b32_e32 v4, 2, v0
	v_cndmask_b32_e32 v1, 0, v2, vcc
	v_lshl_add_u64 v[4:5], s[2:3], 0, v[4:5]
	s_and_saveexec_b64 s[2:3], vcc
	s_cbranch_execz .LBB523_9
; %bb.8:
	flat_store_dword v[4:5], v1
.LBB523_9:
	s_or_b64 exec, exec, s[2:3]
                                        ; implicit-def: $vgpr1
	s_and_saveexec_b64 s[2:3], s[0:1]
	s_cbranch_execz .LBB523_11
; %bb.10:
	s_waitcnt vmcnt(0)
	v_cndmask_b32_e64 v1, 0, v3, s[0:1]
	s_or_b64 s[4:5], s[4:5], exec
.LBB523_11:
	s_or_b64 exec, exec, s[2:3]
.LBB523_12:
	s_and_saveexec_b64 s[0:1], s[4:5]
	s_cbranch_execnz .LBB523_14
; %bb.13:
	s_endpgm
.LBB523_14:
	s_waitcnt vmcnt(0)
	flat_store_dword v[4:5], v1 offset:512
	s_endpgm
	.section	.rodata,"a",@progbits
	.p2align	6, 0x0
	.amdhsa_kernel _ZN7rocprim17ROCPRIM_400000_NS6detail17trampoline_kernelINS0_14default_configENS1_25transform_config_selectorIfLb0EEEZNS1_14transform_implILb0ES3_S5_PfN6thrust23THRUST_200600_302600_NS6detail15normal_iteratorINS9_10device_ptrIfEEEENS0_8identityIfEEEE10hipError_tT2_T3_mT4_P12ihipStream_tbEUlT_E_NS1_11comp_targetILNS1_3genE0ELNS1_11target_archE4294967295ELNS1_3gpuE0ELNS1_3repE0EEENS1_30default_config_static_selectorELNS0_4arch9wavefront6targetE1EEEvT1_
		.amdhsa_group_segment_fixed_size 0
		.amdhsa_private_segment_fixed_size 0
		.amdhsa_kernarg_size 296
		.amdhsa_user_sgpr_count 2
		.amdhsa_user_sgpr_dispatch_ptr 0
		.amdhsa_user_sgpr_queue_ptr 0
		.amdhsa_user_sgpr_kernarg_segment_ptr 1
		.amdhsa_user_sgpr_dispatch_id 0
		.amdhsa_user_sgpr_kernarg_preload_length 0
		.amdhsa_user_sgpr_kernarg_preload_offset 0
		.amdhsa_user_sgpr_private_segment_size 0
		.amdhsa_uses_dynamic_stack 0
		.amdhsa_enable_private_segment 0
		.amdhsa_system_sgpr_workgroup_id_x 1
		.amdhsa_system_sgpr_workgroup_id_y 0
		.amdhsa_system_sgpr_workgroup_id_z 0
		.amdhsa_system_sgpr_workgroup_info 0
		.amdhsa_system_vgpr_workitem_id 0
		.amdhsa_next_free_vgpr 7
		.amdhsa_next_free_sgpr 16
		.amdhsa_accum_offset 8
		.amdhsa_reserve_vcc 1
		.amdhsa_float_round_mode_32 0
		.amdhsa_float_round_mode_16_64 0
		.amdhsa_float_denorm_mode_32 3
		.amdhsa_float_denorm_mode_16_64 3
		.amdhsa_dx10_clamp 1
		.amdhsa_ieee_mode 1
		.amdhsa_fp16_overflow 0
		.amdhsa_tg_split 0
		.amdhsa_exception_fp_ieee_invalid_op 0
		.amdhsa_exception_fp_denorm_src 0
		.amdhsa_exception_fp_ieee_div_zero 0
		.amdhsa_exception_fp_ieee_overflow 0
		.amdhsa_exception_fp_ieee_underflow 0
		.amdhsa_exception_fp_ieee_inexact 0
		.amdhsa_exception_int_div_zero 0
	.end_amdhsa_kernel
	.section	.text._ZN7rocprim17ROCPRIM_400000_NS6detail17trampoline_kernelINS0_14default_configENS1_25transform_config_selectorIfLb0EEEZNS1_14transform_implILb0ES3_S5_PfN6thrust23THRUST_200600_302600_NS6detail15normal_iteratorINS9_10device_ptrIfEEEENS0_8identityIfEEEE10hipError_tT2_T3_mT4_P12ihipStream_tbEUlT_E_NS1_11comp_targetILNS1_3genE0ELNS1_11target_archE4294967295ELNS1_3gpuE0ELNS1_3repE0EEENS1_30default_config_static_selectorELNS0_4arch9wavefront6targetE1EEEvT1_,"axG",@progbits,_ZN7rocprim17ROCPRIM_400000_NS6detail17trampoline_kernelINS0_14default_configENS1_25transform_config_selectorIfLb0EEEZNS1_14transform_implILb0ES3_S5_PfN6thrust23THRUST_200600_302600_NS6detail15normal_iteratorINS9_10device_ptrIfEEEENS0_8identityIfEEEE10hipError_tT2_T3_mT4_P12ihipStream_tbEUlT_E_NS1_11comp_targetILNS1_3genE0ELNS1_11target_archE4294967295ELNS1_3gpuE0ELNS1_3repE0EEENS1_30default_config_static_selectorELNS0_4arch9wavefront6targetE1EEEvT1_,comdat
.Lfunc_end523:
	.size	_ZN7rocprim17ROCPRIM_400000_NS6detail17trampoline_kernelINS0_14default_configENS1_25transform_config_selectorIfLb0EEEZNS1_14transform_implILb0ES3_S5_PfN6thrust23THRUST_200600_302600_NS6detail15normal_iteratorINS9_10device_ptrIfEEEENS0_8identityIfEEEE10hipError_tT2_T3_mT4_P12ihipStream_tbEUlT_E_NS1_11comp_targetILNS1_3genE0ELNS1_11target_archE4294967295ELNS1_3gpuE0ELNS1_3repE0EEENS1_30default_config_static_selectorELNS0_4arch9wavefront6targetE1EEEvT1_, .Lfunc_end523-_ZN7rocprim17ROCPRIM_400000_NS6detail17trampoline_kernelINS0_14default_configENS1_25transform_config_selectorIfLb0EEEZNS1_14transform_implILb0ES3_S5_PfN6thrust23THRUST_200600_302600_NS6detail15normal_iteratorINS9_10device_ptrIfEEEENS0_8identityIfEEEE10hipError_tT2_T3_mT4_P12ihipStream_tbEUlT_E_NS1_11comp_targetILNS1_3genE0ELNS1_11target_archE4294967295ELNS1_3gpuE0ELNS1_3repE0EEENS1_30default_config_static_selectorELNS0_4arch9wavefront6targetE1EEEvT1_
                                        ; -- End function
	.set _ZN7rocprim17ROCPRIM_400000_NS6detail17trampoline_kernelINS0_14default_configENS1_25transform_config_selectorIfLb0EEEZNS1_14transform_implILb0ES3_S5_PfN6thrust23THRUST_200600_302600_NS6detail15normal_iteratorINS9_10device_ptrIfEEEENS0_8identityIfEEEE10hipError_tT2_T3_mT4_P12ihipStream_tbEUlT_E_NS1_11comp_targetILNS1_3genE0ELNS1_11target_archE4294967295ELNS1_3gpuE0ELNS1_3repE0EEENS1_30default_config_static_selectorELNS0_4arch9wavefront6targetE1EEEvT1_.num_vgpr, 7
	.set _ZN7rocprim17ROCPRIM_400000_NS6detail17trampoline_kernelINS0_14default_configENS1_25transform_config_selectorIfLb0EEEZNS1_14transform_implILb0ES3_S5_PfN6thrust23THRUST_200600_302600_NS6detail15normal_iteratorINS9_10device_ptrIfEEEENS0_8identityIfEEEE10hipError_tT2_T3_mT4_P12ihipStream_tbEUlT_E_NS1_11comp_targetILNS1_3genE0ELNS1_11target_archE4294967295ELNS1_3gpuE0ELNS1_3repE0EEENS1_30default_config_static_selectorELNS0_4arch9wavefront6targetE1EEEvT1_.num_agpr, 0
	.set _ZN7rocprim17ROCPRIM_400000_NS6detail17trampoline_kernelINS0_14default_configENS1_25transform_config_selectorIfLb0EEEZNS1_14transform_implILb0ES3_S5_PfN6thrust23THRUST_200600_302600_NS6detail15normal_iteratorINS9_10device_ptrIfEEEENS0_8identityIfEEEE10hipError_tT2_T3_mT4_P12ihipStream_tbEUlT_E_NS1_11comp_targetILNS1_3genE0ELNS1_11target_archE4294967295ELNS1_3gpuE0ELNS1_3repE0EEENS1_30default_config_static_selectorELNS0_4arch9wavefront6targetE1EEEvT1_.numbered_sgpr, 16
	.set _ZN7rocprim17ROCPRIM_400000_NS6detail17trampoline_kernelINS0_14default_configENS1_25transform_config_selectorIfLb0EEEZNS1_14transform_implILb0ES3_S5_PfN6thrust23THRUST_200600_302600_NS6detail15normal_iteratorINS9_10device_ptrIfEEEENS0_8identityIfEEEE10hipError_tT2_T3_mT4_P12ihipStream_tbEUlT_E_NS1_11comp_targetILNS1_3genE0ELNS1_11target_archE4294967295ELNS1_3gpuE0ELNS1_3repE0EEENS1_30default_config_static_selectorELNS0_4arch9wavefront6targetE1EEEvT1_.num_named_barrier, 0
	.set _ZN7rocprim17ROCPRIM_400000_NS6detail17trampoline_kernelINS0_14default_configENS1_25transform_config_selectorIfLb0EEEZNS1_14transform_implILb0ES3_S5_PfN6thrust23THRUST_200600_302600_NS6detail15normal_iteratorINS9_10device_ptrIfEEEENS0_8identityIfEEEE10hipError_tT2_T3_mT4_P12ihipStream_tbEUlT_E_NS1_11comp_targetILNS1_3genE0ELNS1_11target_archE4294967295ELNS1_3gpuE0ELNS1_3repE0EEENS1_30default_config_static_selectorELNS0_4arch9wavefront6targetE1EEEvT1_.private_seg_size, 0
	.set _ZN7rocprim17ROCPRIM_400000_NS6detail17trampoline_kernelINS0_14default_configENS1_25transform_config_selectorIfLb0EEEZNS1_14transform_implILb0ES3_S5_PfN6thrust23THRUST_200600_302600_NS6detail15normal_iteratorINS9_10device_ptrIfEEEENS0_8identityIfEEEE10hipError_tT2_T3_mT4_P12ihipStream_tbEUlT_E_NS1_11comp_targetILNS1_3genE0ELNS1_11target_archE4294967295ELNS1_3gpuE0ELNS1_3repE0EEENS1_30default_config_static_selectorELNS0_4arch9wavefront6targetE1EEEvT1_.uses_vcc, 1
	.set _ZN7rocprim17ROCPRIM_400000_NS6detail17trampoline_kernelINS0_14default_configENS1_25transform_config_selectorIfLb0EEEZNS1_14transform_implILb0ES3_S5_PfN6thrust23THRUST_200600_302600_NS6detail15normal_iteratorINS9_10device_ptrIfEEEENS0_8identityIfEEEE10hipError_tT2_T3_mT4_P12ihipStream_tbEUlT_E_NS1_11comp_targetILNS1_3genE0ELNS1_11target_archE4294967295ELNS1_3gpuE0ELNS1_3repE0EEENS1_30default_config_static_selectorELNS0_4arch9wavefront6targetE1EEEvT1_.uses_flat_scratch, 0
	.set _ZN7rocprim17ROCPRIM_400000_NS6detail17trampoline_kernelINS0_14default_configENS1_25transform_config_selectorIfLb0EEEZNS1_14transform_implILb0ES3_S5_PfN6thrust23THRUST_200600_302600_NS6detail15normal_iteratorINS9_10device_ptrIfEEEENS0_8identityIfEEEE10hipError_tT2_T3_mT4_P12ihipStream_tbEUlT_E_NS1_11comp_targetILNS1_3genE0ELNS1_11target_archE4294967295ELNS1_3gpuE0ELNS1_3repE0EEENS1_30default_config_static_selectorELNS0_4arch9wavefront6targetE1EEEvT1_.has_dyn_sized_stack, 0
	.set _ZN7rocprim17ROCPRIM_400000_NS6detail17trampoline_kernelINS0_14default_configENS1_25transform_config_selectorIfLb0EEEZNS1_14transform_implILb0ES3_S5_PfN6thrust23THRUST_200600_302600_NS6detail15normal_iteratorINS9_10device_ptrIfEEEENS0_8identityIfEEEE10hipError_tT2_T3_mT4_P12ihipStream_tbEUlT_E_NS1_11comp_targetILNS1_3genE0ELNS1_11target_archE4294967295ELNS1_3gpuE0ELNS1_3repE0EEENS1_30default_config_static_selectorELNS0_4arch9wavefront6targetE1EEEvT1_.has_recursion, 0
	.set _ZN7rocprim17ROCPRIM_400000_NS6detail17trampoline_kernelINS0_14default_configENS1_25transform_config_selectorIfLb0EEEZNS1_14transform_implILb0ES3_S5_PfN6thrust23THRUST_200600_302600_NS6detail15normal_iteratorINS9_10device_ptrIfEEEENS0_8identityIfEEEE10hipError_tT2_T3_mT4_P12ihipStream_tbEUlT_E_NS1_11comp_targetILNS1_3genE0ELNS1_11target_archE4294967295ELNS1_3gpuE0ELNS1_3repE0EEENS1_30default_config_static_selectorELNS0_4arch9wavefront6targetE1EEEvT1_.has_indirect_call, 0
	.section	.AMDGPU.csdata,"",@progbits
; Kernel info:
; codeLenInByte = 360
; TotalNumSgprs: 22
; NumVgprs: 7
; NumAgprs: 0
; TotalNumVgprs: 7
; ScratchSize: 0
; MemoryBound: 0
; FloatMode: 240
; IeeeMode: 1
; LDSByteSize: 0 bytes/workgroup (compile time only)
; SGPRBlocks: 2
; VGPRBlocks: 0
; NumSGPRsForWavesPerEU: 22
; NumVGPRsForWavesPerEU: 7
; AccumOffset: 8
; Occupancy: 8
; WaveLimiterHint : 1
; COMPUTE_PGM_RSRC2:SCRATCH_EN: 0
; COMPUTE_PGM_RSRC2:USER_SGPR: 2
; COMPUTE_PGM_RSRC2:TRAP_HANDLER: 0
; COMPUTE_PGM_RSRC2:TGID_X_EN: 1
; COMPUTE_PGM_RSRC2:TGID_Y_EN: 0
; COMPUTE_PGM_RSRC2:TGID_Z_EN: 0
; COMPUTE_PGM_RSRC2:TIDIG_COMP_CNT: 0
; COMPUTE_PGM_RSRC3_GFX90A:ACCUM_OFFSET: 1
; COMPUTE_PGM_RSRC3_GFX90A:TG_SPLIT: 0
	.section	.text._ZN7rocprim17ROCPRIM_400000_NS6detail17trampoline_kernelINS0_14default_configENS1_25transform_config_selectorIfLb0EEEZNS1_14transform_implILb0ES3_S5_PfN6thrust23THRUST_200600_302600_NS6detail15normal_iteratorINS9_10device_ptrIfEEEENS0_8identityIfEEEE10hipError_tT2_T3_mT4_P12ihipStream_tbEUlT_E_NS1_11comp_targetILNS1_3genE5ELNS1_11target_archE942ELNS1_3gpuE9ELNS1_3repE0EEENS1_30default_config_static_selectorELNS0_4arch9wavefront6targetE1EEEvT1_,"axG",@progbits,_ZN7rocprim17ROCPRIM_400000_NS6detail17trampoline_kernelINS0_14default_configENS1_25transform_config_selectorIfLb0EEEZNS1_14transform_implILb0ES3_S5_PfN6thrust23THRUST_200600_302600_NS6detail15normal_iteratorINS9_10device_ptrIfEEEENS0_8identityIfEEEE10hipError_tT2_T3_mT4_P12ihipStream_tbEUlT_E_NS1_11comp_targetILNS1_3genE5ELNS1_11target_archE942ELNS1_3gpuE9ELNS1_3repE0EEENS1_30default_config_static_selectorELNS0_4arch9wavefront6targetE1EEEvT1_,comdat
	.protected	_ZN7rocprim17ROCPRIM_400000_NS6detail17trampoline_kernelINS0_14default_configENS1_25transform_config_selectorIfLb0EEEZNS1_14transform_implILb0ES3_S5_PfN6thrust23THRUST_200600_302600_NS6detail15normal_iteratorINS9_10device_ptrIfEEEENS0_8identityIfEEEE10hipError_tT2_T3_mT4_P12ihipStream_tbEUlT_E_NS1_11comp_targetILNS1_3genE5ELNS1_11target_archE942ELNS1_3gpuE9ELNS1_3repE0EEENS1_30default_config_static_selectorELNS0_4arch9wavefront6targetE1EEEvT1_ ; -- Begin function _ZN7rocprim17ROCPRIM_400000_NS6detail17trampoline_kernelINS0_14default_configENS1_25transform_config_selectorIfLb0EEEZNS1_14transform_implILb0ES3_S5_PfN6thrust23THRUST_200600_302600_NS6detail15normal_iteratorINS9_10device_ptrIfEEEENS0_8identityIfEEEE10hipError_tT2_T3_mT4_P12ihipStream_tbEUlT_E_NS1_11comp_targetILNS1_3genE5ELNS1_11target_archE942ELNS1_3gpuE9ELNS1_3repE0EEENS1_30default_config_static_selectorELNS0_4arch9wavefront6targetE1EEEvT1_
	.globl	_ZN7rocprim17ROCPRIM_400000_NS6detail17trampoline_kernelINS0_14default_configENS1_25transform_config_selectorIfLb0EEEZNS1_14transform_implILb0ES3_S5_PfN6thrust23THRUST_200600_302600_NS6detail15normal_iteratorINS9_10device_ptrIfEEEENS0_8identityIfEEEE10hipError_tT2_T3_mT4_P12ihipStream_tbEUlT_E_NS1_11comp_targetILNS1_3genE5ELNS1_11target_archE942ELNS1_3gpuE9ELNS1_3repE0EEENS1_30default_config_static_selectorELNS0_4arch9wavefront6targetE1EEEvT1_
	.p2align	8
	.type	_ZN7rocprim17ROCPRIM_400000_NS6detail17trampoline_kernelINS0_14default_configENS1_25transform_config_selectorIfLb0EEEZNS1_14transform_implILb0ES3_S5_PfN6thrust23THRUST_200600_302600_NS6detail15normal_iteratorINS9_10device_ptrIfEEEENS0_8identityIfEEEE10hipError_tT2_T3_mT4_P12ihipStream_tbEUlT_E_NS1_11comp_targetILNS1_3genE5ELNS1_11target_archE942ELNS1_3gpuE9ELNS1_3repE0EEENS1_30default_config_static_selectorELNS0_4arch9wavefront6targetE1EEEvT1_,@function
_ZN7rocprim17ROCPRIM_400000_NS6detail17trampoline_kernelINS0_14default_configENS1_25transform_config_selectorIfLb0EEEZNS1_14transform_implILb0ES3_S5_PfN6thrust23THRUST_200600_302600_NS6detail15normal_iteratorINS9_10device_ptrIfEEEENS0_8identityIfEEEE10hipError_tT2_T3_mT4_P12ihipStream_tbEUlT_E_NS1_11comp_targetILNS1_3genE5ELNS1_11target_archE942ELNS1_3gpuE9ELNS1_3repE0EEENS1_30default_config_static_selectorELNS0_4arch9wavefront6targetE1EEEvT1_: ; @_ZN7rocprim17ROCPRIM_400000_NS6detail17trampoline_kernelINS0_14default_configENS1_25transform_config_selectorIfLb0EEEZNS1_14transform_implILb0ES3_S5_PfN6thrust23THRUST_200600_302600_NS6detail15normal_iteratorINS9_10device_ptrIfEEEENS0_8identityIfEEEE10hipError_tT2_T3_mT4_P12ihipStream_tbEUlT_E_NS1_11comp_targetILNS1_3genE5ELNS1_11target_archE942ELNS1_3gpuE9ELNS1_3repE0EEENS1_30default_config_static_selectorELNS0_4arch9wavefront6targetE1EEEvT1_
; %bb.0:
	.section	.rodata,"a",@progbits
	.p2align	6, 0x0
	.amdhsa_kernel _ZN7rocprim17ROCPRIM_400000_NS6detail17trampoline_kernelINS0_14default_configENS1_25transform_config_selectorIfLb0EEEZNS1_14transform_implILb0ES3_S5_PfN6thrust23THRUST_200600_302600_NS6detail15normal_iteratorINS9_10device_ptrIfEEEENS0_8identityIfEEEE10hipError_tT2_T3_mT4_P12ihipStream_tbEUlT_E_NS1_11comp_targetILNS1_3genE5ELNS1_11target_archE942ELNS1_3gpuE9ELNS1_3repE0EEENS1_30default_config_static_selectorELNS0_4arch9wavefront6targetE1EEEvT1_
		.amdhsa_group_segment_fixed_size 0
		.amdhsa_private_segment_fixed_size 0
		.amdhsa_kernarg_size 40
		.amdhsa_user_sgpr_count 2
		.amdhsa_user_sgpr_dispatch_ptr 0
		.amdhsa_user_sgpr_queue_ptr 0
		.amdhsa_user_sgpr_kernarg_segment_ptr 1
		.amdhsa_user_sgpr_dispatch_id 0
		.amdhsa_user_sgpr_kernarg_preload_length 0
		.amdhsa_user_sgpr_kernarg_preload_offset 0
		.amdhsa_user_sgpr_private_segment_size 0
		.amdhsa_uses_dynamic_stack 0
		.amdhsa_enable_private_segment 0
		.amdhsa_system_sgpr_workgroup_id_x 1
		.amdhsa_system_sgpr_workgroup_id_y 0
		.amdhsa_system_sgpr_workgroup_id_z 0
		.amdhsa_system_sgpr_workgroup_info 0
		.amdhsa_system_vgpr_workitem_id 0
		.amdhsa_next_free_vgpr 1
		.amdhsa_next_free_sgpr 0
		.amdhsa_accum_offset 4
		.amdhsa_reserve_vcc 0
		.amdhsa_float_round_mode_32 0
		.amdhsa_float_round_mode_16_64 0
		.amdhsa_float_denorm_mode_32 3
		.amdhsa_float_denorm_mode_16_64 3
		.amdhsa_dx10_clamp 1
		.amdhsa_ieee_mode 1
		.amdhsa_fp16_overflow 0
		.amdhsa_tg_split 0
		.amdhsa_exception_fp_ieee_invalid_op 0
		.amdhsa_exception_fp_denorm_src 0
		.amdhsa_exception_fp_ieee_div_zero 0
		.amdhsa_exception_fp_ieee_overflow 0
		.amdhsa_exception_fp_ieee_underflow 0
		.amdhsa_exception_fp_ieee_inexact 0
		.amdhsa_exception_int_div_zero 0
	.end_amdhsa_kernel
	.section	.text._ZN7rocprim17ROCPRIM_400000_NS6detail17trampoline_kernelINS0_14default_configENS1_25transform_config_selectorIfLb0EEEZNS1_14transform_implILb0ES3_S5_PfN6thrust23THRUST_200600_302600_NS6detail15normal_iteratorINS9_10device_ptrIfEEEENS0_8identityIfEEEE10hipError_tT2_T3_mT4_P12ihipStream_tbEUlT_E_NS1_11comp_targetILNS1_3genE5ELNS1_11target_archE942ELNS1_3gpuE9ELNS1_3repE0EEENS1_30default_config_static_selectorELNS0_4arch9wavefront6targetE1EEEvT1_,"axG",@progbits,_ZN7rocprim17ROCPRIM_400000_NS6detail17trampoline_kernelINS0_14default_configENS1_25transform_config_selectorIfLb0EEEZNS1_14transform_implILb0ES3_S5_PfN6thrust23THRUST_200600_302600_NS6detail15normal_iteratorINS9_10device_ptrIfEEEENS0_8identityIfEEEE10hipError_tT2_T3_mT4_P12ihipStream_tbEUlT_E_NS1_11comp_targetILNS1_3genE5ELNS1_11target_archE942ELNS1_3gpuE9ELNS1_3repE0EEENS1_30default_config_static_selectorELNS0_4arch9wavefront6targetE1EEEvT1_,comdat
.Lfunc_end524:
	.size	_ZN7rocprim17ROCPRIM_400000_NS6detail17trampoline_kernelINS0_14default_configENS1_25transform_config_selectorIfLb0EEEZNS1_14transform_implILb0ES3_S5_PfN6thrust23THRUST_200600_302600_NS6detail15normal_iteratorINS9_10device_ptrIfEEEENS0_8identityIfEEEE10hipError_tT2_T3_mT4_P12ihipStream_tbEUlT_E_NS1_11comp_targetILNS1_3genE5ELNS1_11target_archE942ELNS1_3gpuE9ELNS1_3repE0EEENS1_30default_config_static_selectorELNS0_4arch9wavefront6targetE1EEEvT1_, .Lfunc_end524-_ZN7rocprim17ROCPRIM_400000_NS6detail17trampoline_kernelINS0_14default_configENS1_25transform_config_selectorIfLb0EEEZNS1_14transform_implILb0ES3_S5_PfN6thrust23THRUST_200600_302600_NS6detail15normal_iteratorINS9_10device_ptrIfEEEENS0_8identityIfEEEE10hipError_tT2_T3_mT4_P12ihipStream_tbEUlT_E_NS1_11comp_targetILNS1_3genE5ELNS1_11target_archE942ELNS1_3gpuE9ELNS1_3repE0EEENS1_30default_config_static_selectorELNS0_4arch9wavefront6targetE1EEEvT1_
                                        ; -- End function
	.set _ZN7rocprim17ROCPRIM_400000_NS6detail17trampoline_kernelINS0_14default_configENS1_25transform_config_selectorIfLb0EEEZNS1_14transform_implILb0ES3_S5_PfN6thrust23THRUST_200600_302600_NS6detail15normal_iteratorINS9_10device_ptrIfEEEENS0_8identityIfEEEE10hipError_tT2_T3_mT4_P12ihipStream_tbEUlT_E_NS1_11comp_targetILNS1_3genE5ELNS1_11target_archE942ELNS1_3gpuE9ELNS1_3repE0EEENS1_30default_config_static_selectorELNS0_4arch9wavefront6targetE1EEEvT1_.num_vgpr, 0
	.set _ZN7rocprim17ROCPRIM_400000_NS6detail17trampoline_kernelINS0_14default_configENS1_25transform_config_selectorIfLb0EEEZNS1_14transform_implILb0ES3_S5_PfN6thrust23THRUST_200600_302600_NS6detail15normal_iteratorINS9_10device_ptrIfEEEENS0_8identityIfEEEE10hipError_tT2_T3_mT4_P12ihipStream_tbEUlT_E_NS1_11comp_targetILNS1_3genE5ELNS1_11target_archE942ELNS1_3gpuE9ELNS1_3repE0EEENS1_30default_config_static_selectorELNS0_4arch9wavefront6targetE1EEEvT1_.num_agpr, 0
	.set _ZN7rocprim17ROCPRIM_400000_NS6detail17trampoline_kernelINS0_14default_configENS1_25transform_config_selectorIfLb0EEEZNS1_14transform_implILb0ES3_S5_PfN6thrust23THRUST_200600_302600_NS6detail15normal_iteratorINS9_10device_ptrIfEEEENS0_8identityIfEEEE10hipError_tT2_T3_mT4_P12ihipStream_tbEUlT_E_NS1_11comp_targetILNS1_3genE5ELNS1_11target_archE942ELNS1_3gpuE9ELNS1_3repE0EEENS1_30default_config_static_selectorELNS0_4arch9wavefront6targetE1EEEvT1_.numbered_sgpr, 0
	.set _ZN7rocprim17ROCPRIM_400000_NS6detail17trampoline_kernelINS0_14default_configENS1_25transform_config_selectorIfLb0EEEZNS1_14transform_implILb0ES3_S5_PfN6thrust23THRUST_200600_302600_NS6detail15normal_iteratorINS9_10device_ptrIfEEEENS0_8identityIfEEEE10hipError_tT2_T3_mT4_P12ihipStream_tbEUlT_E_NS1_11comp_targetILNS1_3genE5ELNS1_11target_archE942ELNS1_3gpuE9ELNS1_3repE0EEENS1_30default_config_static_selectorELNS0_4arch9wavefront6targetE1EEEvT1_.num_named_barrier, 0
	.set _ZN7rocprim17ROCPRIM_400000_NS6detail17trampoline_kernelINS0_14default_configENS1_25transform_config_selectorIfLb0EEEZNS1_14transform_implILb0ES3_S5_PfN6thrust23THRUST_200600_302600_NS6detail15normal_iteratorINS9_10device_ptrIfEEEENS0_8identityIfEEEE10hipError_tT2_T3_mT4_P12ihipStream_tbEUlT_E_NS1_11comp_targetILNS1_3genE5ELNS1_11target_archE942ELNS1_3gpuE9ELNS1_3repE0EEENS1_30default_config_static_selectorELNS0_4arch9wavefront6targetE1EEEvT1_.private_seg_size, 0
	.set _ZN7rocprim17ROCPRIM_400000_NS6detail17trampoline_kernelINS0_14default_configENS1_25transform_config_selectorIfLb0EEEZNS1_14transform_implILb0ES3_S5_PfN6thrust23THRUST_200600_302600_NS6detail15normal_iteratorINS9_10device_ptrIfEEEENS0_8identityIfEEEE10hipError_tT2_T3_mT4_P12ihipStream_tbEUlT_E_NS1_11comp_targetILNS1_3genE5ELNS1_11target_archE942ELNS1_3gpuE9ELNS1_3repE0EEENS1_30default_config_static_selectorELNS0_4arch9wavefront6targetE1EEEvT1_.uses_vcc, 0
	.set _ZN7rocprim17ROCPRIM_400000_NS6detail17trampoline_kernelINS0_14default_configENS1_25transform_config_selectorIfLb0EEEZNS1_14transform_implILb0ES3_S5_PfN6thrust23THRUST_200600_302600_NS6detail15normal_iteratorINS9_10device_ptrIfEEEENS0_8identityIfEEEE10hipError_tT2_T3_mT4_P12ihipStream_tbEUlT_E_NS1_11comp_targetILNS1_3genE5ELNS1_11target_archE942ELNS1_3gpuE9ELNS1_3repE0EEENS1_30default_config_static_selectorELNS0_4arch9wavefront6targetE1EEEvT1_.uses_flat_scratch, 0
	.set _ZN7rocprim17ROCPRIM_400000_NS6detail17trampoline_kernelINS0_14default_configENS1_25transform_config_selectorIfLb0EEEZNS1_14transform_implILb0ES3_S5_PfN6thrust23THRUST_200600_302600_NS6detail15normal_iteratorINS9_10device_ptrIfEEEENS0_8identityIfEEEE10hipError_tT2_T3_mT4_P12ihipStream_tbEUlT_E_NS1_11comp_targetILNS1_3genE5ELNS1_11target_archE942ELNS1_3gpuE9ELNS1_3repE0EEENS1_30default_config_static_selectorELNS0_4arch9wavefront6targetE1EEEvT1_.has_dyn_sized_stack, 0
	.set _ZN7rocprim17ROCPRIM_400000_NS6detail17trampoline_kernelINS0_14default_configENS1_25transform_config_selectorIfLb0EEEZNS1_14transform_implILb0ES3_S5_PfN6thrust23THRUST_200600_302600_NS6detail15normal_iteratorINS9_10device_ptrIfEEEENS0_8identityIfEEEE10hipError_tT2_T3_mT4_P12ihipStream_tbEUlT_E_NS1_11comp_targetILNS1_3genE5ELNS1_11target_archE942ELNS1_3gpuE9ELNS1_3repE0EEENS1_30default_config_static_selectorELNS0_4arch9wavefront6targetE1EEEvT1_.has_recursion, 0
	.set _ZN7rocprim17ROCPRIM_400000_NS6detail17trampoline_kernelINS0_14default_configENS1_25transform_config_selectorIfLb0EEEZNS1_14transform_implILb0ES3_S5_PfN6thrust23THRUST_200600_302600_NS6detail15normal_iteratorINS9_10device_ptrIfEEEENS0_8identityIfEEEE10hipError_tT2_T3_mT4_P12ihipStream_tbEUlT_E_NS1_11comp_targetILNS1_3genE5ELNS1_11target_archE942ELNS1_3gpuE9ELNS1_3repE0EEENS1_30default_config_static_selectorELNS0_4arch9wavefront6targetE1EEEvT1_.has_indirect_call, 0
	.section	.AMDGPU.csdata,"",@progbits
; Kernel info:
; codeLenInByte = 0
; TotalNumSgprs: 6
; NumVgprs: 0
; NumAgprs: 0
; TotalNumVgprs: 0
; ScratchSize: 0
; MemoryBound: 0
; FloatMode: 240
; IeeeMode: 1
; LDSByteSize: 0 bytes/workgroup (compile time only)
; SGPRBlocks: 0
; VGPRBlocks: 0
; NumSGPRsForWavesPerEU: 6
; NumVGPRsForWavesPerEU: 1
; AccumOffset: 4
; Occupancy: 8
; WaveLimiterHint : 0
; COMPUTE_PGM_RSRC2:SCRATCH_EN: 0
; COMPUTE_PGM_RSRC2:USER_SGPR: 2
; COMPUTE_PGM_RSRC2:TRAP_HANDLER: 0
; COMPUTE_PGM_RSRC2:TGID_X_EN: 1
; COMPUTE_PGM_RSRC2:TGID_Y_EN: 0
; COMPUTE_PGM_RSRC2:TGID_Z_EN: 0
; COMPUTE_PGM_RSRC2:TIDIG_COMP_CNT: 0
; COMPUTE_PGM_RSRC3_GFX90A:ACCUM_OFFSET: 0
; COMPUTE_PGM_RSRC3_GFX90A:TG_SPLIT: 0
	.section	.text._ZN7rocprim17ROCPRIM_400000_NS6detail17trampoline_kernelINS0_14default_configENS1_25transform_config_selectorIfLb0EEEZNS1_14transform_implILb0ES3_S5_PfN6thrust23THRUST_200600_302600_NS6detail15normal_iteratorINS9_10device_ptrIfEEEENS0_8identityIfEEEE10hipError_tT2_T3_mT4_P12ihipStream_tbEUlT_E_NS1_11comp_targetILNS1_3genE4ELNS1_11target_archE910ELNS1_3gpuE8ELNS1_3repE0EEENS1_30default_config_static_selectorELNS0_4arch9wavefront6targetE1EEEvT1_,"axG",@progbits,_ZN7rocprim17ROCPRIM_400000_NS6detail17trampoline_kernelINS0_14default_configENS1_25transform_config_selectorIfLb0EEEZNS1_14transform_implILb0ES3_S5_PfN6thrust23THRUST_200600_302600_NS6detail15normal_iteratorINS9_10device_ptrIfEEEENS0_8identityIfEEEE10hipError_tT2_T3_mT4_P12ihipStream_tbEUlT_E_NS1_11comp_targetILNS1_3genE4ELNS1_11target_archE910ELNS1_3gpuE8ELNS1_3repE0EEENS1_30default_config_static_selectorELNS0_4arch9wavefront6targetE1EEEvT1_,comdat
	.protected	_ZN7rocprim17ROCPRIM_400000_NS6detail17trampoline_kernelINS0_14default_configENS1_25transform_config_selectorIfLb0EEEZNS1_14transform_implILb0ES3_S5_PfN6thrust23THRUST_200600_302600_NS6detail15normal_iteratorINS9_10device_ptrIfEEEENS0_8identityIfEEEE10hipError_tT2_T3_mT4_P12ihipStream_tbEUlT_E_NS1_11comp_targetILNS1_3genE4ELNS1_11target_archE910ELNS1_3gpuE8ELNS1_3repE0EEENS1_30default_config_static_selectorELNS0_4arch9wavefront6targetE1EEEvT1_ ; -- Begin function _ZN7rocprim17ROCPRIM_400000_NS6detail17trampoline_kernelINS0_14default_configENS1_25transform_config_selectorIfLb0EEEZNS1_14transform_implILb0ES3_S5_PfN6thrust23THRUST_200600_302600_NS6detail15normal_iteratorINS9_10device_ptrIfEEEENS0_8identityIfEEEE10hipError_tT2_T3_mT4_P12ihipStream_tbEUlT_E_NS1_11comp_targetILNS1_3genE4ELNS1_11target_archE910ELNS1_3gpuE8ELNS1_3repE0EEENS1_30default_config_static_selectorELNS0_4arch9wavefront6targetE1EEEvT1_
	.globl	_ZN7rocprim17ROCPRIM_400000_NS6detail17trampoline_kernelINS0_14default_configENS1_25transform_config_selectorIfLb0EEEZNS1_14transform_implILb0ES3_S5_PfN6thrust23THRUST_200600_302600_NS6detail15normal_iteratorINS9_10device_ptrIfEEEENS0_8identityIfEEEE10hipError_tT2_T3_mT4_P12ihipStream_tbEUlT_E_NS1_11comp_targetILNS1_3genE4ELNS1_11target_archE910ELNS1_3gpuE8ELNS1_3repE0EEENS1_30default_config_static_selectorELNS0_4arch9wavefront6targetE1EEEvT1_
	.p2align	8
	.type	_ZN7rocprim17ROCPRIM_400000_NS6detail17trampoline_kernelINS0_14default_configENS1_25transform_config_selectorIfLb0EEEZNS1_14transform_implILb0ES3_S5_PfN6thrust23THRUST_200600_302600_NS6detail15normal_iteratorINS9_10device_ptrIfEEEENS0_8identityIfEEEE10hipError_tT2_T3_mT4_P12ihipStream_tbEUlT_E_NS1_11comp_targetILNS1_3genE4ELNS1_11target_archE910ELNS1_3gpuE8ELNS1_3repE0EEENS1_30default_config_static_selectorELNS0_4arch9wavefront6targetE1EEEvT1_,@function
_ZN7rocprim17ROCPRIM_400000_NS6detail17trampoline_kernelINS0_14default_configENS1_25transform_config_selectorIfLb0EEEZNS1_14transform_implILb0ES3_S5_PfN6thrust23THRUST_200600_302600_NS6detail15normal_iteratorINS9_10device_ptrIfEEEENS0_8identityIfEEEE10hipError_tT2_T3_mT4_P12ihipStream_tbEUlT_E_NS1_11comp_targetILNS1_3genE4ELNS1_11target_archE910ELNS1_3gpuE8ELNS1_3repE0EEENS1_30default_config_static_selectorELNS0_4arch9wavefront6targetE1EEEvT1_: ; @_ZN7rocprim17ROCPRIM_400000_NS6detail17trampoline_kernelINS0_14default_configENS1_25transform_config_selectorIfLb0EEEZNS1_14transform_implILb0ES3_S5_PfN6thrust23THRUST_200600_302600_NS6detail15normal_iteratorINS9_10device_ptrIfEEEENS0_8identityIfEEEE10hipError_tT2_T3_mT4_P12ihipStream_tbEUlT_E_NS1_11comp_targetILNS1_3genE4ELNS1_11target_archE910ELNS1_3gpuE8ELNS1_3repE0EEENS1_30default_config_static_selectorELNS0_4arch9wavefront6targetE1EEEvT1_
; %bb.0:
	.section	.rodata,"a",@progbits
	.p2align	6, 0x0
	.amdhsa_kernel _ZN7rocprim17ROCPRIM_400000_NS6detail17trampoline_kernelINS0_14default_configENS1_25transform_config_selectorIfLb0EEEZNS1_14transform_implILb0ES3_S5_PfN6thrust23THRUST_200600_302600_NS6detail15normal_iteratorINS9_10device_ptrIfEEEENS0_8identityIfEEEE10hipError_tT2_T3_mT4_P12ihipStream_tbEUlT_E_NS1_11comp_targetILNS1_3genE4ELNS1_11target_archE910ELNS1_3gpuE8ELNS1_3repE0EEENS1_30default_config_static_selectorELNS0_4arch9wavefront6targetE1EEEvT1_
		.amdhsa_group_segment_fixed_size 0
		.amdhsa_private_segment_fixed_size 0
		.amdhsa_kernarg_size 40
		.amdhsa_user_sgpr_count 2
		.amdhsa_user_sgpr_dispatch_ptr 0
		.amdhsa_user_sgpr_queue_ptr 0
		.amdhsa_user_sgpr_kernarg_segment_ptr 1
		.amdhsa_user_sgpr_dispatch_id 0
		.amdhsa_user_sgpr_kernarg_preload_length 0
		.amdhsa_user_sgpr_kernarg_preload_offset 0
		.amdhsa_user_sgpr_private_segment_size 0
		.amdhsa_uses_dynamic_stack 0
		.amdhsa_enable_private_segment 0
		.amdhsa_system_sgpr_workgroup_id_x 1
		.amdhsa_system_sgpr_workgroup_id_y 0
		.amdhsa_system_sgpr_workgroup_id_z 0
		.amdhsa_system_sgpr_workgroup_info 0
		.amdhsa_system_vgpr_workitem_id 0
		.amdhsa_next_free_vgpr 1
		.amdhsa_next_free_sgpr 0
		.amdhsa_accum_offset 4
		.amdhsa_reserve_vcc 0
		.amdhsa_float_round_mode_32 0
		.amdhsa_float_round_mode_16_64 0
		.amdhsa_float_denorm_mode_32 3
		.amdhsa_float_denorm_mode_16_64 3
		.amdhsa_dx10_clamp 1
		.amdhsa_ieee_mode 1
		.amdhsa_fp16_overflow 0
		.amdhsa_tg_split 0
		.amdhsa_exception_fp_ieee_invalid_op 0
		.amdhsa_exception_fp_denorm_src 0
		.amdhsa_exception_fp_ieee_div_zero 0
		.amdhsa_exception_fp_ieee_overflow 0
		.amdhsa_exception_fp_ieee_underflow 0
		.amdhsa_exception_fp_ieee_inexact 0
		.amdhsa_exception_int_div_zero 0
	.end_amdhsa_kernel
	.section	.text._ZN7rocprim17ROCPRIM_400000_NS6detail17trampoline_kernelINS0_14default_configENS1_25transform_config_selectorIfLb0EEEZNS1_14transform_implILb0ES3_S5_PfN6thrust23THRUST_200600_302600_NS6detail15normal_iteratorINS9_10device_ptrIfEEEENS0_8identityIfEEEE10hipError_tT2_T3_mT4_P12ihipStream_tbEUlT_E_NS1_11comp_targetILNS1_3genE4ELNS1_11target_archE910ELNS1_3gpuE8ELNS1_3repE0EEENS1_30default_config_static_selectorELNS0_4arch9wavefront6targetE1EEEvT1_,"axG",@progbits,_ZN7rocprim17ROCPRIM_400000_NS6detail17trampoline_kernelINS0_14default_configENS1_25transform_config_selectorIfLb0EEEZNS1_14transform_implILb0ES3_S5_PfN6thrust23THRUST_200600_302600_NS6detail15normal_iteratorINS9_10device_ptrIfEEEENS0_8identityIfEEEE10hipError_tT2_T3_mT4_P12ihipStream_tbEUlT_E_NS1_11comp_targetILNS1_3genE4ELNS1_11target_archE910ELNS1_3gpuE8ELNS1_3repE0EEENS1_30default_config_static_selectorELNS0_4arch9wavefront6targetE1EEEvT1_,comdat
.Lfunc_end525:
	.size	_ZN7rocprim17ROCPRIM_400000_NS6detail17trampoline_kernelINS0_14default_configENS1_25transform_config_selectorIfLb0EEEZNS1_14transform_implILb0ES3_S5_PfN6thrust23THRUST_200600_302600_NS6detail15normal_iteratorINS9_10device_ptrIfEEEENS0_8identityIfEEEE10hipError_tT2_T3_mT4_P12ihipStream_tbEUlT_E_NS1_11comp_targetILNS1_3genE4ELNS1_11target_archE910ELNS1_3gpuE8ELNS1_3repE0EEENS1_30default_config_static_selectorELNS0_4arch9wavefront6targetE1EEEvT1_, .Lfunc_end525-_ZN7rocprim17ROCPRIM_400000_NS6detail17trampoline_kernelINS0_14default_configENS1_25transform_config_selectorIfLb0EEEZNS1_14transform_implILb0ES3_S5_PfN6thrust23THRUST_200600_302600_NS6detail15normal_iteratorINS9_10device_ptrIfEEEENS0_8identityIfEEEE10hipError_tT2_T3_mT4_P12ihipStream_tbEUlT_E_NS1_11comp_targetILNS1_3genE4ELNS1_11target_archE910ELNS1_3gpuE8ELNS1_3repE0EEENS1_30default_config_static_selectorELNS0_4arch9wavefront6targetE1EEEvT1_
                                        ; -- End function
	.set _ZN7rocprim17ROCPRIM_400000_NS6detail17trampoline_kernelINS0_14default_configENS1_25transform_config_selectorIfLb0EEEZNS1_14transform_implILb0ES3_S5_PfN6thrust23THRUST_200600_302600_NS6detail15normal_iteratorINS9_10device_ptrIfEEEENS0_8identityIfEEEE10hipError_tT2_T3_mT4_P12ihipStream_tbEUlT_E_NS1_11comp_targetILNS1_3genE4ELNS1_11target_archE910ELNS1_3gpuE8ELNS1_3repE0EEENS1_30default_config_static_selectorELNS0_4arch9wavefront6targetE1EEEvT1_.num_vgpr, 0
	.set _ZN7rocprim17ROCPRIM_400000_NS6detail17trampoline_kernelINS0_14default_configENS1_25transform_config_selectorIfLb0EEEZNS1_14transform_implILb0ES3_S5_PfN6thrust23THRUST_200600_302600_NS6detail15normal_iteratorINS9_10device_ptrIfEEEENS0_8identityIfEEEE10hipError_tT2_T3_mT4_P12ihipStream_tbEUlT_E_NS1_11comp_targetILNS1_3genE4ELNS1_11target_archE910ELNS1_3gpuE8ELNS1_3repE0EEENS1_30default_config_static_selectorELNS0_4arch9wavefront6targetE1EEEvT1_.num_agpr, 0
	.set _ZN7rocprim17ROCPRIM_400000_NS6detail17trampoline_kernelINS0_14default_configENS1_25transform_config_selectorIfLb0EEEZNS1_14transform_implILb0ES3_S5_PfN6thrust23THRUST_200600_302600_NS6detail15normal_iteratorINS9_10device_ptrIfEEEENS0_8identityIfEEEE10hipError_tT2_T3_mT4_P12ihipStream_tbEUlT_E_NS1_11comp_targetILNS1_3genE4ELNS1_11target_archE910ELNS1_3gpuE8ELNS1_3repE0EEENS1_30default_config_static_selectorELNS0_4arch9wavefront6targetE1EEEvT1_.numbered_sgpr, 0
	.set _ZN7rocprim17ROCPRIM_400000_NS6detail17trampoline_kernelINS0_14default_configENS1_25transform_config_selectorIfLb0EEEZNS1_14transform_implILb0ES3_S5_PfN6thrust23THRUST_200600_302600_NS6detail15normal_iteratorINS9_10device_ptrIfEEEENS0_8identityIfEEEE10hipError_tT2_T3_mT4_P12ihipStream_tbEUlT_E_NS1_11comp_targetILNS1_3genE4ELNS1_11target_archE910ELNS1_3gpuE8ELNS1_3repE0EEENS1_30default_config_static_selectorELNS0_4arch9wavefront6targetE1EEEvT1_.num_named_barrier, 0
	.set _ZN7rocprim17ROCPRIM_400000_NS6detail17trampoline_kernelINS0_14default_configENS1_25transform_config_selectorIfLb0EEEZNS1_14transform_implILb0ES3_S5_PfN6thrust23THRUST_200600_302600_NS6detail15normal_iteratorINS9_10device_ptrIfEEEENS0_8identityIfEEEE10hipError_tT2_T3_mT4_P12ihipStream_tbEUlT_E_NS1_11comp_targetILNS1_3genE4ELNS1_11target_archE910ELNS1_3gpuE8ELNS1_3repE0EEENS1_30default_config_static_selectorELNS0_4arch9wavefront6targetE1EEEvT1_.private_seg_size, 0
	.set _ZN7rocprim17ROCPRIM_400000_NS6detail17trampoline_kernelINS0_14default_configENS1_25transform_config_selectorIfLb0EEEZNS1_14transform_implILb0ES3_S5_PfN6thrust23THRUST_200600_302600_NS6detail15normal_iteratorINS9_10device_ptrIfEEEENS0_8identityIfEEEE10hipError_tT2_T3_mT4_P12ihipStream_tbEUlT_E_NS1_11comp_targetILNS1_3genE4ELNS1_11target_archE910ELNS1_3gpuE8ELNS1_3repE0EEENS1_30default_config_static_selectorELNS0_4arch9wavefront6targetE1EEEvT1_.uses_vcc, 0
	.set _ZN7rocprim17ROCPRIM_400000_NS6detail17trampoline_kernelINS0_14default_configENS1_25transform_config_selectorIfLb0EEEZNS1_14transform_implILb0ES3_S5_PfN6thrust23THRUST_200600_302600_NS6detail15normal_iteratorINS9_10device_ptrIfEEEENS0_8identityIfEEEE10hipError_tT2_T3_mT4_P12ihipStream_tbEUlT_E_NS1_11comp_targetILNS1_3genE4ELNS1_11target_archE910ELNS1_3gpuE8ELNS1_3repE0EEENS1_30default_config_static_selectorELNS0_4arch9wavefront6targetE1EEEvT1_.uses_flat_scratch, 0
	.set _ZN7rocprim17ROCPRIM_400000_NS6detail17trampoline_kernelINS0_14default_configENS1_25transform_config_selectorIfLb0EEEZNS1_14transform_implILb0ES3_S5_PfN6thrust23THRUST_200600_302600_NS6detail15normal_iteratorINS9_10device_ptrIfEEEENS0_8identityIfEEEE10hipError_tT2_T3_mT4_P12ihipStream_tbEUlT_E_NS1_11comp_targetILNS1_3genE4ELNS1_11target_archE910ELNS1_3gpuE8ELNS1_3repE0EEENS1_30default_config_static_selectorELNS0_4arch9wavefront6targetE1EEEvT1_.has_dyn_sized_stack, 0
	.set _ZN7rocprim17ROCPRIM_400000_NS6detail17trampoline_kernelINS0_14default_configENS1_25transform_config_selectorIfLb0EEEZNS1_14transform_implILb0ES3_S5_PfN6thrust23THRUST_200600_302600_NS6detail15normal_iteratorINS9_10device_ptrIfEEEENS0_8identityIfEEEE10hipError_tT2_T3_mT4_P12ihipStream_tbEUlT_E_NS1_11comp_targetILNS1_3genE4ELNS1_11target_archE910ELNS1_3gpuE8ELNS1_3repE0EEENS1_30default_config_static_selectorELNS0_4arch9wavefront6targetE1EEEvT1_.has_recursion, 0
	.set _ZN7rocprim17ROCPRIM_400000_NS6detail17trampoline_kernelINS0_14default_configENS1_25transform_config_selectorIfLb0EEEZNS1_14transform_implILb0ES3_S5_PfN6thrust23THRUST_200600_302600_NS6detail15normal_iteratorINS9_10device_ptrIfEEEENS0_8identityIfEEEE10hipError_tT2_T3_mT4_P12ihipStream_tbEUlT_E_NS1_11comp_targetILNS1_3genE4ELNS1_11target_archE910ELNS1_3gpuE8ELNS1_3repE0EEENS1_30default_config_static_selectorELNS0_4arch9wavefront6targetE1EEEvT1_.has_indirect_call, 0
	.section	.AMDGPU.csdata,"",@progbits
; Kernel info:
; codeLenInByte = 0
; TotalNumSgprs: 6
; NumVgprs: 0
; NumAgprs: 0
; TotalNumVgprs: 0
; ScratchSize: 0
; MemoryBound: 0
; FloatMode: 240
; IeeeMode: 1
; LDSByteSize: 0 bytes/workgroup (compile time only)
; SGPRBlocks: 0
; VGPRBlocks: 0
; NumSGPRsForWavesPerEU: 6
; NumVGPRsForWavesPerEU: 1
; AccumOffset: 4
; Occupancy: 8
; WaveLimiterHint : 0
; COMPUTE_PGM_RSRC2:SCRATCH_EN: 0
; COMPUTE_PGM_RSRC2:USER_SGPR: 2
; COMPUTE_PGM_RSRC2:TRAP_HANDLER: 0
; COMPUTE_PGM_RSRC2:TGID_X_EN: 1
; COMPUTE_PGM_RSRC2:TGID_Y_EN: 0
; COMPUTE_PGM_RSRC2:TGID_Z_EN: 0
; COMPUTE_PGM_RSRC2:TIDIG_COMP_CNT: 0
; COMPUTE_PGM_RSRC3_GFX90A:ACCUM_OFFSET: 0
; COMPUTE_PGM_RSRC3_GFX90A:TG_SPLIT: 0
	.section	.text._ZN7rocprim17ROCPRIM_400000_NS6detail17trampoline_kernelINS0_14default_configENS1_25transform_config_selectorIfLb0EEEZNS1_14transform_implILb0ES3_S5_PfN6thrust23THRUST_200600_302600_NS6detail15normal_iteratorINS9_10device_ptrIfEEEENS0_8identityIfEEEE10hipError_tT2_T3_mT4_P12ihipStream_tbEUlT_E_NS1_11comp_targetILNS1_3genE3ELNS1_11target_archE908ELNS1_3gpuE7ELNS1_3repE0EEENS1_30default_config_static_selectorELNS0_4arch9wavefront6targetE1EEEvT1_,"axG",@progbits,_ZN7rocprim17ROCPRIM_400000_NS6detail17trampoline_kernelINS0_14default_configENS1_25transform_config_selectorIfLb0EEEZNS1_14transform_implILb0ES3_S5_PfN6thrust23THRUST_200600_302600_NS6detail15normal_iteratorINS9_10device_ptrIfEEEENS0_8identityIfEEEE10hipError_tT2_T3_mT4_P12ihipStream_tbEUlT_E_NS1_11comp_targetILNS1_3genE3ELNS1_11target_archE908ELNS1_3gpuE7ELNS1_3repE0EEENS1_30default_config_static_selectorELNS0_4arch9wavefront6targetE1EEEvT1_,comdat
	.protected	_ZN7rocprim17ROCPRIM_400000_NS6detail17trampoline_kernelINS0_14default_configENS1_25transform_config_selectorIfLb0EEEZNS1_14transform_implILb0ES3_S5_PfN6thrust23THRUST_200600_302600_NS6detail15normal_iteratorINS9_10device_ptrIfEEEENS0_8identityIfEEEE10hipError_tT2_T3_mT4_P12ihipStream_tbEUlT_E_NS1_11comp_targetILNS1_3genE3ELNS1_11target_archE908ELNS1_3gpuE7ELNS1_3repE0EEENS1_30default_config_static_selectorELNS0_4arch9wavefront6targetE1EEEvT1_ ; -- Begin function _ZN7rocprim17ROCPRIM_400000_NS6detail17trampoline_kernelINS0_14default_configENS1_25transform_config_selectorIfLb0EEEZNS1_14transform_implILb0ES3_S5_PfN6thrust23THRUST_200600_302600_NS6detail15normal_iteratorINS9_10device_ptrIfEEEENS0_8identityIfEEEE10hipError_tT2_T3_mT4_P12ihipStream_tbEUlT_E_NS1_11comp_targetILNS1_3genE3ELNS1_11target_archE908ELNS1_3gpuE7ELNS1_3repE0EEENS1_30default_config_static_selectorELNS0_4arch9wavefront6targetE1EEEvT1_
	.globl	_ZN7rocprim17ROCPRIM_400000_NS6detail17trampoline_kernelINS0_14default_configENS1_25transform_config_selectorIfLb0EEEZNS1_14transform_implILb0ES3_S5_PfN6thrust23THRUST_200600_302600_NS6detail15normal_iteratorINS9_10device_ptrIfEEEENS0_8identityIfEEEE10hipError_tT2_T3_mT4_P12ihipStream_tbEUlT_E_NS1_11comp_targetILNS1_3genE3ELNS1_11target_archE908ELNS1_3gpuE7ELNS1_3repE0EEENS1_30default_config_static_selectorELNS0_4arch9wavefront6targetE1EEEvT1_
	.p2align	8
	.type	_ZN7rocprim17ROCPRIM_400000_NS6detail17trampoline_kernelINS0_14default_configENS1_25transform_config_selectorIfLb0EEEZNS1_14transform_implILb0ES3_S5_PfN6thrust23THRUST_200600_302600_NS6detail15normal_iteratorINS9_10device_ptrIfEEEENS0_8identityIfEEEE10hipError_tT2_T3_mT4_P12ihipStream_tbEUlT_E_NS1_11comp_targetILNS1_3genE3ELNS1_11target_archE908ELNS1_3gpuE7ELNS1_3repE0EEENS1_30default_config_static_selectorELNS0_4arch9wavefront6targetE1EEEvT1_,@function
_ZN7rocprim17ROCPRIM_400000_NS6detail17trampoline_kernelINS0_14default_configENS1_25transform_config_selectorIfLb0EEEZNS1_14transform_implILb0ES3_S5_PfN6thrust23THRUST_200600_302600_NS6detail15normal_iteratorINS9_10device_ptrIfEEEENS0_8identityIfEEEE10hipError_tT2_T3_mT4_P12ihipStream_tbEUlT_E_NS1_11comp_targetILNS1_3genE3ELNS1_11target_archE908ELNS1_3gpuE7ELNS1_3repE0EEENS1_30default_config_static_selectorELNS0_4arch9wavefront6targetE1EEEvT1_: ; @_ZN7rocprim17ROCPRIM_400000_NS6detail17trampoline_kernelINS0_14default_configENS1_25transform_config_selectorIfLb0EEEZNS1_14transform_implILb0ES3_S5_PfN6thrust23THRUST_200600_302600_NS6detail15normal_iteratorINS9_10device_ptrIfEEEENS0_8identityIfEEEE10hipError_tT2_T3_mT4_P12ihipStream_tbEUlT_E_NS1_11comp_targetILNS1_3genE3ELNS1_11target_archE908ELNS1_3gpuE7ELNS1_3repE0EEENS1_30default_config_static_selectorELNS0_4arch9wavefront6targetE1EEEvT1_
; %bb.0:
	.section	.rodata,"a",@progbits
	.p2align	6, 0x0
	.amdhsa_kernel _ZN7rocprim17ROCPRIM_400000_NS6detail17trampoline_kernelINS0_14default_configENS1_25transform_config_selectorIfLb0EEEZNS1_14transform_implILb0ES3_S5_PfN6thrust23THRUST_200600_302600_NS6detail15normal_iteratorINS9_10device_ptrIfEEEENS0_8identityIfEEEE10hipError_tT2_T3_mT4_P12ihipStream_tbEUlT_E_NS1_11comp_targetILNS1_3genE3ELNS1_11target_archE908ELNS1_3gpuE7ELNS1_3repE0EEENS1_30default_config_static_selectorELNS0_4arch9wavefront6targetE1EEEvT1_
		.amdhsa_group_segment_fixed_size 0
		.amdhsa_private_segment_fixed_size 0
		.amdhsa_kernarg_size 40
		.amdhsa_user_sgpr_count 2
		.amdhsa_user_sgpr_dispatch_ptr 0
		.amdhsa_user_sgpr_queue_ptr 0
		.amdhsa_user_sgpr_kernarg_segment_ptr 1
		.amdhsa_user_sgpr_dispatch_id 0
		.amdhsa_user_sgpr_kernarg_preload_length 0
		.amdhsa_user_sgpr_kernarg_preload_offset 0
		.amdhsa_user_sgpr_private_segment_size 0
		.amdhsa_uses_dynamic_stack 0
		.amdhsa_enable_private_segment 0
		.amdhsa_system_sgpr_workgroup_id_x 1
		.amdhsa_system_sgpr_workgroup_id_y 0
		.amdhsa_system_sgpr_workgroup_id_z 0
		.amdhsa_system_sgpr_workgroup_info 0
		.amdhsa_system_vgpr_workitem_id 0
		.amdhsa_next_free_vgpr 1
		.amdhsa_next_free_sgpr 0
		.amdhsa_accum_offset 4
		.amdhsa_reserve_vcc 0
		.amdhsa_float_round_mode_32 0
		.amdhsa_float_round_mode_16_64 0
		.amdhsa_float_denorm_mode_32 3
		.amdhsa_float_denorm_mode_16_64 3
		.amdhsa_dx10_clamp 1
		.amdhsa_ieee_mode 1
		.amdhsa_fp16_overflow 0
		.amdhsa_tg_split 0
		.amdhsa_exception_fp_ieee_invalid_op 0
		.amdhsa_exception_fp_denorm_src 0
		.amdhsa_exception_fp_ieee_div_zero 0
		.amdhsa_exception_fp_ieee_overflow 0
		.amdhsa_exception_fp_ieee_underflow 0
		.amdhsa_exception_fp_ieee_inexact 0
		.amdhsa_exception_int_div_zero 0
	.end_amdhsa_kernel
	.section	.text._ZN7rocprim17ROCPRIM_400000_NS6detail17trampoline_kernelINS0_14default_configENS1_25transform_config_selectorIfLb0EEEZNS1_14transform_implILb0ES3_S5_PfN6thrust23THRUST_200600_302600_NS6detail15normal_iteratorINS9_10device_ptrIfEEEENS0_8identityIfEEEE10hipError_tT2_T3_mT4_P12ihipStream_tbEUlT_E_NS1_11comp_targetILNS1_3genE3ELNS1_11target_archE908ELNS1_3gpuE7ELNS1_3repE0EEENS1_30default_config_static_selectorELNS0_4arch9wavefront6targetE1EEEvT1_,"axG",@progbits,_ZN7rocprim17ROCPRIM_400000_NS6detail17trampoline_kernelINS0_14default_configENS1_25transform_config_selectorIfLb0EEEZNS1_14transform_implILb0ES3_S5_PfN6thrust23THRUST_200600_302600_NS6detail15normal_iteratorINS9_10device_ptrIfEEEENS0_8identityIfEEEE10hipError_tT2_T3_mT4_P12ihipStream_tbEUlT_E_NS1_11comp_targetILNS1_3genE3ELNS1_11target_archE908ELNS1_3gpuE7ELNS1_3repE0EEENS1_30default_config_static_selectorELNS0_4arch9wavefront6targetE1EEEvT1_,comdat
.Lfunc_end526:
	.size	_ZN7rocprim17ROCPRIM_400000_NS6detail17trampoline_kernelINS0_14default_configENS1_25transform_config_selectorIfLb0EEEZNS1_14transform_implILb0ES3_S5_PfN6thrust23THRUST_200600_302600_NS6detail15normal_iteratorINS9_10device_ptrIfEEEENS0_8identityIfEEEE10hipError_tT2_T3_mT4_P12ihipStream_tbEUlT_E_NS1_11comp_targetILNS1_3genE3ELNS1_11target_archE908ELNS1_3gpuE7ELNS1_3repE0EEENS1_30default_config_static_selectorELNS0_4arch9wavefront6targetE1EEEvT1_, .Lfunc_end526-_ZN7rocprim17ROCPRIM_400000_NS6detail17trampoline_kernelINS0_14default_configENS1_25transform_config_selectorIfLb0EEEZNS1_14transform_implILb0ES3_S5_PfN6thrust23THRUST_200600_302600_NS6detail15normal_iteratorINS9_10device_ptrIfEEEENS0_8identityIfEEEE10hipError_tT2_T3_mT4_P12ihipStream_tbEUlT_E_NS1_11comp_targetILNS1_3genE3ELNS1_11target_archE908ELNS1_3gpuE7ELNS1_3repE0EEENS1_30default_config_static_selectorELNS0_4arch9wavefront6targetE1EEEvT1_
                                        ; -- End function
	.set _ZN7rocprim17ROCPRIM_400000_NS6detail17trampoline_kernelINS0_14default_configENS1_25transform_config_selectorIfLb0EEEZNS1_14transform_implILb0ES3_S5_PfN6thrust23THRUST_200600_302600_NS6detail15normal_iteratorINS9_10device_ptrIfEEEENS0_8identityIfEEEE10hipError_tT2_T3_mT4_P12ihipStream_tbEUlT_E_NS1_11comp_targetILNS1_3genE3ELNS1_11target_archE908ELNS1_3gpuE7ELNS1_3repE0EEENS1_30default_config_static_selectorELNS0_4arch9wavefront6targetE1EEEvT1_.num_vgpr, 0
	.set _ZN7rocprim17ROCPRIM_400000_NS6detail17trampoline_kernelINS0_14default_configENS1_25transform_config_selectorIfLb0EEEZNS1_14transform_implILb0ES3_S5_PfN6thrust23THRUST_200600_302600_NS6detail15normal_iteratorINS9_10device_ptrIfEEEENS0_8identityIfEEEE10hipError_tT2_T3_mT4_P12ihipStream_tbEUlT_E_NS1_11comp_targetILNS1_3genE3ELNS1_11target_archE908ELNS1_3gpuE7ELNS1_3repE0EEENS1_30default_config_static_selectorELNS0_4arch9wavefront6targetE1EEEvT1_.num_agpr, 0
	.set _ZN7rocprim17ROCPRIM_400000_NS6detail17trampoline_kernelINS0_14default_configENS1_25transform_config_selectorIfLb0EEEZNS1_14transform_implILb0ES3_S5_PfN6thrust23THRUST_200600_302600_NS6detail15normal_iteratorINS9_10device_ptrIfEEEENS0_8identityIfEEEE10hipError_tT2_T3_mT4_P12ihipStream_tbEUlT_E_NS1_11comp_targetILNS1_3genE3ELNS1_11target_archE908ELNS1_3gpuE7ELNS1_3repE0EEENS1_30default_config_static_selectorELNS0_4arch9wavefront6targetE1EEEvT1_.numbered_sgpr, 0
	.set _ZN7rocprim17ROCPRIM_400000_NS6detail17trampoline_kernelINS0_14default_configENS1_25transform_config_selectorIfLb0EEEZNS1_14transform_implILb0ES3_S5_PfN6thrust23THRUST_200600_302600_NS6detail15normal_iteratorINS9_10device_ptrIfEEEENS0_8identityIfEEEE10hipError_tT2_T3_mT4_P12ihipStream_tbEUlT_E_NS1_11comp_targetILNS1_3genE3ELNS1_11target_archE908ELNS1_3gpuE7ELNS1_3repE0EEENS1_30default_config_static_selectorELNS0_4arch9wavefront6targetE1EEEvT1_.num_named_barrier, 0
	.set _ZN7rocprim17ROCPRIM_400000_NS6detail17trampoline_kernelINS0_14default_configENS1_25transform_config_selectorIfLb0EEEZNS1_14transform_implILb0ES3_S5_PfN6thrust23THRUST_200600_302600_NS6detail15normal_iteratorINS9_10device_ptrIfEEEENS0_8identityIfEEEE10hipError_tT2_T3_mT4_P12ihipStream_tbEUlT_E_NS1_11comp_targetILNS1_3genE3ELNS1_11target_archE908ELNS1_3gpuE7ELNS1_3repE0EEENS1_30default_config_static_selectorELNS0_4arch9wavefront6targetE1EEEvT1_.private_seg_size, 0
	.set _ZN7rocprim17ROCPRIM_400000_NS6detail17trampoline_kernelINS0_14default_configENS1_25transform_config_selectorIfLb0EEEZNS1_14transform_implILb0ES3_S5_PfN6thrust23THRUST_200600_302600_NS6detail15normal_iteratorINS9_10device_ptrIfEEEENS0_8identityIfEEEE10hipError_tT2_T3_mT4_P12ihipStream_tbEUlT_E_NS1_11comp_targetILNS1_3genE3ELNS1_11target_archE908ELNS1_3gpuE7ELNS1_3repE0EEENS1_30default_config_static_selectorELNS0_4arch9wavefront6targetE1EEEvT1_.uses_vcc, 0
	.set _ZN7rocprim17ROCPRIM_400000_NS6detail17trampoline_kernelINS0_14default_configENS1_25transform_config_selectorIfLb0EEEZNS1_14transform_implILb0ES3_S5_PfN6thrust23THRUST_200600_302600_NS6detail15normal_iteratorINS9_10device_ptrIfEEEENS0_8identityIfEEEE10hipError_tT2_T3_mT4_P12ihipStream_tbEUlT_E_NS1_11comp_targetILNS1_3genE3ELNS1_11target_archE908ELNS1_3gpuE7ELNS1_3repE0EEENS1_30default_config_static_selectorELNS0_4arch9wavefront6targetE1EEEvT1_.uses_flat_scratch, 0
	.set _ZN7rocprim17ROCPRIM_400000_NS6detail17trampoline_kernelINS0_14default_configENS1_25transform_config_selectorIfLb0EEEZNS1_14transform_implILb0ES3_S5_PfN6thrust23THRUST_200600_302600_NS6detail15normal_iteratorINS9_10device_ptrIfEEEENS0_8identityIfEEEE10hipError_tT2_T3_mT4_P12ihipStream_tbEUlT_E_NS1_11comp_targetILNS1_3genE3ELNS1_11target_archE908ELNS1_3gpuE7ELNS1_3repE0EEENS1_30default_config_static_selectorELNS0_4arch9wavefront6targetE1EEEvT1_.has_dyn_sized_stack, 0
	.set _ZN7rocprim17ROCPRIM_400000_NS6detail17trampoline_kernelINS0_14default_configENS1_25transform_config_selectorIfLb0EEEZNS1_14transform_implILb0ES3_S5_PfN6thrust23THRUST_200600_302600_NS6detail15normal_iteratorINS9_10device_ptrIfEEEENS0_8identityIfEEEE10hipError_tT2_T3_mT4_P12ihipStream_tbEUlT_E_NS1_11comp_targetILNS1_3genE3ELNS1_11target_archE908ELNS1_3gpuE7ELNS1_3repE0EEENS1_30default_config_static_selectorELNS0_4arch9wavefront6targetE1EEEvT1_.has_recursion, 0
	.set _ZN7rocprim17ROCPRIM_400000_NS6detail17trampoline_kernelINS0_14default_configENS1_25transform_config_selectorIfLb0EEEZNS1_14transform_implILb0ES3_S5_PfN6thrust23THRUST_200600_302600_NS6detail15normal_iteratorINS9_10device_ptrIfEEEENS0_8identityIfEEEE10hipError_tT2_T3_mT4_P12ihipStream_tbEUlT_E_NS1_11comp_targetILNS1_3genE3ELNS1_11target_archE908ELNS1_3gpuE7ELNS1_3repE0EEENS1_30default_config_static_selectorELNS0_4arch9wavefront6targetE1EEEvT1_.has_indirect_call, 0
	.section	.AMDGPU.csdata,"",@progbits
; Kernel info:
; codeLenInByte = 0
; TotalNumSgprs: 6
; NumVgprs: 0
; NumAgprs: 0
; TotalNumVgprs: 0
; ScratchSize: 0
; MemoryBound: 0
; FloatMode: 240
; IeeeMode: 1
; LDSByteSize: 0 bytes/workgroup (compile time only)
; SGPRBlocks: 0
; VGPRBlocks: 0
; NumSGPRsForWavesPerEU: 6
; NumVGPRsForWavesPerEU: 1
; AccumOffset: 4
; Occupancy: 8
; WaveLimiterHint : 0
; COMPUTE_PGM_RSRC2:SCRATCH_EN: 0
; COMPUTE_PGM_RSRC2:USER_SGPR: 2
; COMPUTE_PGM_RSRC2:TRAP_HANDLER: 0
; COMPUTE_PGM_RSRC2:TGID_X_EN: 1
; COMPUTE_PGM_RSRC2:TGID_Y_EN: 0
; COMPUTE_PGM_RSRC2:TGID_Z_EN: 0
; COMPUTE_PGM_RSRC2:TIDIG_COMP_CNT: 0
; COMPUTE_PGM_RSRC3_GFX90A:ACCUM_OFFSET: 0
; COMPUTE_PGM_RSRC3_GFX90A:TG_SPLIT: 0
	.section	.text._ZN7rocprim17ROCPRIM_400000_NS6detail17trampoline_kernelINS0_14default_configENS1_25transform_config_selectorIfLb0EEEZNS1_14transform_implILb0ES3_S5_PfN6thrust23THRUST_200600_302600_NS6detail15normal_iteratorINS9_10device_ptrIfEEEENS0_8identityIfEEEE10hipError_tT2_T3_mT4_P12ihipStream_tbEUlT_E_NS1_11comp_targetILNS1_3genE2ELNS1_11target_archE906ELNS1_3gpuE6ELNS1_3repE0EEENS1_30default_config_static_selectorELNS0_4arch9wavefront6targetE1EEEvT1_,"axG",@progbits,_ZN7rocprim17ROCPRIM_400000_NS6detail17trampoline_kernelINS0_14default_configENS1_25transform_config_selectorIfLb0EEEZNS1_14transform_implILb0ES3_S5_PfN6thrust23THRUST_200600_302600_NS6detail15normal_iteratorINS9_10device_ptrIfEEEENS0_8identityIfEEEE10hipError_tT2_T3_mT4_P12ihipStream_tbEUlT_E_NS1_11comp_targetILNS1_3genE2ELNS1_11target_archE906ELNS1_3gpuE6ELNS1_3repE0EEENS1_30default_config_static_selectorELNS0_4arch9wavefront6targetE1EEEvT1_,comdat
	.protected	_ZN7rocprim17ROCPRIM_400000_NS6detail17trampoline_kernelINS0_14default_configENS1_25transform_config_selectorIfLb0EEEZNS1_14transform_implILb0ES3_S5_PfN6thrust23THRUST_200600_302600_NS6detail15normal_iteratorINS9_10device_ptrIfEEEENS0_8identityIfEEEE10hipError_tT2_T3_mT4_P12ihipStream_tbEUlT_E_NS1_11comp_targetILNS1_3genE2ELNS1_11target_archE906ELNS1_3gpuE6ELNS1_3repE0EEENS1_30default_config_static_selectorELNS0_4arch9wavefront6targetE1EEEvT1_ ; -- Begin function _ZN7rocprim17ROCPRIM_400000_NS6detail17trampoline_kernelINS0_14default_configENS1_25transform_config_selectorIfLb0EEEZNS1_14transform_implILb0ES3_S5_PfN6thrust23THRUST_200600_302600_NS6detail15normal_iteratorINS9_10device_ptrIfEEEENS0_8identityIfEEEE10hipError_tT2_T3_mT4_P12ihipStream_tbEUlT_E_NS1_11comp_targetILNS1_3genE2ELNS1_11target_archE906ELNS1_3gpuE6ELNS1_3repE0EEENS1_30default_config_static_selectorELNS0_4arch9wavefront6targetE1EEEvT1_
	.globl	_ZN7rocprim17ROCPRIM_400000_NS6detail17trampoline_kernelINS0_14default_configENS1_25transform_config_selectorIfLb0EEEZNS1_14transform_implILb0ES3_S5_PfN6thrust23THRUST_200600_302600_NS6detail15normal_iteratorINS9_10device_ptrIfEEEENS0_8identityIfEEEE10hipError_tT2_T3_mT4_P12ihipStream_tbEUlT_E_NS1_11comp_targetILNS1_3genE2ELNS1_11target_archE906ELNS1_3gpuE6ELNS1_3repE0EEENS1_30default_config_static_selectorELNS0_4arch9wavefront6targetE1EEEvT1_
	.p2align	8
	.type	_ZN7rocprim17ROCPRIM_400000_NS6detail17trampoline_kernelINS0_14default_configENS1_25transform_config_selectorIfLb0EEEZNS1_14transform_implILb0ES3_S5_PfN6thrust23THRUST_200600_302600_NS6detail15normal_iteratorINS9_10device_ptrIfEEEENS0_8identityIfEEEE10hipError_tT2_T3_mT4_P12ihipStream_tbEUlT_E_NS1_11comp_targetILNS1_3genE2ELNS1_11target_archE906ELNS1_3gpuE6ELNS1_3repE0EEENS1_30default_config_static_selectorELNS0_4arch9wavefront6targetE1EEEvT1_,@function
_ZN7rocprim17ROCPRIM_400000_NS6detail17trampoline_kernelINS0_14default_configENS1_25transform_config_selectorIfLb0EEEZNS1_14transform_implILb0ES3_S5_PfN6thrust23THRUST_200600_302600_NS6detail15normal_iteratorINS9_10device_ptrIfEEEENS0_8identityIfEEEE10hipError_tT2_T3_mT4_P12ihipStream_tbEUlT_E_NS1_11comp_targetILNS1_3genE2ELNS1_11target_archE906ELNS1_3gpuE6ELNS1_3repE0EEENS1_30default_config_static_selectorELNS0_4arch9wavefront6targetE1EEEvT1_: ; @_ZN7rocprim17ROCPRIM_400000_NS6detail17trampoline_kernelINS0_14default_configENS1_25transform_config_selectorIfLb0EEEZNS1_14transform_implILb0ES3_S5_PfN6thrust23THRUST_200600_302600_NS6detail15normal_iteratorINS9_10device_ptrIfEEEENS0_8identityIfEEEE10hipError_tT2_T3_mT4_P12ihipStream_tbEUlT_E_NS1_11comp_targetILNS1_3genE2ELNS1_11target_archE906ELNS1_3gpuE6ELNS1_3repE0EEENS1_30default_config_static_selectorELNS0_4arch9wavefront6targetE1EEEvT1_
; %bb.0:
	.section	.rodata,"a",@progbits
	.p2align	6, 0x0
	.amdhsa_kernel _ZN7rocprim17ROCPRIM_400000_NS6detail17trampoline_kernelINS0_14default_configENS1_25transform_config_selectorIfLb0EEEZNS1_14transform_implILb0ES3_S5_PfN6thrust23THRUST_200600_302600_NS6detail15normal_iteratorINS9_10device_ptrIfEEEENS0_8identityIfEEEE10hipError_tT2_T3_mT4_P12ihipStream_tbEUlT_E_NS1_11comp_targetILNS1_3genE2ELNS1_11target_archE906ELNS1_3gpuE6ELNS1_3repE0EEENS1_30default_config_static_selectorELNS0_4arch9wavefront6targetE1EEEvT1_
		.amdhsa_group_segment_fixed_size 0
		.amdhsa_private_segment_fixed_size 0
		.amdhsa_kernarg_size 40
		.amdhsa_user_sgpr_count 2
		.amdhsa_user_sgpr_dispatch_ptr 0
		.amdhsa_user_sgpr_queue_ptr 0
		.amdhsa_user_sgpr_kernarg_segment_ptr 1
		.amdhsa_user_sgpr_dispatch_id 0
		.amdhsa_user_sgpr_kernarg_preload_length 0
		.amdhsa_user_sgpr_kernarg_preload_offset 0
		.amdhsa_user_sgpr_private_segment_size 0
		.amdhsa_uses_dynamic_stack 0
		.amdhsa_enable_private_segment 0
		.amdhsa_system_sgpr_workgroup_id_x 1
		.amdhsa_system_sgpr_workgroup_id_y 0
		.amdhsa_system_sgpr_workgroup_id_z 0
		.amdhsa_system_sgpr_workgroup_info 0
		.amdhsa_system_vgpr_workitem_id 0
		.amdhsa_next_free_vgpr 1
		.amdhsa_next_free_sgpr 0
		.amdhsa_accum_offset 4
		.amdhsa_reserve_vcc 0
		.amdhsa_float_round_mode_32 0
		.amdhsa_float_round_mode_16_64 0
		.amdhsa_float_denorm_mode_32 3
		.amdhsa_float_denorm_mode_16_64 3
		.amdhsa_dx10_clamp 1
		.amdhsa_ieee_mode 1
		.amdhsa_fp16_overflow 0
		.amdhsa_tg_split 0
		.amdhsa_exception_fp_ieee_invalid_op 0
		.amdhsa_exception_fp_denorm_src 0
		.amdhsa_exception_fp_ieee_div_zero 0
		.amdhsa_exception_fp_ieee_overflow 0
		.amdhsa_exception_fp_ieee_underflow 0
		.amdhsa_exception_fp_ieee_inexact 0
		.amdhsa_exception_int_div_zero 0
	.end_amdhsa_kernel
	.section	.text._ZN7rocprim17ROCPRIM_400000_NS6detail17trampoline_kernelINS0_14default_configENS1_25transform_config_selectorIfLb0EEEZNS1_14transform_implILb0ES3_S5_PfN6thrust23THRUST_200600_302600_NS6detail15normal_iteratorINS9_10device_ptrIfEEEENS0_8identityIfEEEE10hipError_tT2_T3_mT4_P12ihipStream_tbEUlT_E_NS1_11comp_targetILNS1_3genE2ELNS1_11target_archE906ELNS1_3gpuE6ELNS1_3repE0EEENS1_30default_config_static_selectorELNS0_4arch9wavefront6targetE1EEEvT1_,"axG",@progbits,_ZN7rocprim17ROCPRIM_400000_NS6detail17trampoline_kernelINS0_14default_configENS1_25transform_config_selectorIfLb0EEEZNS1_14transform_implILb0ES3_S5_PfN6thrust23THRUST_200600_302600_NS6detail15normal_iteratorINS9_10device_ptrIfEEEENS0_8identityIfEEEE10hipError_tT2_T3_mT4_P12ihipStream_tbEUlT_E_NS1_11comp_targetILNS1_3genE2ELNS1_11target_archE906ELNS1_3gpuE6ELNS1_3repE0EEENS1_30default_config_static_selectorELNS0_4arch9wavefront6targetE1EEEvT1_,comdat
.Lfunc_end527:
	.size	_ZN7rocprim17ROCPRIM_400000_NS6detail17trampoline_kernelINS0_14default_configENS1_25transform_config_selectorIfLb0EEEZNS1_14transform_implILb0ES3_S5_PfN6thrust23THRUST_200600_302600_NS6detail15normal_iteratorINS9_10device_ptrIfEEEENS0_8identityIfEEEE10hipError_tT2_T3_mT4_P12ihipStream_tbEUlT_E_NS1_11comp_targetILNS1_3genE2ELNS1_11target_archE906ELNS1_3gpuE6ELNS1_3repE0EEENS1_30default_config_static_selectorELNS0_4arch9wavefront6targetE1EEEvT1_, .Lfunc_end527-_ZN7rocprim17ROCPRIM_400000_NS6detail17trampoline_kernelINS0_14default_configENS1_25transform_config_selectorIfLb0EEEZNS1_14transform_implILb0ES3_S5_PfN6thrust23THRUST_200600_302600_NS6detail15normal_iteratorINS9_10device_ptrIfEEEENS0_8identityIfEEEE10hipError_tT2_T3_mT4_P12ihipStream_tbEUlT_E_NS1_11comp_targetILNS1_3genE2ELNS1_11target_archE906ELNS1_3gpuE6ELNS1_3repE0EEENS1_30default_config_static_selectorELNS0_4arch9wavefront6targetE1EEEvT1_
                                        ; -- End function
	.set _ZN7rocprim17ROCPRIM_400000_NS6detail17trampoline_kernelINS0_14default_configENS1_25transform_config_selectorIfLb0EEEZNS1_14transform_implILb0ES3_S5_PfN6thrust23THRUST_200600_302600_NS6detail15normal_iteratorINS9_10device_ptrIfEEEENS0_8identityIfEEEE10hipError_tT2_T3_mT4_P12ihipStream_tbEUlT_E_NS1_11comp_targetILNS1_3genE2ELNS1_11target_archE906ELNS1_3gpuE6ELNS1_3repE0EEENS1_30default_config_static_selectorELNS0_4arch9wavefront6targetE1EEEvT1_.num_vgpr, 0
	.set _ZN7rocprim17ROCPRIM_400000_NS6detail17trampoline_kernelINS0_14default_configENS1_25transform_config_selectorIfLb0EEEZNS1_14transform_implILb0ES3_S5_PfN6thrust23THRUST_200600_302600_NS6detail15normal_iteratorINS9_10device_ptrIfEEEENS0_8identityIfEEEE10hipError_tT2_T3_mT4_P12ihipStream_tbEUlT_E_NS1_11comp_targetILNS1_3genE2ELNS1_11target_archE906ELNS1_3gpuE6ELNS1_3repE0EEENS1_30default_config_static_selectorELNS0_4arch9wavefront6targetE1EEEvT1_.num_agpr, 0
	.set _ZN7rocprim17ROCPRIM_400000_NS6detail17trampoline_kernelINS0_14default_configENS1_25transform_config_selectorIfLb0EEEZNS1_14transform_implILb0ES3_S5_PfN6thrust23THRUST_200600_302600_NS6detail15normal_iteratorINS9_10device_ptrIfEEEENS0_8identityIfEEEE10hipError_tT2_T3_mT4_P12ihipStream_tbEUlT_E_NS1_11comp_targetILNS1_3genE2ELNS1_11target_archE906ELNS1_3gpuE6ELNS1_3repE0EEENS1_30default_config_static_selectorELNS0_4arch9wavefront6targetE1EEEvT1_.numbered_sgpr, 0
	.set _ZN7rocprim17ROCPRIM_400000_NS6detail17trampoline_kernelINS0_14default_configENS1_25transform_config_selectorIfLb0EEEZNS1_14transform_implILb0ES3_S5_PfN6thrust23THRUST_200600_302600_NS6detail15normal_iteratorINS9_10device_ptrIfEEEENS0_8identityIfEEEE10hipError_tT2_T3_mT4_P12ihipStream_tbEUlT_E_NS1_11comp_targetILNS1_3genE2ELNS1_11target_archE906ELNS1_3gpuE6ELNS1_3repE0EEENS1_30default_config_static_selectorELNS0_4arch9wavefront6targetE1EEEvT1_.num_named_barrier, 0
	.set _ZN7rocprim17ROCPRIM_400000_NS6detail17trampoline_kernelINS0_14default_configENS1_25transform_config_selectorIfLb0EEEZNS1_14transform_implILb0ES3_S5_PfN6thrust23THRUST_200600_302600_NS6detail15normal_iteratorINS9_10device_ptrIfEEEENS0_8identityIfEEEE10hipError_tT2_T3_mT4_P12ihipStream_tbEUlT_E_NS1_11comp_targetILNS1_3genE2ELNS1_11target_archE906ELNS1_3gpuE6ELNS1_3repE0EEENS1_30default_config_static_selectorELNS0_4arch9wavefront6targetE1EEEvT1_.private_seg_size, 0
	.set _ZN7rocprim17ROCPRIM_400000_NS6detail17trampoline_kernelINS0_14default_configENS1_25transform_config_selectorIfLb0EEEZNS1_14transform_implILb0ES3_S5_PfN6thrust23THRUST_200600_302600_NS6detail15normal_iteratorINS9_10device_ptrIfEEEENS0_8identityIfEEEE10hipError_tT2_T3_mT4_P12ihipStream_tbEUlT_E_NS1_11comp_targetILNS1_3genE2ELNS1_11target_archE906ELNS1_3gpuE6ELNS1_3repE0EEENS1_30default_config_static_selectorELNS0_4arch9wavefront6targetE1EEEvT1_.uses_vcc, 0
	.set _ZN7rocprim17ROCPRIM_400000_NS6detail17trampoline_kernelINS0_14default_configENS1_25transform_config_selectorIfLb0EEEZNS1_14transform_implILb0ES3_S5_PfN6thrust23THRUST_200600_302600_NS6detail15normal_iteratorINS9_10device_ptrIfEEEENS0_8identityIfEEEE10hipError_tT2_T3_mT4_P12ihipStream_tbEUlT_E_NS1_11comp_targetILNS1_3genE2ELNS1_11target_archE906ELNS1_3gpuE6ELNS1_3repE0EEENS1_30default_config_static_selectorELNS0_4arch9wavefront6targetE1EEEvT1_.uses_flat_scratch, 0
	.set _ZN7rocprim17ROCPRIM_400000_NS6detail17trampoline_kernelINS0_14default_configENS1_25transform_config_selectorIfLb0EEEZNS1_14transform_implILb0ES3_S5_PfN6thrust23THRUST_200600_302600_NS6detail15normal_iteratorINS9_10device_ptrIfEEEENS0_8identityIfEEEE10hipError_tT2_T3_mT4_P12ihipStream_tbEUlT_E_NS1_11comp_targetILNS1_3genE2ELNS1_11target_archE906ELNS1_3gpuE6ELNS1_3repE0EEENS1_30default_config_static_selectorELNS0_4arch9wavefront6targetE1EEEvT1_.has_dyn_sized_stack, 0
	.set _ZN7rocprim17ROCPRIM_400000_NS6detail17trampoline_kernelINS0_14default_configENS1_25transform_config_selectorIfLb0EEEZNS1_14transform_implILb0ES3_S5_PfN6thrust23THRUST_200600_302600_NS6detail15normal_iteratorINS9_10device_ptrIfEEEENS0_8identityIfEEEE10hipError_tT2_T3_mT4_P12ihipStream_tbEUlT_E_NS1_11comp_targetILNS1_3genE2ELNS1_11target_archE906ELNS1_3gpuE6ELNS1_3repE0EEENS1_30default_config_static_selectorELNS0_4arch9wavefront6targetE1EEEvT1_.has_recursion, 0
	.set _ZN7rocprim17ROCPRIM_400000_NS6detail17trampoline_kernelINS0_14default_configENS1_25transform_config_selectorIfLb0EEEZNS1_14transform_implILb0ES3_S5_PfN6thrust23THRUST_200600_302600_NS6detail15normal_iteratorINS9_10device_ptrIfEEEENS0_8identityIfEEEE10hipError_tT2_T3_mT4_P12ihipStream_tbEUlT_E_NS1_11comp_targetILNS1_3genE2ELNS1_11target_archE906ELNS1_3gpuE6ELNS1_3repE0EEENS1_30default_config_static_selectorELNS0_4arch9wavefront6targetE1EEEvT1_.has_indirect_call, 0
	.section	.AMDGPU.csdata,"",@progbits
; Kernel info:
; codeLenInByte = 0
; TotalNumSgprs: 6
; NumVgprs: 0
; NumAgprs: 0
; TotalNumVgprs: 0
; ScratchSize: 0
; MemoryBound: 0
; FloatMode: 240
; IeeeMode: 1
; LDSByteSize: 0 bytes/workgroup (compile time only)
; SGPRBlocks: 0
; VGPRBlocks: 0
; NumSGPRsForWavesPerEU: 6
; NumVGPRsForWavesPerEU: 1
; AccumOffset: 4
; Occupancy: 8
; WaveLimiterHint : 0
; COMPUTE_PGM_RSRC2:SCRATCH_EN: 0
; COMPUTE_PGM_RSRC2:USER_SGPR: 2
; COMPUTE_PGM_RSRC2:TRAP_HANDLER: 0
; COMPUTE_PGM_RSRC2:TGID_X_EN: 1
; COMPUTE_PGM_RSRC2:TGID_Y_EN: 0
; COMPUTE_PGM_RSRC2:TGID_Z_EN: 0
; COMPUTE_PGM_RSRC2:TIDIG_COMP_CNT: 0
; COMPUTE_PGM_RSRC3_GFX90A:ACCUM_OFFSET: 0
; COMPUTE_PGM_RSRC3_GFX90A:TG_SPLIT: 0
	.section	.text._ZN7rocprim17ROCPRIM_400000_NS6detail17trampoline_kernelINS0_14default_configENS1_25transform_config_selectorIfLb0EEEZNS1_14transform_implILb0ES3_S5_PfN6thrust23THRUST_200600_302600_NS6detail15normal_iteratorINS9_10device_ptrIfEEEENS0_8identityIfEEEE10hipError_tT2_T3_mT4_P12ihipStream_tbEUlT_E_NS1_11comp_targetILNS1_3genE10ELNS1_11target_archE1201ELNS1_3gpuE5ELNS1_3repE0EEENS1_30default_config_static_selectorELNS0_4arch9wavefront6targetE1EEEvT1_,"axG",@progbits,_ZN7rocprim17ROCPRIM_400000_NS6detail17trampoline_kernelINS0_14default_configENS1_25transform_config_selectorIfLb0EEEZNS1_14transform_implILb0ES3_S5_PfN6thrust23THRUST_200600_302600_NS6detail15normal_iteratorINS9_10device_ptrIfEEEENS0_8identityIfEEEE10hipError_tT2_T3_mT4_P12ihipStream_tbEUlT_E_NS1_11comp_targetILNS1_3genE10ELNS1_11target_archE1201ELNS1_3gpuE5ELNS1_3repE0EEENS1_30default_config_static_selectorELNS0_4arch9wavefront6targetE1EEEvT1_,comdat
	.protected	_ZN7rocprim17ROCPRIM_400000_NS6detail17trampoline_kernelINS0_14default_configENS1_25transform_config_selectorIfLb0EEEZNS1_14transform_implILb0ES3_S5_PfN6thrust23THRUST_200600_302600_NS6detail15normal_iteratorINS9_10device_ptrIfEEEENS0_8identityIfEEEE10hipError_tT2_T3_mT4_P12ihipStream_tbEUlT_E_NS1_11comp_targetILNS1_3genE10ELNS1_11target_archE1201ELNS1_3gpuE5ELNS1_3repE0EEENS1_30default_config_static_selectorELNS0_4arch9wavefront6targetE1EEEvT1_ ; -- Begin function _ZN7rocprim17ROCPRIM_400000_NS6detail17trampoline_kernelINS0_14default_configENS1_25transform_config_selectorIfLb0EEEZNS1_14transform_implILb0ES3_S5_PfN6thrust23THRUST_200600_302600_NS6detail15normal_iteratorINS9_10device_ptrIfEEEENS0_8identityIfEEEE10hipError_tT2_T3_mT4_P12ihipStream_tbEUlT_E_NS1_11comp_targetILNS1_3genE10ELNS1_11target_archE1201ELNS1_3gpuE5ELNS1_3repE0EEENS1_30default_config_static_selectorELNS0_4arch9wavefront6targetE1EEEvT1_
	.globl	_ZN7rocprim17ROCPRIM_400000_NS6detail17trampoline_kernelINS0_14default_configENS1_25transform_config_selectorIfLb0EEEZNS1_14transform_implILb0ES3_S5_PfN6thrust23THRUST_200600_302600_NS6detail15normal_iteratorINS9_10device_ptrIfEEEENS0_8identityIfEEEE10hipError_tT2_T3_mT4_P12ihipStream_tbEUlT_E_NS1_11comp_targetILNS1_3genE10ELNS1_11target_archE1201ELNS1_3gpuE5ELNS1_3repE0EEENS1_30default_config_static_selectorELNS0_4arch9wavefront6targetE1EEEvT1_
	.p2align	8
	.type	_ZN7rocprim17ROCPRIM_400000_NS6detail17trampoline_kernelINS0_14default_configENS1_25transform_config_selectorIfLb0EEEZNS1_14transform_implILb0ES3_S5_PfN6thrust23THRUST_200600_302600_NS6detail15normal_iteratorINS9_10device_ptrIfEEEENS0_8identityIfEEEE10hipError_tT2_T3_mT4_P12ihipStream_tbEUlT_E_NS1_11comp_targetILNS1_3genE10ELNS1_11target_archE1201ELNS1_3gpuE5ELNS1_3repE0EEENS1_30default_config_static_selectorELNS0_4arch9wavefront6targetE1EEEvT1_,@function
_ZN7rocprim17ROCPRIM_400000_NS6detail17trampoline_kernelINS0_14default_configENS1_25transform_config_selectorIfLb0EEEZNS1_14transform_implILb0ES3_S5_PfN6thrust23THRUST_200600_302600_NS6detail15normal_iteratorINS9_10device_ptrIfEEEENS0_8identityIfEEEE10hipError_tT2_T3_mT4_P12ihipStream_tbEUlT_E_NS1_11comp_targetILNS1_3genE10ELNS1_11target_archE1201ELNS1_3gpuE5ELNS1_3repE0EEENS1_30default_config_static_selectorELNS0_4arch9wavefront6targetE1EEEvT1_: ; @_ZN7rocprim17ROCPRIM_400000_NS6detail17trampoline_kernelINS0_14default_configENS1_25transform_config_selectorIfLb0EEEZNS1_14transform_implILb0ES3_S5_PfN6thrust23THRUST_200600_302600_NS6detail15normal_iteratorINS9_10device_ptrIfEEEENS0_8identityIfEEEE10hipError_tT2_T3_mT4_P12ihipStream_tbEUlT_E_NS1_11comp_targetILNS1_3genE10ELNS1_11target_archE1201ELNS1_3gpuE5ELNS1_3repE0EEENS1_30default_config_static_selectorELNS0_4arch9wavefront6targetE1EEEvT1_
; %bb.0:
	.section	.rodata,"a",@progbits
	.p2align	6, 0x0
	.amdhsa_kernel _ZN7rocprim17ROCPRIM_400000_NS6detail17trampoline_kernelINS0_14default_configENS1_25transform_config_selectorIfLb0EEEZNS1_14transform_implILb0ES3_S5_PfN6thrust23THRUST_200600_302600_NS6detail15normal_iteratorINS9_10device_ptrIfEEEENS0_8identityIfEEEE10hipError_tT2_T3_mT4_P12ihipStream_tbEUlT_E_NS1_11comp_targetILNS1_3genE10ELNS1_11target_archE1201ELNS1_3gpuE5ELNS1_3repE0EEENS1_30default_config_static_selectorELNS0_4arch9wavefront6targetE1EEEvT1_
		.amdhsa_group_segment_fixed_size 0
		.amdhsa_private_segment_fixed_size 0
		.amdhsa_kernarg_size 40
		.amdhsa_user_sgpr_count 2
		.amdhsa_user_sgpr_dispatch_ptr 0
		.amdhsa_user_sgpr_queue_ptr 0
		.amdhsa_user_sgpr_kernarg_segment_ptr 1
		.amdhsa_user_sgpr_dispatch_id 0
		.amdhsa_user_sgpr_kernarg_preload_length 0
		.amdhsa_user_sgpr_kernarg_preload_offset 0
		.amdhsa_user_sgpr_private_segment_size 0
		.amdhsa_uses_dynamic_stack 0
		.amdhsa_enable_private_segment 0
		.amdhsa_system_sgpr_workgroup_id_x 1
		.amdhsa_system_sgpr_workgroup_id_y 0
		.amdhsa_system_sgpr_workgroup_id_z 0
		.amdhsa_system_sgpr_workgroup_info 0
		.amdhsa_system_vgpr_workitem_id 0
		.amdhsa_next_free_vgpr 1
		.amdhsa_next_free_sgpr 0
		.amdhsa_accum_offset 4
		.amdhsa_reserve_vcc 0
		.amdhsa_float_round_mode_32 0
		.amdhsa_float_round_mode_16_64 0
		.amdhsa_float_denorm_mode_32 3
		.amdhsa_float_denorm_mode_16_64 3
		.amdhsa_dx10_clamp 1
		.amdhsa_ieee_mode 1
		.amdhsa_fp16_overflow 0
		.amdhsa_tg_split 0
		.amdhsa_exception_fp_ieee_invalid_op 0
		.amdhsa_exception_fp_denorm_src 0
		.amdhsa_exception_fp_ieee_div_zero 0
		.amdhsa_exception_fp_ieee_overflow 0
		.amdhsa_exception_fp_ieee_underflow 0
		.amdhsa_exception_fp_ieee_inexact 0
		.amdhsa_exception_int_div_zero 0
	.end_amdhsa_kernel
	.section	.text._ZN7rocprim17ROCPRIM_400000_NS6detail17trampoline_kernelINS0_14default_configENS1_25transform_config_selectorIfLb0EEEZNS1_14transform_implILb0ES3_S5_PfN6thrust23THRUST_200600_302600_NS6detail15normal_iteratorINS9_10device_ptrIfEEEENS0_8identityIfEEEE10hipError_tT2_T3_mT4_P12ihipStream_tbEUlT_E_NS1_11comp_targetILNS1_3genE10ELNS1_11target_archE1201ELNS1_3gpuE5ELNS1_3repE0EEENS1_30default_config_static_selectorELNS0_4arch9wavefront6targetE1EEEvT1_,"axG",@progbits,_ZN7rocprim17ROCPRIM_400000_NS6detail17trampoline_kernelINS0_14default_configENS1_25transform_config_selectorIfLb0EEEZNS1_14transform_implILb0ES3_S5_PfN6thrust23THRUST_200600_302600_NS6detail15normal_iteratorINS9_10device_ptrIfEEEENS0_8identityIfEEEE10hipError_tT2_T3_mT4_P12ihipStream_tbEUlT_E_NS1_11comp_targetILNS1_3genE10ELNS1_11target_archE1201ELNS1_3gpuE5ELNS1_3repE0EEENS1_30default_config_static_selectorELNS0_4arch9wavefront6targetE1EEEvT1_,comdat
.Lfunc_end528:
	.size	_ZN7rocprim17ROCPRIM_400000_NS6detail17trampoline_kernelINS0_14default_configENS1_25transform_config_selectorIfLb0EEEZNS1_14transform_implILb0ES3_S5_PfN6thrust23THRUST_200600_302600_NS6detail15normal_iteratorINS9_10device_ptrIfEEEENS0_8identityIfEEEE10hipError_tT2_T3_mT4_P12ihipStream_tbEUlT_E_NS1_11comp_targetILNS1_3genE10ELNS1_11target_archE1201ELNS1_3gpuE5ELNS1_3repE0EEENS1_30default_config_static_selectorELNS0_4arch9wavefront6targetE1EEEvT1_, .Lfunc_end528-_ZN7rocprim17ROCPRIM_400000_NS6detail17trampoline_kernelINS0_14default_configENS1_25transform_config_selectorIfLb0EEEZNS1_14transform_implILb0ES3_S5_PfN6thrust23THRUST_200600_302600_NS6detail15normal_iteratorINS9_10device_ptrIfEEEENS0_8identityIfEEEE10hipError_tT2_T3_mT4_P12ihipStream_tbEUlT_E_NS1_11comp_targetILNS1_3genE10ELNS1_11target_archE1201ELNS1_3gpuE5ELNS1_3repE0EEENS1_30default_config_static_selectorELNS0_4arch9wavefront6targetE1EEEvT1_
                                        ; -- End function
	.set _ZN7rocprim17ROCPRIM_400000_NS6detail17trampoline_kernelINS0_14default_configENS1_25transform_config_selectorIfLb0EEEZNS1_14transform_implILb0ES3_S5_PfN6thrust23THRUST_200600_302600_NS6detail15normal_iteratorINS9_10device_ptrIfEEEENS0_8identityIfEEEE10hipError_tT2_T3_mT4_P12ihipStream_tbEUlT_E_NS1_11comp_targetILNS1_3genE10ELNS1_11target_archE1201ELNS1_3gpuE5ELNS1_3repE0EEENS1_30default_config_static_selectorELNS0_4arch9wavefront6targetE1EEEvT1_.num_vgpr, 0
	.set _ZN7rocprim17ROCPRIM_400000_NS6detail17trampoline_kernelINS0_14default_configENS1_25transform_config_selectorIfLb0EEEZNS1_14transform_implILb0ES3_S5_PfN6thrust23THRUST_200600_302600_NS6detail15normal_iteratorINS9_10device_ptrIfEEEENS0_8identityIfEEEE10hipError_tT2_T3_mT4_P12ihipStream_tbEUlT_E_NS1_11comp_targetILNS1_3genE10ELNS1_11target_archE1201ELNS1_3gpuE5ELNS1_3repE0EEENS1_30default_config_static_selectorELNS0_4arch9wavefront6targetE1EEEvT1_.num_agpr, 0
	.set _ZN7rocprim17ROCPRIM_400000_NS6detail17trampoline_kernelINS0_14default_configENS1_25transform_config_selectorIfLb0EEEZNS1_14transform_implILb0ES3_S5_PfN6thrust23THRUST_200600_302600_NS6detail15normal_iteratorINS9_10device_ptrIfEEEENS0_8identityIfEEEE10hipError_tT2_T3_mT4_P12ihipStream_tbEUlT_E_NS1_11comp_targetILNS1_3genE10ELNS1_11target_archE1201ELNS1_3gpuE5ELNS1_3repE0EEENS1_30default_config_static_selectorELNS0_4arch9wavefront6targetE1EEEvT1_.numbered_sgpr, 0
	.set _ZN7rocprim17ROCPRIM_400000_NS6detail17trampoline_kernelINS0_14default_configENS1_25transform_config_selectorIfLb0EEEZNS1_14transform_implILb0ES3_S5_PfN6thrust23THRUST_200600_302600_NS6detail15normal_iteratorINS9_10device_ptrIfEEEENS0_8identityIfEEEE10hipError_tT2_T3_mT4_P12ihipStream_tbEUlT_E_NS1_11comp_targetILNS1_3genE10ELNS1_11target_archE1201ELNS1_3gpuE5ELNS1_3repE0EEENS1_30default_config_static_selectorELNS0_4arch9wavefront6targetE1EEEvT1_.num_named_barrier, 0
	.set _ZN7rocprim17ROCPRIM_400000_NS6detail17trampoline_kernelINS0_14default_configENS1_25transform_config_selectorIfLb0EEEZNS1_14transform_implILb0ES3_S5_PfN6thrust23THRUST_200600_302600_NS6detail15normal_iteratorINS9_10device_ptrIfEEEENS0_8identityIfEEEE10hipError_tT2_T3_mT4_P12ihipStream_tbEUlT_E_NS1_11comp_targetILNS1_3genE10ELNS1_11target_archE1201ELNS1_3gpuE5ELNS1_3repE0EEENS1_30default_config_static_selectorELNS0_4arch9wavefront6targetE1EEEvT1_.private_seg_size, 0
	.set _ZN7rocprim17ROCPRIM_400000_NS6detail17trampoline_kernelINS0_14default_configENS1_25transform_config_selectorIfLb0EEEZNS1_14transform_implILb0ES3_S5_PfN6thrust23THRUST_200600_302600_NS6detail15normal_iteratorINS9_10device_ptrIfEEEENS0_8identityIfEEEE10hipError_tT2_T3_mT4_P12ihipStream_tbEUlT_E_NS1_11comp_targetILNS1_3genE10ELNS1_11target_archE1201ELNS1_3gpuE5ELNS1_3repE0EEENS1_30default_config_static_selectorELNS0_4arch9wavefront6targetE1EEEvT1_.uses_vcc, 0
	.set _ZN7rocprim17ROCPRIM_400000_NS6detail17trampoline_kernelINS0_14default_configENS1_25transform_config_selectorIfLb0EEEZNS1_14transform_implILb0ES3_S5_PfN6thrust23THRUST_200600_302600_NS6detail15normal_iteratorINS9_10device_ptrIfEEEENS0_8identityIfEEEE10hipError_tT2_T3_mT4_P12ihipStream_tbEUlT_E_NS1_11comp_targetILNS1_3genE10ELNS1_11target_archE1201ELNS1_3gpuE5ELNS1_3repE0EEENS1_30default_config_static_selectorELNS0_4arch9wavefront6targetE1EEEvT1_.uses_flat_scratch, 0
	.set _ZN7rocprim17ROCPRIM_400000_NS6detail17trampoline_kernelINS0_14default_configENS1_25transform_config_selectorIfLb0EEEZNS1_14transform_implILb0ES3_S5_PfN6thrust23THRUST_200600_302600_NS6detail15normal_iteratorINS9_10device_ptrIfEEEENS0_8identityIfEEEE10hipError_tT2_T3_mT4_P12ihipStream_tbEUlT_E_NS1_11comp_targetILNS1_3genE10ELNS1_11target_archE1201ELNS1_3gpuE5ELNS1_3repE0EEENS1_30default_config_static_selectorELNS0_4arch9wavefront6targetE1EEEvT1_.has_dyn_sized_stack, 0
	.set _ZN7rocprim17ROCPRIM_400000_NS6detail17trampoline_kernelINS0_14default_configENS1_25transform_config_selectorIfLb0EEEZNS1_14transform_implILb0ES3_S5_PfN6thrust23THRUST_200600_302600_NS6detail15normal_iteratorINS9_10device_ptrIfEEEENS0_8identityIfEEEE10hipError_tT2_T3_mT4_P12ihipStream_tbEUlT_E_NS1_11comp_targetILNS1_3genE10ELNS1_11target_archE1201ELNS1_3gpuE5ELNS1_3repE0EEENS1_30default_config_static_selectorELNS0_4arch9wavefront6targetE1EEEvT1_.has_recursion, 0
	.set _ZN7rocprim17ROCPRIM_400000_NS6detail17trampoline_kernelINS0_14default_configENS1_25transform_config_selectorIfLb0EEEZNS1_14transform_implILb0ES3_S5_PfN6thrust23THRUST_200600_302600_NS6detail15normal_iteratorINS9_10device_ptrIfEEEENS0_8identityIfEEEE10hipError_tT2_T3_mT4_P12ihipStream_tbEUlT_E_NS1_11comp_targetILNS1_3genE10ELNS1_11target_archE1201ELNS1_3gpuE5ELNS1_3repE0EEENS1_30default_config_static_selectorELNS0_4arch9wavefront6targetE1EEEvT1_.has_indirect_call, 0
	.section	.AMDGPU.csdata,"",@progbits
; Kernel info:
; codeLenInByte = 0
; TotalNumSgprs: 6
; NumVgprs: 0
; NumAgprs: 0
; TotalNumVgprs: 0
; ScratchSize: 0
; MemoryBound: 0
; FloatMode: 240
; IeeeMode: 1
; LDSByteSize: 0 bytes/workgroup (compile time only)
; SGPRBlocks: 0
; VGPRBlocks: 0
; NumSGPRsForWavesPerEU: 6
; NumVGPRsForWavesPerEU: 1
; AccumOffset: 4
; Occupancy: 8
; WaveLimiterHint : 0
; COMPUTE_PGM_RSRC2:SCRATCH_EN: 0
; COMPUTE_PGM_RSRC2:USER_SGPR: 2
; COMPUTE_PGM_RSRC2:TRAP_HANDLER: 0
; COMPUTE_PGM_RSRC2:TGID_X_EN: 1
; COMPUTE_PGM_RSRC2:TGID_Y_EN: 0
; COMPUTE_PGM_RSRC2:TGID_Z_EN: 0
; COMPUTE_PGM_RSRC2:TIDIG_COMP_CNT: 0
; COMPUTE_PGM_RSRC3_GFX90A:ACCUM_OFFSET: 0
; COMPUTE_PGM_RSRC3_GFX90A:TG_SPLIT: 0
	.section	.text._ZN7rocprim17ROCPRIM_400000_NS6detail17trampoline_kernelINS0_14default_configENS1_25transform_config_selectorIfLb0EEEZNS1_14transform_implILb0ES3_S5_PfN6thrust23THRUST_200600_302600_NS6detail15normal_iteratorINS9_10device_ptrIfEEEENS0_8identityIfEEEE10hipError_tT2_T3_mT4_P12ihipStream_tbEUlT_E_NS1_11comp_targetILNS1_3genE10ELNS1_11target_archE1200ELNS1_3gpuE4ELNS1_3repE0EEENS1_30default_config_static_selectorELNS0_4arch9wavefront6targetE1EEEvT1_,"axG",@progbits,_ZN7rocprim17ROCPRIM_400000_NS6detail17trampoline_kernelINS0_14default_configENS1_25transform_config_selectorIfLb0EEEZNS1_14transform_implILb0ES3_S5_PfN6thrust23THRUST_200600_302600_NS6detail15normal_iteratorINS9_10device_ptrIfEEEENS0_8identityIfEEEE10hipError_tT2_T3_mT4_P12ihipStream_tbEUlT_E_NS1_11comp_targetILNS1_3genE10ELNS1_11target_archE1200ELNS1_3gpuE4ELNS1_3repE0EEENS1_30default_config_static_selectorELNS0_4arch9wavefront6targetE1EEEvT1_,comdat
	.protected	_ZN7rocprim17ROCPRIM_400000_NS6detail17trampoline_kernelINS0_14default_configENS1_25transform_config_selectorIfLb0EEEZNS1_14transform_implILb0ES3_S5_PfN6thrust23THRUST_200600_302600_NS6detail15normal_iteratorINS9_10device_ptrIfEEEENS0_8identityIfEEEE10hipError_tT2_T3_mT4_P12ihipStream_tbEUlT_E_NS1_11comp_targetILNS1_3genE10ELNS1_11target_archE1200ELNS1_3gpuE4ELNS1_3repE0EEENS1_30default_config_static_selectorELNS0_4arch9wavefront6targetE1EEEvT1_ ; -- Begin function _ZN7rocprim17ROCPRIM_400000_NS6detail17trampoline_kernelINS0_14default_configENS1_25transform_config_selectorIfLb0EEEZNS1_14transform_implILb0ES3_S5_PfN6thrust23THRUST_200600_302600_NS6detail15normal_iteratorINS9_10device_ptrIfEEEENS0_8identityIfEEEE10hipError_tT2_T3_mT4_P12ihipStream_tbEUlT_E_NS1_11comp_targetILNS1_3genE10ELNS1_11target_archE1200ELNS1_3gpuE4ELNS1_3repE0EEENS1_30default_config_static_selectorELNS0_4arch9wavefront6targetE1EEEvT1_
	.globl	_ZN7rocprim17ROCPRIM_400000_NS6detail17trampoline_kernelINS0_14default_configENS1_25transform_config_selectorIfLb0EEEZNS1_14transform_implILb0ES3_S5_PfN6thrust23THRUST_200600_302600_NS6detail15normal_iteratorINS9_10device_ptrIfEEEENS0_8identityIfEEEE10hipError_tT2_T3_mT4_P12ihipStream_tbEUlT_E_NS1_11comp_targetILNS1_3genE10ELNS1_11target_archE1200ELNS1_3gpuE4ELNS1_3repE0EEENS1_30default_config_static_selectorELNS0_4arch9wavefront6targetE1EEEvT1_
	.p2align	8
	.type	_ZN7rocprim17ROCPRIM_400000_NS6detail17trampoline_kernelINS0_14default_configENS1_25transform_config_selectorIfLb0EEEZNS1_14transform_implILb0ES3_S5_PfN6thrust23THRUST_200600_302600_NS6detail15normal_iteratorINS9_10device_ptrIfEEEENS0_8identityIfEEEE10hipError_tT2_T3_mT4_P12ihipStream_tbEUlT_E_NS1_11comp_targetILNS1_3genE10ELNS1_11target_archE1200ELNS1_3gpuE4ELNS1_3repE0EEENS1_30default_config_static_selectorELNS0_4arch9wavefront6targetE1EEEvT1_,@function
_ZN7rocprim17ROCPRIM_400000_NS6detail17trampoline_kernelINS0_14default_configENS1_25transform_config_selectorIfLb0EEEZNS1_14transform_implILb0ES3_S5_PfN6thrust23THRUST_200600_302600_NS6detail15normal_iteratorINS9_10device_ptrIfEEEENS0_8identityIfEEEE10hipError_tT2_T3_mT4_P12ihipStream_tbEUlT_E_NS1_11comp_targetILNS1_3genE10ELNS1_11target_archE1200ELNS1_3gpuE4ELNS1_3repE0EEENS1_30default_config_static_selectorELNS0_4arch9wavefront6targetE1EEEvT1_: ; @_ZN7rocprim17ROCPRIM_400000_NS6detail17trampoline_kernelINS0_14default_configENS1_25transform_config_selectorIfLb0EEEZNS1_14transform_implILb0ES3_S5_PfN6thrust23THRUST_200600_302600_NS6detail15normal_iteratorINS9_10device_ptrIfEEEENS0_8identityIfEEEE10hipError_tT2_T3_mT4_P12ihipStream_tbEUlT_E_NS1_11comp_targetILNS1_3genE10ELNS1_11target_archE1200ELNS1_3gpuE4ELNS1_3repE0EEENS1_30default_config_static_selectorELNS0_4arch9wavefront6targetE1EEEvT1_
; %bb.0:
	.section	.rodata,"a",@progbits
	.p2align	6, 0x0
	.amdhsa_kernel _ZN7rocprim17ROCPRIM_400000_NS6detail17trampoline_kernelINS0_14default_configENS1_25transform_config_selectorIfLb0EEEZNS1_14transform_implILb0ES3_S5_PfN6thrust23THRUST_200600_302600_NS6detail15normal_iteratorINS9_10device_ptrIfEEEENS0_8identityIfEEEE10hipError_tT2_T3_mT4_P12ihipStream_tbEUlT_E_NS1_11comp_targetILNS1_3genE10ELNS1_11target_archE1200ELNS1_3gpuE4ELNS1_3repE0EEENS1_30default_config_static_selectorELNS0_4arch9wavefront6targetE1EEEvT1_
		.amdhsa_group_segment_fixed_size 0
		.amdhsa_private_segment_fixed_size 0
		.amdhsa_kernarg_size 40
		.amdhsa_user_sgpr_count 2
		.amdhsa_user_sgpr_dispatch_ptr 0
		.amdhsa_user_sgpr_queue_ptr 0
		.amdhsa_user_sgpr_kernarg_segment_ptr 1
		.amdhsa_user_sgpr_dispatch_id 0
		.amdhsa_user_sgpr_kernarg_preload_length 0
		.amdhsa_user_sgpr_kernarg_preload_offset 0
		.amdhsa_user_sgpr_private_segment_size 0
		.amdhsa_uses_dynamic_stack 0
		.amdhsa_enable_private_segment 0
		.amdhsa_system_sgpr_workgroup_id_x 1
		.amdhsa_system_sgpr_workgroup_id_y 0
		.amdhsa_system_sgpr_workgroup_id_z 0
		.amdhsa_system_sgpr_workgroup_info 0
		.amdhsa_system_vgpr_workitem_id 0
		.amdhsa_next_free_vgpr 1
		.amdhsa_next_free_sgpr 0
		.amdhsa_accum_offset 4
		.amdhsa_reserve_vcc 0
		.amdhsa_float_round_mode_32 0
		.amdhsa_float_round_mode_16_64 0
		.amdhsa_float_denorm_mode_32 3
		.amdhsa_float_denorm_mode_16_64 3
		.amdhsa_dx10_clamp 1
		.amdhsa_ieee_mode 1
		.amdhsa_fp16_overflow 0
		.amdhsa_tg_split 0
		.amdhsa_exception_fp_ieee_invalid_op 0
		.amdhsa_exception_fp_denorm_src 0
		.amdhsa_exception_fp_ieee_div_zero 0
		.amdhsa_exception_fp_ieee_overflow 0
		.amdhsa_exception_fp_ieee_underflow 0
		.amdhsa_exception_fp_ieee_inexact 0
		.amdhsa_exception_int_div_zero 0
	.end_amdhsa_kernel
	.section	.text._ZN7rocprim17ROCPRIM_400000_NS6detail17trampoline_kernelINS0_14default_configENS1_25transform_config_selectorIfLb0EEEZNS1_14transform_implILb0ES3_S5_PfN6thrust23THRUST_200600_302600_NS6detail15normal_iteratorINS9_10device_ptrIfEEEENS0_8identityIfEEEE10hipError_tT2_T3_mT4_P12ihipStream_tbEUlT_E_NS1_11comp_targetILNS1_3genE10ELNS1_11target_archE1200ELNS1_3gpuE4ELNS1_3repE0EEENS1_30default_config_static_selectorELNS0_4arch9wavefront6targetE1EEEvT1_,"axG",@progbits,_ZN7rocprim17ROCPRIM_400000_NS6detail17trampoline_kernelINS0_14default_configENS1_25transform_config_selectorIfLb0EEEZNS1_14transform_implILb0ES3_S5_PfN6thrust23THRUST_200600_302600_NS6detail15normal_iteratorINS9_10device_ptrIfEEEENS0_8identityIfEEEE10hipError_tT2_T3_mT4_P12ihipStream_tbEUlT_E_NS1_11comp_targetILNS1_3genE10ELNS1_11target_archE1200ELNS1_3gpuE4ELNS1_3repE0EEENS1_30default_config_static_selectorELNS0_4arch9wavefront6targetE1EEEvT1_,comdat
.Lfunc_end529:
	.size	_ZN7rocprim17ROCPRIM_400000_NS6detail17trampoline_kernelINS0_14default_configENS1_25transform_config_selectorIfLb0EEEZNS1_14transform_implILb0ES3_S5_PfN6thrust23THRUST_200600_302600_NS6detail15normal_iteratorINS9_10device_ptrIfEEEENS0_8identityIfEEEE10hipError_tT2_T3_mT4_P12ihipStream_tbEUlT_E_NS1_11comp_targetILNS1_3genE10ELNS1_11target_archE1200ELNS1_3gpuE4ELNS1_3repE0EEENS1_30default_config_static_selectorELNS0_4arch9wavefront6targetE1EEEvT1_, .Lfunc_end529-_ZN7rocprim17ROCPRIM_400000_NS6detail17trampoline_kernelINS0_14default_configENS1_25transform_config_selectorIfLb0EEEZNS1_14transform_implILb0ES3_S5_PfN6thrust23THRUST_200600_302600_NS6detail15normal_iteratorINS9_10device_ptrIfEEEENS0_8identityIfEEEE10hipError_tT2_T3_mT4_P12ihipStream_tbEUlT_E_NS1_11comp_targetILNS1_3genE10ELNS1_11target_archE1200ELNS1_3gpuE4ELNS1_3repE0EEENS1_30default_config_static_selectorELNS0_4arch9wavefront6targetE1EEEvT1_
                                        ; -- End function
	.set _ZN7rocprim17ROCPRIM_400000_NS6detail17trampoline_kernelINS0_14default_configENS1_25transform_config_selectorIfLb0EEEZNS1_14transform_implILb0ES3_S5_PfN6thrust23THRUST_200600_302600_NS6detail15normal_iteratorINS9_10device_ptrIfEEEENS0_8identityIfEEEE10hipError_tT2_T3_mT4_P12ihipStream_tbEUlT_E_NS1_11comp_targetILNS1_3genE10ELNS1_11target_archE1200ELNS1_3gpuE4ELNS1_3repE0EEENS1_30default_config_static_selectorELNS0_4arch9wavefront6targetE1EEEvT1_.num_vgpr, 0
	.set _ZN7rocprim17ROCPRIM_400000_NS6detail17trampoline_kernelINS0_14default_configENS1_25transform_config_selectorIfLb0EEEZNS1_14transform_implILb0ES3_S5_PfN6thrust23THRUST_200600_302600_NS6detail15normal_iteratorINS9_10device_ptrIfEEEENS0_8identityIfEEEE10hipError_tT2_T3_mT4_P12ihipStream_tbEUlT_E_NS1_11comp_targetILNS1_3genE10ELNS1_11target_archE1200ELNS1_3gpuE4ELNS1_3repE0EEENS1_30default_config_static_selectorELNS0_4arch9wavefront6targetE1EEEvT1_.num_agpr, 0
	.set _ZN7rocprim17ROCPRIM_400000_NS6detail17trampoline_kernelINS0_14default_configENS1_25transform_config_selectorIfLb0EEEZNS1_14transform_implILb0ES3_S5_PfN6thrust23THRUST_200600_302600_NS6detail15normal_iteratorINS9_10device_ptrIfEEEENS0_8identityIfEEEE10hipError_tT2_T3_mT4_P12ihipStream_tbEUlT_E_NS1_11comp_targetILNS1_3genE10ELNS1_11target_archE1200ELNS1_3gpuE4ELNS1_3repE0EEENS1_30default_config_static_selectorELNS0_4arch9wavefront6targetE1EEEvT1_.numbered_sgpr, 0
	.set _ZN7rocprim17ROCPRIM_400000_NS6detail17trampoline_kernelINS0_14default_configENS1_25transform_config_selectorIfLb0EEEZNS1_14transform_implILb0ES3_S5_PfN6thrust23THRUST_200600_302600_NS6detail15normal_iteratorINS9_10device_ptrIfEEEENS0_8identityIfEEEE10hipError_tT2_T3_mT4_P12ihipStream_tbEUlT_E_NS1_11comp_targetILNS1_3genE10ELNS1_11target_archE1200ELNS1_3gpuE4ELNS1_3repE0EEENS1_30default_config_static_selectorELNS0_4arch9wavefront6targetE1EEEvT1_.num_named_barrier, 0
	.set _ZN7rocprim17ROCPRIM_400000_NS6detail17trampoline_kernelINS0_14default_configENS1_25transform_config_selectorIfLb0EEEZNS1_14transform_implILb0ES3_S5_PfN6thrust23THRUST_200600_302600_NS6detail15normal_iteratorINS9_10device_ptrIfEEEENS0_8identityIfEEEE10hipError_tT2_T3_mT4_P12ihipStream_tbEUlT_E_NS1_11comp_targetILNS1_3genE10ELNS1_11target_archE1200ELNS1_3gpuE4ELNS1_3repE0EEENS1_30default_config_static_selectorELNS0_4arch9wavefront6targetE1EEEvT1_.private_seg_size, 0
	.set _ZN7rocprim17ROCPRIM_400000_NS6detail17trampoline_kernelINS0_14default_configENS1_25transform_config_selectorIfLb0EEEZNS1_14transform_implILb0ES3_S5_PfN6thrust23THRUST_200600_302600_NS6detail15normal_iteratorINS9_10device_ptrIfEEEENS0_8identityIfEEEE10hipError_tT2_T3_mT4_P12ihipStream_tbEUlT_E_NS1_11comp_targetILNS1_3genE10ELNS1_11target_archE1200ELNS1_3gpuE4ELNS1_3repE0EEENS1_30default_config_static_selectorELNS0_4arch9wavefront6targetE1EEEvT1_.uses_vcc, 0
	.set _ZN7rocprim17ROCPRIM_400000_NS6detail17trampoline_kernelINS0_14default_configENS1_25transform_config_selectorIfLb0EEEZNS1_14transform_implILb0ES3_S5_PfN6thrust23THRUST_200600_302600_NS6detail15normal_iteratorINS9_10device_ptrIfEEEENS0_8identityIfEEEE10hipError_tT2_T3_mT4_P12ihipStream_tbEUlT_E_NS1_11comp_targetILNS1_3genE10ELNS1_11target_archE1200ELNS1_3gpuE4ELNS1_3repE0EEENS1_30default_config_static_selectorELNS0_4arch9wavefront6targetE1EEEvT1_.uses_flat_scratch, 0
	.set _ZN7rocprim17ROCPRIM_400000_NS6detail17trampoline_kernelINS0_14default_configENS1_25transform_config_selectorIfLb0EEEZNS1_14transform_implILb0ES3_S5_PfN6thrust23THRUST_200600_302600_NS6detail15normal_iteratorINS9_10device_ptrIfEEEENS0_8identityIfEEEE10hipError_tT2_T3_mT4_P12ihipStream_tbEUlT_E_NS1_11comp_targetILNS1_3genE10ELNS1_11target_archE1200ELNS1_3gpuE4ELNS1_3repE0EEENS1_30default_config_static_selectorELNS0_4arch9wavefront6targetE1EEEvT1_.has_dyn_sized_stack, 0
	.set _ZN7rocprim17ROCPRIM_400000_NS6detail17trampoline_kernelINS0_14default_configENS1_25transform_config_selectorIfLb0EEEZNS1_14transform_implILb0ES3_S5_PfN6thrust23THRUST_200600_302600_NS6detail15normal_iteratorINS9_10device_ptrIfEEEENS0_8identityIfEEEE10hipError_tT2_T3_mT4_P12ihipStream_tbEUlT_E_NS1_11comp_targetILNS1_3genE10ELNS1_11target_archE1200ELNS1_3gpuE4ELNS1_3repE0EEENS1_30default_config_static_selectorELNS0_4arch9wavefront6targetE1EEEvT1_.has_recursion, 0
	.set _ZN7rocprim17ROCPRIM_400000_NS6detail17trampoline_kernelINS0_14default_configENS1_25transform_config_selectorIfLb0EEEZNS1_14transform_implILb0ES3_S5_PfN6thrust23THRUST_200600_302600_NS6detail15normal_iteratorINS9_10device_ptrIfEEEENS0_8identityIfEEEE10hipError_tT2_T3_mT4_P12ihipStream_tbEUlT_E_NS1_11comp_targetILNS1_3genE10ELNS1_11target_archE1200ELNS1_3gpuE4ELNS1_3repE0EEENS1_30default_config_static_selectorELNS0_4arch9wavefront6targetE1EEEvT1_.has_indirect_call, 0
	.section	.AMDGPU.csdata,"",@progbits
; Kernel info:
; codeLenInByte = 0
; TotalNumSgprs: 6
; NumVgprs: 0
; NumAgprs: 0
; TotalNumVgprs: 0
; ScratchSize: 0
; MemoryBound: 0
; FloatMode: 240
; IeeeMode: 1
; LDSByteSize: 0 bytes/workgroup (compile time only)
; SGPRBlocks: 0
; VGPRBlocks: 0
; NumSGPRsForWavesPerEU: 6
; NumVGPRsForWavesPerEU: 1
; AccumOffset: 4
; Occupancy: 8
; WaveLimiterHint : 0
; COMPUTE_PGM_RSRC2:SCRATCH_EN: 0
; COMPUTE_PGM_RSRC2:USER_SGPR: 2
; COMPUTE_PGM_RSRC2:TRAP_HANDLER: 0
; COMPUTE_PGM_RSRC2:TGID_X_EN: 1
; COMPUTE_PGM_RSRC2:TGID_Y_EN: 0
; COMPUTE_PGM_RSRC2:TGID_Z_EN: 0
; COMPUTE_PGM_RSRC2:TIDIG_COMP_CNT: 0
; COMPUTE_PGM_RSRC3_GFX90A:ACCUM_OFFSET: 0
; COMPUTE_PGM_RSRC3_GFX90A:TG_SPLIT: 0
	.section	.text._ZN7rocprim17ROCPRIM_400000_NS6detail17trampoline_kernelINS0_14default_configENS1_25transform_config_selectorIfLb0EEEZNS1_14transform_implILb0ES3_S5_PfN6thrust23THRUST_200600_302600_NS6detail15normal_iteratorINS9_10device_ptrIfEEEENS0_8identityIfEEEE10hipError_tT2_T3_mT4_P12ihipStream_tbEUlT_E_NS1_11comp_targetILNS1_3genE9ELNS1_11target_archE1100ELNS1_3gpuE3ELNS1_3repE0EEENS1_30default_config_static_selectorELNS0_4arch9wavefront6targetE1EEEvT1_,"axG",@progbits,_ZN7rocprim17ROCPRIM_400000_NS6detail17trampoline_kernelINS0_14default_configENS1_25transform_config_selectorIfLb0EEEZNS1_14transform_implILb0ES3_S5_PfN6thrust23THRUST_200600_302600_NS6detail15normal_iteratorINS9_10device_ptrIfEEEENS0_8identityIfEEEE10hipError_tT2_T3_mT4_P12ihipStream_tbEUlT_E_NS1_11comp_targetILNS1_3genE9ELNS1_11target_archE1100ELNS1_3gpuE3ELNS1_3repE0EEENS1_30default_config_static_selectorELNS0_4arch9wavefront6targetE1EEEvT1_,comdat
	.protected	_ZN7rocprim17ROCPRIM_400000_NS6detail17trampoline_kernelINS0_14default_configENS1_25transform_config_selectorIfLb0EEEZNS1_14transform_implILb0ES3_S5_PfN6thrust23THRUST_200600_302600_NS6detail15normal_iteratorINS9_10device_ptrIfEEEENS0_8identityIfEEEE10hipError_tT2_T3_mT4_P12ihipStream_tbEUlT_E_NS1_11comp_targetILNS1_3genE9ELNS1_11target_archE1100ELNS1_3gpuE3ELNS1_3repE0EEENS1_30default_config_static_selectorELNS0_4arch9wavefront6targetE1EEEvT1_ ; -- Begin function _ZN7rocprim17ROCPRIM_400000_NS6detail17trampoline_kernelINS0_14default_configENS1_25transform_config_selectorIfLb0EEEZNS1_14transform_implILb0ES3_S5_PfN6thrust23THRUST_200600_302600_NS6detail15normal_iteratorINS9_10device_ptrIfEEEENS0_8identityIfEEEE10hipError_tT2_T3_mT4_P12ihipStream_tbEUlT_E_NS1_11comp_targetILNS1_3genE9ELNS1_11target_archE1100ELNS1_3gpuE3ELNS1_3repE0EEENS1_30default_config_static_selectorELNS0_4arch9wavefront6targetE1EEEvT1_
	.globl	_ZN7rocprim17ROCPRIM_400000_NS6detail17trampoline_kernelINS0_14default_configENS1_25transform_config_selectorIfLb0EEEZNS1_14transform_implILb0ES3_S5_PfN6thrust23THRUST_200600_302600_NS6detail15normal_iteratorINS9_10device_ptrIfEEEENS0_8identityIfEEEE10hipError_tT2_T3_mT4_P12ihipStream_tbEUlT_E_NS1_11comp_targetILNS1_3genE9ELNS1_11target_archE1100ELNS1_3gpuE3ELNS1_3repE0EEENS1_30default_config_static_selectorELNS0_4arch9wavefront6targetE1EEEvT1_
	.p2align	8
	.type	_ZN7rocprim17ROCPRIM_400000_NS6detail17trampoline_kernelINS0_14default_configENS1_25transform_config_selectorIfLb0EEEZNS1_14transform_implILb0ES3_S5_PfN6thrust23THRUST_200600_302600_NS6detail15normal_iteratorINS9_10device_ptrIfEEEENS0_8identityIfEEEE10hipError_tT2_T3_mT4_P12ihipStream_tbEUlT_E_NS1_11comp_targetILNS1_3genE9ELNS1_11target_archE1100ELNS1_3gpuE3ELNS1_3repE0EEENS1_30default_config_static_selectorELNS0_4arch9wavefront6targetE1EEEvT1_,@function
_ZN7rocprim17ROCPRIM_400000_NS6detail17trampoline_kernelINS0_14default_configENS1_25transform_config_selectorIfLb0EEEZNS1_14transform_implILb0ES3_S5_PfN6thrust23THRUST_200600_302600_NS6detail15normal_iteratorINS9_10device_ptrIfEEEENS0_8identityIfEEEE10hipError_tT2_T3_mT4_P12ihipStream_tbEUlT_E_NS1_11comp_targetILNS1_3genE9ELNS1_11target_archE1100ELNS1_3gpuE3ELNS1_3repE0EEENS1_30default_config_static_selectorELNS0_4arch9wavefront6targetE1EEEvT1_: ; @_ZN7rocprim17ROCPRIM_400000_NS6detail17trampoline_kernelINS0_14default_configENS1_25transform_config_selectorIfLb0EEEZNS1_14transform_implILb0ES3_S5_PfN6thrust23THRUST_200600_302600_NS6detail15normal_iteratorINS9_10device_ptrIfEEEENS0_8identityIfEEEE10hipError_tT2_T3_mT4_P12ihipStream_tbEUlT_E_NS1_11comp_targetILNS1_3genE9ELNS1_11target_archE1100ELNS1_3gpuE3ELNS1_3repE0EEENS1_30default_config_static_selectorELNS0_4arch9wavefront6targetE1EEEvT1_
; %bb.0:
	.section	.rodata,"a",@progbits
	.p2align	6, 0x0
	.amdhsa_kernel _ZN7rocprim17ROCPRIM_400000_NS6detail17trampoline_kernelINS0_14default_configENS1_25transform_config_selectorIfLb0EEEZNS1_14transform_implILb0ES3_S5_PfN6thrust23THRUST_200600_302600_NS6detail15normal_iteratorINS9_10device_ptrIfEEEENS0_8identityIfEEEE10hipError_tT2_T3_mT4_P12ihipStream_tbEUlT_E_NS1_11comp_targetILNS1_3genE9ELNS1_11target_archE1100ELNS1_3gpuE3ELNS1_3repE0EEENS1_30default_config_static_selectorELNS0_4arch9wavefront6targetE1EEEvT1_
		.amdhsa_group_segment_fixed_size 0
		.amdhsa_private_segment_fixed_size 0
		.amdhsa_kernarg_size 40
		.amdhsa_user_sgpr_count 2
		.amdhsa_user_sgpr_dispatch_ptr 0
		.amdhsa_user_sgpr_queue_ptr 0
		.amdhsa_user_sgpr_kernarg_segment_ptr 1
		.amdhsa_user_sgpr_dispatch_id 0
		.amdhsa_user_sgpr_kernarg_preload_length 0
		.amdhsa_user_sgpr_kernarg_preload_offset 0
		.amdhsa_user_sgpr_private_segment_size 0
		.amdhsa_uses_dynamic_stack 0
		.amdhsa_enable_private_segment 0
		.amdhsa_system_sgpr_workgroup_id_x 1
		.amdhsa_system_sgpr_workgroup_id_y 0
		.amdhsa_system_sgpr_workgroup_id_z 0
		.amdhsa_system_sgpr_workgroup_info 0
		.amdhsa_system_vgpr_workitem_id 0
		.amdhsa_next_free_vgpr 1
		.amdhsa_next_free_sgpr 0
		.amdhsa_accum_offset 4
		.amdhsa_reserve_vcc 0
		.amdhsa_float_round_mode_32 0
		.amdhsa_float_round_mode_16_64 0
		.amdhsa_float_denorm_mode_32 3
		.amdhsa_float_denorm_mode_16_64 3
		.amdhsa_dx10_clamp 1
		.amdhsa_ieee_mode 1
		.amdhsa_fp16_overflow 0
		.amdhsa_tg_split 0
		.amdhsa_exception_fp_ieee_invalid_op 0
		.amdhsa_exception_fp_denorm_src 0
		.amdhsa_exception_fp_ieee_div_zero 0
		.amdhsa_exception_fp_ieee_overflow 0
		.amdhsa_exception_fp_ieee_underflow 0
		.amdhsa_exception_fp_ieee_inexact 0
		.amdhsa_exception_int_div_zero 0
	.end_amdhsa_kernel
	.section	.text._ZN7rocprim17ROCPRIM_400000_NS6detail17trampoline_kernelINS0_14default_configENS1_25transform_config_selectorIfLb0EEEZNS1_14transform_implILb0ES3_S5_PfN6thrust23THRUST_200600_302600_NS6detail15normal_iteratorINS9_10device_ptrIfEEEENS0_8identityIfEEEE10hipError_tT2_T3_mT4_P12ihipStream_tbEUlT_E_NS1_11comp_targetILNS1_3genE9ELNS1_11target_archE1100ELNS1_3gpuE3ELNS1_3repE0EEENS1_30default_config_static_selectorELNS0_4arch9wavefront6targetE1EEEvT1_,"axG",@progbits,_ZN7rocprim17ROCPRIM_400000_NS6detail17trampoline_kernelINS0_14default_configENS1_25transform_config_selectorIfLb0EEEZNS1_14transform_implILb0ES3_S5_PfN6thrust23THRUST_200600_302600_NS6detail15normal_iteratorINS9_10device_ptrIfEEEENS0_8identityIfEEEE10hipError_tT2_T3_mT4_P12ihipStream_tbEUlT_E_NS1_11comp_targetILNS1_3genE9ELNS1_11target_archE1100ELNS1_3gpuE3ELNS1_3repE0EEENS1_30default_config_static_selectorELNS0_4arch9wavefront6targetE1EEEvT1_,comdat
.Lfunc_end530:
	.size	_ZN7rocprim17ROCPRIM_400000_NS6detail17trampoline_kernelINS0_14default_configENS1_25transform_config_selectorIfLb0EEEZNS1_14transform_implILb0ES3_S5_PfN6thrust23THRUST_200600_302600_NS6detail15normal_iteratorINS9_10device_ptrIfEEEENS0_8identityIfEEEE10hipError_tT2_T3_mT4_P12ihipStream_tbEUlT_E_NS1_11comp_targetILNS1_3genE9ELNS1_11target_archE1100ELNS1_3gpuE3ELNS1_3repE0EEENS1_30default_config_static_selectorELNS0_4arch9wavefront6targetE1EEEvT1_, .Lfunc_end530-_ZN7rocprim17ROCPRIM_400000_NS6detail17trampoline_kernelINS0_14default_configENS1_25transform_config_selectorIfLb0EEEZNS1_14transform_implILb0ES3_S5_PfN6thrust23THRUST_200600_302600_NS6detail15normal_iteratorINS9_10device_ptrIfEEEENS0_8identityIfEEEE10hipError_tT2_T3_mT4_P12ihipStream_tbEUlT_E_NS1_11comp_targetILNS1_3genE9ELNS1_11target_archE1100ELNS1_3gpuE3ELNS1_3repE0EEENS1_30default_config_static_selectorELNS0_4arch9wavefront6targetE1EEEvT1_
                                        ; -- End function
	.set _ZN7rocprim17ROCPRIM_400000_NS6detail17trampoline_kernelINS0_14default_configENS1_25transform_config_selectorIfLb0EEEZNS1_14transform_implILb0ES3_S5_PfN6thrust23THRUST_200600_302600_NS6detail15normal_iteratorINS9_10device_ptrIfEEEENS0_8identityIfEEEE10hipError_tT2_T3_mT4_P12ihipStream_tbEUlT_E_NS1_11comp_targetILNS1_3genE9ELNS1_11target_archE1100ELNS1_3gpuE3ELNS1_3repE0EEENS1_30default_config_static_selectorELNS0_4arch9wavefront6targetE1EEEvT1_.num_vgpr, 0
	.set _ZN7rocprim17ROCPRIM_400000_NS6detail17trampoline_kernelINS0_14default_configENS1_25transform_config_selectorIfLb0EEEZNS1_14transform_implILb0ES3_S5_PfN6thrust23THRUST_200600_302600_NS6detail15normal_iteratorINS9_10device_ptrIfEEEENS0_8identityIfEEEE10hipError_tT2_T3_mT4_P12ihipStream_tbEUlT_E_NS1_11comp_targetILNS1_3genE9ELNS1_11target_archE1100ELNS1_3gpuE3ELNS1_3repE0EEENS1_30default_config_static_selectorELNS0_4arch9wavefront6targetE1EEEvT1_.num_agpr, 0
	.set _ZN7rocprim17ROCPRIM_400000_NS6detail17trampoline_kernelINS0_14default_configENS1_25transform_config_selectorIfLb0EEEZNS1_14transform_implILb0ES3_S5_PfN6thrust23THRUST_200600_302600_NS6detail15normal_iteratorINS9_10device_ptrIfEEEENS0_8identityIfEEEE10hipError_tT2_T3_mT4_P12ihipStream_tbEUlT_E_NS1_11comp_targetILNS1_3genE9ELNS1_11target_archE1100ELNS1_3gpuE3ELNS1_3repE0EEENS1_30default_config_static_selectorELNS0_4arch9wavefront6targetE1EEEvT1_.numbered_sgpr, 0
	.set _ZN7rocprim17ROCPRIM_400000_NS6detail17trampoline_kernelINS0_14default_configENS1_25transform_config_selectorIfLb0EEEZNS1_14transform_implILb0ES3_S5_PfN6thrust23THRUST_200600_302600_NS6detail15normal_iteratorINS9_10device_ptrIfEEEENS0_8identityIfEEEE10hipError_tT2_T3_mT4_P12ihipStream_tbEUlT_E_NS1_11comp_targetILNS1_3genE9ELNS1_11target_archE1100ELNS1_3gpuE3ELNS1_3repE0EEENS1_30default_config_static_selectorELNS0_4arch9wavefront6targetE1EEEvT1_.num_named_barrier, 0
	.set _ZN7rocprim17ROCPRIM_400000_NS6detail17trampoline_kernelINS0_14default_configENS1_25transform_config_selectorIfLb0EEEZNS1_14transform_implILb0ES3_S5_PfN6thrust23THRUST_200600_302600_NS6detail15normal_iteratorINS9_10device_ptrIfEEEENS0_8identityIfEEEE10hipError_tT2_T3_mT4_P12ihipStream_tbEUlT_E_NS1_11comp_targetILNS1_3genE9ELNS1_11target_archE1100ELNS1_3gpuE3ELNS1_3repE0EEENS1_30default_config_static_selectorELNS0_4arch9wavefront6targetE1EEEvT1_.private_seg_size, 0
	.set _ZN7rocprim17ROCPRIM_400000_NS6detail17trampoline_kernelINS0_14default_configENS1_25transform_config_selectorIfLb0EEEZNS1_14transform_implILb0ES3_S5_PfN6thrust23THRUST_200600_302600_NS6detail15normal_iteratorINS9_10device_ptrIfEEEENS0_8identityIfEEEE10hipError_tT2_T3_mT4_P12ihipStream_tbEUlT_E_NS1_11comp_targetILNS1_3genE9ELNS1_11target_archE1100ELNS1_3gpuE3ELNS1_3repE0EEENS1_30default_config_static_selectorELNS0_4arch9wavefront6targetE1EEEvT1_.uses_vcc, 0
	.set _ZN7rocprim17ROCPRIM_400000_NS6detail17trampoline_kernelINS0_14default_configENS1_25transform_config_selectorIfLb0EEEZNS1_14transform_implILb0ES3_S5_PfN6thrust23THRUST_200600_302600_NS6detail15normal_iteratorINS9_10device_ptrIfEEEENS0_8identityIfEEEE10hipError_tT2_T3_mT4_P12ihipStream_tbEUlT_E_NS1_11comp_targetILNS1_3genE9ELNS1_11target_archE1100ELNS1_3gpuE3ELNS1_3repE0EEENS1_30default_config_static_selectorELNS0_4arch9wavefront6targetE1EEEvT1_.uses_flat_scratch, 0
	.set _ZN7rocprim17ROCPRIM_400000_NS6detail17trampoline_kernelINS0_14default_configENS1_25transform_config_selectorIfLb0EEEZNS1_14transform_implILb0ES3_S5_PfN6thrust23THRUST_200600_302600_NS6detail15normal_iteratorINS9_10device_ptrIfEEEENS0_8identityIfEEEE10hipError_tT2_T3_mT4_P12ihipStream_tbEUlT_E_NS1_11comp_targetILNS1_3genE9ELNS1_11target_archE1100ELNS1_3gpuE3ELNS1_3repE0EEENS1_30default_config_static_selectorELNS0_4arch9wavefront6targetE1EEEvT1_.has_dyn_sized_stack, 0
	.set _ZN7rocprim17ROCPRIM_400000_NS6detail17trampoline_kernelINS0_14default_configENS1_25transform_config_selectorIfLb0EEEZNS1_14transform_implILb0ES3_S5_PfN6thrust23THRUST_200600_302600_NS6detail15normal_iteratorINS9_10device_ptrIfEEEENS0_8identityIfEEEE10hipError_tT2_T3_mT4_P12ihipStream_tbEUlT_E_NS1_11comp_targetILNS1_3genE9ELNS1_11target_archE1100ELNS1_3gpuE3ELNS1_3repE0EEENS1_30default_config_static_selectorELNS0_4arch9wavefront6targetE1EEEvT1_.has_recursion, 0
	.set _ZN7rocprim17ROCPRIM_400000_NS6detail17trampoline_kernelINS0_14default_configENS1_25transform_config_selectorIfLb0EEEZNS1_14transform_implILb0ES3_S5_PfN6thrust23THRUST_200600_302600_NS6detail15normal_iteratorINS9_10device_ptrIfEEEENS0_8identityIfEEEE10hipError_tT2_T3_mT4_P12ihipStream_tbEUlT_E_NS1_11comp_targetILNS1_3genE9ELNS1_11target_archE1100ELNS1_3gpuE3ELNS1_3repE0EEENS1_30default_config_static_selectorELNS0_4arch9wavefront6targetE1EEEvT1_.has_indirect_call, 0
	.section	.AMDGPU.csdata,"",@progbits
; Kernel info:
; codeLenInByte = 0
; TotalNumSgprs: 6
; NumVgprs: 0
; NumAgprs: 0
; TotalNumVgprs: 0
; ScratchSize: 0
; MemoryBound: 0
; FloatMode: 240
; IeeeMode: 1
; LDSByteSize: 0 bytes/workgroup (compile time only)
; SGPRBlocks: 0
; VGPRBlocks: 0
; NumSGPRsForWavesPerEU: 6
; NumVGPRsForWavesPerEU: 1
; AccumOffset: 4
; Occupancy: 8
; WaveLimiterHint : 0
; COMPUTE_PGM_RSRC2:SCRATCH_EN: 0
; COMPUTE_PGM_RSRC2:USER_SGPR: 2
; COMPUTE_PGM_RSRC2:TRAP_HANDLER: 0
; COMPUTE_PGM_RSRC2:TGID_X_EN: 1
; COMPUTE_PGM_RSRC2:TGID_Y_EN: 0
; COMPUTE_PGM_RSRC2:TGID_Z_EN: 0
; COMPUTE_PGM_RSRC2:TIDIG_COMP_CNT: 0
; COMPUTE_PGM_RSRC3_GFX90A:ACCUM_OFFSET: 0
; COMPUTE_PGM_RSRC3_GFX90A:TG_SPLIT: 0
	.section	.text._ZN7rocprim17ROCPRIM_400000_NS6detail17trampoline_kernelINS0_14default_configENS1_25transform_config_selectorIfLb0EEEZNS1_14transform_implILb0ES3_S5_PfN6thrust23THRUST_200600_302600_NS6detail15normal_iteratorINS9_10device_ptrIfEEEENS0_8identityIfEEEE10hipError_tT2_T3_mT4_P12ihipStream_tbEUlT_E_NS1_11comp_targetILNS1_3genE8ELNS1_11target_archE1030ELNS1_3gpuE2ELNS1_3repE0EEENS1_30default_config_static_selectorELNS0_4arch9wavefront6targetE1EEEvT1_,"axG",@progbits,_ZN7rocprim17ROCPRIM_400000_NS6detail17trampoline_kernelINS0_14default_configENS1_25transform_config_selectorIfLb0EEEZNS1_14transform_implILb0ES3_S5_PfN6thrust23THRUST_200600_302600_NS6detail15normal_iteratorINS9_10device_ptrIfEEEENS0_8identityIfEEEE10hipError_tT2_T3_mT4_P12ihipStream_tbEUlT_E_NS1_11comp_targetILNS1_3genE8ELNS1_11target_archE1030ELNS1_3gpuE2ELNS1_3repE0EEENS1_30default_config_static_selectorELNS0_4arch9wavefront6targetE1EEEvT1_,comdat
	.protected	_ZN7rocprim17ROCPRIM_400000_NS6detail17trampoline_kernelINS0_14default_configENS1_25transform_config_selectorIfLb0EEEZNS1_14transform_implILb0ES3_S5_PfN6thrust23THRUST_200600_302600_NS6detail15normal_iteratorINS9_10device_ptrIfEEEENS0_8identityIfEEEE10hipError_tT2_T3_mT4_P12ihipStream_tbEUlT_E_NS1_11comp_targetILNS1_3genE8ELNS1_11target_archE1030ELNS1_3gpuE2ELNS1_3repE0EEENS1_30default_config_static_selectorELNS0_4arch9wavefront6targetE1EEEvT1_ ; -- Begin function _ZN7rocprim17ROCPRIM_400000_NS6detail17trampoline_kernelINS0_14default_configENS1_25transform_config_selectorIfLb0EEEZNS1_14transform_implILb0ES3_S5_PfN6thrust23THRUST_200600_302600_NS6detail15normal_iteratorINS9_10device_ptrIfEEEENS0_8identityIfEEEE10hipError_tT2_T3_mT4_P12ihipStream_tbEUlT_E_NS1_11comp_targetILNS1_3genE8ELNS1_11target_archE1030ELNS1_3gpuE2ELNS1_3repE0EEENS1_30default_config_static_selectorELNS0_4arch9wavefront6targetE1EEEvT1_
	.globl	_ZN7rocprim17ROCPRIM_400000_NS6detail17trampoline_kernelINS0_14default_configENS1_25transform_config_selectorIfLb0EEEZNS1_14transform_implILb0ES3_S5_PfN6thrust23THRUST_200600_302600_NS6detail15normal_iteratorINS9_10device_ptrIfEEEENS0_8identityIfEEEE10hipError_tT2_T3_mT4_P12ihipStream_tbEUlT_E_NS1_11comp_targetILNS1_3genE8ELNS1_11target_archE1030ELNS1_3gpuE2ELNS1_3repE0EEENS1_30default_config_static_selectorELNS0_4arch9wavefront6targetE1EEEvT1_
	.p2align	8
	.type	_ZN7rocprim17ROCPRIM_400000_NS6detail17trampoline_kernelINS0_14default_configENS1_25transform_config_selectorIfLb0EEEZNS1_14transform_implILb0ES3_S5_PfN6thrust23THRUST_200600_302600_NS6detail15normal_iteratorINS9_10device_ptrIfEEEENS0_8identityIfEEEE10hipError_tT2_T3_mT4_P12ihipStream_tbEUlT_E_NS1_11comp_targetILNS1_3genE8ELNS1_11target_archE1030ELNS1_3gpuE2ELNS1_3repE0EEENS1_30default_config_static_selectorELNS0_4arch9wavefront6targetE1EEEvT1_,@function
_ZN7rocprim17ROCPRIM_400000_NS6detail17trampoline_kernelINS0_14default_configENS1_25transform_config_selectorIfLb0EEEZNS1_14transform_implILb0ES3_S5_PfN6thrust23THRUST_200600_302600_NS6detail15normal_iteratorINS9_10device_ptrIfEEEENS0_8identityIfEEEE10hipError_tT2_T3_mT4_P12ihipStream_tbEUlT_E_NS1_11comp_targetILNS1_3genE8ELNS1_11target_archE1030ELNS1_3gpuE2ELNS1_3repE0EEENS1_30default_config_static_selectorELNS0_4arch9wavefront6targetE1EEEvT1_: ; @_ZN7rocprim17ROCPRIM_400000_NS6detail17trampoline_kernelINS0_14default_configENS1_25transform_config_selectorIfLb0EEEZNS1_14transform_implILb0ES3_S5_PfN6thrust23THRUST_200600_302600_NS6detail15normal_iteratorINS9_10device_ptrIfEEEENS0_8identityIfEEEE10hipError_tT2_T3_mT4_P12ihipStream_tbEUlT_E_NS1_11comp_targetILNS1_3genE8ELNS1_11target_archE1030ELNS1_3gpuE2ELNS1_3repE0EEENS1_30default_config_static_selectorELNS0_4arch9wavefront6targetE1EEEvT1_
; %bb.0:
	.section	.rodata,"a",@progbits
	.p2align	6, 0x0
	.amdhsa_kernel _ZN7rocprim17ROCPRIM_400000_NS6detail17trampoline_kernelINS0_14default_configENS1_25transform_config_selectorIfLb0EEEZNS1_14transform_implILb0ES3_S5_PfN6thrust23THRUST_200600_302600_NS6detail15normal_iteratorINS9_10device_ptrIfEEEENS0_8identityIfEEEE10hipError_tT2_T3_mT4_P12ihipStream_tbEUlT_E_NS1_11comp_targetILNS1_3genE8ELNS1_11target_archE1030ELNS1_3gpuE2ELNS1_3repE0EEENS1_30default_config_static_selectorELNS0_4arch9wavefront6targetE1EEEvT1_
		.amdhsa_group_segment_fixed_size 0
		.amdhsa_private_segment_fixed_size 0
		.amdhsa_kernarg_size 40
		.amdhsa_user_sgpr_count 2
		.amdhsa_user_sgpr_dispatch_ptr 0
		.amdhsa_user_sgpr_queue_ptr 0
		.amdhsa_user_sgpr_kernarg_segment_ptr 1
		.amdhsa_user_sgpr_dispatch_id 0
		.amdhsa_user_sgpr_kernarg_preload_length 0
		.amdhsa_user_sgpr_kernarg_preload_offset 0
		.amdhsa_user_sgpr_private_segment_size 0
		.amdhsa_uses_dynamic_stack 0
		.amdhsa_enable_private_segment 0
		.amdhsa_system_sgpr_workgroup_id_x 1
		.amdhsa_system_sgpr_workgroup_id_y 0
		.amdhsa_system_sgpr_workgroup_id_z 0
		.amdhsa_system_sgpr_workgroup_info 0
		.amdhsa_system_vgpr_workitem_id 0
		.amdhsa_next_free_vgpr 1
		.amdhsa_next_free_sgpr 0
		.amdhsa_accum_offset 4
		.amdhsa_reserve_vcc 0
		.amdhsa_float_round_mode_32 0
		.amdhsa_float_round_mode_16_64 0
		.amdhsa_float_denorm_mode_32 3
		.amdhsa_float_denorm_mode_16_64 3
		.amdhsa_dx10_clamp 1
		.amdhsa_ieee_mode 1
		.amdhsa_fp16_overflow 0
		.amdhsa_tg_split 0
		.amdhsa_exception_fp_ieee_invalid_op 0
		.amdhsa_exception_fp_denorm_src 0
		.amdhsa_exception_fp_ieee_div_zero 0
		.amdhsa_exception_fp_ieee_overflow 0
		.amdhsa_exception_fp_ieee_underflow 0
		.amdhsa_exception_fp_ieee_inexact 0
		.amdhsa_exception_int_div_zero 0
	.end_amdhsa_kernel
	.section	.text._ZN7rocprim17ROCPRIM_400000_NS6detail17trampoline_kernelINS0_14default_configENS1_25transform_config_selectorIfLb0EEEZNS1_14transform_implILb0ES3_S5_PfN6thrust23THRUST_200600_302600_NS6detail15normal_iteratorINS9_10device_ptrIfEEEENS0_8identityIfEEEE10hipError_tT2_T3_mT4_P12ihipStream_tbEUlT_E_NS1_11comp_targetILNS1_3genE8ELNS1_11target_archE1030ELNS1_3gpuE2ELNS1_3repE0EEENS1_30default_config_static_selectorELNS0_4arch9wavefront6targetE1EEEvT1_,"axG",@progbits,_ZN7rocprim17ROCPRIM_400000_NS6detail17trampoline_kernelINS0_14default_configENS1_25transform_config_selectorIfLb0EEEZNS1_14transform_implILb0ES3_S5_PfN6thrust23THRUST_200600_302600_NS6detail15normal_iteratorINS9_10device_ptrIfEEEENS0_8identityIfEEEE10hipError_tT2_T3_mT4_P12ihipStream_tbEUlT_E_NS1_11comp_targetILNS1_3genE8ELNS1_11target_archE1030ELNS1_3gpuE2ELNS1_3repE0EEENS1_30default_config_static_selectorELNS0_4arch9wavefront6targetE1EEEvT1_,comdat
.Lfunc_end531:
	.size	_ZN7rocprim17ROCPRIM_400000_NS6detail17trampoline_kernelINS0_14default_configENS1_25transform_config_selectorIfLb0EEEZNS1_14transform_implILb0ES3_S5_PfN6thrust23THRUST_200600_302600_NS6detail15normal_iteratorINS9_10device_ptrIfEEEENS0_8identityIfEEEE10hipError_tT2_T3_mT4_P12ihipStream_tbEUlT_E_NS1_11comp_targetILNS1_3genE8ELNS1_11target_archE1030ELNS1_3gpuE2ELNS1_3repE0EEENS1_30default_config_static_selectorELNS0_4arch9wavefront6targetE1EEEvT1_, .Lfunc_end531-_ZN7rocprim17ROCPRIM_400000_NS6detail17trampoline_kernelINS0_14default_configENS1_25transform_config_selectorIfLb0EEEZNS1_14transform_implILb0ES3_S5_PfN6thrust23THRUST_200600_302600_NS6detail15normal_iteratorINS9_10device_ptrIfEEEENS0_8identityIfEEEE10hipError_tT2_T3_mT4_P12ihipStream_tbEUlT_E_NS1_11comp_targetILNS1_3genE8ELNS1_11target_archE1030ELNS1_3gpuE2ELNS1_3repE0EEENS1_30default_config_static_selectorELNS0_4arch9wavefront6targetE1EEEvT1_
                                        ; -- End function
	.set _ZN7rocprim17ROCPRIM_400000_NS6detail17trampoline_kernelINS0_14default_configENS1_25transform_config_selectorIfLb0EEEZNS1_14transform_implILb0ES3_S5_PfN6thrust23THRUST_200600_302600_NS6detail15normal_iteratorINS9_10device_ptrIfEEEENS0_8identityIfEEEE10hipError_tT2_T3_mT4_P12ihipStream_tbEUlT_E_NS1_11comp_targetILNS1_3genE8ELNS1_11target_archE1030ELNS1_3gpuE2ELNS1_3repE0EEENS1_30default_config_static_selectorELNS0_4arch9wavefront6targetE1EEEvT1_.num_vgpr, 0
	.set _ZN7rocprim17ROCPRIM_400000_NS6detail17trampoline_kernelINS0_14default_configENS1_25transform_config_selectorIfLb0EEEZNS1_14transform_implILb0ES3_S5_PfN6thrust23THRUST_200600_302600_NS6detail15normal_iteratorINS9_10device_ptrIfEEEENS0_8identityIfEEEE10hipError_tT2_T3_mT4_P12ihipStream_tbEUlT_E_NS1_11comp_targetILNS1_3genE8ELNS1_11target_archE1030ELNS1_3gpuE2ELNS1_3repE0EEENS1_30default_config_static_selectorELNS0_4arch9wavefront6targetE1EEEvT1_.num_agpr, 0
	.set _ZN7rocprim17ROCPRIM_400000_NS6detail17trampoline_kernelINS0_14default_configENS1_25transform_config_selectorIfLb0EEEZNS1_14transform_implILb0ES3_S5_PfN6thrust23THRUST_200600_302600_NS6detail15normal_iteratorINS9_10device_ptrIfEEEENS0_8identityIfEEEE10hipError_tT2_T3_mT4_P12ihipStream_tbEUlT_E_NS1_11comp_targetILNS1_3genE8ELNS1_11target_archE1030ELNS1_3gpuE2ELNS1_3repE0EEENS1_30default_config_static_selectorELNS0_4arch9wavefront6targetE1EEEvT1_.numbered_sgpr, 0
	.set _ZN7rocprim17ROCPRIM_400000_NS6detail17trampoline_kernelINS0_14default_configENS1_25transform_config_selectorIfLb0EEEZNS1_14transform_implILb0ES3_S5_PfN6thrust23THRUST_200600_302600_NS6detail15normal_iteratorINS9_10device_ptrIfEEEENS0_8identityIfEEEE10hipError_tT2_T3_mT4_P12ihipStream_tbEUlT_E_NS1_11comp_targetILNS1_3genE8ELNS1_11target_archE1030ELNS1_3gpuE2ELNS1_3repE0EEENS1_30default_config_static_selectorELNS0_4arch9wavefront6targetE1EEEvT1_.num_named_barrier, 0
	.set _ZN7rocprim17ROCPRIM_400000_NS6detail17trampoline_kernelINS0_14default_configENS1_25transform_config_selectorIfLb0EEEZNS1_14transform_implILb0ES3_S5_PfN6thrust23THRUST_200600_302600_NS6detail15normal_iteratorINS9_10device_ptrIfEEEENS0_8identityIfEEEE10hipError_tT2_T3_mT4_P12ihipStream_tbEUlT_E_NS1_11comp_targetILNS1_3genE8ELNS1_11target_archE1030ELNS1_3gpuE2ELNS1_3repE0EEENS1_30default_config_static_selectorELNS0_4arch9wavefront6targetE1EEEvT1_.private_seg_size, 0
	.set _ZN7rocprim17ROCPRIM_400000_NS6detail17trampoline_kernelINS0_14default_configENS1_25transform_config_selectorIfLb0EEEZNS1_14transform_implILb0ES3_S5_PfN6thrust23THRUST_200600_302600_NS6detail15normal_iteratorINS9_10device_ptrIfEEEENS0_8identityIfEEEE10hipError_tT2_T3_mT4_P12ihipStream_tbEUlT_E_NS1_11comp_targetILNS1_3genE8ELNS1_11target_archE1030ELNS1_3gpuE2ELNS1_3repE0EEENS1_30default_config_static_selectorELNS0_4arch9wavefront6targetE1EEEvT1_.uses_vcc, 0
	.set _ZN7rocprim17ROCPRIM_400000_NS6detail17trampoline_kernelINS0_14default_configENS1_25transform_config_selectorIfLb0EEEZNS1_14transform_implILb0ES3_S5_PfN6thrust23THRUST_200600_302600_NS6detail15normal_iteratorINS9_10device_ptrIfEEEENS0_8identityIfEEEE10hipError_tT2_T3_mT4_P12ihipStream_tbEUlT_E_NS1_11comp_targetILNS1_3genE8ELNS1_11target_archE1030ELNS1_3gpuE2ELNS1_3repE0EEENS1_30default_config_static_selectorELNS0_4arch9wavefront6targetE1EEEvT1_.uses_flat_scratch, 0
	.set _ZN7rocprim17ROCPRIM_400000_NS6detail17trampoline_kernelINS0_14default_configENS1_25transform_config_selectorIfLb0EEEZNS1_14transform_implILb0ES3_S5_PfN6thrust23THRUST_200600_302600_NS6detail15normal_iteratorINS9_10device_ptrIfEEEENS0_8identityIfEEEE10hipError_tT2_T3_mT4_P12ihipStream_tbEUlT_E_NS1_11comp_targetILNS1_3genE8ELNS1_11target_archE1030ELNS1_3gpuE2ELNS1_3repE0EEENS1_30default_config_static_selectorELNS0_4arch9wavefront6targetE1EEEvT1_.has_dyn_sized_stack, 0
	.set _ZN7rocprim17ROCPRIM_400000_NS6detail17trampoline_kernelINS0_14default_configENS1_25transform_config_selectorIfLb0EEEZNS1_14transform_implILb0ES3_S5_PfN6thrust23THRUST_200600_302600_NS6detail15normal_iteratorINS9_10device_ptrIfEEEENS0_8identityIfEEEE10hipError_tT2_T3_mT4_P12ihipStream_tbEUlT_E_NS1_11comp_targetILNS1_3genE8ELNS1_11target_archE1030ELNS1_3gpuE2ELNS1_3repE0EEENS1_30default_config_static_selectorELNS0_4arch9wavefront6targetE1EEEvT1_.has_recursion, 0
	.set _ZN7rocprim17ROCPRIM_400000_NS6detail17trampoline_kernelINS0_14default_configENS1_25transform_config_selectorIfLb0EEEZNS1_14transform_implILb0ES3_S5_PfN6thrust23THRUST_200600_302600_NS6detail15normal_iteratorINS9_10device_ptrIfEEEENS0_8identityIfEEEE10hipError_tT2_T3_mT4_P12ihipStream_tbEUlT_E_NS1_11comp_targetILNS1_3genE8ELNS1_11target_archE1030ELNS1_3gpuE2ELNS1_3repE0EEENS1_30default_config_static_selectorELNS0_4arch9wavefront6targetE1EEEvT1_.has_indirect_call, 0
	.section	.AMDGPU.csdata,"",@progbits
; Kernel info:
; codeLenInByte = 0
; TotalNumSgprs: 6
; NumVgprs: 0
; NumAgprs: 0
; TotalNumVgprs: 0
; ScratchSize: 0
; MemoryBound: 0
; FloatMode: 240
; IeeeMode: 1
; LDSByteSize: 0 bytes/workgroup (compile time only)
; SGPRBlocks: 0
; VGPRBlocks: 0
; NumSGPRsForWavesPerEU: 6
; NumVGPRsForWavesPerEU: 1
; AccumOffset: 4
; Occupancy: 8
; WaveLimiterHint : 0
; COMPUTE_PGM_RSRC2:SCRATCH_EN: 0
; COMPUTE_PGM_RSRC2:USER_SGPR: 2
; COMPUTE_PGM_RSRC2:TRAP_HANDLER: 0
; COMPUTE_PGM_RSRC2:TGID_X_EN: 1
; COMPUTE_PGM_RSRC2:TGID_Y_EN: 0
; COMPUTE_PGM_RSRC2:TGID_Z_EN: 0
; COMPUTE_PGM_RSRC2:TIDIG_COMP_CNT: 0
; COMPUTE_PGM_RSRC3_GFX90A:ACCUM_OFFSET: 0
; COMPUTE_PGM_RSRC3_GFX90A:TG_SPLIT: 0
	.section	.text._ZN7rocprim17ROCPRIM_400000_NS6detail17trampoline_kernelINS0_14default_configENS1_35radix_sort_onesweep_config_selectorIfNS0_10empty_typeEEEZNS1_34radix_sort_onesweep_global_offsetsIS3_Lb0EN6thrust23THRUST_200600_302600_NS6detail15normal_iteratorINS9_10device_ptrIfEEEEPS5_jNS0_19identity_decomposerEEE10hipError_tT1_T2_PT3_SK_jT4_jjP12ihipStream_tbEUlT_E_NS1_11comp_targetILNS1_3genE0ELNS1_11target_archE4294967295ELNS1_3gpuE0ELNS1_3repE0EEENS1_52radix_sort_onesweep_histogram_config_static_selectorELNS0_4arch9wavefront6targetE1EEEvSI_,"axG",@progbits,_ZN7rocprim17ROCPRIM_400000_NS6detail17trampoline_kernelINS0_14default_configENS1_35radix_sort_onesweep_config_selectorIfNS0_10empty_typeEEEZNS1_34radix_sort_onesweep_global_offsetsIS3_Lb0EN6thrust23THRUST_200600_302600_NS6detail15normal_iteratorINS9_10device_ptrIfEEEEPS5_jNS0_19identity_decomposerEEE10hipError_tT1_T2_PT3_SK_jT4_jjP12ihipStream_tbEUlT_E_NS1_11comp_targetILNS1_3genE0ELNS1_11target_archE4294967295ELNS1_3gpuE0ELNS1_3repE0EEENS1_52radix_sort_onesweep_histogram_config_static_selectorELNS0_4arch9wavefront6targetE1EEEvSI_,comdat
	.protected	_ZN7rocprim17ROCPRIM_400000_NS6detail17trampoline_kernelINS0_14default_configENS1_35radix_sort_onesweep_config_selectorIfNS0_10empty_typeEEEZNS1_34radix_sort_onesweep_global_offsetsIS3_Lb0EN6thrust23THRUST_200600_302600_NS6detail15normal_iteratorINS9_10device_ptrIfEEEEPS5_jNS0_19identity_decomposerEEE10hipError_tT1_T2_PT3_SK_jT4_jjP12ihipStream_tbEUlT_E_NS1_11comp_targetILNS1_3genE0ELNS1_11target_archE4294967295ELNS1_3gpuE0ELNS1_3repE0EEENS1_52radix_sort_onesweep_histogram_config_static_selectorELNS0_4arch9wavefront6targetE1EEEvSI_ ; -- Begin function _ZN7rocprim17ROCPRIM_400000_NS6detail17trampoline_kernelINS0_14default_configENS1_35radix_sort_onesweep_config_selectorIfNS0_10empty_typeEEEZNS1_34radix_sort_onesweep_global_offsetsIS3_Lb0EN6thrust23THRUST_200600_302600_NS6detail15normal_iteratorINS9_10device_ptrIfEEEEPS5_jNS0_19identity_decomposerEEE10hipError_tT1_T2_PT3_SK_jT4_jjP12ihipStream_tbEUlT_E_NS1_11comp_targetILNS1_3genE0ELNS1_11target_archE4294967295ELNS1_3gpuE0ELNS1_3repE0EEENS1_52radix_sort_onesweep_histogram_config_static_selectorELNS0_4arch9wavefront6targetE1EEEvSI_
	.globl	_ZN7rocprim17ROCPRIM_400000_NS6detail17trampoline_kernelINS0_14default_configENS1_35radix_sort_onesweep_config_selectorIfNS0_10empty_typeEEEZNS1_34radix_sort_onesweep_global_offsetsIS3_Lb0EN6thrust23THRUST_200600_302600_NS6detail15normal_iteratorINS9_10device_ptrIfEEEEPS5_jNS0_19identity_decomposerEEE10hipError_tT1_T2_PT3_SK_jT4_jjP12ihipStream_tbEUlT_E_NS1_11comp_targetILNS1_3genE0ELNS1_11target_archE4294967295ELNS1_3gpuE0ELNS1_3repE0EEENS1_52radix_sort_onesweep_histogram_config_static_selectorELNS0_4arch9wavefront6targetE1EEEvSI_
	.p2align	8
	.type	_ZN7rocprim17ROCPRIM_400000_NS6detail17trampoline_kernelINS0_14default_configENS1_35radix_sort_onesweep_config_selectorIfNS0_10empty_typeEEEZNS1_34radix_sort_onesweep_global_offsetsIS3_Lb0EN6thrust23THRUST_200600_302600_NS6detail15normal_iteratorINS9_10device_ptrIfEEEEPS5_jNS0_19identity_decomposerEEE10hipError_tT1_T2_PT3_SK_jT4_jjP12ihipStream_tbEUlT_E_NS1_11comp_targetILNS1_3genE0ELNS1_11target_archE4294967295ELNS1_3gpuE0ELNS1_3repE0EEENS1_52radix_sort_onesweep_histogram_config_static_selectorELNS0_4arch9wavefront6targetE1EEEvSI_,@function
_ZN7rocprim17ROCPRIM_400000_NS6detail17trampoline_kernelINS0_14default_configENS1_35radix_sort_onesweep_config_selectorIfNS0_10empty_typeEEEZNS1_34radix_sort_onesweep_global_offsetsIS3_Lb0EN6thrust23THRUST_200600_302600_NS6detail15normal_iteratorINS9_10device_ptrIfEEEEPS5_jNS0_19identity_decomposerEEE10hipError_tT1_T2_PT3_SK_jT4_jjP12ihipStream_tbEUlT_E_NS1_11comp_targetILNS1_3genE0ELNS1_11target_archE4294967295ELNS1_3gpuE0ELNS1_3repE0EEENS1_52radix_sort_onesweep_histogram_config_static_selectorELNS0_4arch9wavefront6targetE1EEEvSI_: ; @_ZN7rocprim17ROCPRIM_400000_NS6detail17trampoline_kernelINS0_14default_configENS1_35radix_sort_onesweep_config_selectorIfNS0_10empty_typeEEEZNS1_34radix_sort_onesweep_global_offsetsIS3_Lb0EN6thrust23THRUST_200600_302600_NS6detail15normal_iteratorINS9_10device_ptrIfEEEEPS5_jNS0_19identity_decomposerEEE10hipError_tT1_T2_PT3_SK_jT4_jjP12ihipStream_tbEUlT_E_NS1_11comp_targetILNS1_3genE0ELNS1_11target_archE4294967295ELNS1_3gpuE0ELNS1_3repE0EEENS1_52radix_sort_onesweep_histogram_config_static_selectorELNS0_4arch9wavefront6targetE1EEEvSI_
; %bb.0:
	.section	.rodata,"a",@progbits
	.p2align	6, 0x0
	.amdhsa_kernel _ZN7rocprim17ROCPRIM_400000_NS6detail17trampoline_kernelINS0_14default_configENS1_35radix_sort_onesweep_config_selectorIfNS0_10empty_typeEEEZNS1_34radix_sort_onesweep_global_offsetsIS3_Lb0EN6thrust23THRUST_200600_302600_NS6detail15normal_iteratorINS9_10device_ptrIfEEEEPS5_jNS0_19identity_decomposerEEE10hipError_tT1_T2_PT3_SK_jT4_jjP12ihipStream_tbEUlT_E_NS1_11comp_targetILNS1_3genE0ELNS1_11target_archE4294967295ELNS1_3gpuE0ELNS1_3repE0EEENS1_52radix_sort_onesweep_histogram_config_static_selectorELNS0_4arch9wavefront6targetE1EEEvSI_
		.amdhsa_group_segment_fixed_size 0
		.amdhsa_private_segment_fixed_size 0
		.amdhsa_kernarg_size 40
		.amdhsa_user_sgpr_count 2
		.amdhsa_user_sgpr_dispatch_ptr 0
		.amdhsa_user_sgpr_queue_ptr 0
		.amdhsa_user_sgpr_kernarg_segment_ptr 1
		.amdhsa_user_sgpr_dispatch_id 0
		.amdhsa_user_sgpr_kernarg_preload_length 0
		.amdhsa_user_sgpr_kernarg_preload_offset 0
		.amdhsa_user_sgpr_private_segment_size 0
		.amdhsa_uses_dynamic_stack 0
		.amdhsa_enable_private_segment 0
		.amdhsa_system_sgpr_workgroup_id_x 1
		.amdhsa_system_sgpr_workgroup_id_y 0
		.amdhsa_system_sgpr_workgroup_id_z 0
		.amdhsa_system_sgpr_workgroup_info 0
		.amdhsa_system_vgpr_workitem_id 0
		.amdhsa_next_free_vgpr 1
		.amdhsa_next_free_sgpr 0
		.amdhsa_accum_offset 4
		.amdhsa_reserve_vcc 0
		.amdhsa_float_round_mode_32 0
		.amdhsa_float_round_mode_16_64 0
		.amdhsa_float_denorm_mode_32 3
		.amdhsa_float_denorm_mode_16_64 3
		.amdhsa_dx10_clamp 1
		.amdhsa_ieee_mode 1
		.amdhsa_fp16_overflow 0
		.amdhsa_tg_split 0
		.amdhsa_exception_fp_ieee_invalid_op 0
		.amdhsa_exception_fp_denorm_src 0
		.amdhsa_exception_fp_ieee_div_zero 0
		.amdhsa_exception_fp_ieee_overflow 0
		.amdhsa_exception_fp_ieee_underflow 0
		.amdhsa_exception_fp_ieee_inexact 0
		.amdhsa_exception_int_div_zero 0
	.end_amdhsa_kernel
	.section	.text._ZN7rocprim17ROCPRIM_400000_NS6detail17trampoline_kernelINS0_14default_configENS1_35radix_sort_onesweep_config_selectorIfNS0_10empty_typeEEEZNS1_34radix_sort_onesweep_global_offsetsIS3_Lb0EN6thrust23THRUST_200600_302600_NS6detail15normal_iteratorINS9_10device_ptrIfEEEEPS5_jNS0_19identity_decomposerEEE10hipError_tT1_T2_PT3_SK_jT4_jjP12ihipStream_tbEUlT_E_NS1_11comp_targetILNS1_3genE0ELNS1_11target_archE4294967295ELNS1_3gpuE0ELNS1_3repE0EEENS1_52radix_sort_onesweep_histogram_config_static_selectorELNS0_4arch9wavefront6targetE1EEEvSI_,"axG",@progbits,_ZN7rocprim17ROCPRIM_400000_NS6detail17trampoline_kernelINS0_14default_configENS1_35radix_sort_onesweep_config_selectorIfNS0_10empty_typeEEEZNS1_34radix_sort_onesweep_global_offsetsIS3_Lb0EN6thrust23THRUST_200600_302600_NS6detail15normal_iteratorINS9_10device_ptrIfEEEEPS5_jNS0_19identity_decomposerEEE10hipError_tT1_T2_PT3_SK_jT4_jjP12ihipStream_tbEUlT_E_NS1_11comp_targetILNS1_3genE0ELNS1_11target_archE4294967295ELNS1_3gpuE0ELNS1_3repE0EEENS1_52radix_sort_onesweep_histogram_config_static_selectorELNS0_4arch9wavefront6targetE1EEEvSI_,comdat
.Lfunc_end532:
	.size	_ZN7rocprim17ROCPRIM_400000_NS6detail17trampoline_kernelINS0_14default_configENS1_35radix_sort_onesweep_config_selectorIfNS0_10empty_typeEEEZNS1_34radix_sort_onesweep_global_offsetsIS3_Lb0EN6thrust23THRUST_200600_302600_NS6detail15normal_iteratorINS9_10device_ptrIfEEEEPS5_jNS0_19identity_decomposerEEE10hipError_tT1_T2_PT3_SK_jT4_jjP12ihipStream_tbEUlT_E_NS1_11comp_targetILNS1_3genE0ELNS1_11target_archE4294967295ELNS1_3gpuE0ELNS1_3repE0EEENS1_52radix_sort_onesweep_histogram_config_static_selectorELNS0_4arch9wavefront6targetE1EEEvSI_, .Lfunc_end532-_ZN7rocprim17ROCPRIM_400000_NS6detail17trampoline_kernelINS0_14default_configENS1_35radix_sort_onesweep_config_selectorIfNS0_10empty_typeEEEZNS1_34radix_sort_onesweep_global_offsetsIS3_Lb0EN6thrust23THRUST_200600_302600_NS6detail15normal_iteratorINS9_10device_ptrIfEEEEPS5_jNS0_19identity_decomposerEEE10hipError_tT1_T2_PT3_SK_jT4_jjP12ihipStream_tbEUlT_E_NS1_11comp_targetILNS1_3genE0ELNS1_11target_archE4294967295ELNS1_3gpuE0ELNS1_3repE0EEENS1_52radix_sort_onesweep_histogram_config_static_selectorELNS0_4arch9wavefront6targetE1EEEvSI_
                                        ; -- End function
	.set _ZN7rocprim17ROCPRIM_400000_NS6detail17trampoline_kernelINS0_14default_configENS1_35radix_sort_onesweep_config_selectorIfNS0_10empty_typeEEEZNS1_34radix_sort_onesweep_global_offsetsIS3_Lb0EN6thrust23THRUST_200600_302600_NS6detail15normal_iteratorINS9_10device_ptrIfEEEEPS5_jNS0_19identity_decomposerEEE10hipError_tT1_T2_PT3_SK_jT4_jjP12ihipStream_tbEUlT_E_NS1_11comp_targetILNS1_3genE0ELNS1_11target_archE4294967295ELNS1_3gpuE0ELNS1_3repE0EEENS1_52radix_sort_onesweep_histogram_config_static_selectorELNS0_4arch9wavefront6targetE1EEEvSI_.num_vgpr, 0
	.set _ZN7rocprim17ROCPRIM_400000_NS6detail17trampoline_kernelINS0_14default_configENS1_35radix_sort_onesweep_config_selectorIfNS0_10empty_typeEEEZNS1_34radix_sort_onesweep_global_offsetsIS3_Lb0EN6thrust23THRUST_200600_302600_NS6detail15normal_iteratorINS9_10device_ptrIfEEEEPS5_jNS0_19identity_decomposerEEE10hipError_tT1_T2_PT3_SK_jT4_jjP12ihipStream_tbEUlT_E_NS1_11comp_targetILNS1_3genE0ELNS1_11target_archE4294967295ELNS1_3gpuE0ELNS1_3repE0EEENS1_52radix_sort_onesweep_histogram_config_static_selectorELNS0_4arch9wavefront6targetE1EEEvSI_.num_agpr, 0
	.set _ZN7rocprim17ROCPRIM_400000_NS6detail17trampoline_kernelINS0_14default_configENS1_35radix_sort_onesweep_config_selectorIfNS0_10empty_typeEEEZNS1_34radix_sort_onesweep_global_offsetsIS3_Lb0EN6thrust23THRUST_200600_302600_NS6detail15normal_iteratorINS9_10device_ptrIfEEEEPS5_jNS0_19identity_decomposerEEE10hipError_tT1_T2_PT3_SK_jT4_jjP12ihipStream_tbEUlT_E_NS1_11comp_targetILNS1_3genE0ELNS1_11target_archE4294967295ELNS1_3gpuE0ELNS1_3repE0EEENS1_52radix_sort_onesweep_histogram_config_static_selectorELNS0_4arch9wavefront6targetE1EEEvSI_.numbered_sgpr, 0
	.set _ZN7rocprim17ROCPRIM_400000_NS6detail17trampoline_kernelINS0_14default_configENS1_35radix_sort_onesweep_config_selectorIfNS0_10empty_typeEEEZNS1_34radix_sort_onesweep_global_offsetsIS3_Lb0EN6thrust23THRUST_200600_302600_NS6detail15normal_iteratorINS9_10device_ptrIfEEEEPS5_jNS0_19identity_decomposerEEE10hipError_tT1_T2_PT3_SK_jT4_jjP12ihipStream_tbEUlT_E_NS1_11comp_targetILNS1_3genE0ELNS1_11target_archE4294967295ELNS1_3gpuE0ELNS1_3repE0EEENS1_52radix_sort_onesweep_histogram_config_static_selectorELNS0_4arch9wavefront6targetE1EEEvSI_.num_named_barrier, 0
	.set _ZN7rocprim17ROCPRIM_400000_NS6detail17trampoline_kernelINS0_14default_configENS1_35radix_sort_onesweep_config_selectorIfNS0_10empty_typeEEEZNS1_34radix_sort_onesweep_global_offsetsIS3_Lb0EN6thrust23THRUST_200600_302600_NS6detail15normal_iteratorINS9_10device_ptrIfEEEEPS5_jNS0_19identity_decomposerEEE10hipError_tT1_T2_PT3_SK_jT4_jjP12ihipStream_tbEUlT_E_NS1_11comp_targetILNS1_3genE0ELNS1_11target_archE4294967295ELNS1_3gpuE0ELNS1_3repE0EEENS1_52radix_sort_onesweep_histogram_config_static_selectorELNS0_4arch9wavefront6targetE1EEEvSI_.private_seg_size, 0
	.set _ZN7rocprim17ROCPRIM_400000_NS6detail17trampoline_kernelINS0_14default_configENS1_35radix_sort_onesweep_config_selectorIfNS0_10empty_typeEEEZNS1_34radix_sort_onesweep_global_offsetsIS3_Lb0EN6thrust23THRUST_200600_302600_NS6detail15normal_iteratorINS9_10device_ptrIfEEEEPS5_jNS0_19identity_decomposerEEE10hipError_tT1_T2_PT3_SK_jT4_jjP12ihipStream_tbEUlT_E_NS1_11comp_targetILNS1_3genE0ELNS1_11target_archE4294967295ELNS1_3gpuE0ELNS1_3repE0EEENS1_52radix_sort_onesweep_histogram_config_static_selectorELNS0_4arch9wavefront6targetE1EEEvSI_.uses_vcc, 0
	.set _ZN7rocprim17ROCPRIM_400000_NS6detail17trampoline_kernelINS0_14default_configENS1_35radix_sort_onesweep_config_selectorIfNS0_10empty_typeEEEZNS1_34radix_sort_onesweep_global_offsetsIS3_Lb0EN6thrust23THRUST_200600_302600_NS6detail15normal_iteratorINS9_10device_ptrIfEEEEPS5_jNS0_19identity_decomposerEEE10hipError_tT1_T2_PT3_SK_jT4_jjP12ihipStream_tbEUlT_E_NS1_11comp_targetILNS1_3genE0ELNS1_11target_archE4294967295ELNS1_3gpuE0ELNS1_3repE0EEENS1_52radix_sort_onesweep_histogram_config_static_selectorELNS0_4arch9wavefront6targetE1EEEvSI_.uses_flat_scratch, 0
	.set _ZN7rocprim17ROCPRIM_400000_NS6detail17trampoline_kernelINS0_14default_configENS1_35radix_sort_onesweep_config_selectorIfNS0_10empty_typeEEEZNS1_34radix_sort_onesweep_global_offsetsIS3_Lb0EN6thrust23THRUST_200600_302600_NS6detail15normal_iteratorINS9_10device_ptrIfEEEEPS5_jNS0_19identity_decomposerEEE10hipError_tT1_T2_PT3_SK_jT4_jjP12ihipStream_tbEUlT_E_NS1_11comp_targetILNS1_3genE0ELNS1_11target_archE4294967295ELNS1_3gpuE0ELNS1_3repE0EEENS1_52radix_sort_onesweep_histogram_config_static_selectorELNS0_4arch9wavefront6targetE1EEEvSI_.has_dyn_sized_stack, 0
	.set _ZN7rocprim17ROCPRIM_400000_NS6detail17trampoline_kernelINS0_14default_configENS1_35radix_sort_onesweep_config_selectorIfNS0_10empty_typeEEEZNS1_34radix_sort_onesweep_global_offsetsIS3_Lb0EN6thrust23THRUST_200600_302600_NS6detail15normal_iteratorINS9_10device_ptrIfEEEEPS5_jNS0_19identity_decomposerEEE10hipError_tT1_T2_PT3_SK_jT4_jjP12ihipStream_tbEUlT_E_NS1_11comp_targetILNS1_3genE0ELNS1_11target_archE4294967295ELNS1_3gpuE0ELNS1_3repE0EEENS1_52radix_sort_onesweep_histogram_config_static_selectorELNS0_4arch9wavefront6targetE1EEEvSI_.has_recursion, 0
	.set _ZN7rocprim17ROCPRIM_400000_NS6detail17trampoline_kernelINS0_14default_configENS1_35radix_sort_onesweep_config_selectorIfNS0_10empty_typeEEEZNS1_34radix_sort_onesweep_global_offsetsIS3_Lb0EN6thrust23THRUST_200600_302600_NS6detail15normal_iteratorINS9_10device_ptrIfEEEEPS5_jNS0_19identity_decomposerEEE10hipError_tT1_T2_PT3_SK_jT4_jjP12ihipStream_tbEUlT_E_NS1_11comp_targetILNS1_3genE0ELNS1_11target_archE4294967295ELNS1_3gpuE0ELNS1_3repE0EEENS1_52radix_sort_onesweep_histogram_config_static_selectorELNS0_4arch9wavefront6targetE1EEEvSI_.has_indirect_call, 0
	.section	.AMDGPU.csdata,"",@progbits
; Kernel info:
; codeLenInByte = 0
; TotalNumSgprs: 6
; NumVgprs: 0
; NumAgprs: 0
; TotalNumVgprs: 0
; ScratchSize: 0
; MemoryBound: 0
; FloatMode: 240
; IeeeMode: 1
; LDSByteSize: 0 bytes/workgroup (compile time only)
; SGPRBlocks: 0
; VGPRBlocks: 0
; NumSGPRsForWavesPerEU: 6
; NumVGPRsForWavesPerEU: 1
; AccumOffset: 4
; Occupancy: 8
; WaveLimiterHint : 0
; COMPUTE_PGM_RSRC2:SCRATCH_EN: 0
; COMPUTE_PGM_RSRC2:USER_SGPR: 2
; COMPUTE_PGM_RSRC2:TRAP_HANDLER: 0
; COMPUTE_PGM_RSRC2:TGID_X_EN: 1
; COMPUTE_PGM_RSRC2:TGID_Y_EN: 0
; COMPUTE_PGM_RSRC2:TGID_Z_EN: 0
; COMPUTE_PGM_RSRC2:TIDIG_COMP_CNT: 0
; COMPUTE_PGM_RSRC3_GFX90A:ACCUM_OFFSET: 0
; COMPUTE_PGM_RSRC3_GFX90A:TG_SPLIT: 0
	.section	.text._ZN7rocprim17ROCPRIM_400000_NS6detail17trampoline_kernelINS0_14default_configENS1_35radix_sort_onesweep_config_selectorIfNS0_10empty_typeEEEZNS1_34radix_sort_onesweep_global_offsetsIS3_Lb0EN6thrust23THRUST_200600_302600_NS6detail15normal_iteratorINS9_10device_ptrIfEEEEPS5_jNS0_19identity_decomposerEEE10hipError_tT1_T2_PT3_SK_jT4_jjP12ihipStream_tbEUlT_E_NS1_11comp_targetILNS1_3genE6ELNS1_11target_archE950ELNS1_3gpuE13ELNS1_3repE0EEENS1_52radix_sort_onesweep_histogram_config_static_selectorELNS0_4arch9wavefront6targetE1EEEvSI_,"axG",@progbits,_ZN7rocprim17ROCPRIM_400000_NS6detail17trampoline_kernelINS0_14default_configENS1_35radix_sort_onesweep_config_selectorIfNS0_10empty_typeEEEZNS1_34radix_sort_onesweep_global_offsetsIS3_Lb0EN6thrust23THRUST_200600_302600_NS6detail15normal_iteratorINS9_10device_ptrIfEEEEPS5_jNS0_19identity_decomposerEEE10hipError_tT1_T2_PT3_SK_jT4_jjP12ihipStream_tbEUlT_E_NS1_11comp_targetILNS1_3genE6ELNS1_11target_archE950ELNS1_3gpuE13ELNS1_3repE0EEENS1_52radix_sort_onesweep_histogram_config_static_selectorELNS0_4arch9wavefront6targetE1EEEvSI_,comdat
	.protected	_ZN7rocprim17ROCPRIM_400000_NS6detail17trampoline_kernelINS0_14default_configENS1_35radix_sort_onesweep_config_selectorIfNS0_10empty_typeEEEZNS1_34radix_sort_onesweep_global_offsetsIS3_Lb0EN6thrust23THRUST_200600_302600_NS6detail15normal_iteratorINS9_10device_ptrIfEEEEPS5_jNS0_19identity_decomposerEEE10hipError_tT1_T2_PT3_SK_jT4_jjP12ihipStream_tbEUlT_E_NS1_11comp_targetILNS1_3genE6ELNS1_11target_archE950ELNS1_3gpuE13ELNS1_3repE0EEENS1_52radix_sort_onesweep_histogram_config_static_selectorELNS0_4arch9wavefront6targetE1EEEvSI_ ; -- Begin function _ZN7rocprim17ROCPRIM_400000_NS6detail17trampoline_kernelINS0_14default_configENS1_35radix_sort_onesweep_config_selectorIfNS0_10empty_typeEEEZNS1_34radix_sort_onesweep_global_offsetsIS3_Lb0EN6thrust23THRUST_200600_302600_NS6detail15normal_iteratorINS9_10device_ptrIfEEEEPS5_jNS0_19identity_decomposerEEE10hipError_tT1_T2_PT3_SK_jT4_jjP12ihipStream_tbEUlT_E_NS1_11comp_targetILNS1_3genE6ELNS1_11target_archE950ELNS1_3gpuE13ELNS1_3repE0EEENS1_52radix_sort_onesweep_histogram_config_static_selectorELNS0_4arch9wavefront6targetE1EEEvSI_
	.globl	_ZN7rocprim17ROCPRIM_400000_NS6detail17trampoline_kernelINS0_14default_configENS1_35radix_sort_onesweep_config_selectorIfNS0_10empty_typeEEEZNS1_34radix_sort_onesweep_global_offsetsIS3_Lb0EN6thrust23THRUST_200600_302600_NS6detail15normal_iteratorINS9_10device_ptrIfEEEEPS5_jNS0_19identity_decomposerEEE10hipError_tT1_T2_PT3_SK_jT4_jjP12ihipStream_tbEUlT_E_NS1_11comp_targetILNS1_3genE6ELNS1_11target_archE950ELNS1_3gpuE13ELNS1_3repE0EEENS1_52radix_sort_onesweep_histogram_config_static_selectorELNS0_4arch9wavefront6targetE1EEEvSI_
	.p2align	8
	.type	_ZN7rocprim17ROCPRIM_400000_NS6detail17trampoline_kernelINS0_14default_configENS1_35radix_sort_onesweep_config_selectorIfNS0_10empty_typeEEEZNS1_34radix_sort_onesweep_global_offsetsIS3_Lb0EN6thrust23THRUST_200600_302600_NS6detail15normal_iteratorINS9_10device_ptrIfEEEEPS5_jNS0_19identity_decomposerEEE10hipError_tT1_T2_PT3_SK_jT4_jjP12ihipStream_tbEUlT_E_NS1_11comp_targetILNS1_3genE6ELNS1_11target_archE950ELNS1_3gpuE13ELNS1_3repE0EEENS1_52radix_sort_onesweep_histogram_config_static_selectorELNS0_4arch9wavefront6targetE1EEEvSI_,@function
_ZN7rocprim17ROCPRIM_400000_NS6detail17trampoline_kernelINS0_14default_configENS1_35radix_sort_onesweep_config_selectorIfNS0_10empty_typeEEEZNS1_34radix_sort_onesweep_global_offsetsIS3_Lb0EN6thrust23THRUST_200600_302600_NS6detail15normal_iteratorINS9_10device_ptrIfEEEEPS5_jNS0_19identity_decomposerEEE10hipError_tT1_T2_PT3_SK_jT4_jjP12ihipStream_tbEUlT_E_NS1_11comp_targetILNS1_3genE6ELNS1_11target_archE950ELNS1_3gpuE13ELNS1_3repE0EEENS1_52radix_sort_onesweep_histogram_config_static_selectorELNS0_4arch9wavefront6targetE1EEEvSI_: ; @_ZN7rocprim17ROCPRIM_400000_NS6detail17trampoline_kernelINS0_14default_configENS1_35radix_sort_onesweep_config_selectorIfNS0_10empty_typeEEEZNS1_34radix_sort_onesweep_global_offsetsIS3_Lb0EN6thrust23THRUST_200600_302600_NS6detail15normal_iteratorINS9_10device_ptrIfEEEEPS5_jNS0_19identity_decomposerEEE10hipError_tT1_T2_PT3_SK_jT4_jjP12ihipStream_tbEUlT_E_NS1_11comp_targetILNS1_3genE6ELNS1_11target_archE950ELNS1_3gpuE13ELNS1_3repE0EEENS1_52radix_sort_onesweep_histogram_config_static_selectorELNS0_4arch9wavefront6targetE1EEEvSI_
; %bb.0:
	s_load_dword s11, s[0:1], 0x14
	s_load_dwordx4 s[4:7], s[0:1], 0x0
	s_load_dwordx2 s[8:9], s[0:1], 0x1c
	s_lshl_b32 s10, s2, 13
	s_waitcnt lgkmcnt(0)
	s_cmp_ge_u32 s2, s11
	s_mov_b64 s[2:3], -1
	s_cbranch_scc0 .LBB533_159
; %bb.1:
	s_load_dword s2, s[0:1], 0x10
	s_lshl_b32 s3, s11, 13
	s_mov_b32 s11, 0
	s_lshl_b64 s[0:1], s[10:11], 2
	v_mov_b32_e32 v2, 0
	s_waitcnt lgkmcnt(0)
	s_sub_i32 s11, s2, s3
	s_add_u32 s0, s4, s0
	v_cmp_gt_u32_e32 vcc, s11, v0
	s_addc_u32 s1, s5, s1
	v_mov_b32_e32 v3, v2
	v_mov_b32_e32 v4, v2
	v_mov_b32_e32 v5, v2
	v_mov_b32_e32 v6, v2
	v_mov_b32_e32 v7, v2
	v_mov_b32_e32 v8, v2
	v_mov_b32_e32 v9, v2
	s_and_saveexec_b64 s[2:3], vcc
	s_cbranch_execz .LBB533_3
; %bb.2:
	v_lshlrev_b32_e32 v1, 2, v0
	global_load_dword v4, v1, s[0:1]
	v_mov_b32_e32 v5, v2
	v_mov_b32_e32 v6, v2
	;; [unrolled: 1-line block ×7, first 2 shown]
	s_waitcnt vmcnt(0)
	v_mov_b64_e32 v[2:3], v[4:5]
	v_mov_b64_e32 v[4:5], v[6:7]
	v_mov_b64_e32 v[6:7], v[8:9]
	v_mov_b64_e32 v[8:9], v[10:11]
.LBB533_3:
	s_or_b64 exec, exec, s[2:3]
	v_or_b32_e32 v17, 0x400, v0
	v_cmp_gt_u32_e32 vcc, s11, v17
	s_and_saveexec_b64 s[2:3], vcc
	s_cbranch_execz .LBB533_5
; %bb.4:
	v_lshlrev_b32_e32 v1, 2, v17
	global_load_dword v3, v1, s[0:1]
.LBB533_5:
	s_or_b64 exec, exec, s[2:3]
	v_or_b32_e32 v16, 0x800, v0
	v_cmp_gt_u32_e32 vcc, s11, v16
	s_and_saveexec_b64 s[2:3], vcc
	s_cbranch_execz .LBB533_7
; %bb.6:
	v_lshlrev_b32_e32 v1, 2, v16
	global_load_dword v4, v1, s[0:1]
.LBB533_7:
	;; [unrolled: 9-line block ×7, first 2 shown]
	s_or_b64 exec, exec, s[2:3]
	v_lshlrev_b32_e32 v1, 2, v0
	v_mov_b32_e32 v18, 0
	ds_write2st64_b32 v1, v18, v18 offset1:16
	ds_write2st64_b32 v1, v18, v18 offset0:32 offset1:48
	v_bfrev_b32_e32 v18, 1
	v_cmp_lt_i32_e32 vcc, -1, v2
	s_brev_b32 s0, -2
	s_cmp_le_u32 s9, s8
	v_cndmask_b32_e32 v19, -1, v18, vcc
	v_xor_b32_e32 v2, v19, v2
	v_cmp_ne_u32_e64 s[0:1], s0, v2
	s_cselect_b64 s[2:3], -1, 0
	v_cmp_le_u32_e32 vcc, s11, v0
	v_cndmask_b32_e64 v2, v18, v2, s[0:1]
	s_and_b64 s[0:1], s[2:3], exec
	s_cselect_b32 s18, 8, 10
	v_and_b32_e32 v10, 3, v0
	s_nor_b64 s[12:13], s[2:3], vcc
	v_mov_b32_e32 v18, s18
	s_waitcnt lgkmcnt(0)
	s_barrier
	s_and_saveexec_b64 s[0:1], s[12:13]
	s_cbranch_execz .LBB533_19
; %bb.18:
	s_sub_i32 s12, s9, s8
	s_min_u32 s12, s12, 8
	v_lshrrev_b32_e32 v18, s8, v2
	v_bfe_u32 v18, v18, 0, s12
	v_lshlrev_b32_e32 v19, 2, v10
	v_lshl_or_b32 v18, v18, 4, v19
	v_mov_b32_e32 v19, 1
	ds_add_u32 v18, v19
	v_mov_b32_e32 v18, 0
.LBB533_19:
	s_or_b64 exec, exec, s[0:1]
	v_cmp_gt_i32_e64 s[0:1], 10, v18
	s_mov_b64 s[14:15], -1
	s_and_saveexec_b64 s[12:13], s[0:1]
; %bb.20:
	v_cmp_eq_u32_e64 s[0:1], 0, v18
	s_orn2_b64 s[14:15], s[0:1], exec
; %bb.21:
	s_or_b64 exec, exec, s[12:13]
	s_and_saveexec_b64 s[12:13], s[14:15]
	s_cbranch_execz .LBB533_34
; %bb.22:
	s_add_i32 s14, s8, 8
	s_cmp_le_u32 s9, s14
	s_cselect_b64 s[0:1], -1, 0
	s_and_b64 s[16:17], s[0:1], exec
	s_cselect_b32 s15, 8, 10
	s_nor_b64 s[16:17], s[0:1], vcc
	v_mov_b32_e32 v18, s15
	s_and_saveexec_b64 s[0:1], s[16:17]
	s_cbranch_execz .LBB533_24
; %bb.23:
	s_sub_i32 s15, s9, s14
	s_min_u32 s15, s15, 8
	v_lshrrev_b32_e32 v18, s14, v2
	v_bfe_u32 v18, v18, 0, s15
	v_lshlrev_b32_e32 v19, 2, v10
	v_lshl_or_b32 v18, v18, 4, v19
	v_mov_b32_e32 v19, 1
	ds_add_u32 v18, v19 offset:4096
	v_mov_b32_e32 v18, 0
.LBB533_24:
	s_or_b64 exec, exec, s[0:1]
	v_cmp_gt_i32_e64 s[0:1], 10, v18
	s_mov_b64 s[14:15], -1
	s_and_saveexec_b64 s[16:17], s[0:1]
; %bb.25:
	v_cmp_eq_u32_e64 s[0:1], 0, v18
	s_orn2_b64 s[14:15], s[0:1], exec
; %bb.26:
	s_or_b64 exec, exec, s[16:17]
	s_and_b64 exec, exec, s[14:15]
	s_cbranch_execz .LBB533_34
; %bb.27:
	s_add_i32 s14, s8, 16
	s_cmp_le_u32 s9, s14
	s_cselect_b64 s[0:1], -1, 0
	s_and_b64 s[16:17], s[0:1], exec
	s_cselect_b32 s15, 8, 10
	s_nor_b64 s[16:17], s[0:1], vcc
	v_mov_b32_e32 v18, s15
	s_and_saveexec_b64 s[0:1], s[16:17]
	s_cbranch_execz .LBB533_29
; %bb.28:
	s_sub_i32 s15, s9, s14
	s_min_u32 s15, s15, 8
	v_lshrrev_b32_e32 v18, s14, v2
	v_bfe_u32 v18, v18, 0, s15
	v_lshlrev_b32_e32 v19, 2, v10
	v_lshl_or_b32 v18, v18, 4, v19
	v_mov_b32_e32 v19, 1
	ds_add_u32 v18, v19 offset:8192
	v_mov_b32_e32 v18, 0
.LBB533_29:
	s_or_b64 exec, exec, s[0:1]
	v_cmp_gt_i32_e64 s[0:1], 10, v18
	s_mov_b64 s[14:15], -1
	s_and_saveexec_b64 s[16:17], s[0:1]
; %bb.30:
	v_cmp_eq_u32_e64 s[0:1], 0, v18
	s_orn2_b64 s[14:15], s[0:1], exec
; %bb.31:
	s_or_b64 exec, exec, s[16:17]
	s_and_b64 exec, exec, s[14:15]
	s_cbranch_execz .LBB533_34
; %bb.32:
	s_add_i32 s0, s8, 24
	s_cmp_gt_u32 s9, s0
	s_cselect_b64 s[14:15], -1, 0
	s_xor_b64 s[16:17], vcc, -1
	s_and_b64 s[14:15], s[14:15], s[16:17]
	s_and_b64 exec, exec, s[14:15]
	s_cbranch_execz .LBB533_34
; %bb.33:
	s_sub_i32 s1, s9, s0
	s_min_u32 s1, s1, 8
	v_lshrrev_b32_e32 v2, s0, v2
	v_bfe_u32 v2, v2, 0, s1
	v_lshlrev_b32_e32 v18, 2, v10
	v_lshl_or_b32 v2, v2, 4, v18
	v_mov_b32_e32 v18, 1
	ds_add_u32 v2, v18 offset:12288
.LBB533_34:
	s_or_b64 exec, exec, s[12:13]
	v_bfrev_b32_e32 v2, 1
	s_waitcnt vmcnt(0)
	v_cmp_lt_i32_e32 vcc, -1, v3
	s_brev_b32 s0, -2
	s_nop 0
	v_cndmask_b32_e32 v18, -1, v2, vcc
	v_xor_b32_e32 v3, v18, v3
	v_cmp_le_u32_e32 vcc, s11, v17
	v_cmp_ne_u32_e64 s[0:1], s0, v3
	s_nor_b64 s[12:13], s[2:3], vcc
	s_nop 0
	v_cndmask_b32_e64 v2, v2, v3, s[0:1]
	v_mov_b32_e32 v3, s18
	s_and_saveexec_b64 s[0:1], s[12:13]
	s_cbranch_execz .LBB533_36
; %bb.35:
	s_sub_i32 s12, s9, s8
	s_min_u32 s12, s12, 8
	v_lshrrev_b32_e32 v3, s8, v2
	v_bfe_u32 v3, v3, 0, s12
	v_lshlrev_b32_e32 v17, 2, v10
	v_lshl_or_b32 v3, v3, 4, v17
	v_mov_b32_e32 v17, 1
	ds_add_u32 v3, v17
	v_mov_b32_e32 v3, 0
.LBB533_36:
	s_or_b64 exec, exec, s[0:1]
	v_cmp_gt_i32_e64 s[0:1], 10, v3
	s_mov_b64 s[14:15], -1
	s_and_saveexec_b64 s[12:13], s[0:1]
; %bb.37:
	v_cmp_eq_u32_e64 s[0:1], 0, v3
	s_orn2_b64 s[14:15], s[0:1], exec
; %bb.38:
	s_or_b64 exec, exec, s[12:13]
	s_and_saveexec_b64 s[12:13], s[14:15]
	s_cbranch_execz .LBB533_51
; %bb.39:
	s_add_i32 s14, s8, 8
	s_cmp_le_u32 s9, s14
	s_cselect_b64 s[0:1], -1, 0
	s_and_b64 s[16:17], s[0:1], exec
	s_cselect_b32 s15, 8, 10
	s_nor_b64 s[16:17], s[0:1], vcc
	v_mov_b32_e32 v3, s15
	s_and_saveexec_b64 s[0:1], s[16:17]
	s_cbranch_execz .LBB533_41
; %bb.40:
	s_sub_i32 s15, s9, s14
	s_min_u32 s15, s15, 8
	v_lshrrev_b32_e32 v3, s14, v2
	v_bfe_u32 v3, v3, 0, s15
	v_lshlrev_b32_e32 v17, 2, v10
	v_lshl_or_b32 v3, v3, 4, v17
	v_mov_b32_e32 v17, 1
	ds_add_u32 v3, v17 offset:4096
	v_mov_b32_e32 v3, 0
.LBB533_41:
	s_or_b64 exec, exec, s[0:1]
	v_cmp_gt_i32_e64 s[0:1], 10, v3
	s_mov_b64 s[14:15], -1
	s_and_saveexec_b64 s[16:17], s[0:1]
; %bb.42:
	v_cmp_eq_u32_e64 s[0:1], 0, v3
	s_orn2_b64 s[14:15], s[0:1], exec
; %bb.43:
	s_or_b64 exec, exec, s[16:17]
	s_and_b64 exec, exec, s[14:15]
	s_cbranch_execz .LBB533_51
; %bb.44:
	s_add_i32 s14, s8, 16
	s_cmp_le_u32 s9, s14
	s_cselect_b64 s[0:1], -1, 0
	s_and_b64 s[16:17], s[0:1], exec
	s_cselect_b32 s15, 8, 10
	s_nor_b64 s[16:17], s[0:1], vcc
	v_mov_b32_e32 v3, s15
	s_and_saveexec_b64 s[0:1], s[16:17]
	s_cbranch_execz .LBB533_46
; %bb.45:
	s_sub_i32 s15, s9, s14
	s_min_u32 s15, s15, 8
	v_lshrrev_b32_e32 v3, s14, v2
	v_bfe_u32 v3, v3, 0, s15
	v_lshlrev_b32_e32 v17, 2, v10
	v_lshl_or_b32 v3, v3, 4, v17
	v_mov_b32_e32 v17, 1
	ds_add_u32 v3, v17 offset:8192
	v_mov_b32_e32 v3, 0
.LBB533_46:
	s_or_b64 exec, exec, s[0:1]
	v_cmp_gt_i32_e64 s[0:1], 10, v3
	s_mov_b64 s[14:15], -1
	s_and_saveexec_b64 s[16:17], s[0:1]
; %bb.47:
	v_cmp_eq_u32_e64 s[0:1], 0, v3
	s_orn2_b64 s[14:15], s[0:1], exec
; %bb.48:
	s_or_b64 exec, exec, s[16:17]
	s_and_b64 exec, exec, s[14:15]
	s_cbranch_execz .LBB533_51
; %bb.49:
	s_add_i32 s0, s8, 24
	s_cmp_gt_u32 s9, s0
	s_cselect_b64 s[14:15], -1, 0
	s_xor_b64 s[16:17], vcc, -1
	s_and_b64 s[14:15], s[14:15], s[16:17]
	s_and_b64 exec, exec, s[14:15]
	s_cbranch_execz .LBB533_51
; %bb.50:
	s_sub_i32 s1, s9, s0
	s_min_u32 s1, s1, 8
	v_lshrrev_b32_e32 v2, s0, v2
	v_bfe_u32 v2, v2, 0, s1
	v_lshlrev_b32_e32 v3, 2, v10
	v_lshl_or_b32 v2, v2, 4, v3
	v_mov_b32_e32 v3, 1
	ds_add_u32 v2, v3 offset:12288
.LBB533_51:
	s_or_b64 exec, exec, s[12:13]
	v_bfrev_b32_e32 v2, 1
	v_cmp_lt_i32_e32 vcc, -1, v4
	s_brev_b32 s0, -2
	s_nop 0
	v_cndmask_b32_e32 v3, -1, v2, vcc
	v_xor_b32_e32 v3, v3, v4
	v_cmp_le_u32_e32 vcc, s11, v16
	v_cmp_ne_u32_e64 s[0:1], s0, v3
	s_nor_b64 s[12:13], s[2:3], vcc
	s_nop 0
	v_cndmask_b32_e64 v2, v2, v3, s[0:1]
	v_mov_b32_e32 v3, s18
	s_and_saveexec_b64 s[0:1], s[12:13]
	s_cbranch_execz .LBB533_53
; %bb.52:
	s_sub_i32 s12, s9, s8
	s_min_u32 s12, s12, 8
	v_lshrrev_b32_e32 v3, s8, v2
	v_bfe_u32 v3, v3, 0, s12
	v_lshlrev_b32_e32 v4, 2, v10
	v_lshl_or_b32 v3, v3, 4, v4
	v_mov_b32_e32 v4, 1
	ds_add_u32 v3, v4
	v_mov_b32_e32 v3, 0
.LBB533_53:
	s_or_b64 exec, exec, s[0:1]
	v_cmp_gt_i32_e64 s[0:1], 10, v3
	s_mov_b64 s[14:15], -1
	s_and_saveexec_b64 s[12:13], s[0:1]
; %bb.54:
	v_cmp_eq_u32_e64 s[0:1], 0, v3
	s_orn2_b64 s[14:15], s[0:1], exec
; %bb.55:
	s_or_b64 exec, exec, s[12:13]
	s_and_saveexec_b64 s[12:13], s[14:15]
	s_cbranch_execz .LBB533_68
; %bb.56:
	s_add_i32 s14, s8, 8
	s_cmp_le_u32 s9, s14
	s_cselect_b64 s[0:1], -1, 0
	s_and_b64 s[16:17], s[0:1], exec
	s_cselect_b32 s15, 8, 10
	s_nor_b64 s[16:17], s[0:1], vcc
	v_mov_b32_e32 v3, s15
	s_and_saveexec_b64 s[0:1], s[16:17]
	s_cbranch_execz .LBB533_58
; %bb.57:
	s_sub_i32 s15, s9, s14
	s_min_u32 s15, s15, 8
	v_lshrrev_b32_e32 v3, s14, v2
	v_bfe_u32 v3, v3, 0, s15
	v_lshlrev_b32_e32 v4, 2, v10
	v_lshl_or_b32 v3, v3, 4, v4
	v_mov_b32_e32 v4, 1
	ds_add_u32 v3, v4 offset:4096
	v_mov_b32_e32 v3, 0
.LBB533_58:
	s_or_b64 exec, exec, s[0:1]
	v_cmp_gt_i32_e64 s[0:1], 10, v3
	s_mov_b64 s[14:15], -1
	s_and_saveexec_b64 s[16:17], s[0:1]
; %bb.59:
	v_cmp_eq_u32_e64 s[0:1], 0, v3
	s_orn2_b64 s[14:15], s[0:1], exec
; %bb.60:
	s_or_b64 exec, exec, s[16:17]
	s_and_b64 exec, exec, s[14:15]
	s_cbranch_execz .LBB533_68
; %bb.61:
	s_add_i32 s14, s8, 16
	s_cmp_le_u32 s9, s14
	s_cselect_b64 s[0:1], -1, 0
	s_and_b64 s[16:17], s[0:1], exec
	s_cselect_b32 s15, 8, 10
	s_nor_b64 s[16:17], s[0:1], vcc
	v_mov_b32_e32 v3, s15
	s_and_saveexec_b64 s[0:1], s[16:17]
	s_cbranch_execz .LBB533_63
; %bb.62:
	s_sub_i32 s15, s9, s14
	s_min_u32 s15, s15, 8
	v_lshrrev_b32_e32 v3, s14, v2
	v_bfe_u32 v3, v3, 0, s15
	v_lshlrev_b32_e32 v4, 2, v10
	v_lshl_or_b32 v3, v3, 4, v4
	v_mov_b32_e32 v4, 1
	ds_add_u32 v3, v4 offset:8192
	v_mov_b32_e32 v3, 0
.LBB533_63:
	s_or_b64 exec, exec, s[0:1]
	v_cmp_gt_i32_e64 s[0:1], 10, v3
	s_mov_b64 s[14:15], -1
	s_and_saveexec_b64 s[16:17], s[0:1]
; %bb.64:
	v_cmp_eq_u32_e64 s[0:1], 0, v3
	s_orn2_b64 s[14:15], s[0:1], exec
; %bb.65:
	s_or_b64 exec, exec, s[16:17]
	s_and_b64 exec, exec, s[14:15]
	s_cbranch_execz .LBB533_68
; %bb.66:
	s_add_i32 s0, s8, 24
	s_cmp_gt_u32 s9, s0
	s_cselect_b64 s[14:15], -1, 0
	s_xor_b64 s[16:17], vcc, -1
	s_and_b64 s[14:15], s[14:15], s[16:17]
	s_and_b64 exec, exec, s[14:15]
	s_cbranch_execz .LBB533_68
; %bb.67:
	s_sub_i32 s1, s9, s0
	s_min_u32 s1, s1, 8
	v_lshrrev_b32_e32 v2, s0, v2
	v_bfe_u32 v2, v2, 0, s1
	v_lshlrev_b32_e32 v3, 2, v10
	v_lshl_or_b32 v2, v2, 4, v3
	v_mov_b32_e32 v3, 1
	ds_add_u32 v2, v3 offset:12288
.LBB533_68:
	s_or_b64 exec, exec, s[12:13]
	v_bfrev_b32_e32 v2, 1
	v_cmp_lt_i32_e32 vcc, -1, v5
	s_brev_b32 s0, -2
	s_nop 0
	v_cndmask_b32_e32 v3, -1, v2, vcc
	v_xor_b32_e32 v3, v3, v5
	v_cmp_le_u32_e32 vcc, s11, v15
	v_cmp_ne_u32_e64 s[0:1], s0, v3
	s_nor_b64 s[12:13], s[2:3], vcc
	s_nop 0
	v_cndmask_b32_e64 v2, v2, v3, s[0:1]
	v_mov_b32_e32 v3, s18
	s_and_saveexec_b64 s[0:1], s[12:13]
	s_cbranch_execz .LBB533_70
; %bb.69:
	s_sub_i32 s12, s9, s8
	s_min_u32 s12, s12, 8
	v_lshrrev_b32_e32 v3, s8, v2
	v_bfe_u32 v3, v3, 0, s12
	v_lshlrev_b32_e32 v4, 2, v10
	v_lshl_or_b32 v3, v3, 4, v4
	v_mov_b32_e32 v4, 1
	ds_add_u32 v3, v4
	v_mov_b32_e32 v3, 0
.LBB533_70:
	s_or_b64 exec, exec, s[0:1]
	v_cmp_gt_i32_e64 s[0:1], 10, v3
	s_mov_b64 s[14:15], -1
	s_and_saveexec_b64 s[12:13], s[0:1]
; %bb.71:
	v_cmp_eq_u32_e64 s[0:1], 0, v3
	s_orn2_b64 s[14:15], s[0:1], exec
; %bb.72:
	s_or_b64 exec, exec, s[12:13]
	s_and_saveexec_b64 s[12:13], s[14:15]
	s_cbranch_execz .LBB533_85
; %bb.73:
	s_add_i32 s14, s8, 8
	s_cmp_le_u32 s9, s14
	s_cselect_b64 s[0:1], -1, 0
	s_and_b64 s[16:17], s[0:1], exec
	s_cselect_b32 s15, 8, 10
	s_nor_b64 s[16:17], s[0:1], vcc
	v_mov_b32_e32 v3, s15
	s_and_saveexec_b64 s[0:1], s[16:17]
	s_cbranch_execz .LBB533_75
; %bb.74:
	s_sub_i32 s15, s9, s14
	s_min_u32 s15, s15, 8
	v_lshrrev_b32_e32 v3, s14, v2
	v_bfe_u32 v3, v3, 0, s15
	v_lshlrev_b32_e32 v4, 2, v10
	v_lshl_or_b32 v3, v3, 4, v4
	v_mov_b32_e32 v4, 1
	ds_add_u32 v3, v4 offset:4096
	v_mov_b32_e32 v3, 0
.LBB533_75:
	s_or_b64 exec, exec, s[0:1]
	v_cmp_gt_i32_e64 s[0:1], 10, v3
	s_mov_b64 s[14:15], -1
	s_and_saveexec_b64 s[16:17], s[0:1]
; %bb.76:
	v_cmp_eq_u32_e64 s[0:1], 0, v3
	s_orn2_b64 s[14:15], s[0:1], exec
; %bb.77:
	s_or_b64 exec, exec, s[16:17]
	s_and_b64 exec, exec, s[14:15]
	s_cbranch_execz .LBB533_85
; %bb.78:
	s_add_i32 s14, s8, 16
	s_cmp_le_u32 s9, s14
	s_cselect_b64 s[0:1], -1, 0
	s_and_b64 s[16:17], s[0:1], exec
	s_cselect_b32 s15, 8, 10
	s_nor_b64 s[16:17], s[0:1], vcc
	v_mov_b32_e32 v3, s15
	s_and_saveexec_b64 s[0:1], s[16:17]
	s_cbranch_execz .LBB533_80
; %bb.79:
	s_sub_i32 s15, s9, s14
	s_min_u32 s15, s15, 8
	v_lshrrev_b32_e32 v3, s14, v2
	v_bfe_u32 v3, v3, 0, s15
	v_lshlrev_b32_e32 v4, 2, v10
	v_lshl_or_b32 v3, v3, 4, v4
	v_mov_b32_e32 v4, 1
	ds_add_u32 v3, v4 offset:8192
	v_mov_b32_e32 v3, 0
.LBB533_80:
	s_or_b64 exec, exec, s[0:1]
	v_cmp_gt_i32_e64 s[0:1], 10, v3
	s_mov_b64 s[14:15], -1
	s_and_saveexec_b64 s[16:17], s[0:1]
; %bb.81:
	v_cmp_eq_u32_e64 s[0:1], 0, v3
	s_orn2_b64 s[14:15], s[0:1], exec
; %bb.82:
	s_or_b64 exec, exec, s[16:17]
	s_and_b64 exec, exec, s[14:15]
	s_cbranch_execz .LBB533_85
; %bb.83:
	s_add_i32 s0, s8, 24
	s_cmp_gt_u32 s9, s0
	s_cselect_b64 s[14:15], -1, 0
	s_xor_b64 s[16:17], vcc, -1
	s_and_b64 s[14:15], s[14:15], s[16:17]
	s_and_b64 exec, exec, s[14:15]
	s_cbranch_execz .LBB533_85
; %bb.84:
	s_sub_i32 s1, s9, s0
	s_min_u32 s1, s1, 8
	v_lshrrev_b32_e32 v2, s0, v2
	v_bfe_u32 v2, v2, 0, s1
	v_lshlrev_b32_e32 v3, 2, v10
	v_lshl_or_b32 v2, v2, 4, v3
	v_mov_b32_e32 v3, 1
	ds_add_u32 v2, v3 offset:12288
.LBB533_85:
	s_or_b64 exec, exec, s[12:13]
	v_bfrev_b32_e32 v2, 1
	v_cmp_lt_i32_e32 vcc, -1, v6
	s_brev_b32 s0, -2
	s_nop 0
	v_cndmask_b32_e32 v3, -1, v2, vcc
	v_xor_b32_e32 v3, v3, v6
	v_cmp_le_u32_e32 vcc, s11, v14
	v_cmp_ne_u32_e64 s[0:1], s0, v3
	s_nor_b64 s[12:13], s[2:3], vcc
	s_nop 0
	v_cndmask_b32_e64 v2, v2, v3, s[0:1]
	v_mov_b32_e32 v3, s18
	s_and_saveexec_b64 s[0:1], s[12:13]
	s_cbranch_execz .LBB533_87
; %bb.86:
	s_sub_i32 s12, s9, s8
	s_min_u32 s12, s12, 8
	v_lshrrev_b32_e32 v3, s8, v2
	v_bfe_u32 v3, v3, 0, s12
	v_lshlrev_b32_e32 v4, 2, v10
	v_lshl_or_b32 v3, v3, 4, v4
	v_mov_b32_e32 v4, 1
	ds_add_u32 v3, v4
	v_mov_b32_e32 v3, 0
.LBB533_87:
	s_or_b64 exec, exec, s[0:1]
	v_cmp_gt_i32_e64 s[0:1], 10, v3
	s_mov_b64 s[14:15], -1
	s_and_saveexec_b64 s[12:13], s[0:1]
; %bb.88:
	v_cmp_eq_u32_e64 s[0:1], 0, v3
	s_orn2_b64 s[14:15], s[0:1], exec
; %bb.89:
	s_or_b64 exec, exec, s[12:13]
	s_and_saveexec_b64 s[12:13], s[14:15]
	s_cbranch_execz .LBB533_102
; %bb.90:
	s_add_i32 s14, s8, 8
	s_cmp_le_u32 s9, s14
	s_cselect_b64 s[0:1], -1, 0
	s_and_b64 s[16:17], s[0:1], exec
	s_cselect_b32 s15, 8, 10
	s_nor_b64 s[16:17], s[0:1], vcc
	v_mov_b32_e32 v3, s15
	s_and_saveexec_b64 s[0:1], s[16:17]
	s_cbranch_execz .LBB533_92
; %bb.91:
	s_sub_i32 s15, s9, s14
	s_min_u32 s15, s15, 8
	v_lshrrev_b32_e32 v3, s14, v2
	v_bfe_u32 v3, v3, 0, s15
	v_lshlrev_b32_e32 v4, 2, v10
	v_lshl_or_b32 v3, v3, 4, v4
	v_mov_b32_e32 v4, 1
	ds_add_u32 v3, v4 offset:4096
	v_mov_b32_e32 v3, 0
.LBB533_92:
	s_or_b64 exec, exec, s[0:1]
	v_cmp_gt_i32_e64 s[0:1], 10, v3
	s_mov_b64 s[14:15], -1
	s_and_saveexec_b64 s[16:17], s[0:1]
; %bb.93:
	v_cmp_eq_u32_e64 s[0:1], 0, v3
	s_orn2_b64 s[14:15], s[0:1], exec
; %bb.94:
	s_or_b64 exec, exec, s[16:17]
	s_and_b64 exec, exec, s[14:15]
	s_cbranch_execz .LBB533_102
; %bb.95:
	s_add_i32 s14, s8, 16
	s_cmp_le_u32 s9, s14
	s_cselect_b64 s[0:1], -1, 0
	s_and_b64 s[16:17], s[0:1], exec
	s_cselect_b32 s15, 8, 10
	s_nor_b64 s[16:17], s[0:1], vcc
	v_mov_b32_e32 v3, s15
	s_and_saveexec_b64 s[0:1], s[16:17]
	s_cbranch_execz .LBB533_97
; %bb.96:
	s_sub_i32 s15, s9, s14
	s_min_u32 s15, s15, 8
	v_lshrrev_b32_e32 v3, s14, v2
	v_bfe_u32 v3, v3, 0, s15
	v_lshlrev_b32_e32 v4, 2, v10
	v_lshl_or_b32 v3, v3, 4, v4
	v_mov_b32_e32 v4, 1
	ds_add_u32 v3, v4 offset:8192
	v_mov_b32_e32 v3, 0
.LBB533_97:
	s_or_b64 exec, exec, s[0:1]
	v_cmp_gt_i32_e64 s[0:1], 10, v3
	s_mov_b64 s[14:15], -1
	s_and_saveexec_b64 s[16:17], s[0:1]
; %bb.98:
	v_cmp_eq_u32_e64 s[0:1], 0, v3
	s_orn2_b64 s[14:15], s[0:1], exec
; %bb.99:
	s_or_b64 exec, exec, s[16:17]
	s_and_b64 exec, exec, s[14:15]
	s_cbranch_execz .LBB533_102
; %bb.100:
	s_add_i32 s0, s8, 24
	s_cmp_gt_u32 s9, s0
	s_cselect_b64 s[14:15], -1, 0
	s_xor_b64 s[16:17], vcc, -1
	s_and_b64 s[14:15], s[14:15], s[16:17]
	s_and_b64 exec, exec, s[14:15]
	s_cbranch_execz .LBB533_102
; %bb.101:
	s_sub_i32 s1, s9, s0
	s_min_u32 s1, s1, 8
	v_lshrrev_b32_e32 v2, s0, v2
	v_bfe_u32 v2, v2, 0, s1
	v_lshlrev_b32_e32 v3, 2, v10
	v_lshl_or_b32 v2, v2, 4, v3
	v_mov_b32_e32 v3, 1
	ds_add_u32 v2, v3 offset:12288
.LBB533_102:
	s_or_b64 exec, exec, s[12:13]
	v_bfrev_b32_e32 v2, 1
	v_cmp_lt_i32_e32 vcc, -1, v7
	s_brev_b32 s0, -2
	s_nop 0
	v_cndmask_b32_e32 v3, -1, v2, vcc
	v_xor_b32_e32 v3, v3, v7
	v_cmp_le_u32_e32 vcc, s11, v13
	v_cmp_ne_u32_e64 s[0:1], s0, v3
	s_nor_b64 s[12:13], s[2:3], vcc
	s_nop 0
	v_cndmask_b32_e64 v2, v2, v3, s[0:1]
	v_mov_b32_e32 v3, s18
	s_and_saveexec_b64 s[0:1], s[12:13]
	s_cbranch_execz .LBB533_104
; %bb.103:
	s_sub_i32 s12, s9, s8
	s_min_u32 s12, s12, 8
	v_lshrrev_b32_e32 v3, s8, v2
	v_bfe_u32 v3, v3, 0, s12
	v_lshlrev_b32_e32 v4, 2, v10
	v_lshl_or_b32 v3, v3, 4, v4
	v_mov_b32_e32 v4, 1
	ds_add_u32 v3, v4
	v_mov_b32_e32 v3, 0
.LBB533_104:
	s_or_b64 exec, exec, s[0:1]
	v_cmp_gt_i32_e64 s[0:1], 10, v3
	s_mov_b64 s[14:15], -1
	s_and_saveexec_b64 s[12:13], s[0:1]
; %bb.105:
	v_cmp_eq_u32_e64 s[0:1], 0, v3
	s_orn2_b64 s[14:15], s[0:1], exec
; %bb.106:
	s_or_b64 exec, exec, s[12:13]
	s_and_saveexec_b64 s[12:13], s[14:15]
	s_cbranch_execz .LBB533_119
; %bb.107:
	s_add_i32 s14, s8, 8
	s_cmp_le_u32 s9, s14
	s_cselect_b64 s[0:1], -1, 0
	s_and_b64 s[16:17], s[0:1], exec
	s_cselect_b32 s15, 8, 10
	s_nor_b64 s[16:17], s[0:1], vcc
	v_mov_b32_e32 v3, s15
	s_and_saveexec_b64 s[0:1], s[16:17]
	s_cbranch_execz .LBB533_109
; %bb.108:
	s_sub_i32 s15, s9, s14
	s_min_u32 s15, s15, 8
	v_lshrrev_b32_e32 v3, s14, v2
	v_bfe_u32 v3, v3, 0, s15
	v_lshlrev_b32_e32 v4, 2, v10
	v_lshl_or_b32 v3, v3, 4, v4
	v_mov_b32_e32 v4, 1
	ds_add_u32 v3, v4 offset:4096
	v_mov_b32_e32 v3, 0
.LBB533_109:
	s_or_b64 exec, exec, s[0:1]
	v_cmp_gt_i32_e64 s[0:1], 10, v3
	s_mov_b64 s[14:15], -1
	s_and_saveexec_b64 s[16:17], s[0:1]
; %bb.110:
	v_cmp_eq_u32_e64 s[0:1], 0, v3
	s_orn2_b64 s[14:15], s[0:1], exec
; %bb.111:
	s_or_b64 exec, exec, s[16:17]
	s_and_b64 exec, exec, s[14:15]
	s_cbranch_execz .LBB533_119
; %bb.112:
	s_add_i32 s14, s8, 16
	s_cmp_le_u32 s9, s14
	s_cselect_b64 s[0:1], -1, 0
	s_and_b64 s[16:17], s[0:1], exec
	s_cselect_b32 s15, 8, 10
	s_nor_b64 s[16:17], s[0:1], vcc
	v_mov_b32_e32 v3, s15
	s_and_saveexec_b64 s[0:1], s[16:17]
	s_cbranch_execz .LBB533_114
; %bb.113:
	s_sub_i32 s15, s9, s14
	s_min_u32 s15, s15, 8
	v_lshrrev_b32_e32 v3, s14, v2
	v_bfe_u32 v3, v3, 0, s15
	v_lshlrev_b32_e32 v4, 2, v10
	v_lshl_or_b32 v3, v3, 4, v4
	v_mov_b32_e32 v4, 1
	ds_add_u32 v3, v4 offset:8192
	v_mov_b32_e32 v3, 0
.LBB533_114:
	s_or_b64 exec, exec, s[0:1]
	v_cmp_gt_i32_e64 s[0:1], 10, v3
	s_mov_b64 s[14:15], -1
	s_and_saveexec_b64 s[16:17], s[0:1]
; %bb.115:
	v_cmp_eq_u32_e64 s[0:1], 0, v3
	s_orn2_b64 s[14:15], s[0:1], exec
; %bb.116:
	s_or_b64 exec, exec, s[16:17]
	s_and_b64 exec, exec, s[14:15]
	s_cbranch_execz .LBB533_119
; %bb.117:
	s_add_i32 s0, s8, 24
	s_cmp_gt_u32 s9, s0
	s_cselect_b64 s[14:15], -1, 0
	s_xor_b64 s[16:17], vcc, -1
	s_and_b64 s[14:15], s[14:15], s[16:17]
	s_and_b64 exec, exec, s[14:15]
	s_cbranch_execz .LBB533_119
; %bb.118:
	s_sub_i32 s1, s9, s0
	s_min_u32 s1, s1, 8
	v_lshrrev_b32_e32 v2, s0, v2
	v_bfe_u32 v2, v2, 0, s1
	v_lshlrev_b32_e32 v3, 2, v10
	v_lshl_or_b32 v2, v2, 4, v3
	v_mov_b32_e32 v3, 1
	ds_add_u32 v2, v3 offset:12288
.LBB533_119:
	s_or_b64 exec, exec, s[12:13]
	v_bfrev_b32_e32 v2, 1
	v_cmp_lt_i32_e32 vcc, -1, v8
	s_brev_b32 s0, -2
	s_nop 0
	v_cndmask_b32_e32 v3, -1, v2, vcc
	v_xor_b32_e32 v3, v3, v8
	v_cmp_le_u32_e32 vcc, s11, v12
	v_cmp_ne_u32_e64 s[0:1], s0, v3
	s_nor_b64 s[12:13], s[2:3], vcc
	s_nop 0
	v_cndmask_b32_e64 v2, v2, v3, s[0:1]
	v_mov_b32_e32 v3, s18
	s_and_saveexec_b64 s[0:1], s[12:13]
	s_cbranch_execz .LBB533_121
; %bb.120:
	s_sub_i32 s12, s9, s8
	s_min_u32 s12, s12, 8
	v_lshrrev_b32_e32 v3, s8, v2
	v_bfe_u32 v3, v3, 0, s12
	v_lshlrev_b32_e32 v4, 2, v10
	v_lshl_or_b32 v3, v3, 4, v4
	v_mov_b32_e32 v4, 1
	ds_add_u32 v3, v4
	v_mov_b32_e32 v3, 0
.LBB533_121:
	s_or_b64 exec, exec, s[0:1]
	v_cmp_gt_i32_e64 s[0:1], 10, v3
	s_mov_b64 s[14:15], -1
	s_and_saveexec_b64 s[12:13], s[0:1]
; %bb.122:
	v_cmp_eq_u32_e64 s[0:1], 0, v3
	s_orn2_b64 s[14:15], s[0:1], exec
; %bb.123:
	s_or_b64 exec, exec, s[12:13]
	s_and_saveexec_b64 s[12:13], s[14:15]
	s_cbranch_execz .LBB533_136
; %bb.124:
	s_add_i32 s14, s8, 8
	s_cmp_le_u32 s9, s14
	s_cselect_b64 s[0:1], -1, 0
	s_and_b64 s[16:17], s[0:1], exec
	s_cselect_b32 s15, 8, 10
	s_nor_b64 s[16:17], s[0:1], vcc
	v_mov_b32_e32 v3, s15
	s_and_saveexec_b64 s[0:1], s[16:17]
	s_cbranch_execz .LBB533_126
; %bb.125:
	s_sub_i32 s15, s9, s14
	s_min_u32 s15, s15, 8
	v_lshrrev_b32_e32 v3, s14, v2
	v_bfe_u32 v3, v3, 0, s15
	v_lshlrev_b32_e32 v4, 2, v10
	v_lshl_or_b32 v3, v3, 4, v4
	v_mov_b32_e32 v4, 1
	ds_add_u32 v3, v4 offset:4096
	v_mov_b32_e32 v3, 0
.LBB533_126:
	s_or_b64 exec, exec, s[0:1]
	v_cmp_gt_i32_e64 s[0:1], 10, v3
	s_mov_b64 s[14:15], -1
	s_and_saveexec_b64 s[16:17], s[0:1]
; %bb.127:
	v_cmp_eq_u32_e64 s[0:1], 0, v3
	s_orn2_b64 s[14:15], s[0:1], exec
; %bb.128:
	s_or_b64 exec, exec, s[16:17]
	s_and_b64 exec, exec, s[14:15]
	s_cbranch_execz .LBB533_136
; %bb.129:
	s_add_i32 s14, s8, 16
	s_cmp_le_u32 s9, s14
	s_cselect_b64 s[0:1], -1, 0
	s_and_b64 s[16:17], s[0:1], exec
	s_cselect_b32 s15, 8, 10
	s_nor_b64 s[16:17], s[0:1], vcc
	v_mov_b32_e32 v3, s15
	s_and_saveexec_b64 s[0:1], s[16:17]
	s_cbranch_execz .LBB533_131
; %bb.130:
	s_sub_i32 s15, s9, s14
	s_min_u32 s15, s15, 8
	v_lshrrev_b32_e32 v3, s14, v2
	v_bfe_u32 v3, v3, 0, s15
	v_lshlrev_b32_e32 v4, 2, v10
	v_lshl_or_b32 v3, v3, 4, v4
	v_mov_b32_e32 v4, 1
	ds_add_u32 v3, v4 offset:8192
	v_mov_b32_e32 v3, 0
.LBB533_131:
	s_or_b64 exec, exec, s[0:1]
	v_cmp_gt_i32_e64 s[0:1], 10, v3
	s_mov_b64 s[14:15], -1
	s_and_saveexec_b64 s[16:17], s[0:1]
; %bb.132:
	v_cmp_eq_u32_e64 s[0:1], 0, v3
	s_orn2_b64 s[14:15], s[0:1], exec
; %bb.133:
	s_or_b64 exec, exec, s[16:17]
	s_and_b64 exec, exec, s[14:15]
	s_cbranch_execz .LBB533_136
; %bb.134:
	s_add_i32 s0, s8, 24
	s_cmp_gt_u32 s9, s0
	s_cselect_b64 s[14:15], -1, 0
	s_xor_b64 s[16:17], vcc, -1
	s_and_b64 s[14:15], s[14:15], s[16:17]
	s_and_b64 exec, exec, s[14:15]
	s_cbranch_execz .LBB533_136
; %bb.135:
	s_sub_i32 s1, s9, s0
	s_min_u32 s1, s1, 8
	v_lshrrev_b32_e32 v2, s0, v2
	v_bfe_u32 v2, v2, 0, s1
	v_lshlrev_b32_e32 v3, 2, v10
	v_lshl_or_b32 v2, v2, 4, v3
	v_mov_b32_e32 v3, 1
	ds_add_u32 v2, v3 offset:12288
.LBB533_136:
	s_or_b64 exec, exec, s[12:13]
	v_bfrev_b32_e32 v2, 1
	v_cmp_lt_i32_e32 vcc, -1, v9
	s_brev_b32 s0, -2
	s_nop 0
	v_cndmask_b32_e32 v3, -1, v2, vcc
	v_xor_b32_e32 v3, v3, v9
	v_cmp_le_u32_e32 vcc, s11, v11
	v_cmp_ne_u32_e64 s[0:1], s0, v3
	s_nor_b64 s[2:3], s[2:3], vcc
	s_nop 0
	v_cndmask_b32_e64 v2, v2, v3, s[0:1]
	v_mov_b32_e32 v3, s18
	s_and_saveexec_b64 s[0:1], s[2:3]
	s_cbranch_execz .LBB533_138
; %bb.137:
	s_sub_i32 s2, s9, s8
	s_min_u32 s2, s2, 8
	v_lshrrev_b32_e32 v3, s8, v2
	v_bfe_u32 v3, v3, 0, s2
	v_lshlrev_b32_e32 v4, 2, v10
	v_lshl_or_b32 v3, v3, 4, v4
	v_mov_b32_e32 v4, 1
	ds_add_u32 v3, v4
	v_mov_b32_e32 v3, 0
.LBB533_138:
	s_or_b64 exec, exec, s[0:1]
	v_cmp_gt_i32_e64 s[0:1], 10, v3
	s_mov_b64 s[12:13], -1
	s_and_saveexec_b64 s[2:3], s[0:1]
; %bb.139:
	v_cmp_eq_u32_e64 s[0:1], 0, v3
	s_orn2_b64 s[12:13], s[0:1], exec
; %bb.140:
	s_or_b64 exec, exec, s[2:3]
	s_and_saveexec_b64 s[2:3], s[12:13]
	s_cbranch_execz .LBB533_153
; %bb.141:
	s_add_i32 s11, s8, 8
	s_cmp_le_u32 s9, s11
	s_cselect_b64 s[0:1], -1, 0
	s_and_b64 s[12:13], s[0:1], exec
	s_cselect_b32 s14, 8, 10
	s_nor_b64 s[12:13], s[0:1], vcc
	v_mov_b32_e32 v3, s14
	s_and_saveexec_b64 s[0:1], s[12:13]
	s_cbranch_execz .LBB533_143
; %bb.142:
	s_sub_i32 s12, s9, s11
	s_min_u32 s12, s12, 8
	v_lshrrev_b32_e32 v3, s11, v2
	v_bfe_u32 v3, v3, 0, s12
	v_lshlrev_b32_e32 v4, 2, v10
	v_lshl_or_b32 v3, v3, 4, v4
	v_mov_b32_e32 v4, 1
	ds_add_u32 v3, v4 offset:4096
	v_mov_b32_e32 v3, 0
.LBB533_143:
	s_or_b64 exec, exec, s[0:1]
	v_cmp_gt_i32_e64 s[0:1], 10, v3
	s_mov_b64 s[12:13], -1
	s_and_saveexec_b64 s[14:15], s[0:1]
; %bb.144:
	v_cmp_eq_u32_e64 s[0:1], 0, v3
	s_orn2_b64 s[12:13], s[0:1], exec
; %bb.145:
	s_or_b64 exec, exec, s[14:15]
	s_and_b64 exec, exec, s[12:13]
	s_cbranch_execz .LBB533_153
; %bb.146:
	s_add_i32 s11, s8, 16
	s_cmp_le_u32 s9, s11
	s_cselect_b64 s[0:1], -1, 0
	s_and_b64 s[12:13], s[0:1], exec
	s_cselect_b32 s14, 8, 10
	s_nor_b64 s[12:13], s[0:1], vcc
	v_mov_b32_e32 v3, s14
	s_and_saveexec_b64 s[0:1], s[12:13]
	s_cbranch_execz .LBB533_148
; %bb.147:
	s_sub_i32 s12, s9, s11
	s_min_u32 s12, s12, 8
	v_lshrrev_b32_e32 v3, s11, v2
	v_bfe_u32 v3, v3, 0, s12
	v_lshlrev_b32_e32 v4, 2, v10
	v_lshl_or_b32 v3, v3, 4, v4
	v_mov_b32_e32 v4, 1
	ds_add_u32 v3, v4 offset:8192
	v_mov_b32_e32 v3, 0
.LBB533_148:
	s_or_b64 exec, exec, s[0:1]
	v_cmp_gt_i32_e64 s[0:1], 10, v3
	s_mov_b64 s[12:13], -1
	s_and_saveexec_b64 s[14:15], s[0:1]
; %bb.149:
	v_cmp_eq_u32_e64 s[0:1], 0, v3
	s_orn2_b64 s[12:13], s[0:1], exec
; %bb.150:
	s_or_b64 exec, exec, s[14:15]
	s_and_b64 exec, exec, s[12:13]
	s_cbranch_execz .LBB533_153
; %bb.151:
	s_add_i32 s0, s8, 24
	s_cmp_gt_u32 s9, s0
	s_cselect_b64 s[12:13], -1, 0
	s_xor_b64 s[14:15], vcc, -1
	s_and_b64 s[12:13], s[12:13], s[14:15]
	s_and_b64 exec, exec, s[12:13]
	s_cbranch_execz .LBB533_153
; %bb.152:
	s_sub_i32 s1, s9, s0
	s_min_u32 s1, s1, 8
	v_lshrrev_b32_e32 v2, s0, v2
	v_bfe_u32 v2, v2, 0, s1
	v_lshlrev_b32_e32 v3, 2, v10
	v_lshl_or_b32 v2, v2, 4, v3
	v_mov_b32_e32 v3, 1
	ds_add_u32 v2, v3 offset:12288
.LBB533_153:
	s_or_b64 exec, exec, s[2:3]
	s_cmp_gt_u32 s9, s8
	s_waitcnt lgkmcnt(0)
	s_barrier
	s_cbranch_scc0 .LBB533_158
; %bb.154:
	s_movk_i32 s0, 0x100
	v_cmp_gt_u32_e32 vcc, s0, v0
	v_mad_u32_u24 v1, v0, 12, v1
	v_mov_b32_e32 v3, 0
	v_mov_b32_e32 v2, v0
	s_mov_b32 s2, s8
	s_branch .LBB533_156
.LBB533_155:                            ;   in Loop: Header=BB533_156 Depth=1
	s_or_b64 exec, exec, s[0:1]
	s_add_i32 s2, s2, 8
	v_add_u32_e32 v2, 0x100, v2
	s_cmp_lt_u32 s2, s9
	v_add_u32_e32 v1, 0x1000, v1
	s_cbranch_scc0 .LBB533_158
.LBB533_156:                            ; =>This Inner Loop Header: Depth=1
	s_and_saveexec_b64 s[0:1], vcc
	s_cbranch_execz .LBB533_155
; %bb.157:                              ;   in Loop: Header=BB533_156 Depth=1
	ds_read2_b32 v[4:5], v1 offset1:1
	ds_read2_b32 v[6:7], v1 offset0:2 offset1:3
	s_waitcnt lgkmcnt(1)
	v_add_u32_e32 v4, v5, v4
	s_waitcnt lgkmcnt(0)
	v_add3_u32 v6, v4, v6, v7
	v_lshl_add_u64 v[4:5], v[2:3], 2, s[6:7]
	global_atomic_add v[4:5], v6, off
	s_branch .LBB533_155
.LBB533_158:
	s_mov_b64 s[2:3], 0
.LBB533_159:
	s_and_b64 vcc, exec, s[2:3]
	s_cbranch_vccz .LBB533_219
; %bb.160:
	s_cmp_eq_u32 s8, 0
	s_cselect_b64 s[0:1], -1, 0
	s_cmp_eq_u32 s9, 32
	s_mov_b32 s11, 0
	s_cselect_b64 s[2:3], -1, 0
	s_and_b64 s[2:3], s[0:1], s[2:3]
	s_lshl_b64 s[0:1], s[10:11], 2
	s_add_u32 s0, s4, s0
	s_addc_u32 s1, s5, s1
	v_mov_b32_e32 v3, 0
	v_lshlrev_b32_e32 v2, 2, v0
	v_lshl_add_u64 v[4:5], s[0:1], 0, v[2:3]
	s_movk_i32 s4, 0x2000
	v_add_co_u32_e32 v14, vcc, s4, v4
	s_movk_i32 s4, 0x4000
	s_nop 0
	v_addc_co_u32_e32 v15, vcc, 0, v5, vcc
	v_add_co_u32_e32 v16, vcc, s4, v4
	s_movk_i32 s4, 0x5000
	s_nop 0
	v_addc_co_u32_e32 v17, vcc, 0, v5, vcc
	v_add_co_u32_e32 v18, vcc, s4, v4
	s_nop 1
	v_addc_co_u32_e32 v19, vcc, 0, v5, vcc
	v_add_co_u32_e32 v20, vcc, 0x6000, v4
	;; [unrolled: 3-line block ×3, first 2 shown]
	s_nop 1
	v_addc_co_u32_e32 v5, vcc, 0, v5, vcc
	global_load_dword v12, v2, s[0:1]
	global_load_dword v11, v[14:15], off offset:-4096
	global_load_dword v10, v[14:15], off
	global_load_dword v9, v[16:17], off offset:-4096
	global_load_dword v8, v[16:17], off
	global_load_dword v7, v[18:19], off
	global_load_dword v1, v[20:21], off
	global_load_dword v6, v[4:5], off
	s_mov_b64 s[0:1], -1
	s_and_b64 vcc, exec, s[2:3]
	s_cbranch_vccnz .LBB533_216
; %bb.161:
	s_cmp_gt_u32 s9, s8
	s_cselect_b64 s[0:1], -1, 0
	s_and_b64 vcc, exec, s[0:1]
	ds_write2st64_b32 v2, v3, v3 offset1:16
	ds_write2st64_b32 v2, v3, v3 offset0:32 offset1:48
	s_waitcnt lgkmcnt(0)
	s_barrier
	s_cbranch_vccz .LBB533_210
; %bb.162:
	v_bfrev_b32_e32 v14, 1
	s_waitcnt vmcnt(7)
	v_cmp_lt_i32_e32 vcc, -1, v12
	s_brev_b32 s4, -2
	s_sub_i32 s2, s9, s8
	v_cndmask_b32_e32 v3, -1, v14, vcc
	v_xor_b32_e32 v4, v3, v12
	s_waitcnt vmcnt(6)
	v_cmp_lt_i32_e32 vcc, -1, v11
	s_min_u32 s2, s2, 8
	s_lshl_b32 s2, -1, s2
	v_cndmask_b32_e32 v3, -1, v14, vcc
	v_cmp_ne_u32_e32 vcc, s4, v4
	v_xor_b32_e32 v5, v3, v11
	v_and_b32_e32 v3, 3, v0
	v_cndmask_b32_e32 v13, v14, v4, vcc
	v_lshrrev_b32_e32 v4, s8, v13
	v_bitop3_b32 v15, v4, s2, v4 bitop3:0x30
	v_lshlrev_b32_e32 v4, 2, v3
	v_lshl_or_b32 v15, v15, 4, v4
	v_mov_b32_e32 v16, 1
	s_not_b32 s12, s2
	ds_add_u32 v15, v16
	s_add_i32 s13, s8, 8
	s_cmp_le_u32 s9, s13
	s_cselect_b64 s[2:3], -1, 0
	s_and_b64 vcc, exec, s[2:3]
	s_cbranch_vccz .LBB533_164
; %bb.163:
	v_cmp_ne_u32_e32 vcc, s4, v5
	s_mov_b64 s[4:5], -1
	s_nop 0
	v_cndmask_b32_e32 v14, v14, v5, vcc
	v_lshrrev_b32_e32 v14, s8, v14
	v_and_b32_e32 v14, s12, v14
	v_lshlrev_b32_e32 v14, 4, v14
	s_cbranch_execz .LBB533_165
	s_branch .LBB533_172
.LBB533_164:
	s_mov_b64 s[4:5], 0
                                        ; implicit-def: $vgpr14
.LBB533_165:
	s_sub_i32 s10, s9, s13
	s_min_u32 s10, s10, 8
	s_lshl_b32 s10, -1, s10
	v_lshrrev_b32_e32 v14, s13, v13
	v_bitop3_b32 v14, v14, s10, v14 bitop3:0x30
	v_lshl_or_b32 v15, v14, 4, v4
	v_mov_b32_e32 v14, 1
	ds_add_u32 v15, v14 offset:4096
	s_not_b32 s15, s10
	s_add_i32 s14, s8, 16
	s_cmp_gt_u32 s9, s14
	s_cselect_b64 s[10:11], -1, 0
	s_cmp_le_u32 s9, s14
	s_cbranch_scc1 .LBB533_168
; %bb.166:
	s_sub_i32 s16, s9, s14
	s_min_u32 s16, s16, 8
	v_lshrrev_b32_e32 v15, s14, v13
	v_bfe_u32 v15, v15, 0, s16
	v_lshl_or_b32 v15, v15, 4, v4
	ds_add_u32 v15, v14 offset:8192
	s_add_i32 s16, s8, 24
	s_cmp_le_u32 s9, s16
	s_cbranch_scc1 .LBB533_168
; %bb.167:
	s_sub_i32 s17, s9, s16
	s_min_u32 s17, s17, 8
	v_lshrrev_b32_e32 v13, s16, v13
	v_bfe_u32 v13, v13, 0, s17
	v_lshl_or_b32 v13, v13, 4, v4
	v_mov_b32_e32 v15, 1
	ds_add_u32 v13, v15 offset:12288
.LBB533_168:
	s_brev_b32 s16, -2
	v_bfrev_b32_e32 v13, 1
	v_cmp_ne_u32_e32 vcc, s16, v5
	s_nop 1
	v_cndmask_b32_e32 v5, v13, v5, vcc
	v_lshrrev_b32_e32 v13, s8, v5
	v_and_b32_e32 v13, s12, v13
	v_lshl_or_b32 v13, v13, 4, v4
	ds_add_u32 v13, v14
	v_lshrrev_b32_e32 v13, s13, v5
	v_and_b32_e32 v13, s15, v13
	v_lshl_or_b32 v13, v13, 4, v4
	ds_add_u32 v13, v14 offset:4096
	s_andn2_b64 vcc, exec, s[10:11]
	s_cbranch_vccnz .LBB533_171
; %bb.169:
	s_sub_i32 s10, s9, s14
	s_min_u32 s10, s10, 8
	v_lshrrev_b32_e32 v13, s14, v5
	v_bfe_u32 v13, v13, 0, s10
	v_lshl_or_b32 v13, v13, 4, v4
	v_mov_b32_e32 v14, 1
	ds_add_u32 v13, v14 offset:8192
	s_add_i32 s10, s8, 24
	s_cmp_gt_u32 s9, s10
                                        ; implicit-def: $vgpr14
	s_cbranch_scc0 .LBB533_172
; %bb.170:
	s_sub_i32 s4, s9, s10
	s_min_u32 s4, s4, 8
	v_lshrrev_b32_e32 v5, s10, v5
	v_bfe_u32 v5, v5, 0, s4
	v_mov_b32_e32 v13, 0x3000
	v_lshl_add_u32 v14, v5, 4, v13
	s_mov_b64 s[4:5], -1
	s_branch .LBB533_172
.LBB533_171:
                                        ; implicit-def: $vgpr14
.LBB533_172:
	s_and_b64 vcc, exec, s[4:5]
	s_cbranch_vccz .LBB533_174
; %bb.173:
	v_lshl_add_u32 v5, v3, 2, v14
	v_mov_b32_e32 v13, 1
	ds_add_u32 v5, v13
.LBB533_174:
	v_bfrev_b32_e32 v14, 1
	s_waitcnt vmcnt(5)
	v_cmp_lt_i32_e32 vcc, -1, v10
	s_brev_b32 s4, -2
	v_mov_b32_e32 v16, 1
	v_cndmask_b32_e32 v5, -1, v14, vcc
	v_xor_b32_e32 v5, v5, v10
	s_waitcnt vmcnt(4)
	v_cmp_lt_i32_e32 vcc, -1, v9
	s_nop 1
	v_cndmask_b32_e32 v15, -1, v14, vcc
	v_cmp_ne_u32_e32 vcc, s4, v5
	s_nop 1
	v_cndmask_b32_e32 v13, v14, v5, vcc
	v_lshrrev_b32_e32 v5, s8, v13
	v_and_b32_e32 v5, s12, v5
	v_lshl_or_b32 v5, v5, 4, v4
	ds_add_u32 v5, v16
	v_xor_b32_e32 v5, v15, v9
	s_and_b64 vcc, exec, s[2:3]
	s_cbranch_vccz .LBB533_176
; %bb.175:
	v_cmp_ne_u32_e32 vcc, s4, v5
	s_mov_b64 s[4:5], -1
	s_nop 0
	v_cndmask_b32_e32 v14, v14, v5, vcc
	v_lshrrev_b32_e32 v14, s8, v14
	v_and_b32_e32 v14, s12, v14
	v_lshlrev_b32_e32 v14, 4, v14
	s_cbranch_execz .LBB533_177
	s_branch .LBB533_184
.LBB533_176:
	s_mov_b64 s[4:5], 0
                                        ; implicit-def: $vgpr14
.LBB533_177:
	s_sub_i32 s10, s9, s13
	s_min_u32 s10, s10, 8
	s_lshl_b32 s10, -1, s10
	v_lshrrev_b32_e32 v14, s13, v13
	v_bitop3_b32 v14, v14, s10, v14 bitop3:0x30
	v_lshl_or_b32 v15, v14, 4, v4
	v_mov_b32_e32 v14, 1
	ds_add_u32 v15, v14 offset:4096
	s_not_b32 s15, s10
	s_add_i32 s14, s8, 16
	s_cmp_gt_u32 s9, s14
	s_cselect_b64 s[10:11], -1, 0
	s_cmp_le_u32 s9, s14
	s_cbranch_scc1 .LBB533_180
; %bb.178:
	s_sub_i32 s16, s9, s14
	s_min_u32 s16, s16, 8
	v_lshrrev_b32_e32 v15, s14, v13
	v_bfe_u32 v15, v15, 0, s16
	v_lshl_or_b32 v15, v15, 4, v4
	ds_add_u32 v15, v14 offset:8192
	s_add_i32 s16, s8, 24
	s_cmp_le_u32 s9, s16
	s_cbranch_scc1 .LBB533_180
; %bb.179:
	s_sub_i32 s17, s9, s16
	s_min_u32 s17, s17, 8
	v_lshrrev_b32_e32 v13, s16, v13
	v_bfe_u32 v13, v13, 0, s17
	v_lshl_or_b32 v13, v13, 4, v4
	v_mov_b32_e32 v15, 1
	ds_add_u32 v13, v15 offset:12288
.LBB533_180:
	s_brev_b32 s16, -2
	v_bfrev_b32_e32 v13, 1
	v_cmp_ne_u32_e32 vcc, s16, v5
	s_nop 1
	v_cndmask_b32_e32 v5, v13, v5, vcc
	v_lshrrev_b32_e32 v13, s8, v5
	v_and_b32_e32 v13, s12, v13
	v_lshl_or_b32 v13, v13, 4, v4
	ds_add_u32 v13, v14
	v_lshrrev_b32_e32 v13, s13, v5
	v_and_b32_e32 v13, s15, v13
	v_lshl_or_b32 v13, v13, 4, v4
	ds_add_u32 v13, v14 offset:4096
	s_andn2_b64 vcc, exec, s[10:11]
	s_cbranch_vccnz .LBB533_183
; %bb.181:
	s_sub_i32 s10, s9, s14
	s_min_u32 s10, s10, 8
	v_lshrrev_b32_e32 v13, s14, v5
	v_bfe_u32 v13, v13, 0, s10
	v_lshl_or_b32 v13, v13, 4, v4
	v_mov_b32_e32 v14, 1
	ds_add_u32 v13, v14 offset:8192
	s_add_i32 s10, s8, 24
	s_cmp_gt_u32 s9, s10
                                        ; implicit-def: $vgpr14
	s_cbranch_scc0 .LBB533_184
; %bb.182:
	s_sub_i32 s4, s9, s10
	s_min_u32 s4, s4, 8
	v_lshrrev_b32_e32 v5, s10, v5
	v_bfe_u32 v5, v5, 0, s4
	v_mov_b32_e32 v13, 0x3000
	v_lshl_add_u32 v14, v5, 4, v13
	s_mov_b64 s[4:5], -1
	s_branch .LBB533_184
.LBB533_183:
                                        ; implicit-def: $vgpr14
.LBB533_184:
	s_and_b64 vcc, exec, s[4:5]
	s_cbranch_vccz .LBB533_186
; %bb.185:
	v_lshl_add_u32 v5, v3, 2, v14
	v_mov_b32_e32 v13, 1
	ds_add_u32 v5, v13
.LBB533_186:
	v_bfrev_b32_e32 v14, 1
	s_waitcnt vmcnt(3)
	v_cmp_lt_i32_e32 vcc, -1, v8
	s_brev_b32 s4, -2
	v_mov_b32_e32 v16, 1
	v_cndmask_b32_e32 v5, -1, v14, vcc
	v_xor_b32_e32 v5, v5, v8
	s_waitcnt vmcnt(2)
	v_cmp_lt_i32_e32 vcc, -1, v7
	s_nop 1
	v_cndmask_b32_e32 v15, -1, v14, vcc
	v_cmp_ne_u32_e32 vcc, s4, v5
	s_nop 1
	v_cndmask_b32_e32 v13, v14, v5, vcc
	v_lshrrev_b32_e32 v5, s8, v13
	v_and_b32_e32 v5, s12, v5
	v_lshl_or_b32 v5, v5, 4, v4
	ds_add_u32 v5, v16
	v_xor_b32_e32 v5, v15, v7
	s_and_b64 vcc, exec, s[2:3]
	s_cbranch_vccz .LBB533_188
; %bb.187:
	v_cmp_ne_u32_e32 vcc, s4, v5
	s_mov_b64 s[4:5], -1
	s_nop 0
	v_cndmask_b32_e32 v14, v14, v5, vcc
	v_lshrrev_b32_e32 v14, s8, v14
	v_and_b32_e32 v14, s12, v14
	v_lshlrev_b32_e32 v14, 4, v14
	s_cbranch_execz .LBB533_189
	s_branch .LBB533_196
.LBB533_188:
	s_mov_b64 s[4:5], 0
                                        ; implicit-def: $vgpr14
.LBB533_189:
	s_sub_i32 s10, s9, s13
	s_min_u32 s10, s10, 8
	s_lshl_b32 s10, -1, s10
	v_lshrrev_b32_e32 v14, s13, v13
	v_bitop3_b32 v14, v14, s10, v14 bitop3:0x30
	v_lshl_or_b32 v15, v14, 4, v4
	v_mov_b32_e32 v14, 1
	ds_add_u32 v15, v14 offset:4096
	s_not_b32 s15, s10
	s_add_i32 s14, s8, 16
	s_cmp_gt_u32 s9, s14
	s_cselect_b64 s[10:11], -1, 0
	s_cmp_le_u32 s9, s14
	s_cbranch_scc1 .LBB533_192
; %bb.190:
	s_sub_i32 s16, s9, s14
	s_min_u32 s16, s16, 8
	v_lshrrev_b32_e32 v15, s14, v13
	v_bfe_u32 v15, v15, 0, s16
	v_lshl_or_b32 v15, v15, 4, v4
	ds_add_u32 v15, v14 offset:8192
	s_add_i32 s16, s8, 24
	s_cmp_le_u32 s9, s16
	s_cbranch_scc1 .LBB533_192
; %bb.191:
	s_sub_i32 s17, s9, s16
	s_min_u32 s17, s17, 8
	v_lshrrev_b32_e32 v13, s16, v13
	v_bfe_u32 v13, v13, 0, s17
	v_lshl_or_b32 v13, v13, 4, v4
	v_mov_b32_e32 v15, 1
	ds_add_u32 v13, v15 offset:12288
.LBB533_192:
	s_brev_b32 s16, -2
	v_bfrev_b32_e32 v13, 1
	v_cmp_ne_u32_e32 vcc, s16, v5
	s_nop 1
	v_cndmask_b32_e32 v5, v13, v5, vcc
	v_lshrrev_b32_e32 v13, s8, v5
	v_and_b32_e32 v13, s12, v13
	v_lshl_or_b32 v13, v13, 4, v4
	ds_add_u32 v13, v14
	v_lshrrev_b32_e32 v13, s13, v5
	v_and_b32_e32 v13, s15, v13
	v_lshl_or_b32 v13, v13, 4, v4
	ds_add_u32 v13, v14 offset:4096
	s_andn2_b64 vcc, exec, s[10:11]
	s_cbranch_vccnz .LBB533_195
; %bb.193:
	s_sub_i32 s10, s9, s14
	s_min_u32 s10, s10, 8
	v_lshrrev_b32_e32 v13, s14, v5
	v_bfe_u32 v13, v13, 0, s10
	v_lshl_or_b32 v13, v13, 4, v4
	v_mov_b32_e32 v14, 1
	ds_add_u32 v13, v14 offset:8192
	s_add_i32 s10, s8, 24
	s_cmp_gt_u32 s9, s10
                                        ; implicit-def: $vgpr14
	s_cbranch_scc0 .LBB533_196
; %bb.194:
	s_sub_i32 s4, s9, s10
	s_min_u32 s4, s4, 8
	v_lshrrev_b32_e32 v5, s10, v5
	v_bfe_u32 v5, v5, 0, s4
	v_mov_b32_e32 v13, 0x3000
	v_lshl_add_u32 v14, v5, 4, v13
	s_mov_b64 s[4:5], -1
	s_branch .LBB533_196
.LBB533_195:
                                        ; implicit-def: $vgpr14
.LBB533_196:
	s_and_b64 vcc, exec, s[4:5]
	s_cbranch_vccz .LBB533_198
; %bb.197:
	v_lshl_add_u32 v5, v3, 2, v14
	v_mov_b32_e32 v13, 1
	ds_add_u32 v5, v13
.LBB533_198:
	v_bfrev_b32_e32 v14, 1
	s_waitcnt vmcnt(1)
	v_cmp_lt_i32_e32 vcc, -1, v1
	s_brev_b32 s4, -2
	v_mov_b32_e32 v16, 1
	v_cndmask_b32_e32 v5, -1, v14, vcc
	v_xor_b32_e32 v5, v5, v1
	s_waitcnt vmcnt(0)
	v_cmp_lt_i32_e32 vcc, -1, v6
	s_nop 1
	v_cndmask_b32_e32 v15, -1, v14, vcc
	v_cmp_ne_u32_e32 vcc, s4, v5
	s_nop 1
	v_cndmask_b32_e32 v13, v14, v5, vcc
	v_lshrrev_b32_e32 v5, s8, v13
	v_and_b32_e32 v5, s12, v5
	v_lshl_or_b32 v5, v5, 4, v4
	ds_add_u32 v5, v16
	v_xor_b32_e32 v5, v15, v6
	s_and_b64 vcc, exec, s[2:3]
	s_cbranch_vccz .LBB533_200
; %bb.199:
	v_cmp_ne_u32_e32 vcc, s4, v5
	s_mov_b64 s[2:3], -1
	s_nop 0
	v_cndmask_b32_e32 v14, v14, v5, vcc
	v_lshrrev_b32_e32 v14, s8, v14
	v_and_b32_e32 v14, s12, v14
	v_lshlrev_b32_e32 v14, 4, v14
	s_cbranch_execz .LBB533_201
	s_branch .LBB533_208
.LBB533_200:
	s_mov_b64 s[2:3], 0
                                        ; implicit-def: $vgpr14
.LBB533_201:
	s_sub_i32 s4, s9, s13
	s_min_u32 s4, s4, 8
	s_lshl_b32 s4, -1, s4
	v_lshrrev_b32_e32 v14, s13, v13
	v_bitop3_b32 v14, v14, s4, v14 bitop3:0x30
	v_lshl_or_b32 v15, v14, 4, v4
	v_mov_b32_e32 v14, 1
	ds_add_u32 v15, v14 offset:4096
	s_not_b32 s11, s4
	s_add_i32 s10, s8, 16
	s_cmp_gt_u32 s9, s10
	s_cselect_b64 s[4:5], -1, 0
	s_cmp_le_u32 s9, s10
	s_cbranch_scc1 .LBB533_204
; %bb.202:
	s_sub_i32 s14, s9, s10
	s_min_u32 s14, s14, 8
	v_lshrrev_b32_e32 v15, s10, v13
	v_bfe_u32 v15, v15, 0, s14
	v_lshl_or_b32 v15, v15, 4, v4
	ds_add_u32 v15, v14 offset:8192
	s_add_i32 s14, s8, 24
	s_cmp_le_u32 s9, s14
	s_cbranch_scc1 .LBB533_204
; %bb.203:
	s_sub_i32 s15, s9, s14
	s_min_u32 s15, s15, 8
	v_lshrrev_b32_e32 v13, s14, v13
	v_bfe_u32 v13, v13, 0, s15
	v_lshl_or_b32 v13, v13, 4, v4
	v_mov_b32_e32 v15, 1
	ds_add_u32 v13, v15 offset:12288
.LBB533_204:
	s_brev_b32 s14, -2
	v_bfrev_b32_e32 v13, 1
	v_cmp_ne_u32_e32 vcc, s14, v5
	s_nop 1
	v_cndmask_b32_e32 v5, v13, v5, vcc
	v_lshrrev_b32_e32 v13, s8, v5
	v_and_b32_e32 v13, s12, v13
	v_lshl_or_b32 v13, v13, 4, v4
	ds_add_u32 v13, v14
	v_lshrrev_b32_e32 v13, s13, v5
	v_and_b32_e32 v13, s11, v13
	v_lshl_or_b32 v13, v13, 4, v4
	ds_add_u32 v13, v14 offset:4096
	s_andn2_b64 vcc, exec, s[4:5]
	s_cbranch_vccnz .LBB533_207
; %bb.205:
	s_sub_i32 s4, s9, s10
	s_min_u32 s4, s4, 8
	v_lshrrev_b32_e32 v13, s10, v5
	v_bfe_u32 v13, v13, 0, s4
	v_lshl_or_b32 v4, v13, 4, v4
	v_mov_b32_e32 v13, 1
	ds_add_u32 v4, v13 offset:8192
	s_add_i32 s4, s8, 24
	s_cmp_gt_u32 s9, s4
                                        ; implicit-def: $vgpr14
	s_cbranch_scc0 .LBB533_208
; %bb.206:
	s_sub_i32 s2, s9, s4
	s_min_u32 s2, s2, 8
	v_lshrrev_b32_e32 v4, s4, v5
	v_bfe_u32 v4, v4, 0, s2
	v_mov_b32_e32 v5, 0x3000
	v_lshl_add_u32 v14, v4, 4, v5
	s_mov_b64 s[2:3], -1
	s_branch .LBB533_208
.LBB533_207:
                                        ; implicit-def: $vgpr14
.LBB533_208:
	s_and_b64 vcc, exec, s[2:3]
	s_cbranch_vccz .LBB533_210
; %bb.209:
	v_lshl_add_u32 v3, v3, 2, v14
	v_mov_b32_e32 v4, 1
	ds_add_u32 v3, v4
.LBB533_210:
	s_and_b64 vcc, exec, s[0:1]
	s_waitcnt lgkmcnt(0)
	s_barrier
	s_cbranch_vccz .LBB533_215
; %bb.211:
	s_movk_i32 s0, 0x100
	v_cmp_gt_u32_e32 vcc, s0, v0
	v_lshlrev_b32_e32 v3, 4, v0
	v_mov_b32_e32 v5, 0
	v_mov_b32_e32 v4, v0
	s_branch .LBB533_213
.LBB533_212:                            ;   in Loop: Header=BB533_213 Depth=1
	s_or_b64 exec, exec, s[0:1]
	s_add_i32 s8, s8, 8
	v_add_u32_e32 v4, 0x100, v4
	s_cmp_ge_u32 s8, s9
	v_add_u32_e32 v3, 0x1000, v3
	s_cbranch_scc1 .LBB533_215
.LBB533_213:                            ; =>This Inner Loop Header: Depth=1
	s_and_saveexec_b64 s[0:1], vcc
	s_cbranch_execz .LBB533_212
; %bb.214:                              ;   in Loop: Header=BB533_213 Depth=1
	ds_read2_b32 v[14:15], v3 offset1:1
	ds_read2_b32 v[16:17], v3 offset0:2 offset1:3
	s_waitcnt lgkmcnt(1)
	v_add_u32_e32 v13, v15, v14
	s_waitcnt lgkmcnt(0)
	v_add3_u32 v13, v13, v16, v17
	v_lshl_add_u64 v[14:15], v[4:5], 2, s[6:7]
	global_atomic_add v[14:15], v13, off
	s_branch .LBB533_212
.LBB533_215:
	s_mov_b64 s[0:1], 0
.LBB533_216:
	s_and_b64 vcc, exec, s[0:1]
	s_cbranch_vccz .LBB533_219
; %bb.217:
	v_mov_b32_e32 v3, 0
	ds_write2st64_b32 v2, v3, v3 offset1:16
	ds_write2st64_b32 v2, v3, v3 offset0:32 offset1:48
	v_bfrev_b32_e32 v3, 1
	s_waitcnt vmcnt(7)
	v_cmp_lt_i32_e32 vcc, -1, v12
	s_brev_b32 s0, -2
	s_movk_i32 s1, 0xff0
	v_cndmask_b32_e32 v4, -1, v3, vcc
	s_waitcnt vmcnt(6)
	v_cmp_lt_i32_e32 vcc, -1, v11
	v_xor_b32_e32 v4, v4, v12
	v_mov_b32_e32 v13, 1
	v_cndmask_b32_e32 v5, -1, v3, vcc
	s_waitcnt vmcnt(5)
	v_cmp_lt_i32_e32 vcc, -1, v10
	v_xor_b32_e32 v5, v5, v11
	s_waitcnt lgkmcnt(0)
	v_cndmask_b32_e32 v11, -1, v3, vcc
	s_waitcnt vmcnt(4)
	v_cmp_lt_i32_e32 vcc, -1, v9
	v_xor_b32_e32 v10, v11, v10
	s_barrier
	v_cndmask_b32_e32 v11, -1, v3, vcc
	s_waitcnt vmcnt(3)
	v_cmp_lt_i32_e32 vcc, -1, v8
	v_xor_b32_e32 v9, v11, v9
	s_nop 0
	v_cndmask_b32_e32 v11, -1, v3, vcc
	s_waitcnt vmcnt(2)
	v_cmp_lt_i32_e32 vcc, -1, v7
	v_xor_b32_e32 v8, v11, v8
	s_nop 0
	;; [unrolled: 5-line block ×4, first 2 shown]
	v_cndmask_b32_e32 v11, -1, v3, vcc
	v_cmp_ne_u32_e32 vcc, s0, v4
	v_xor_b32_e32 v6, v11, v6
	v_and_b32_e32 v11, 3, v0
	v_cndmask_b32_e32 v4, v3, v4, vcc
	v_lshlrev_b32_e32 v12, 4, v4
	v_lshlrev_b32_e32 v11, 2, v11
	v_and_or_b32 v12, v12, s1, v11
	ds_add_u32 v12, v13
	v_bfe_u32 v12, v4, 8, 8
	v_lshl_or_b32 v12, v12, 4, v11
	ds_add_u32 v12, v13 offset:4096
	v_bfe_u32 v12, v4, 16, 8
	v_lshl_or_b32 v12, v12, 4, v11
	v_lshrrev_b32_e32 v4, 24, v4
	ds_add_u32 v12, v13 offset:8192
	v_lshl_or_b32 v4, v4, 4, v11
	v_cmp_ne_u32_e32 vcc, s0, v5
	ds_add_u32 v4, v13 offset:12288
	s_nop 0
	v_cndmask_b32_e32 v4, v3, v5, vcc
	v_lshlrev_b32_e32 v5, 4, v4
	v_and_or_b32 v5, v5, s1, v11
	ds_add_u32 v5, v13
	v_bfe_u32 v5, v4, 8, 8
	v_lshl_or_b32 v5, v5, 4, v11
	ds_add_u32 v5, v13 offset:4096
	v_bfe_u32 v5, v4, 16, 8
	v_lshl_or_b32 v5, v5, 4, v11
	v_lshrrev_b32_e32 v4, 24, v4
	ds_add_u32 v5, v13 offset:8192
	v_lshl_or_b32 v4, v4, 4, v11
	v_cmp_ne_u32_e32 vcc, s0, v10
	ds_add_u32 v4, v13 offset:12288
	s_nop 0
	v_cndmask_b32_e32 v4, v3, v10, vcc
	;; [unrolled: 15-line block ×5, first 2 shown]
	v_lshlrev_b32_e32 v5, 4, v4
	v_and_or_b32 v5, v5, s1, v11
	ds_add_u32 v5, v13
	v_bfe_u32 v5, v4, 8, 8
	v_lshl_or_b32 v5, v5, 4, v11
	ds_add_u32 v5, v13 offset:4096
	v_bfe_u32 v5, v4, 16, 8
	v_lshl_or_b32 v5, v5, 4, v11
	v_lshrrev_b32_e32 v4, 24, v4
	v_cmp_ne_u32_e32 vcc, s0, v1
	ds_add_u32 v5, v13 offset:8192
	v_lshl_or_b32 v4, v4, 4, v11
	v_cndmask_b32_e32 v1, v3, v1, vcc
	ds_add_u32 v4, v13 offset:12288
	v_lshlrev_b32_e32 v4, 4, v1
	v_and_or_b32 v4, v4, s1, v11
	ds_add_u32 v4, v13
	v_bfe_u32 v4, v1, 8, 8
	v_lshl_or_b32 v4, v4, 4, v11
	ds_add_u32 v4, v13 offset:4096
	v_bfe_u32 v4, v1, 16, 8
	v_lshl_or_b32 v4, v4, 4, v11
	v_lshrrev_b32_e32 v1, 24, v1
	ds_add_u32 v4, v13 offset:8192
	v_lshl_or_b32 v1, v1, 4, v11
	v_cmp_ne_u32_e32 vcc, s0, v6
	ds_add_u32 v1, v13 offset:12288
	s_movk_i32 s0, 0x100
	v_cndmask_b32_e32 v1, v3, v6, vcc
	v_lshlrev_b32_e32 v3, 4, v1
	v_and_or_b32 v3, v3, s1, v11
	ds_add_u32 v3, v13
	v_bfe_u32 v3, v1, 8, 8
	v_lshl_or_b32 v3, v3, 4, v11
	ds_add_u32 v3, v13 offset:4096
	v_bfe_u32 v3, v1, 16, 8
	v_lshl_or_b32 v3, v3, 4, v11
	v_lshrrev_b32_e32 v1, 24, v1
	ds_add_u32 v3, v13 offset:8192
	v_lshl_or_b32 v1, v1, 4, v11
	ds_add_u32 v1, v13 offset:12288
	v_cmp_gt_u32_e32 vcc, s0, v0
	s_waitcnt lgkmcnt(0)
	s_barrier
	s_and_saveexec_b64 s[0:1], vcc
	s_cbranch_execz .LBB533_219
; %bb.218:
	v_lshlrev_b32_e32 v3, 4, v0
	ds_read2_b32 v[0:1], v3 offset1:1
	ds_read2_b32 v[4:5], v3 offset0:2 offset1:3
	v_add_u32_e32 v6, 0x1000, v3
	v_add_u32_e32 v7, 0x1008, v3
	s_waitcnt lgkmcnt(1)
	v_add_u32_e32 v0, v1, v0
	s_waitcnt lgkmcnt(0)
	v_add3_u32 v0, v0, v4, v5
	global_atomic_add v2, v0, s[6:7]
	ds_read2_b32 v[0:1], v6 offset1:1
	ds_read2_b32 v[4:5], v7 offset1:1
	v_add_u32_e32 v6, 0x2000, v3
	v_add_u32_e32 v7, 0x2008, v3
	s_waitcnt lgkmcnt(1)
	v_add_u32_e32 v0, v1, v0
	s_waitcnt lgkmcnt(0)
	v_add3_u32 v0, v0, v4, v5
	global_atomic_add v2, v0, s[6:7] offset:1024
	ds_read2_b32 v[0:1], v6 offset1:1
	ds_read2_b32 v[4:5], v7 offset1:1
	v_add_u32_e32 v6, 0x3000, v3
	v_add_u32_e32 v3, 0x3008, v3
	s_waitcnt lgkmcnt(1)
	v_add_u32_e32 v0, v1, v0
	s_waitcnt lgkmcnt(0)
	v_add3_u32 v0, v0, v4, v5
	global_atomic_add v2, v0, s[6:7] offset:2048
	ds_read2_b32 v[0:1], v6 offset1:1
	ds_read2_b32 v[4:5], v3 offset1:1
	s_waitcnt lgkmcnt(1)
	v_add_u32_e32 v0, v1, v0
	s_waitcnt lgkmcnt(0)
	v_add3_u32 v0, v0, v4, v5
	global_atomic_add v2, v0, s[6:7] offset:3072
.LBB533_219:
	s_endpgm
	.section	.rodata,"a",@progbits
	.p2align	6, 0x0
	.amdhsa_kernel _ZN7rocprim17ROCPRIM_400000_NS6detail17trampoline_kernelINS0_14default_configENS1_35radix_sort_onesweep_config_selectorIfNS0_10empty_typeEEEZNS1_34radix_sort_onesweep_global_offsetsIS3_Lb0EN6thrust23THRUST_200600_302600_NS6detail15normal_iteratorINS9_10device_ptrIfEEEEPS5_jNS0_19identity_decomposerEEE10hipError_tT1_T2_PT3_SK_jT4_jjP12ihipStream_tbEUlT_E_NS1_11comp_targetILNS1_3genE6ELNS1_11target_archE950ELNS1_3gpuE13ELNS1_3repE0EEENS1_52radix_sort_onesweep_histogram_config_static_selectorELNS0_4arch9wavefront6targetE1EEEvSI_
		.amdhsa_group_segment_fixed_size 16384
		.amdhsa_private_segment_fixed_size 0
		.amdhsa_kernarg_size 40
		.amdhsa_user_sgpr_count 2
		.amdhsa_user_sgpr_dispatch_ptr 0
		.amdhsa_user_sgpr_queue_ptr 0
		.amdhsa_user_sgpr_kernarg_segment_ptr 1
		.amdhsa_user_sgpr_dispatch_id 0
		.amdhsa_user_sgpr_kernarg_preload_length 0
		.amdhsa_user_sgpr_kernarg_preload_offset 0
		.amdhsa_user_sgpr_private_segment_size 0
		.amdhsa_uses_dynamic_stack 0
		.amdhsa_enable_private_segment 0
		.amdhsa_system_sgpr_workgroup_id_x 1
		.amdhsa_system_sgpr_workgroup_id_y 0
		.amdhsa_system_sgpr_workgroup_id_z 0
		.amdhsa_system_sgpr_workgroup_info 0
		.amdhsa_system_vgpr_workitem_id 0
		.amdhsa_next_free_vgpr 22
		.amdhsa_next_free_sgpr 19
		.amdhsa_accum_offset 24
		.amdhsa_reserve_vcc 1
		.amdhsa_float_round_mode_32 0
		.amdhsa_float_round_mode_16_64 0
		.amdhsa_float_denorm_mode_32 3
		.amdhsa_float_denorm_mode_16_64 3
		.amdhsa_dx10_clamp 1
		.amdhsa_ieee_mode 1
		.amdhsa_fp16_overflow 0
		.amdhsa_tg_split 0
		.amdhsa_exception_fp_ieee_invalid_op 0
		.amdhsa_exception_fp_denorm_src 0
		.amdhsa_exception_fp_ieee_div_zero 0
		.amdhsa_exception_fp_ieee_overflow 0
		.amdhsa_exception_fp_ieee_underflow 0
		.amdhsa_exception_fp_ieee_inexact 0
		.amdhsa_exception_int_div_zero 0
	.end_amdhsa_kernel
	.section	.text._ZN7rocprim17ROCPRIM_400000_NS6detail17trampoline_kernelINS0_14default_configENS1_35radix_sort_onesweep_config_selectorIfNS0_10empty_typeEEEZNS1_34radix_sort_onesweep_global_offsetsIS3_Lb0EN6thrust23THRUST_200600_302600_NS6detail15normal_iteratorINS9_10device_ptrIfEEEEPS5_jNS0_19identity_decomposerEEE10hipError_tT1_T2_PT3_SK_jT4_jjP12ihipStream_tbEUlT_E_NS1_11comp_targetILNS1_3genE6ELNS1_11target_archE950ELNS1_3gpuE13ELNS1_3repE0EEENS1_52radix_sort_onesweep_histogram_config_static_selectorELNS0_4arch9wavefront6targetE1EEEvSI_,"axG",@progbits,_ZN7rocprim17ROCPRIM_400000_NS6detail17trampoline_kernelINS0_14default_configENS1_35radix_sort_onesweep_config_selectorIfNS0_10empty_typeEEEZNS1_34radix_sort_onesweep_global_offsetsIS3_Lb0EN6thrust23THRUST_200600_302600_NS6detail15normal_iteratorINS9_10device_ptrIfEEEEPS5_jNS0_19identity_decomposerEEE10hipError_tT1_T2_PT3_SK_jT4_jjP12ihipStream_tbEUlT_E_NS1_11comp_targetILNS1_3genE6ELNS1_11target_archE950ELNS1_3gpuE13ELNS1_3repE0EEENS1_52radix_sort_onesweep_histogram_config_static_selectorELNS0_4arch9wavefront6targetE1EEEvSI_,comdat
.Lfunc_end533:
	.size	_ZN7rocprim17ROCPRIM_400000_NS6detail17trampoline_kernelINS0_14default_configENS1_35radix_sort_onesweep_config_selectorIfNS0_10empty_typeEEEZNS1_34radix_sort_onesweep_global_offsetsIS3_Lb0EN6thrust23THRUST_200600_302600_NS6detail15normal_iteratorINS9_10device_ptrIfEEEEPS5_jNS0_19identity_decomposerEEE10hipError_tT1_T2_PT3_SK_jT4_jjP12ihipStream_tbEUlT_E_NS1_11comp_targetILNS1_3genE6ELNS1_11target_archE950ELNS1_3gpuE13ELNS1_3repE0EEENS1_52radix_sort_onesweep_histogram_config_static_selectorELNS0_4arch9wavefront6targetE1EEEvSI_, .Lfunc_end533-_ZN7rocprim17ROCPRIM_400000_NS6detail17trampoline_kernelINS0_14default_configENS1_35radix_sort_onesweep_config_selectorIfNS0_10empty_typeEEEZNS1_34radix_sort_onesweep_global_offsetsIS3_Lb0EN6thrust23THRUST_200600_302600_NS6detail15normal_iteratorINS9_10device_ptrIfEEEEPS5_jNS0_19identity_decomposerEEE10hipError_tT1_T2_PT3_SK_jT4_jjP12ihipStream_tbEUlT_E_NS1_11comp_targetILNS1_3genE6ELNS1_11target_archE950ELNS1_3gpuE13ELNS1_3repE0EEENS1_52radix_sort_onesweep_histogram_config_static_selectorELNS0_4arch9wavefront6targetE1EEEvSI_
                                        ; -- End function
	.set _ZN7rocprim17ROCPRIM_400000_NS6detail17trampoline_kernelINS0_14default_configENS1_35radix_sort_onesweep_config_selectorIfNS0_10empty_typeEEEZNS1_34radix_sort_onesweep_global_offsetsIS3_Lb0EN6thrust23THRUST_200600_302600_NS6detail15normal_iteratorINS9_10device_ptrIfEEEEPS5_jNS0_19identity_decomposerEEE10hipError_tT1_T2_PT3_SK_jT4_jjP12ihipStream_tbEUlT_E_NS1_11comp_targetILNS1_3genE6ELNS1_11target_archE950ELNS1_3gpuE13ELNS1_3repE0EEENS1_52radix_sort_onesweep_histogram_config_static_selectorELNS0_4arch9wavefront6targetE1EEEvSI_.num_vgpr, 22
	.set _ZN7rocprim17ROCPRIM_400000_NS6detail17trampoline_kernelINS0_14default_configENS1_35radix_sort_onesweep_config_selectorIfNS0_10empty_typeEEEZNS1_34radix_sort_onesweep_global_offsetsIS3_Lb0EN6thrust23THRUST_200600_302600_NS6detail15normal_iteratorINS9_10device_ptrIfEEEEPS5_jNS0_19identity_decomposerEEE10hipError_tT1_T2_PT3_SK_jT4_jjP12ihipStream_tbEUlT_E_NS1_11comp_targetILNS1_3genE6ELNS1_11target_archE950ELNS1_3gpuE13ELNS1_3repE0EEENS1_52radix_sort_onesweep_histogram_config_static_selectorELNS0_4arch9wavefront6targetE1EEEvSI_.num_agpr, 0
	.set _ZN7rocprim17ROCPRIM_400000_NS6detail17trampoline_kernelINS0_14default_configENS1_35radix_sort_onesweep_config_selectorIfNS0_10empty_typeEEEZNS1_34radix_sort_onesweep_global_offsetsIS3_Lb0EN6thrust23THRUST_200600_302600_NS6detail15normal_iteratorINS9_10device_ptrIfEEEEPS5_jNS0_19identity_decomposerEEE10hipError_tT1_T2_PT3_SK_jT4_jjP12ihipStream_tbEUlT_E_NS1_11comp_targetILNS1_3genE6ELNS1_11target_archE950ELNS1_3gpuE13ELNS1_3repE0EEENS1_52radix_sort_onesweep_histogram_config_static_selectorELNS0_4arch9wavefront6targetE1EEEvSI_.numbered_sgpr, 19
	.set _ZN7rocprim17ROCPRIM_400000_NS6detail17trampoline_kernelINS0_14default_configENS1_35radix_sort_onesweep_config_selectorIfNS0_10empty_typeEEEZNS1_34radix_sort_onesweep_global_offsetsIS3_Lb0EN6thrust23THRUST_200600_302600_NS6detail15normal_iteratorINS9_10device_ptrIfEEEEPS5_jNS0_19identity_decomposerEEE10hipError_tT1_T2_PT3_SK_jT4_jjP12ihipStream_tbEUlT_E_NS1_11comp_targetILNS1_3genE6ELNS1_11target_archE950ELNS1_3gpuE13ELNS1_3repE0EEENS1_52radix_sort_onesweep_histogram_config_static_selectorELNS0_4arch9wavefront6targetE1EEEvSI_.num_named_barrier, 0
	.set _ZN7rocprim17ROCPRIM_400000_NS6detail17trampoline_kernelINS0_14default_configENS1_35radix_sort_onesweep_config_selectorIfNS0_10empty_typeEEEZNS1_34radix_sort_onesweep_global_offsetsIS3_Lb0EN6thrust23THRUST_200600_302600_NS6detail15normal_iteratorINS9_10device_ptrIfEEEEPS5_jNS0_19identity_decomposerEEE10hipError_tT1_T2_PT3_SK_jT4_jjP12ihipStream_tbEUlT_E_NS1_11comp_targetILNS1_3genE6ELNS1_11target_archE950ELNS1_3gpuE13ELNS1_3repE0EEENS1_52radix_sort_onesweep_histogram_config_static_selectorELNS0_4arch9wavefront6targetE1EEEvSI_.private_seg_size, 0
	.set _ZN7rocprim17ROCPRIM_400000_NS6detail17trampoline_kernelINS0_14default_configENS1_35radix_sort_onesweep_config_selectorIfNS0_10empty_typeEEEZNS1_34radix_sort_onesweep_global_offsetsIS3_Lb0EN6thrust23THRUST_200600_302600_NS6detail15normal_iteratorINS9_10device_ptrIfEEEEPS5_jNS0_19identity_decomposerEEE10hipError_tT1_T2_PT3_SK_jT4_jjP12ihipStream_tbEUlT_E_NS1_11comp_targetILNS1_3genE6ELNS1_11target_archE950ELNS1_3gpuE13ELNS1_3repE0EEENS1_52radix_sort_onesweep_histogram_config_static_selectorELNS0_4arch9wavefront6targetE1EEEvSI_.uses_vcc, 1
	.set _ZN7rocprim17ROCPRIM_400000_NS6detail17trampoline_kernelINS0_14default_configENS1_35radix_sort_onesweep_config_selectorIfNS0_10empty_typeEEEZNS1_34radix_sort_onesweep_global_offsetsIS3_Lb0EN6thrust23THRUST_200600_302600_NS6detail15normal_iteratorINS9_10device_ptrIfEEEEPS5_jNS0_19identity_decomposerEEE10hipError_tT1_T2_PT3_SK_jT4_jjP12ihipStream_tbEUlT_E_NS1_11comp_targetILNS1_3genE6ELNS1_11target_archE950ELNS1_3gpuE13ELNS1_3repE0EEENS1_52radix_sort_onesweep_histogram_config_static_selectorELNS0_4arch9wavefront6targetE1EEEvSI_.uses_flat_scratch, 0
	.set _ZN7rocprim17ROCPRIM_400000_NS6detail17trampoline_kernelINS0_14default_configENS1_35radix_sort_onesweep_config_selectorIfNS0_10empty_typeEEEZNS1_34radix_sort_onesweep_global_offsetsIS3_Lb0EN6thrust23THRUST_200600_302600_NS6detail15normal_iteratorINS9_10device_ptrIfEEEEPS5_jNS0_19identity_decomposerEEE10hipError_tT1_T2_PT3_SK_jT4_jjP12ihipStream_tbEUlT_E_NS1_11comp_targetILNS1_3genE6ELNS1_11target_archE950ELNS1_3gpuE13ELNS1_3repE0EEENS1_52radix_sort_onesweep_histogram_config_static_selectorELNS0_4arch9wavefront6targetE1EEEvSI_.has_dyn_sized_stack, 0
	.set _ZN7rocprim17ROCPRIM_400000_NS6detail17trampoline_kernelINS0_14default_configENS1_35radix_sort_onesweep_config_selectorIfNS0_10empty_typeEEEZNS1_34radix_sort_onesweep_global_offsetsIS3_Lb0EN6thrust23THRUST_200600_302600_NS6detail15normal_iteratorINS9_10device_ptrIfEEEEPS5_jNS0_19identity_decomposerEEE10hipError_tT1_T2_PT3_SK_jT4_jjP12ihipStream_tbEUlT_E_NS1_11comp_targetILNS1_3genE6ELNS1_11target_archE950ELNS1_3gpuE13ELNS1_3repE0EEENS1_52radix_sort_onesweep_histogram_config_static_selectorELNS0_4arch9wavefront6targetE1EEEvSI_.has_recursion, 0
	.set _ZN7rocprim17ROCPRIM_400000_NS6detail17trampoline_kernelINS0_14default_configENS1_35radix_sort_onesweep_config_selectorIfNS0_10empty_typeEEEZNS1_34radix_sort_onesweep_global_offsetsIS3_Lb0EN6thrust23THRUST_200600_302600_NS6detail15normal_iteratorINS9_10device_ptrIfEEEEPS5_jNS0_19identity_decomposerEEE10hipError_tT1_T2_PT3_SK_jT4_jjP12ihipStream_tbEUlT_E_NS1_11comp_targetILNS1_3genE6ELNS1_11target_archE950ELNS1_3gpuE13ELNS1_3repE0EEENS1_52radix_sort_onesweep_histogram_config_static_selectorELNS0_4arch9wavefront6targetE1EEEvSI_.has_indirect_call, 0
	.section	.AMDGPU.csdata,"",@progbits
; Kernel info:
; codeLenInByte = 8168
; TotalNumSgprs: 25
; NumVgprs: 22
; NumAgprs: 0
; TotalNumVgprs: 22
; ScratchSize: 0
; MemoryBound: 0
; FloatMode: 240
; IeeeMode: 1
; LDSByteSize: 16384 bytes/workgroup (compile time only)
; SGPRBlocks: 3
; VGPRBlocks: 2
; NumSGPRsForWavesPerEU: 25
; NumVGPRsForWavesPerEU: 22
; AccumOffset: 24
; Occupancy: 8
; WaveLimiterHint : 1
; COMPUTE_PGM_RSRC2:SCRATCH_EN: 0
; COMPUTE_PGM_RSRC2:USER_SGPR: 2
; COMPUTE_PGM_RSRC2:TRAP_HANDLER: 0
; COMPUTE_PGM_RSRC2:TGID_X_EN: 1
; COMPUTE_PGM_RSRC2:TGID_Y_EN: 0
; COMPUTE_PGM_RSRC2:TGID_Z_EN: 0
; COMPUTE_PGM_RSRC2:TIDIG_COMP_CNT: 0
; COMPUTE_PGM_RSRC3_GFX90A:ACCUM_OFFSET: 5
; COMPUTE_PGM_RSRC3_GFX90A:TG_SPLIT: 0
	.section	.text._ZN7rocprim17ROCPRIM_400000_NS6detail17trampoline_kernelINS0_14default_configENS1_35radix_sort_onesweep_config_selectorIfNS0_10empty_typeEEEZNS1_34radix_sort_onesweep_global_offsetsIS3_Lb0EN6thrust23THRUST_200600_302600_NS6detail15normal_iteratorINS9_10device_ptrIfEEEEPS5_jNS0_19identity_decomposerEEE10hipError_tT1_T2_PT3_SK_jT4_jjP12ihipStream_tbEUlT_E_NS1_11comp_targetILNS1_3genE5ELNS1_11target_archE942ELNS1_3gpuE9ELNS1_3repE0EEENS1_52radix_sort_onesweep_histogram_config_static_selectorELNS0_4arch9wavefront6targetE1EEEvSI_,"axG",@progbits,_ZN7rocprim17ROCPRIM_400000_NS6detail17trampoline_kernelINS0_14default_configENS1_35radix_sort_onesweep_config_selectorIfNS0_10empty_typeEEEZNS1_34radix_sort_onesweep_global_offsetsIS3_Lb0EN6thrust23THRUST_200600_302600_NS6detail15normal_iteratorINS9_10device_ptrIfEEEEPS5_jNS0_19identity_decomposerEEE10hipError_tT1_T2_PT3_SK_jT4_jjP12ihipStream_tbEUlT_E_NS1_11comp_targetILNS1_3genE5ELNS1_11target_archE942ELNS1_3gpuE9ELNS1_3repE0EEENS1_52radix_sort_onesweep_histogram_config_static_selectorELNS0_4arch9wavefront6targetE1EEEvSI_,comdat
	.protected	_ZN7rocprim17ROCPRIM_400000_NS6detail17trampoline_kernelINS0_14default_configENS1_35radix_sort_onesweep_config_selectorIfNS0_10empty_typeEEEZNS1_34radix_sort_onesweep_global_offsetsIS3_Lb0EN6thrust23THRUST_200600_302600_NS6detail15normal_iteratorINS9_10device_ptrIfEEEEPS5_jNS0_19identity_decomposerEEE10hipError_tT1_T2_PT3_SK_jT4_jjP12ihipStream_tbEUlT_E_NS1_11comp_targetILNS1_3genE5ELNS1_11target_archE942ELNS1_3gpuE9ELNS1_3repE0EEENS1_52radix_sort_onesweep_histogram_config_static_selectorELNS0_4arch9wavefront6targetE1EEEvSI_ ; -- Begin function _ZN7rocprim17ROCPRIM_400000_NS6detail17trampoline_kernelINS0_14default_configENS1_35radix_sort_onesweep_config_selectorIfNS0_10empty_typeEEEZNS1_34radix_sort_onesweep_global_offsetsIS3_Lb0EN6thrust23THRUST_200600_302600_NS6detail15normal_iteratorINS9_10device_ptrIfEEEEPS5_jNS0_19identity_decomposerEEE10hipError_tT1_T2_PT3_SK_jT4_jjP12ihipStream_tbEUlT_E_NS1_11comp_targetILNS1_3genE5ELNS1_11target_archE942ELNS1_3gpuE9ELNS1_3repE0EEENS1_52radix_sort_onesweep_histogram_config_static_selectorELNS0_4arch9wavefront6targetE1EEEvSI_
	.globl	_ZN7rocprim17ROCPRIM_400000_NS6detail17trampoline_kernelINS0_14default_configENS1_35radix_sort_onesweep_config_selectorIfNS0_10empty_typeEEEZNS1_34radix_sort_onesweep_global_offsetsIS3_Lb0EN6thrust23THRUST_200600_302600_NS6detail15normal_iteratorINS9_10device_ptrIfEEEEPS5_jNS0_19identity_decomposerEEE10hipError_tT1_T2_PT3_SK_jT4_jjP12ihipStream_tbEUlT_E_NS1_11comp_targetILNS1_3genE5ELNS1_11target_archE942ELNS1_3gpuE9ELNS1_3repE0EEENS1_52radix_sort_onesweep_histogram_config_static_selectorELNS0_4arch9wavefront6targetE1EEEvSI_
	.p2align	8
	.type	_ZN7rocprim17ROCPRIM_400000_NS6detail17trampoline_kernelINS0_14default_configENS1_35radix_sort_onesweep_config_selectorIfNS0_10empty_typeEEEZNS1_34radix_sort_onesweep_global_offsetsIS3_Lb0EN6thrust23THRUST_200600_302600_NS6detail15normal_iteratorINS9_10device_ptrIfEEEEPS5_jNS0_19identity_decomposerEEE10hipError_tT1_T2_PT3_SK_jT4_jjP12ihipStream_tbEUlT_E_NS1_11comp_targetILNS1_3genE5ELNS1_11target_archE942ELNS1_3gpuE9ELNS1_3repE0EEENS1_52radix_sort_onesweep_histogram_config_static_selectorELNS0_4arch9wavefront6targetE1EEEvSI_,@function
_ZN7rocprim17ROCPRIM_400000_NS6detail17trampoline_kernelINS0_14default_configENS1_35radix_sort_onesweep_config_selectorIfNS0_10empty_typeEEEZNS1_34radix_sort_onesweep_global_offsetsIS3_Lb0EN6thrust23THRUST_200600_302600_NS6detail15normal_iteratorINS9_10device_ptrIfEEEEPS5_jNS0_19identity_decomposerEEE10hipError_tT1_T2_PT3_SK_jT4_jjP12ihipStream_tbEUlT_E_NS1_11comp_targetILNS1_3genE5ELNS1_11target_archE942ELNS1_3gpuE9ELNS1_3repE0EEENS1_52radix_sort_onesweep_histogram_config_static_selectorELNS0_4arch9wavefront6targetE1EEEvSI_: ; @_ZN7rocprim17ROCPRIM_400000_NS6detail17trampoline_kernelINS0_14default_configENS1_35radix_sort_onesweep_config_selectorIfNS0_10empty_typeEEEZNS1_34radix_sort_onesweep_global_offsetsIS3_Lb0EN6thrust23THRUST_200600_302600_NS6detail15normal_iteratorINS9_10device_ptrIfEEEEPS5_jNS0_19identity_decomposerEEE10hipError_tT1_T2_PT3_SK_jT4_jjP12ihipStream_tbEUlT_E_NS1_11comp_targetILNS1_3genE5ELNS1_11target_archE942ELNS1_3gpuE9ELNS1_3repE0EEENS1_52radix_sort_onesweep_histogram_config_static_selectorELNS0_4arch9wavefront6targetE1EEEvSI_
; %bb.0:
	.section	.rodata,"a",@progbits
	.p2align	6, 0x0
	.amdhsa_kernel _ZN7rocprim17ROCPRIM_400000_NS6detail17trampoline_kernelINS0_14default_configENS1_35radix_sort_onesweep_config_selectorIfNS0_10empty_typeEEEZNS1_34radix_sort_onesweep_global_offsetsIS3_Lb0EN6thrust23THRUST_200600_302600_NS6detail15normal_iteratorINS9_10device_ptrIfEEEEPS5_jNS0_19identity_decomposerEEE10hipError_tT1_T2_PT3_SK_jT4_jjP12ihipStream_tbEUlT_E_NS1_11comp_targetILNS1_3genE5ELNS1_11target_archE942ELNS1_3gpuE9ELNS1_3repE0EEENS1_52radix_sort_onesweep_histogram_config_static_selectorELNS0_4arch9wavefront6targetE1EEEvSI_
		.amdhsa_group_segment_fixed_size 0
		.amdhsa_private_segment_fixed_size 0
		.amdhsa_kernarg_size 40
		.amdhsa_user_sgpr_count 2
		.amdhsa_user_sgpr_dispatch_ptr 0
		.amdhsa_user_sgpr_queue_ptr 0
		.amdhsa_user_sgpr_kernarg_segment_ptr 1
		.amdhsa_user_sgpr_dispatch_id 0
		.amdhsa_user_sgpr_kernarg_preload_length 0
		.amdhsa_user_sgpr_kernarg_preload_offset 0
		.amdhsa_user_sgpr_private_segment_size 0
		.amdhsa_uses_dynamic_stack 0
		.amdhsa_enable_private_segment 0
		.amdhsa_system_sgpr_workgroup_id_x 1
		.amdhsa_system_sgpr_workgroup_id_y 0
		.amdhsa_system_sgpr_workgroup_id_z 0
		.amdhsa_system_sgpr_workgroup_info 0
		.amdhsa_system_vgpr_workitem_id 0
		.amdhsa_next_free_vgpr 1
		.amdhsa_next_free_sgpr 0
		.amdhsa_accum_offset 4
		.amdhsa_reserve_vcc 0
		.amdhsa_float_round_mode_32 0
		.amdhsa_float_round_mode_16_64 0
		.amdhsa_float_denorm_mode_32 3
		.amdhsa_float_denorm_mode_16_64 3
		.amdhsa_dx10_clamp 1
		.amdhsa_ieee_mode 1
		.amdhsa_fp16_overflow 0
		.amdhsa_tg_split 0
		.amdhsa_exception_fp_ieee_invalid_op 0
		.amdhsa_exception_fp_denorm_src 0
		.amdhsa_exception_fp_ieee_div_zero 0
		.amdhsa_exception_fp_ieee_overflow 0
		.amdhsa_exception_fp_ieee_underflow 0
		.amdhsa_exception_fp_ieee_inexact 0
		.amdhsa_exception_int_div_zero 0
	.end_amdhsa_kernel
	.section	.text._ZN7rocprim17ROCPRIM_400000_NS6detail17trampoline_kernelINS0_14default_configENS1_35radix_sort_onesweep_config_selectorIfNS0_10empty_typeEEEZNS1_34radix_sort_onesweep_global_offsetsIS3_Lb0EN6thrust23THRUST_200600_302600_NS6detail15normal_iteratorINS9_10device_ptrIfEEEEPS5_jNS0_19identity_decomposerEEE10hipError_tT1_T2_PT3_SK_jT4_jjP12ihipStream_tbEUlT_E_NS1_11comp_targetILNS1_3genE5ELNS1_11target_archE942ELNS1_3gpuE9ELNS1_3repE0EEENS1_52radix_sort_onesweep_histogram_config_static_selectorELNS0_4arch9wavefront6targetE1EEEvSI_,"axG",@progbits,_ZN7rocprim17ROCPRIM_400000_NS6detail17trampoline_kernelINS0_14default_configENS1_35radix_sort_onesweep_config_selectorIfNS0_10empty_typeEEEZNS1_34radix_sort_onesweep_global_offsetsIS3_Lb0EN6thrust23THRUST_200600_302600_NS6detail15normal_iteratorINS9_10device_ptrIfEEEEPS5_jNS0_19identity_decomposerEEE10hipError_tT1_T2_PT3_SK_jT4_jjP12ihipStream_tbEUlT_E_NS1_11comp_targetILNS1_3genE5ELNS1_11target_archE942ELNS1_3gpuE9ELNS1_3repE0EEENS1_52radix_sort_onesweep_histogram_config_static_selectorELNS0_4arch9wavefront6targetE1EEEvSI_,comdat
.Lfunc_end534:
	.size	_ZN7rocprim17ROCPRIM_400000_NS6detail17trampoline_kernelINS0_14default_configENS1_35radix_sort_onesweep_config_selectorIfNS0_10empty_typeEEEZNS1_34radix_sort_onesweep_global_offsetsIS3_Lb0EN6thrust23THRUST_200600_302600_NS6detail15normal_iteratorINS9_10device_ptrIfEEEEPS5_jNS0_19identity_decomposerEEE10hipError_tT1_T2_PT3_SK_jT4_jjP12ihipStream_tbEUlT_E_NS1_11comp_targetILNS1_3genE5ELNS1_11target_archE942ELNS1_3gpuE9ELNS1_3repE0EEENS1_52radix_sort_onesweep_histogram_config_static_selectorELNS0_4arch9wavefront6targetE1EEEvSI_, .Lfunc_end534-_ZN7rocprim17ROCPRIM_400000_NS6detail17trampoline_kernelINS0_14default_configENS1_35radix_sort_onesweep_config_selectorIfNS0_10empty_typeEEEZNS1_34radix_sort_onesweep_global_offsetsIS3_Lb0EN6thrust23THRUST_200600_302600_NS6detail15normal_iteratorINS9_10device_ptrIfEEEEPS5_jNS0_19identity_decomposerEEE10hipError_tT1_T2_PT3_SK_jT4_jjP12ihipStream_tbEUlT_E_NS1_11comp_targetILNS1_3genE5ELNS1_11target_archE942ELNS1_3gpuE9ELNS1_3repE0EEENS1_52radix_sort_onesweep_histogram_config_static_selectorELNS0_4arch9wavefront6targetE1EEEvSI_
                                        ; -- End function
	.set _ZN7rocprim17ROCPRIM_400000_NS6detail17trampoline_kernelINS0_14default_configENS1_35radix_sort_onesweep_config_selectorIfNS0_10empty_typeEEEZNS1_34radix_sort_onesweep_global_offsetsIS3_Lb0EN6thrust23THRUST_200600_302600_NS6detail15normal_iteratorINS9_10device_ptrIfEEEEPS5_jNS0_19identity_decomposerEEE10hipError_tT1_T2_PT3_SK_jT4_jjP12ihipStream_tbEUlT_E_NS1_11comp_targetILNS1_3genE5ELNS1_11target_archE942ELNS1_3gpuE9ELNS1_3repE0EEENS1_52radix_sort_onesweep_histogram_config_static_selectorELNS0_4arch9wavefront6targetE1EEEvSI_.num_vgpr, 0
	.set _ZN7rocprim17ROCPRIM_400000_NS6detail17trampoline_kernelINS0_14default_configENS1_35radix_sort_onesweep_config_selectorIfNS0_10empty_typeEEEZNS1_34radix_sort_onesweep_global_offsetsIS3_Lb0EN6thrust23THRUST_200600_302600_NS6detail15normal_iteratorINS9_10device_ptrIfEEEEPS5_jNS0_19identity_decomposerEEE10hipError_tT1_T2_PT3_SK_jT4_jjP12ihipStream_tbEUlT_E_NS1_11comp_targetILNS1_3genE5ELNS1_11target_archE942ELNS1_3gpuE9ELNS1_3repE0EEENS1_52radix_sort_onesweep_histogram_config_static_selectorELNS0_4arch9wavefront6targetE1EEEvSI_.num_agpr, 0
	.set _ZN7rocprim17ROCPRIM_400000_NS6detail17trampoline_kernelINS0_14default_configENS1_35radix_sort_onesweep_config_selectorIfNS0_10empty_typeEEEZNS1_34radix_sort_onesweep_global_offsetsIS3_Lb0EN6thrust23THRUST_200600_302600_NS6detail15normal_iteratorINS9_10device_ptrIfEEEEPS5_jNS0_19identity_decomposerEEE10hipError_tT1_T2_PT3_SK_jT4_jjP12ihipStream_tbEUlT_E_NS1_11comp_targetILNS1_3genE5ELNS1_11target_archE942ELNS1_3gpuE9ELNS1_3repE0EEENS1_52radix_sort_onesweep_histogram_config_static_selectorELNS0_4arch9wavefront6targetE1EEEvSI_.numbered_sgpr, 0
	.set _ZN7rocprim17ROCPRIM_400000_NS6detail17trampoline_kernelINS0_14default_configENS1_35radix_sort_onesweep_config_selectorIfNS0_10empty_typeEEEZNS1_34radix_sort_onesweep_global_offsetsIS3_Lb0EN6thrust23THRUST_200600_302600_NS6detail15normal_iteratorINS9_10device_ptrIfEEEEPS5_jNS0_19identity_decomposerEEE10hipError_tT1_T2_PT3_SK_jT4_jjP12ihipStream_tbEUlT_E_NS1_11comp_targetILNS1_3genE5ELNS1_11target_archE942ELNS1_3gpuE9ELNS1_3repE0EEENS1_52radix_sort_onesweep_histogram_config_static_selectorELNS0_4arch9wavefront6targetE1EEEvSI_.num_named_barrier, 0
	.set _ZN7rocprim17ROCPRIM_400000_NS6detail17trampoline_kernelINS0_14default_configENS1_35radix_sort_onesweep_config_selectorIfNS0_10empty_typeEEEZNS1_34radix_sort_onesweep_global_offsetsIS3_Lb0EN6thrust23THRUST_200600_302600_NS6detail15normal_iteratorINS9_10device_ptrIfEEEEPS5_jNS0_19identity_decomposerEEE10hipError_tT1_T2_PT3_SK_jT4_jjP12ihipStream_tbEUlT_E_NS1_11comp_targetILNS1_3genE5ELNS1_11target_archE942ELNS1_3gpuE9ELNS1_3repE0EEENS1_52radix_sort_onesweep_histogram_config_static_selectorELNS0_4arch9wavefront6targetE1EEEvSI_.private_seg_size, 0
	.set _ZN7rocprim17ROCPRIM_400000_NS6detail17trampoline_kernelINS0_14default_configENS1_35radix_sort_onesweep_config_selectorIfNS0_10empty_typeEEEZNS1_34radix_sort_onesweep_global_offsetsIS3_Lb0EN6thrust23THRUST_200600_302600_NS6detail15normal_iteratorINS9_10device_ptrIfEEEEPS5_jNS0_19identity_decomposerEEE10hipError_tT1_T2_PT3_SK_jT4_jjP12ihipStream_tbEUlT_E_NS1_11comp_targetILNS1_3genE5ELNS1_11target_archE942ELNS1_3gpuE9ELNS1_3repE0EEENS1_52radix_sort_onesweep_histogram_config_static_selectorELNS0_4arch9wavefront6targetE1EEEvSI_.uses_vcc, 0
	.set _ZN7rocprim17ROCPRIM_400000_NS6detail17trampoline_kernelINS0_14default_configENS1_35radix_sort_onesweep_config_selectorIfNS0_10empty_typeEEEZNS1_34radix_sort_onesweep_global_offsetsIS3_Lb0EN6thrust23THRUST_200600_302600_NS6detail15normal_iteratorINS9_10device_ptrIfEEEEPS5_jNS0_19identity_decomposerEEE10hipError_tT1_T2_PT3_SK_jT4_jjP12ihipStream_tbEUlT_E_NS1_11comp_targetILNS1_3genE5ELNS1_11target_archE942ELNS1_3gpuE9ELNS1_3repE0EEENS1_52radix_sort_onesweep_histogram_config_static_selectorELNS0_4arch9wavefront6targetE1EEEvSI_.uses_flat_scratch, 0
	.set _ZN7rocprim17ROCPRIM_400000_NS6detail17trampoline_kernelINS0_14default_configENS1_35radix_sort_onesweep_config_selectorIfNS0_10empty_typeEEEZNS1_34radix_sort_onesweep_global_offsetsIS3_Lb0EN6thrust23THRUST_200600_302600_NS6detail15normal_iteratorINS9_10device_ptrIfEEEEPS5_jNS0_19identity_decomposerEEE10hipError_tT1_T2_PT3_SK_jT4_jjP12ihipStream_tbEUlT_E_NS1_11comp_targetILNS1_3genE5ELNS1_11target_archE942ELNS1_3gpuE9ELNS1_3repE0EEENS1_52radix_sort_onesweep_histogram_config_static_selectorELNS0_4arch9wavefront6targetE1EEEvSI_.has_dyn_sized_stack, 0
	.set _ZN7rocprim17ROCPRIM_400000_NS6detail17trampoline_kernelINS0_14default_configENS1_35radix_sort_onesweep_config_selectorIfNS0_10empty_typeEEEZNS1_34radix_sort_onesweep_global_offsetsIS3_Lb0EN6thrust23THRUST_200600_302600_NS6detail15normal_iteratorINS9_10device_ptrIfEEEEPS5_jNS0_19identity_decomposerEEE10hipError_tT1_T2_PT3_SK_jT4_jjP12ihipStream_tbEUlT_E_NS1_11comp_targetILNS1_3genE5ELNS1_11target_archE942ELNS1_3gpuE9ELNS1_3repE0EEENS1_52radix_sort_onesweep_histogram_config_static_selectorELNS0_4arch9wavefront6targetE1EEEvSI_.has_recursion, 0
	.set _ZN7rocprim17ROCPRIM_400000_NS6detail17trampoline_kernelINS0_14default_configENS1_35radix_sort_onesweep_config_selectorIfNS0_10empty_typeEEEZNS1_34radix_sort_onesweep_global_offsetsIS3_Lb0EN6thrust23THRUST_200600_302600_NS6detail15normal_iteratorINS9_10device_ptrIfEEEEPS5_jNS0_19identity_decomposerEEE10hipError_tT1_T2_PT3_SK_jT4_jjP12ihipStream_tbEUlT_E_NS1_11comp_targetILNS1_3genE5ELNS1_11target_archE942ELNS1_3gpuE9ELNS1_3repE0EEENS1_52radix_sort_onesweep_histogram_config_static_selectorELNS0_4arch9wavefront6targetE1EEEvSI_.has_indirect_call, 0
	.section	.AMDGPU.csdata,"",@progbits
; Kernel info:
; codeLenInByte = 0
; TotalNumSgprs: 6
; NumVgprs: 0
; NumAgprs: 0
; TotalNumVgprs: 0
; ScratchSize: 0
; MemoryBound: 0
; FloatMode: 240
; IeeeMode: 1
; LDSByteSize: 0 bytes/workgroup (compile time only)
; SGPRBlocks: 0
; VGPRBlocks: 0
; NumSGPRsForWavesPerEU: 6
; NumVGPRsForWavesPerEU: 1
; AccumOffset: 4
; Occupancy: 8
; WaveLimiterHint : 0
; COMPUTE_PGM_RSRC2:SCRATCH_EN: 0
; COMPUTE_PGM_RSRC2:USER_SGPR: 2
; COMPUTE_PGM_RSRC2:TRAP_HANDLER: 0
; COMPUTE_PGM_RSRC2:TGID_X_EN: 1
; COMPUTE_PGM_RSRC2:TGID_Y_EN: 0
; COMPUTE_PGM_RSRC2:TGID_Z_EN: 0
; COMPUTE_PGM_RSRC2:TIDIG_COMP_CNT: 0
; COMPUTE_PGM_RSRC3_GFX90A:ACCUM_OFFSET: 0
; COMPUTE_PGM_RSRC3_GFX90A:TG_SPLIT: 0
	.section	.text._ZN7rocprim17ROCPRIM_400000_NS6detail17trampoline_kernelINS0_14default_configENS1_35radix_sort_onesweep_config_selectorIfNS0_10empty_typeEEEZNS1_34radix_sort_onesweep_global_offsetsIS3_Lb0EN6thrust23THRUST_200600_302600_NS6detail15normal_iteratorINS9_10device_ptrIfEEEEPS5_jNS0_19identity_decomposerEEE10hipError_tT1_T2_PT3_SK_jT4_jjP12ihipStream_tbEUlT_E_NS1_11comp_targetILNS1_3genE2ELNS1_11target_archE906ELNS1_3gpuE6ELNS1_3repE0EEENS1_52radix_sort_onesweep_histogram_config_static_selectorELNS0_4arch9wavefront6targetE1EEEvSI_,"axG",@progbits,_ZN7rocprim17ROCPRIM_400000_NS6detail17trampoline_kernelINS0_14default_configENS1_35radix_sort_onesweep_config_selectorIfNS0_10empty_typeEEEZNS1_34radix_sort_onesweep_global_offsetsIS3_Lb0EN6thrust23THRUST_200600_302600_NS6detail15normal_iteratorINS9_10device_ptrIfEEEEPS5_jNS0_19identity_decomposerEEE10hipError_tT1_T2_PT3_SK_jT4_jjP12ihipStream_tbEUlT_E_NS1_11comp_targetILNS1_3genE2ELNS1_11target_archE906ELNS1_3gpuE6ELNS1_3repE0EEENS1_52radix_sort_onesweep_histogram_config_static_selectorELNS0_4arch9wavefront6targetE1EEEvSI_,comdat
	.protected	_ZN7rocprim17ROCPRIM_400000_NS6detail17trampoline_kernelINS0_14default_configENS1_35radix_sort_onesweep_config_selectorIfNS0_10empty_typeEEEZNS1_34radix_sort_onesweep_global_offsetsIS3_Lb0EN6thrust23THRUST_200600_302600_NS6detail15normal_iteratorINS9_10device_ptrIfEEEEPS5_jNS0_19identity_decomposerEEE10hipError_tT1_T2_PT3_SK_jT4_jjP12ihipStream_tbEUlT_E_NS1_11comp_targetILNS1_3genE2ELNS1_11target_archE906ELNS1_3gpuE6ELNS1_3repE0EEENS1_52radix_sort_onesweep_histogram_config_static_selectorELNS0_4arch9wavefront6targetE1EEEvSI_ ; -- Begin function _ZN7rocprim17ROCPRIM_400000_NS6detail17trampoline_kernelINS0_14default_configENS1_35radix_sort_onesweep_config_selectorIfNS0_10empty_typeEEEZNS1_34radix_sort_onesweep_global_offsetsIS3_Lb0EN6thrust23THRUST_200600_302600_NS6detail15normal_iteratorINS9_10device_ptrIfEEEEPS5_jNS0_19identity_decomposerEEE10hipError_tT1_T2_PT3_SK_jT4_jjP12ihipStream_tbEUlT_E_NS1_11comp_targetILNS1_3genE2ELNS1_11target_archE906ELNS1_3gpuE6ELNS1_3repE0EEENS1_52radix_sort_onesweep_histogram_config_static_selectorELNS0_4arch9wavefront6targetE1EEEvSI_
	.globl	_ZN7rocprim17ROCPRIM_400000_NS6detail17trampoline_kernelINS0_14default_configENS1_35radix_sort_onesweep_config_selectorIfNS0_10empty_typeEEEZNS1_34radix_sort_onesweep_global_offsetsIS3_Lb0EN6thrust23THRUST_200600_302600_NS6detail15normal_iteratorINS9_10device_ptrIfEEEEPS5_jNS0_19identity_decomposerEEE10hipError_tT1_T2_PT3_SK_jT4_jjP12ihipStream_tbEUlT_E_NS1_11comp_targetILNS1_3genE2ELNS1_11target_archE906ELNS1_3gpuE6ELNS1_3repE0EEENS1_52radix_sort_onesweep_histogram_config_static_selectorELNS0_4arch9wavefront6targetE1EEEvSI_
	.p2align	8
	.type	_ZN7rocprim17ROCPRIM_400000_NS6detail17trampoline_kernelINS0_14default_configENS1_35radix_sort_onesweep_config_selectorIfNS0_10empty_typeEEEZNS1_34radix_sort_onesweep_global_offsetsIS3_Lb0EN6thrust23THRUST_200600_302600_NS6detail15normal_iteratorINS9_10device_ptrIfEEEEPS5_jNS0_19identity_decomposerEEE10hipError_tT1_T2_PT3_SK_jT4_jjP12ihipStream_tbEUlT_E_NS1_11comp_targetILNS1_3genE2ELNS1_11target_archE906ELNS1_3gpuE6ELNS1_3repE0EEENS1_52radix_sort_onesweep_histogram_config_static_selectorELNS0_4arch9wavefront6targetE1EEEvSI_,@function
_ZN7rocprim17ROCPRIM_400000_NS6detail17trampoline_kernelINS0_14default_configENS1_35radix_sort_onesweep_config_selectorIfNS0_10empty_typeEEEZNS1_34radix_sort_onesweep_global_offsetsIS3_Lb0EN6thrust23THRUST_200600_302600_NS6detail15normal_iteratorINS9_10device_ptrIfEEEEPS5_jNS0_19identity_decomposerEEE10hipError_tT1_T2_PT3_SK_jT4_jjP12ihipStream_tbEUlT_E_NS1_11comp_targetILNS1_3genE2ELNS1_11target_archE906ELNS1_3gpuE6ELNS1_3repE0EEENS1_52radix_sort_onesweep_histogram_config_static_selectorELNS0_4arch9wavefront6targetE1EEEvSI_: ; @_ZN7rocprim17ROCPRIM_400000_NS6detail17trampoline_kernelINS0_14default_configENS1_35radix_sort_onesweep_config_selectorIfNS0_10empty_typeEEEZNS1_34radix_sort_onesweep_global_offsetsIS3_Lb0EN6thrust23THRUST_200600_302600_NS6detail15normal_iteratorINS9_10device_ptrIfEEEEPS5_jNS0_19identity_decomposerEEE10hipError_tT1_T2_PT3_SK_jT4_jjP12ihipStream_tbEUlT_E_NS1_11comp_targetILNS1_3genE2ELNS1_11target_archE906ELNS1_3gpuE6ELNS1_3repE0EEENS1_52radix_sort_onesweep_histogram_config_static_selectorELNS0_4arch9wavefront6targetE1EEEvSI_
; %bb.0:
	.section	.rodata,"a",@progbits
	.p2align	6, 0x0
	.amdhsa_kernel _ZN7rocprim17ROCPRIM_400000_NS6detail17trampoline_kernelINS0_14default_configENS1_35radix_sort_onesweep_config_selectorIfNS0_10empty_typeEEEZNS1_34radix_sort_onesweep_global_offsetsIS3_Lb0EN6thrust23THRUST_200600_302600_NS6detail15normal_iteratorINS9_10device_ptrIfEEEEPS5_jNS0_19identity_decomposerEEE10hipError_tT1_T2_PT3_SK_jT4_jjP12ihipStream_tbEUlT_E_NS1_11comp_targetILNS1_3genE2ELNS1_11target_archE906ELNS1_3gpuE6ELNS1_3repE0EEENS1_52radix_sort_onesweep_histogram_config_static_selectorELNS0_4arch9wavefront6targetE1EEEvSI_
		.amdhsa_group_segment_fixed_size 0
		.amdhsa_private_segment_fixed_size 0
		.amdhsa_kernarg_size 40
		.amdhsa_user_sgpr_count 2
		.amdhsa_user_sgpr_dispatch_ptr 0
		.amdhsa_user_sgpr_queue_ptr 0
		.amdhsa_user_sgpr_kernarg_segment_ptr 1
		.amdhsa_user_sgpr_dispatch_id 0
		.amdhsa_user_sgpr_kernarg_preload_length 0
		.amdhsa_user_sgpr_kernarg_preload_offset 0
		.amdhsa_user_sgpr_private_segment_size 0
		.amdhsa_uses_dynamic_stack 0
		.amdhsa_enable_private_segment 0
		.amdhsa_system_sgpr_workgroup_id_x 1
		.amdhsa_system_sgpr_workgroup_id_y 0
		.amdhsa_system_sgpr_workgroup_id_z 0
		.amdhsa_system_sgpr_workgroup_info 0
		.amdhsa_system_vgpr_workitem_id 0
		.amdhsa_next_free_vgpr 1
		.amdhsa_next_free_sgpr 0
		.amdhsa_accum_offset 4
		.amdhsa_reserve_vcc 0
		.amdhsa_float_round_mode_32 0
		.amdhsa_float_round_mode_16_64 0
		.amdhsa_float_denorm_mode_32 3
		.amdhsa_float_denorm_mode_16_64 3
		.amdhsa_dx10_clamp 1
		.amdhsa_ieee_mode 1
		.amdhsa_fp16_overflow 0
		.amdhsa_tg_split 0
		.amdhsa_exception_fp_ieee_invalid_op 0
		.amdhsa_exception_fp_denorm_src 0
		.amdhsa_exception_fp_ieee_div_zero 0
		.amdhsa_exception_fp_ieee_overflow 0
		.amdhsa_exception_fp_ieee_underflow 0
		.amdhsa_exception_fp_ieee_inexact 0
		.amdhsa_exception_int_div_zero 0
	.end_amdhsa_kernel
	.section	.text._ZN7rocprim17ROCPRIM_400000_NS6detail17trampoline_kernelINS0_14default_configENS1_35radix_sort_onesweep_config_selectorIfNS0_10empty_typeEEEZNS1_34radix_sort_onesweep_global_offsetsIS3_Lb0EN6thrust23THRUST_200600_302600_NS6detail15normal_iteratorINS9_10device_ptrIfEEEEPS5_jNS0_19identity_decomposerEEE10hipError_tT1_T2_PT3_SK_jT4_jjP12ihipStream_tbEUlT_E_NS1_11comp_targetILNS1_3genE2ELNS1_11target_archE906ELNS1_3gpuE6ELNS1_3repE0EEENS1_52radix_sort_onesweep_histogram_config_static_selectorELNS0_4arch9wavefront6targetE1EEEvSI_,"axG",@progbits,_ZN7rocprim17ROCPRIM_400000_NS6detail17trampoline_kernelINS0_14default_configENS1_35radix_sort_onesweep_config_selectorIfNS0_10empty_typeEEEZNS1_34radix_sort_onesweep_global_offsetsIS3_Lb0EN6thrust23THRUST_200600_302600_NS6detail15normal_iteratorINS9_10device_ptrIfEEEEPS5_jNS0_19identity_decomposerEEE10hipError_tT1_T2_PT3_SK_jT4_jjP12ihipStream_tbEUlT_E_NS1_11comp_targetILNS1_3genE2ELNS1_11target_archE906ELNS1_3gpuE6ELNS1_3repE0EEENS1_52radix_sort_onesweep_histogram_config_static_selectorELNS0_4arch9wavefront6targetE1EEEvSI_,comdat
.Lfunc_end535:
	.size	_ZN7rocprim17ROCPRIM_400000_NS6detail17trampoline_kernelINS0_14default_configENS1_35radix_sort_onesweep_config_selectorIfNS0_10empty_typeEEEZNS1_34radix_sort_onesweep_global_offsetsIS3_Lb0EN6thrust23THRUST_200600_302600_NS6detail15normal_iteratorINS9_10device_ptrIfEEEEPS5_jNS0_19identity_decomposerEEE10hipError_tT1_T2_PT3_SK_jT4_jjP12ihipStream_tbEUlT_E_NS1_11comp_targetILNS1_3genE2ELNS1_11target_archE906ELNS1_3gpuE6ELNS1_3repE0EEENS1_52radix_sort_onesweep_histogram_config_static_selectorELNS0_4arch9wavefront6targetE1EEEvSI_, .Lfunc_end535-_ZN7rocprim17ROCPRIM_400000_NS6detail17trampoline_kernelINS0_14default_configENS1_35radix_sort_onesweep_config_selectorIfNS0_10empty_typeEEEZNS1_34radix_sort_onesweep_global_offsetsIS3_Lb0EN6thrust23THRUST_200600_302600_NS6detail15normal_iteratorINS9_10device_ptrIfEEEEPS5_jNS0_19identity_decomposerEEE10hipError_tT1_T2_PT3_SK_jT4_jjP12ihipStream_tbEUlT_E_NS1_11comp_targetILNS1_3genE2ELNS1_11target_archE906ELNS1_3gpuE6ELNS1_3repE0EEENS1_52radix_sort_onesweep_histogram_config_static_selectorELNS0_4arch9wavefront6targetE1EEEvSI_
                                        ; -- End function
	.set _ZN7rocprim17ROCPRIM_400000_NS6detail17trampoline_kernelINS0_14default_configENS1_35radix_sort_onesweep_config_selectorIfNS0_10empty_typeEEEZNS1_34radix_sort_onesweep_global_offsetsIS3_Lb0EN6thrust23THRUST_200600_302600_NS6detail15normal_iteratorINS9_10device_ptrIfEEEEPS5_jNS0_19identity_decomposerEEE10hipError_tT1_T2_PT3_SK_jT4_jjP12ihipStream_tbEUlT_E_NS1_11comp_targetILNS1_3genE2ELNS1_11target_archE906ELNS1_3gpuE6ELNS1_3repE0EEENS1_52radix_sort_onesweep_histogram_config_static_selectorELNS0_4arch9wavefront6targetE1EEEvSI_.num_vgpr, 0
	.set _ZN7rocprim17ROCPRIM_400000_NS6detail17trampoline_kernelINS0_14default_configENS1_35radix_sort_onesweep_config_selectorIfNS0_10empty_typeEEEZNS1_34radix_sort_onesweep_global_offsetsIS3_Lb0EN6thrust23THRUST_200600_302600_NS6detail15normal_iteratorINS9_10device_ptrIfEEEEPS5_jNS0_19identity_decomposerEEE10hipError_tT1_T2_PT3_SK_jT4_jjP12ihipStream_tbEUlT_E_NS1_11comp_targetILNS1_3genE2ELNS1_11target_archE906ELNS1_3gpuE6ELNS1_3repE0EEENS1_52radix_sort_onesweep_histogram_config_static_selectorELNS0_4arch9wavefront6targetE1EEEvSI_.num_agpr, 0
	.set _ZN7rocprim17ROCPRIM_400000_NS6detail17trampoline_kernelINS0_14default_configENS1_35radix_sort_onesweep_config_selectorIfNS0_10empty_typeEEEZNS1_34radix_sort_onesweep_global_offsetsIS3_Lb0EN6thrust23THRUST_200600_302600_NS6detail15normal_iteratorINS9_10device_ptrIfEEEEPS5_jNS0_19identity_decomposerEEE10hipError_tT1_T2_PT3_SK_jT4_jjP12ihipStream_tbEUlT_E_NS1_11comp_targetILNS1_3genE2ELNS1_11target_archE906ELNS1_3gpuE6ELNS1_3repE0EEENS1_52radix_sort_onesweep_histogram_config_static_selectorELNS0_4arch9wavefront6targetE1EEEvSI_.numbered_sgpr, 0
	.set _ZN7rocprim17ROCPRIM_400000_NS6detail17trampoline_kernelINS0_14default_configENS1_35radix_sort_onesweep_config_selectorIfNS0_10empty_typeEEEZNS1_34radix_sort_onesweep_global_offsetsIS3_Lb0EN6thrust23THRUST_200600_302600_NS6detail15normal_iteratorINS9_10device_ptrIfEEEEPS5_jNS0_19identity_decomposerEEE10hipError_tT1_T2_PT3_SK_jT4_jjP12ihipStream_tbEUlT_E_NS1_11comp_targetILNS1_3genE2ELNS1_11target_archE906ELNS1_3gpuE6ELNS1_3repE0EEENS1_52radix_sort_onesweep_histogram_config_static_selectorELNS0_4arch9wavefront6targetE1EEEvSI_.num_named_barrier, 0
	.set _ZN7rocprim17ROCPRIM_400000_NS6detail17trampoline_kernelINS0_14default_configENS1_35radix_sort_onesweep_config_selectorIfNS0_10empty_typeEEEZNS1_34radix_sort_onesweep_global_offsetsIS3_Lb0EN6thrust23THRUST_200600_302600_NS6detail15normal_iteratorINS9_10device_ptrIfEEEEPS5_jNS0_19identity_decomposerEEE10hipError_tT1_T2_PT3_SK_jT4_jjP12ihipStream_tbEUlT_E_NS1_11comp_targetILNS1_3genE2ELNS1_11target_archE906ELNS1_3gpuE6ELNS1_3repE0EEENS1_52radix_sort_onesweep_histogram_config_static_selectorELNS0_4arch9wavefront6targetE1EEEvSI_.private_seg_size, 0
	.set _ZN7rocprim17ROCPRIM_400000_NS6detail17trampoline_kernelINS0_14default_configENS1_35radix_sort_onesweep_config_selectorIfNS0_10empty_typeEEEZNS1_34radix_sort_onesweep_global_offsetsIS3_Lb0EN6thrust23THRUST_200600_302600_NS6detail15normal_iteratorINS9_10device_ptrIfEEEEPS5_jNS0_19identity_decomposerEEE10hipError_tT1_T2_PT3_SK_jT4_jjP12ihipStream_tbEUlT_E_NS1_11comp_targetILNS1_3genE2ELNS1_11target_archE906ELNS1_3gpuE6ELNS1_3repE0EEENS1_52radix_sort_onesweep_histogram_config_static_selectorELNS0_4arch9wavefront6targetE1EEEvSI_.uses_vcc, 0
	.set _ZN7rocprim17ROCPRIM_400000_NS6detail17trampoline_kernelINS0_14default_configENS1_35radix_sort_onesweep_config_selectorIfNS0_10empty_typeEEEZNS1_34radix_sort_onesweep_global_offsetsIS3_Lb0EN6thrust23THRUST_200600_302600_NS6detail15normal_iteratorINS9_10device_ptrIfEEEEPS5_jNS0_19identity_decomposerEEE10hipError_tT1_T2_PT3_SK_jT4_jjP12ihipStream_tbEUlT_E_NS1_11comp_targetILNS1_3genE2ELNS1_11target_archE906ELNS1_3gpuE6ELNS1_3repE0EEENS1_52radix_sort_onesweep_histogram_config_static_selectorELNS0_4arch9wavefront6targetE1EEEvSI_.uses_flat_scratch, 0
	.set _ZN7rocprim17ROCPRIM_400000_NS6detail17trampoline_kernelINS0_14default_configENS1_35radix_sort_onesweep_config_selectorIfNS0_10empty_typeEEEZNS1_34radix_sort_onesweep_global_offsetsIS3_Lb0EN6thrust23THRUST_200600_302600_NS6detail15normal_iteratorINS9_10device_ptrIfEEEEPS5_jNS0_19identity_decomposerEEE10hipError_tT1_T2_PT3_SK_jT4_jjP12ihipStream_tbEUlT_E_NS1_11comp_targetILNS1_3genE2ELNS1_11target_archE906ELNS1_3gpuE6ELNS1_3repE0EEENS1_52radix_sort_onesweep_histogram_config_static_selectorELNS0_4arch9wavefront6targetE1EEEvSI_.has_dyn_sized_stack, 0
	.set _ZN7rocprim17ROCPRIM_400000_NS6detail17trampoline_kernelINS0_14default_configENS1_35radix_sort_onesweep_config_selectorIfNS0_10empty_typeEEEZNS1_34radix_sort_onesweep_global_offsetsIS3_Lb0EN6thrust23THRUST_200600_302600_NS6detail15normal_iteratorINS9_10device_ptrIfEEEEPS5_jNS0_19identity_decomposerEEE10hipError_tT1_T2_PT3_SK_jT4_jjP12ihipStream_tbEUlT_E_NS1_11comp_targetILNS1_3genE2ELNS1_11target_archE906ELNS1_3gpuE6ELNS1_3repE0EEENS1_52radix_sort_onesweep_histogram_config_static_selectorELNS0_4arch9wavefront6targetE1EEEvSI_.has_recursion, 0
	.set _ZN7rocprim17ROCPRIM_400000_NS6detail17trampoline_kernelINS0_14default_configENS1_35radix_sort_onesweep_config_selectorIfNS0_10empty_typeEEEZNS1_34radix_sort_onesweep_global_offsetsIS3_Lb0EN6thrust23THRUST_200600_302600_NS6detail15normal_iteratorINS9_10device_ptrIfEEEEPS5_jNS0_19identity_decomposerEEE10hipError_tT1_T2_PT3_SK_jT4_jjP12ihipStream_tbEUlT_E_NS1_11comp_targetILNS1_3genE2ELNS1_11target_archE906ELNS1_3gpuE6ELNS1_3repE0EEENS1_52radix_sort_onesweep_histogram_config_static_selectorELNS0_4arch9wavefront6targetE1EEEvSI_.has_indirect_call, 0
	.section	.AMDGPU.csdata,"",@progbits
; Kernel info:
; codeLenInByte = 0
; TotalNumSgprs: 6
; NumVgprs: 0
; NumAgprs: 0
; TotalNumVgprs: 0
; ScratchSize: 0
; MemoryBound: 0
; FloatMode: 240
; IeeeMode: 1
; LDSByteSize: 0 bytes/workgroup (compile time only)
; SGPRBlocks: 0
; VGPRBlocks: 0
; NumSGPRsForWavesPerEU: 6
; NumVGPRsForWavesPerEU: 1
; AccumOffset: 4
; Occupancy: 8
; WaveLimiterHint : 0
; COMPUTE_PGM_RSRC2:SCRATCH_EN: 0
; COMPUTE_PGM_RSRC2:USER_SGPR: 2
; COMPUTE_PGM_RSRC2:TRAP_HANDLER: 0
; COMPUTE_PGM_RSRC2:TGID_X_EN: 1
; COMPUTE_PGM_RSRC2:TGID_Y_EN: 0
; COMPUTE_PGM_RSRC2:TGID_Z_EN: 0
; COMPUTE_PGM_RSRC2:TIDIG_COMP_CNT: 0
; COMPUTE_PGM_RSRC3_GFX90A:ACCUM_OFFSET: 0
; COMPUTE_PGM_RSRC3_GFX90A:TG_SPLIT: 0
	.section	.text._ZN7rocprim17ROCPRIM_400000_NS6detail17trampoline_kernelINS0_14default_configENS1_35radix_sort_onesweep_config_selectorIfNS0_10empty_typeEEEZNS1_34radix_sort_onesweep_global_offsetsIS3_Lb0EN6thrust23THRUST_200600_302600_NS6detail15normal_iteratorINS9_10device_ptrIfEEEEPS5_jNS0_19identity_decomposerEEE10hipError_tT1_T2_PT3_SK_jT4_jjP12ihipStream_tbEUlT_E_NS1_11comp_targetILNS1_3genE4ELNS1_11target_archE910ELNS1_3gpuE8ELNS1_3repE0EEENS1_52radix_sort_onesweep_histogram_config_static_selectorELNS0_4arch9wavefront6targetE1EEEvSI_,"axG",@progbits,_ZN7rocprim17ROCPRIM_400000_NS6detail17trampoline_kernelINS0_14default_configENS1_35radix_sort_onesweep_config_selectorIfNS0_10empty_typeEEEZNS1_34radix_sort_onesweep_global_offsetsIS3_Lb0EN6thrust23THRUST_200600_302600_NS6detail15normal_iteratorINS9_10device_ptrIfEEEEPS5_jNS0_19identity_decomposerEEE10hipError_tT1_T2_PT3_SK_jT4_jjP12ihipStream_tbEUlT_E_NS1_11comp_targetILNS1_3genE4ELNS1_11target_archE910ELNS1_3gpuE8ELNS1_3repE0EEENS1_52radix_sort_onesweep_histogram_config_static_selectorELNS0_4arch9wavefront6targetE1EEEvSI_,comdat
	.protected	_ZN7rocprim17ROCPRIM_400000_NS6detail17trampoline_kernelINS0_14default_configENS1_35radix_sort_onesweep_config_selectorIfNS0_10empty_typeEEEZNS1_34radix_sort_onesweep_global_offsetsIS3_Lb0EN6thrust23THRUST_200600_302600_NS6detail15normal_iteratorINS9_10device_ptrIfEEEEPS5_jNS0_19identity_decomposerEEE10hipError_tT1_T2_PT3_SK_jT4_jjP12ihipStream_tbEUlT_E_NS1_11comp_targetILNS1_3genE4ELNS1_11target_archE910ELNS1_3gpuE8ELNS1_3repE0EEENS1_52radix_sort_onesweep_histogram_config_static_selectorELNS0_4arch9wavefront6targetE1EEEvSI_ ; -- Begin function _ZN7rocprim17ROCPRIM_400000_NS6detail17trampoline_kernelINS0_14default_configENS1_35radix_sort_onesweep_config_selectorIfNS0_10empty_typeEEEZNS1_34radix_sort_onesweep_global_offsetsIS3_Lb0EN6thrust23THRUST_200600_302600_NS6detail15normal_iteratorINS9_10device_ptrIfEEEEPS5_jNS0_19identity_decomposerEEE10hipError_tT1_T2_PT3_SK_jT4_jjP12ihipStream_tbEUlT_E_NS1_11comp_targetILNS1_3genE4ELNS1_11target_archE910ELNS1_3gpuE8ELNS1_3repE0EEENS1_52radix_sort_onesweep_histogram_config_static_selectorELNS0_4arch9wavefront6targetE1EEEvSI_
	.globl	_ZN7rocprim17ROCPRIM_400000_NS6detail17trampoline_kernelINS0_14default_configENS1_35radix_sort_onesweep_config_selectorIfNS0_10empty_typeEEEZNS1_34radix_sort_onesweep_global_offsetsIS3_Lb0EN6thrust23THRUST_200600_302600_NS6detail15normal_iteratorINS9_10device_ptrIfEEEEPS5_jNS0_19identity_decomposerEEE10hipError_tT1_T2_PT3_SK_jT4_jjP12ihipStream_tbEUlT_E_NS1_11comp_targetILNS1_3genE4ELNS1_11target_archE910ELNS1_3gpuE8ELNS1_3repE0EEENS1_52radix_sort_onesweep_histogram_config_static_selectorELNS0_4arch9wavefront6targetE1EEEvSI_
	.p2align	8
	.type	_ZN7rocprim17ROCPRIM_400000_NS6detail17trampoline_kernelINS0_14default_configENS1_35radix_sort_onesweep_config_selectorIfNS0_10empty_typeEEEZNS1_34radix_sort_onesweep_global_offsetsIS3_Lb0EN6thrust23THRUST_200600_302600_NS6detail15normal_iteratorINS9_10device_ptrIfEEEEPS5_jNS0_19identity_decomposerEEE10hipError_tT1_T2_PT3_SK_jT4_jjP12ihipStream_tbEUlT_E_NS1_11comp_targetILNS1_3genE4ELNS1_11target_archE910ELNS1_3gpuE8ELNS1_3repE0EEENS1_52radix_sort_onesweep_histogram_config_static_selectorELNS0_4arch9wavefront6targetE1EEEvSI_,@function
_ZN7rocprim17ROCPRIM_400000_NS6detail17trampoline_kernelINS0_14default_configENS1_35radix_sort_onesweep_config_selectorIfNS0_10empty_typeEEEZNS1_34radix_sort_onesweep_global_offsetsIS3_Lb0EN6thrust23THRUST_200600_302600_NS6detail15normal_iteratorINS9_10device_ptrIfEEEEPS5_jNS0_19identity_decomposerEEE10hipError_tT1_T2_PT3_SK_jT4_jjP12ihipStream_tbEUlT_E_NS1_11comp_targetILNS1_3genE4ELNS1_11target_archE910ELNS1_3gpuE8ELNS1_3repE0EEENS1_52radix_sort_onesweep_histogram_config_static_selectorELNS0_4arch9wavefront6targetE1EEEvSI_: ; @_ZN7rocprim17ROCPRIM_400000_NS6detail17trampoline_kernelINS0_14default_configENS1_35radix_sort_onesweep_config_selectorIfNS0_10empty_typeEEEZNS1_34radix_sort_onesweep_global_offsetsIS3_Lb0EN6thrust23THRUST_200600_302600_NS6detail15normal_iteratorINS9_10device_ptrIfEEEEPS5_jNS0_19identity_decomposerEEE10hipError_tT1_T2_PT3_SK_jT4_jjP12ihipStream_tbEUlT_E_NS1_11comp_targetILNS1_3genE4ELNS1_11target_archE910ELNS1_3gpuE8ELNS1_3repE0EEENS1_52radix_sort_onesweep_histogram_config_static_selectorELNS0_4arch9wavefront6targetE1EEEvSI_
; %bb.0:
	.section	.rodata,"a",@progbits
	.p2align	6, 0x0
	.amdhsa_kernel _ZN7rocprim17ROCPRIM_400000_NS6detail17trampoline_kernelINS0_14default_configENS1_35radix_sort_onesweep_config_selectorIfNS0_10empty_typeEEEZNS1_34radix_sort_onesweep_global_offsetsIS3_Lb0EN6thrust23THRUST_200600_302600_NS6detail15normal_iteratorINS9_10device_ptrIfEEEEPS5_jNS0_19identity_decomposerEEE10hipError_tT1_T2_PT3_SK_jT4_jjP12ihipStream_tbEUlT_E_NS1_11comp_targetILNS1_3genE4ELNS1_11target_archE910ELNS1_3gpuE8ELNS1_3repE0EEENS1_52radix_sort_onesweep_histogram_config_static_selectorELNS0_4arch9wavefront6targetE1EEEvSI_
		.amdhsa_group_segment_fixed_size 0
		.amdhsa_private_segment_fixed_size 0
		.amdhsa_kernarg_size 40
		.amdhsa_user_sgpr_count 2
		.amdhsa_user_sgpr_dispatch_ptr 0
		.amdhsa_user_sgpr_queue_ptr 0
		.amdhsa_user_sgpr_kernarg_segment_ptr 1
		.amdhsa_user_sgpr_dispatch_id 0
		.amdhsa_user_sgpr_kernarg_preload_length 0
		.amdhsa_user_sgpr_kernarg_preload_offset 0
		.amdhsa_user_sgpr_private_segment_size 0
		.amdhsa_uses_dynamic_stack 0
		.amdhsa_enable_private_segment 0
		.amdhsa_system_sgpr_workgroup_id_x 1
		.amdhsa_system_sgpr_workgroup_id_y 0
		.amdhsa_system_sgpr_workgroup_id_z 0
		.amdhsa_system_sgpr_workgroup_info 0
		.amdhsa_system_vgpr_workitem_id 0
		.amdhsa_next_free_vgpr 1
		.amdhsa_next_free_sgpr 0
		.amdhsa_accum_offset 4
		.amdhsa_reserve_vcc 0
		.amdhsa_float_round_mode_32 0
		.amdhsa_float_round_mode_16_64 0
		.amdhsa_float_denorm_mode_32 3
		.amdhsa_float_denorm_mode_16_64 3
		.amdhsa_dx10_clamp 1
		.amdhsa_ieee_mode 1
		.amdhsa_fp16_overflow 0
		.amdhsa_tg_split 0
		.amdhsa_exception_fp_ieee_invalid_op 0
		.amdhsa_exception_fp_denorm_src 0
		.amdhsa_exception_fp_ieee_div_zero 0
		.amdhsa_exception_fp_ieee_overflow 0
		.amdhsa_exception_fp_ieee_underflow 0
		.amdhsa_exception_fp_ieee_inexact 0
		.amdhsa_exception_int_div_zero 0
	.end_amdhsa_kernel
	.section	.text._ZN7rocprim17ROCPRIM_400000_NS6detail17trampoline_kernelINS0_14default_configENS1_35radix_sort_onesweep_config_selectorIfNS0_10empty_typeEEEZNS1_34radix_sort_onesweep_global_offsetsIS3_Lb0EN6thrust23THRUST_200600_302600_NS6detail15normal_iteratorINS9_10device_ptrIfEEEEPS5_jNS0_19identity_decomposerEEE10hipError_tT1_T2_PT3_SK_jT4_jjP12ihipStream_tbEUlT_E_NS1_11comp_targetILNS1_3genE4ELNS1_11target_archE910ELNS1_3gpuE8ELNS1_3repE0EEENS1_52radix_sort_onesweep_histogram_config_static_selectorELNS0_4arch9wavefront6targetE1EEEvSI_,"axG",@progbits,_ZN7rocprim17ROCPRIM_400000_NS6detail17trampoline_kernelINS0_14default_configENS1_35radix_sort_onesweep_config_selectorIfNS0_10empty_typeEEEZNS1_34radix_sort_onesweep_global_offsetsIS3_Lb0EN6thrust23THRUST_200600_302600_NS6detail15normal_iteratorINS9_10device_ptrIfEEEEPS5_jNS0_19identity_decomposerEEE10hipError_tT1_T2_PT3_SK_jT4_jjP12ihipStream_tbEUlT_E_NS1_11comp_targetILNS1_3genE4ELNS1_11target_archE910ELNS1_3gpuE8ELNS1_3repE0EEENS1_52radix_sort_onesweep_histogram_config_static_selectorELNS0_4arch9wavefront6targetE1EEEvSI_,comdat
.Lfunc_end536:
	.size	_ZN7rocprim17ROCPRIM_400000_NS6detail17trampoline_kernelINS0_14default_configENS1_35radix_sort_onesweep_config_selectorIfNS0_10empty_typeEEEZNS1_34radix_sort_onesweep_global_offsetsIS3_Lb0EN6thrust23THRUST_200600_302600_NS6detail15normal_iteratorINS9_10device_ptrIfEEEEPS5_jNS0_19identity_decomposerEEE10hipError_tT1_T2_PT3_SK_jT4_jjP12ihipStream_tbEUlT_E_NS1_11comp_targetILNS1_3genE4ELNS1_11target_archE910ELNS1_3gpuE8ELNS1_3repE0EEENS1_52radix_sort_onesweep_histogram_config_static_selectorELNS0_4arch9wavefront6targetE1EEEvSI_, .Lfunc_end536-_ZN7rocprim17ROCPRIM_400000_NS6detail17trampoline_kernelINS0_14default_configENS1_35radix_sort_onesweep_config_selectorIfNS0_10empty_typeEEEZNS1_34radix_sort_onesweep_global_offsetsIS3_Lb0EN6thrust23THRUST_200600_302600_NS6detail15normal_iteratorINS9_10device_ptrIfEEEEPS5_jNS0_19identity_decomposerEEE10hipError_tT1_T2_PT3_SK_jT4_jjP12ihipStream_tbEUlT_E_NS1_11comp_targetILNS1_3genE4ELNS1_11target_archE910ELNS1_3gpuE8ELNS1_3repE0EEENS1_52radix_sort_onesweep_histogram_config_static_selectorELNS0_4arch9wavefront6targetE1EEEvSI_
                                        ; -- End function
	.set _ZN7rocprim17ROCPRIM_400000_NS6detail17trampoline_kernelINS0_14default_configENS1_35radix_sort_onesweep_config_selectorIfNS0_10empty_typeEEEZNS1_34radix_sort_onesweep_global_offsetsIS3_Lb0EN6thrust23THRUST_200600_302600_NS6detail15normal_iteratorINS9_10device_ptrIfEEEEPS5_jNS0_19identity_decomposerEEE10hipError_tT1_T2_PT3_SK_jT4_jjP12ihipStream_tbEUlT_E_NS1_11comp_targetILNS1_3genE4ELNS1_11target_archE910ELNS1_3gpuE8ELNS1_3repE0EEENS1_52radix_sort_onesweep_histogram_config_static_selectorELNS0_4arch9wavefront6targetE1EEEvSI_.num_vgpr, 0
	.set _ZN7rocprim17ROCPRIM_400000_NS6detail17trampoline_kernelINS0_14default_configENS1_35radix_sort_onesweep_config_selectorIfNS0_10empty_typeEEEZNS1_34radix_sort_onesweep_global_offsetsIS3_Lb0EN6thrust23THRUST_200600_302600_NS6detail15normal_iteratorINS9_10device_ptrIfEEEEPS5_jNS0_19identity_decomposerEEE10hipError_tT1_T2_PT3_SK_jT4_jjP12ihipStream_tbEUlT_E_NS1_11comp_targetILNS1_3genE4ELNS1_11target_archE910ELNS1_3gpuE8ELNS1_3repE0EEENS1_52radix_sort_onesweep_histogram_config_static_selectorELNS0_4arch9wavefront6targetE1EEEvSI_.num_agpr, 0
	.set _ZN7rocprim17ROCPRIM_400000_NS6detail17trampoline_kernelINS0_14default_configENS1_35radix_sort_onesweep_config_selectorIfNS0_10empty_typeEEEZNS1_34radix_sort_onesweep_global_offsetsIS3_Lb0EN6thrust23THRUST_200600_302600_NS6detail15normal_iteratorINS9_10device_ptrIfEEEEPS5_jNS0_19identity_decomposerEEE10hipError_tT1_T2_PT3_SK_jT4_jjP12ihipStream_tbEUlT_E_NS1_11comp_targetILNS1_3genE4ELNS1_11target_archE910ELNS1_3gpuE8ELNS1_3repE0EEENS1_52radix_sort_onesweep_histogram_config_static_selectorELNS0_4arch9wavefront6targetE1EEEvSI_.numbered_sgpr, 0
	.set _ZN7rocprim17ROCPRIM_400000_NS6detail17trampoline_kernelINS0_14default_configENS1_35radix_sort_onesweep_config_selectorIfNS0_10empty_typeEEEZNS1_34radix_sort_onesweep_global_offsetsIS3_Lb0EN6thrust23THRUST_200600_302600_NS6detail15normal_iteratorINS9_10device_ptrIfEEEEPS5_jNS0_19identity_decomposerEEE10hipError_tT1_T2_PT3_SK_jT4_jjP12ihipStream_tbEUlT_E_NS1_11comp_targetILNS1_3genE4ELNS1_11target_archE910ELNS1_3gpuE8ELNS1_3repE0EEENS1_52radix_sort_onesweep_histogram_config_static_selectorELNS0_4arch9wavefront6targetE1EEEvSI_.num_named_barrier, 0
	.set _ZN7rocprim17ROCPRIM_400000_NS6detail17trampoline_kernelINS0_14default_configENS1_35radix_sort_onesweep_config_selectorIfNS0_10empty_typeEEEZNS1_34radix_sort_onesweep_global_offsetsIS3_Lb0EN6thrust23THRUST_200600_302600_NS6detail15normal_iteratorINS9_10device_ptrIfEEEEPS5_jNS0_19identity_decomposerEEE10hipError_tT1_T2_PT3_SK_jT4_jjP12ihipStream_tbEUlT_E_NS1_11comp_targetILNS1_3genE4ELNS1_11target_archE910ELNS1_3gpuE8ELNS1_3repE0EEENS1_52radix_sort_onesweep_histogram_config_static_selectorELNS0_4arch9wavefront6targetE1EEEvSI_.private_seg_size, 0
	.set _ZN7rocprim17ROCPRIM_400000_NS6detail17trampoline_kernelINS0_14default_configENS1_35radix_sort_onesweep_config_selectorIfNS0_10empty_typeEEEZNS1_34radix_sort_onesweep_global_offsetsIS3_Lb0EN6thrust23THRUST_200600_302600_NS6detail15normal_iteratorINS9_10device_ptrIfEEEEPS5_jNS0_19identity_decomposerEEE10hipError_tT1_T2_PT3_SK_jT4_jjP12ihipStream_tbEUlT_E_NS1_11comp_targetILNS1_3genE4ELNS1_11target_archE910ELNS1_3gpuE8ELNS1_3repE0EEENS1_52radix_sort_onesweep_histogram_config_static_selectorELNS0_4arch9wavefront6targetE1EEEvSI_.uses_vcc, 0
	.set _ZN7rocprim17ROCPRIM_400000_NS6detail17trampoline_kernelINS0_14default_configENS1_35radix_sort_onesweep_config_selectorIfNS0_10empty_typeEEEZNS1_34radix_sort_onesweep_global_offsetsIS3_Lb0EN6thrust23THRUST_200600_302600_NS6detail15normal_iteratorINS9_10device_ptrIfEEEEPS5_jNS0_19identity_decomposerEEE10hipError_tT1_T2_PT3_SK_jT4_jjP12ihipStream_tbEUlT_E_NS1_11comp_targetILNS1_3genE4ELNS1_11target_archE910ELNS1_3gpuE8ELNS1_3repE0EEENS1_52radix_sort_onesweep_histogram_config_static_selectorELNS0_4arch9wavefront6targetE1EEEvSI_.uses_flat_scratch, 0
	.set _ZN7rocprim17ROCPRIM_400000_NS6detail17trampoline_kernelINS0_14default_configENS1_35radix_sort_onesweep_config_selectorIfNS0_10empty_typeEEEZNS1_34radix_sort_onesweep_global_offsetsIS3_Lb0EN6thrust23THRUST_200600_302600_NS6detail15normal_iteratorINS9_10device_ptrIfEEEEPS5_jNS0_19identity_decomposerEEE10hipError_tT1_T2_PT3_SK_jT4_jjP12ihipStream_tbEUlT_E_NS1_11comp_targetILNS1_3genE4ELNS1_11target_archE910ELNS1_3gpuE8ELNS1_3repE0EEENS1_52radix_sort_onesweep_histogram_config_static_selectorELNS0_4arch9wavefront6targetE1EEEvSI_.has_dyn_sized_stack, 0
	.set _ZN7rocprim17ROCPRIM_400000_NS6detail17trampoline_kernelINS0_14default_configENS1_35radix_sort_onesweep_config_selectorIfNS0_10empty_typeEEEZNS1_34radix_sort_onesweep_global_offsetsIS3_Lb0EN6thrust23THRUST_200600_302600_NS6detail15normal_iteratorINS9_10device_ptrIfEEEEPS5_jNS0_19identity_decomposerEEE10hipError_tT1_T2_PT3_SK_jT4_jjP12ihipStream_tbEUlT_E_NS1_11comp_targetILNS1_3genE4ELNS1_11target_archE910ELNS1_3gpuE8ELNS1_3repE0EEENS1_52radix_sort_onesweep_histogram_config_static_selectorELNS0_4arch9wavefront6targetE1EEEvSI_.has_recursion, 0
	.set _ZN7rocprim17ROCPRIM_400000_NS6detail17trampoline_kernelINS0_14default_configENS1_35radix_sort_onesweep_config_selectorIfNS0_10empty_typeEEEZNS1_34radix_sort_onesweep_global_offsetsIS3_Lb0EN6thrust23THRUST_200600_302600_NS6detail15normal_iteratorINS9_10device_ptrIfEEEEPS5_jNS0_19identity_decomposerEEE10hipError_tT1_T2_PT3_SK_jT4_jjP12ihipStream_tbEUlT_E_NS1_11comp_targetILNS1_3genE4ELNS1_11target_archE910ELNS1_3gpuE8ELNS1_3repE0EEENS1_52radix_sort_onesweep_histogram_config_static_selectorELNS0_4arch9wavefront6targetE1EEEvSI_.has_indirect_call, 0
	.section	.AMDGPU.csdata,"",@progbits
; Kernel info:
; codeLenInByte = 0
; TotalNumSgprs: 6
; NumVgprs: 0
; NumAgprs: 0
; TotalNumVgprs: 0
; ScratchSize: 0
; MemoryBound: 0
; FloatMode: 240
; IeeeMode: 1
; LDSByteSize: 0 bytes/workgroup (compile time only)
; SGPRBlocks: 0
; VGPRBlocks: 0
; NumSGPRsForWavesPerEU: 6
; NumVGPRsForWavesPerEU: 1
; AccumOffset: 4
; Occupancy: 8
; WaveLimiterHint : 0
; COMPUTE_PGM_RSRC2:SCRATCH_EN: 0
; COMPUTE_PGM_RSRC2:USER_SGPR: 2
; COMPUTE_PGM_RSRC2:TRAP_HANDLER: 0
; COMPUTE_PGM_RSRC2:TGID_X_EN: 1
; COMPUTE_PGM_RSRC2:TGID_Y_EN: 0
; COMPUTE_PGM_RSRC2:TGID_Z_EN: 0
; COMPUTE_PGM_RSRC2:TIDIG_COMP_CNT: 0
; COMPUTE_PGM_RSRC3_GFX90A:ACCUM_OFFSET: 0
; COMPUTE_PGM_RSRC3_GFX90A:TG_SPLIT: 0
	.section	.text._ZN7rocprim17ROCPRIM_400000_NS6detail17trampoline_kernelINS0_14default_configENS1_35radix_sort_onesweep_config_selectorIfNS0_10empty_typeEEEZNS1_34radix_sort_onesweep_global_offsetsIS3_Lb0EN6thrust23THRUST_200600_302600_NS6detail15normal_iteratorINS9_10device_ptrIfEEEEPS5_jNS0_19identity_decomposerEEE10hipError_tT1_T2_PT3_SK_jT4_jjP12ihipStream_tbEUlT_E_NS1_11comp_targetILNS1_3genE3ELNS1_11target_archE908ELNS1_3gpuE7ELNS1_3repE0EEENS1_52radix_sort_onesweep_histogram_config_static_selectorELNS0_4arch9wavefront6targetE1EEEvSI_,"axG",@progbits,_ZN7rocprim17ROCPRIM_400000_NS6detail17trampoline_kernelINS0_14default_configENS1_35radix_sort_onesweep_config_selectorIfNS0_10empty_typeEEEZNS1_34radix_sort_onesweep_global_offsetsIS3_Lb0EN6thrust23THRUST_200600_302600_NS6detail15normal_iteratorINS9_10device_ptrIfEEEEPS5_jNS0_19identity_decomposerEEE10hipError_tT1_T2_PT3_SK_jT4_jjP12ihipStream_tbEUlT_E_NS1_11comp_targetILNS1_3genE3ELNS1_11target_archE908ELNS1_3gpuE7ELNS1_3repE0EEENS1_52radix_sort_onesweep_histogram_config_static_selectorELNS0_4arch9wavefront6targetE1EEEvSI_,comdat
	.protected	_ZN7rocprim17ROCPRIM_400000_NS6detail17trampoline_kernelINS0_14default_configENS1_35radix_sort_onesweep_config_selectorIfNS0_10empty_typeEEEZNS1_34radix_sort_onesweep_global_offsetsIS3_Lb0EN6thrust23THRUST_200600_302600_NS6detail15normal_iteratorINS9_10device_ptrIfEEEEPS5_jNS0_19identity_decomposerEEE10hipError_tT1_T2_PT3_SK_jT4_jjP12ihipStream_tbEUlT_E_NS1_11comp_targetILNS1_3genE3ELNS1_11target_archE908ELNS1_3gpuE7ELNS1_3repE0EEENS1_52radix_sort_onesweep_histogram_config_static_selectorELNS0_4arch9wavefront6targetE1EEEvSI_ ; -- Begin function _ZN7rocprim17ROCPRIM_400000_NS6detail17trampoline_kernelINS0_14default_configENS1_35radix_sort_onesweep_config_selectorIfNS0_10empty_typeEEEZNS1_34radix_sort_onesweep_global_offsetsIS3_Lb0EN6thrust23THRUST_200600_302600_NS6detail15normal_iteratorINS9_10device_ptrIfEEEEPS5_jNS0_19identity_decomposerEEE10hipError_tT1_T2_PT3_SK_jT4_jjP12ihipStream_tbEUlT_E_NS1_11comp_targetILNS1_3genE3ELNS1_11target_archE908ELNS1_3gpuE7ELNS1_3repE0EEENS1_52radix_sort_onesweep_histogram_config_static_selectorELNS0_4arch9wavefront6targetE1EEEvSI_
	.globl	_ZN7rocprim17ROCPRIM_400000_NS6detail17trampoline_kernelINS0_14default_configENS1_35radix_sort_onesweep_config_selectorIfNS0_10empty_typeEEEZNS1_34radix_sort_onesweep_global_offsetsIS3_Lb0EN6thrust23THRUST_200600_302600_NS6detail15normal_iteratorINS9_10device_ptrIfEEEEPS5_jNS0_19identity_decomposerEEE10hipError_tT1_T2_PT3_SK_jT4_jjP12ihipStream_tbEUlT_E_NS1_11comp_targetILNS1_3genE3ELNS1_11target_archE908ELNS1_3gpuE7ELNS1_3repE0EEENS1_52radix_sort_onesweep_histogram_config_static_selectorELNS0_4arch9wavefront6targetE1EEEvSI_
	.p2align	8
	.type	_ZN7rocprim17ROCPRIM_400000_NS6detail17trampoline_kernelINS0_14default_configENS1_35radix_sort_onesweep_config_selectorIfNS0_10empty_typeEEEZNS1_34radix_sort_onesweep_global_offsetsIS3_Lb0EN6thrust23THRUST_200600_302600_NS6detail15normal_iteratorINS9_10device_ptrIfEEEEPS5_jNS0_19identity_decomposerEEE10hipError_tT1_T2_PT3_SK_jT4_jjP12ihipStream_tbEUlT_E_NS1_11comp_targetILNS1_3genE3ELNS1_11target_archE908ELNS1_3gpuE7ELNS1_3repE0EEENS1_52radix_sort_onesweep_histogram_config_static_selectorELNS0_4arch9wavefront6targetE1EEEvSI_,@function
_ZN7rocprim17ROCPRIM_400000_NS6detail17trampoline_kernelINS0_14default_configENS1_35radix_sort_onesweep_config_selectorIfNS0_10empty_typeEEEZNS1_34radix_sort_onesweep_global_offsetsIS3_Lb0EN6thrust23THRUST_200600_302600_NS6detail15normal_iteratorINS9_10device_ptrIfEEEEPS5_jNS0_19identity_decomposerEEE10hipError_tT1_T2_PT3_SK_jT4_jjP12ihipStream_tbEUlT_E_NS1_11comp_targetILNS1_3genE3ELNS1_11target_archE908ELNS1_3gpuE7ELNS1_3repE0EEENS1_52radix_sort_onesweep_histogram_config_static_selectorELNS0_4arch9wavefront6targetE1EEEvSI_: ; @_ZN7rocprim17ROCPRIM_400000_NS6detail17trampoline_kernelINS0_14default_configENS1_35radix_sort_onesweep_config_selectorIfNS0_10empty_typeEEEZNS1_34radix_sort_onesweep_global_offsetsIS3_Lb0EN6thrust23THRUST_200600_302600_NS6detail15normal_iteratorINS9_10device_ptrIfEEEEPS5_jNS0_19identity_decomposerEEE10hipError_tT1_T2_PT3_SK_jT4_jjP12ihipStream_tbEUlT_E_NS1_11comp_targetILNS1_3genE3ELNS1_11target_archE908ELNS1_3gpuE7ELNS1_3repE0EEENS1_52radix_sort_onesweep_histogram_config_static_selectorELNS0_4arch9wavefront6targetE1EEEvSI_
; %bb.0:
	.section	.rodata,"a",@progbits
	.p2align	6, 0x0
	.amdhsa_kernel _ZN7rocprim17ROCPRIM_400000_NS6detail17trampoline_kernelINS0_14default_configENS1_35radix_sort_onesweep_config_selectorIfNS0_10empty_typeEEEZNS1_34radix_sort_onesweep_global_offsetsIS3_Lb0EN6thrust23THRUST_200600_302600_NS6detail15normal_iteratorINS9_10device_ptrIfEEEEPS5_jNS0_19identity_decomposerEEE10hipError_tT1_T2_PT3_SK_jT4_jjP12ihipStream_tbEUlT_E_NS1_11comp_targetILNS1_3genE3ELNS1_11target_archE908ELNS1_3gpuE7ELNS1_3repE0EEENS1_52radix_sort_onesweep_histogram_config_static_selectorELNS0_4arch9wavefront6targetE1EEEvSI_
		.amdhsa_group_segment_fixed_size 0
		.amdhsa_private_segment_fixed_size 0
		.amdhsa_kernarg_size 40
		.amdhsa_user_sgpr_count 2
		.amdhsa_user_sgpr_dispatch_ptr 0
		.amdhsa_user_sgpr_queue_ptr 0
		.amdhsa_user_sgpr_kernarg_segment_ptr 1
		.amdhsa_user_sgpr_dispatch_id 0
		.amdhsa_user_sgpr_kernarg_preload_length 0
		.amdhsa_user_sgpr_kernarg_preload_offset 0
		.amdhsa_user_sgpr_private_segment_size 0
		.amdhsa_uses_dynamic_stack 0
		.amdhsa_enable_private_segment 0
		.amdhsa_system_sgpr_workgroup_id_x 1
		.amdhsa_system_sgpr_workgroup_id_y 0
		.amdhsa_system_sgpr_workgroup_id_z 0
		.amdhsa_system_sgpr_workgroup_info 0
		.amdhsa_system_vgpr_workitem_id 0
		.amdhsa_next_free_vgpr 1
		.amdhsa_next_free_sgpr 0
		.amdhsa_accum_offset 4
		.amdhsa_reserve_vcc 0
		.amdhsa_float_round_mode_32 0
		.amdhsa_float_round_mode_16_64 0
		.amdhsa_float_denorm_mode_32 3
		.amdhsa_float_denorm_mode_16_64 3
		.amdhsa_dx10_clamp 1
		.amdhsa_ieee_mode 1
		.amdhsa_fp16_overflow 0
		.amdhsa_tg_split 0
		.amdhsa_exception_fp_ieee_invalid_op 0
		.amdhsa_exception_fp_denorm_src 0
		.amdhsa_exception_fp_ieee_div_zero 0
		.amdhsa_exception_fp_ieee_overflow 0
		.amdhsa_exception_fp_ieee_underflow 0
		.amdhsa_exception_fp_ieee_inexact 0
		.amdhsa_exception_int_div_zero 0
	.end_amdhsa_kernel
	.section	.text._ZN7rocprim17ROCPRIM_400000_NS6detail17trampoline_kernelINS0_14default_configENS1_35radix_sort_onesweep_config_selectorIfNS0_10empty_typeEEEZNS1_34radix_sort_onesweep_global_offsetsIS3_Lb0EN6thrust23THRUST_200600_302600_NS6detail15normal_iteratorINS9_10device_ptrIfEEEEPS5_jNS0_19identity_decomposerEEE10hipError_tT1_T2_PT3_SK_jT4_jjP12ihipStream_tbEUlT_E_NS1_11comp_targetILNS1_3genE3ELNS1_11target_archE908ELNS1_3gpuE7ELNS1_3repE0EEENS1_52radix_sort_onesweep_histogram_config_static_selectorELNS0_4arch9wavefront6targetE1EEEvSI_,"axG",@progbits,_ZN7rocprim17ROCPRIM_400000_NS6detail17trampoline_kernelINS0_14default_configENS1_35radix_sort_onesweep_config_selectorIfNS0_10empty_typeEEEZNS1_34radix_sort_onesweep_global_offsetsIS3_Lb0EN6thrust23THRUST_200600_302600_NS6detail15normal_iteratorINS9_10device_ptrIfEEEEPS5_jNS0_19identity_decomposerEEE10hipError_tT1_T2_PT3_SK_jT4_jjP12ihipStream_tbEUlT_E_NS1_11comp_targetILNS1_3genE3ELNS1_11target_archE908ELNS1_3gpuE7ELNS1_3repE0EEENS1_52radix_sort_onesweep_histogram_config_static_selectorELNS0_4arch9wavefront6targetE1EEEvSI_,comdat
.Lfunc_end537:
	.size	_ZN7rocprim17ROCPRIM_400000_NS6detail17trampoline_kernelINS0_14default_configENS1_35radix_sort_onesweep_config_selectorIfNS0_10empty_typeEEEZNS1_34radix_sort_onesweep_global_offsetsIS3_Lb0EN6thrust23THRUST_200600_302600_NS6detail15normal_iteratorINS9_10device_ptrIfEEEEPS5_jNS0_19identity_decomposerEEE10hipError_tT1_T2_PT3_SK_jT4_jjP12ihipStream_tbEUlT_E_NS1_11comp_targetILNS1_3genE3ELNS1_11target_archE908ELNS1_3gpuE7ELNS1_3repE0EEENS1_52radix_sort_onesweep_histogram_config_static_selectorELNS0_4arch9wavefront6targetE1EEEvSI_, .Lfunc_end537-_ZN7rocprim17ROCPRIM_400000_NS6detail17trampoline_kernelINS0_14default_configENS1_35radix_sort_onesweep_config_selectorIfNS0_10empty_typeEEEZNS1_34radix_sort_onesweep_global_offsetsIS3_Lb0EN6thrust23THRUST_200600_302600_NS6detail15normal_iteratorINS9_10device_ptrIfEEEEPS5_jNS0_19identity_decomposerEEE10hipError_tT1_T2_PT3_SK_jT4_jjP12ihipStream_tbEUlT_E_NS1_11comp_targetILNS1_3genE3ELNS1_11target_archE908ELNS1_3gpuE7ELNS1_3repE0EEENS1_52radix_sort_onesweep_histogram_config_static_selectorELNS0_4arch9wavefront6targetE1EEEvSI_
                                        ; -- End function
	.set _ZN7rocprim17ROCPRIM_400000_NS6detail17trampoline_kernelINS0_14default_configENS1_35radix_sort_onesweep_config_selectorIfNS0_10empty_typeEEEZNS1_34radix_sort_onesweep_global_offsetsIS3_Lb0EN6thrust23THRUST_200600_302600_NS6detail15normal_iteratorINS9_10device_ptrIfEEEEPS5_jNS0_19identity_decomposerEEE10hipError_tT1_T2_PT3_SK_jT4_jjP12ihipStream_tbEUlT_E_NS1_11comp_targetILNS1_3genE3ELNS1_11target_archE908ELNS1_3gpuE7ELNS1_3repE0EEENS1_52radix_sort_onesweep_histogram_config_static_selectorELNS0_4arch9wavefront6targetE1EEEvSI_.num_vgpr, 0
	.set _ZN7rocprim17ROCPRIM_400000_NS6detail17trampoline_kernelINS0_14default_configENS1_35radix_sort_onesweep_config_selectorIfNS0_10empty_typeEEEZNS1_34radix_sort_onesweep_global_offsetsIS3_Lb0EN6thrust23THRUST_200600_302600_NS6detail15normal_iteratorINS9_10device_ptrIfEEEEPS5_jNS0_19identity_decomposerEEE10hipError_tT1_T2_PT3_SK_jT4_jjP12ihipStream_tbEUlT_E_NS1_11comp_targetILNS1_3genE3ELNS1_11target_archE908ELNS1_3gpuE7ELNS1_3repE0EEENS1_52radix_sort_onesweep_histogram_config_static_selectorELNS0_4arch9wavefront6targetE1EEEvSI_.num_agpr, 0
	.set _ZN7rocprim17ROCPRIM_400000_NS6detail17trampoline_kernelINS0_14default_configENS1_35radix_sort_onesweep_config_selectorIfNS0_10empty_typeEEEZNS1_34radix_sort_onesweep_global_offsetsIS3_Lb0EN6thrust23THRUST_200600_302600_NS6detail15normal_iteratorINS9_10device_ptrIfEEEEPS5_jNS0_19identity_decomposerEEE10hipError_tT1_T2_PT3_SK_jT4_jjP12ihipStream_tbEUlT_E_NS1_11comp_targetILNS1_3genE3ELNS1_11target_archE908ELNS1_3gpuE7ELNS1_3repE0EEENS1_52radix_sort_onesweep_histogram_config_static_selectorELNS0_4arch9wavefront6targetE1EEEvSI_.numbered_sgpr, 0
	.set _ZN7rocprim17ROCPRIM_400000_NS6detail17trampoline_kernelINS0_14default_configENS1_35radix_sort_onesweep_config_selectorIfNS0_10empty_typeEEEZNS1_34radix_sort_onesweep_global_offsetsIS3_Lb0EN6thrust23THRUST_200600_302600_NS6detail15normal_iteratorINS9_10device_ptrIfEEEEPS5_jNS0_19identity_decomposerEEE10hipError_tT1_T2_PT3_SK_jT4_jjP12ihipStream_tbEUlT_E_NS1_11comp_targetILNS1_3genE3ELNS1_11target_archE908ELNS1_3gpuE7ELNS1_3repE0EEENS1_52radix_sort_onesweep_histogram_config_static_selectorELNS0_4arch9wavefront6targetE1EEEvSI_.num_named_barrier, 0
	.set _ZN7rocprim17ROCPRIM_400000_NS6detail17trampoline_kernelINS0_14default_configENS1_35radix_sort_onesweep_config_selectorIfNS0_10empty_typeEEEZNS1_34radix_sort_onesweep_global_offsetsIS3_Lb0EN6thrust23THRUST_200600_302600_NS6detail15normal_iteratorINS9_10device_ptrIfEEEEPS5_jNS0_19identity_decomposerEEE10hipError_tT1_T2_PT3_SK_jT4_jjP12ihipStream_tbEUlT_E_NS1_11comp_targetILNS1_3genE3ELNS1_11target_archE908ELNS1_3gpuE7ELNS1_3repE0EEENS1_52radix_sort_onesweep_histogram_config_static_selectorELNS0_4arch9wavefront6targetE1EEEvSI_.private_seg_size, 0
	.set _ZN7rocprim17ROCPRIM_400000_NS6detail17trampoline_kernelINS0_14default_configENS1_35radix_sort_onesweep_config_selectorIfNS0_10empty_typeEEEZNS1_34radix_sort_onesweep_global_offsetsIS3_Lb0EN6thrust23THRUST_200600_302600_NS6detail15normal_iteratorINS9_10device_ptrIfEEEEPS5_jNS0_19identity_decomposerEEE10hipError_tT1_T2_PT3_SK_jT4_jjP12ihipStream_tbEUlT_E_NS1_11comp_targetILNS1_3genE3ELNS1_11target_archE908ELNS1_3gpuE7ELNS1_3repE0EEENS1_52radix_sort_onesweep_histogram_config_static_selectorELNS0_4arch9wavefront6targetE1EEEvSI_.uses_vcc, 0
	.set _ZN7rocprim17ROCPRIM_400000_NS6detail17trampoline_kernelINS0_14default_configENS1_35radix_sort_onesweep_config_selectorIfNS0_10empty_typeEEEZNS1_34radix_sort_onesweep_global_offsetsIS3_Lb0EN6thrust23THRUST_200600_302600_NS6detail15normal_iteratorINS9_10device_ptrIfEEEEPS5_jNS0_19identity_decomposerEEE10hipError_tT1_T2_PT3_SK_jT4_jjP12ihipStream_tbEUlT_E_NS1_11comp_targetILNS1_3genE3ELNS1_11target_archE908ELNS1_3gpuE7ELNS1_3repE0EEENS1_52radix_sort_onesweep_histogram_config_static_selectorELNS0_4arch9wavefront6targetE1EEEvSI_.uses_flat_scratch, 0
	.set _ZN7rocprim17ROCPRIM_400000_NS6detail17trampoline_kernelINS0_14default_configENS1_35radix_sort_onesweep_config_selectorIfNS0_10empty_typeEEEZNS1_34radix_sort_onesweep_global_offsetsIS3_Lb0EN6thrust23THRUST_200600_302600_NS6detail15normal_iteratorINS9_10device_ptrIfEEEEPS5_jNS0_19identity_decomposerEEE10hipError_tT1_T2_PT3_SK_jT4_jjP12ihipStream_tbEUlT_E_NS1_11comp_targetILNS1_3genE3ELNS1_11target_archE908ELNS1_3gpuE7ELNS1_3repE0EEENS1_52radix_sort_onesweep_histogram_config_static_selectorELNS0_4arch9wavefront6targetE1EEEvSI_.has_dyn_sized_stack, 0
	.set _ZN7rocprim17ROCPRIM_400000_NS6detail17trampoline_kernelINS0_14default_configENS1_35radix_sort_onesweep_config_selectorIfNS0_10empty_typeEEEZNS1_34radix_sort_onesweep_global_offsetsIS3_Lb0EN6thrust23THRUST_200600_302600_NS6detail15normal_iteratorINS9_10device_ptrIfEEEEPS5_jNS0_19identity_decomposerEEE10hipError_tT1_T2_PT3_SK_jT4_jjP12ihipStream_tbEUlT_E_NS1_11comp_targetILNS1_3genE3ELNS1_11target_archE908ELNS1_3gpuE7ELNS1_3repE0EEENS1_52radix_sort_onesweep_histogram_config_static_selectorELNS0_4arch9wavefront6targetE1EEEvSI_.has_recursion, 0
	.set _ZN7rocprim17ROCPRIM_400000_NS6detail17trampoline_kernelINS0_14default_configENS1_35radix_sort_onesweep_config_selectorIfNS0_10empty_typeEEEZNS1_34radix_sort_onesweep_global_offsetsIS3_Lb0EN6thrust23THRUST_200600_302600_NS6detail15normal_iteratorINS9_10device_ptrIfEEEEPS5_jNS0_19identity_decomposerEEE10hipError_tT1_T2_PT3_SK_jT4_jjP12ihipStream_tbEUlT_E_NS1_11comp_targetILNS1_3genE3ELNS1_11target_archE908ELNS1_3gpuE7ELNS1_3repE0EEENS1_52radix_sort_onesweep_histogram_config_static_selectorELNS0_4arch9wavefront6targetE1EEEvSI_.has_indirect_call, 0
	.section	.AMDGPU.csdata,"",@progbits
; Kernel info:
; codeLenInByte = 0
; TotalNumSgprs: 6
; NumVgprs: 0
; NumAgprs: 0
; TotalNumVgprs: 0
; ScratchSize: 0
; MemoryBound: 0
; FloatMode: 240
; IeeeMode: 1
; LDSByteSize: 0 bytes/workgroup (compile time only)
; SGPRBlocks: 0
; VGPRBlocks: 0
; NumSGPRsForWavesPerEU: 6
; NumVGPRsForWavesPerEU: 1
; AccumOffset: 4
; Occupancy: 8
; WaveLimiterHint : 0
; COMPUTE_PGM_RSRC2:SCRATCH_EN: 0
; COMPUTE_PGM_RSRC2:USER_SGPR: 2
; COMPUTE_PGM_RSRC2:TRAP_HANDLER: 0
; COMPUTE_PGM_RSRC2:TGID_X_EN: 1
; COMPUTE_PGM_RSRC2:TGID_Y_EN: 0
; COMPUTE_PGM_RSRC2:TGID_Z_EN: 0
; COMPUTE_PGM_RSRC2:TIDIG_COMP_CNT: 0
; COMPUTE_PGM_RSRC3_GFX90A:ACCUM_OFFSET: 0
; COMPUTE_PGM_RSRC3_GFX90A:TG_SPLIT: 0
	.section	.text._ZN7rocprim17ROCPRIM_400000_NS6detail17trampoline_kernelINS0_14default_configENS1_35radix_sort_onesweep_config_selectorIfNS0_10empty_typeEEEZNS1_34radix_sort_onesweep_global_offsetsIS3_Lb0EN6thrust23THRUST_200600_302600_NS6detail15normal_iteratorINS9_10device_ptrIfEEEEPS5_jNS0_19identity_decomposerEEE10hipError_tT1_T2_PT3_SK_jT4_jjP12ihipStream_tbEUlT_E_NS1_11comp_targetILNS1_3genE10ELNS1_11target_archE1201ELNS1_3gpuE5ELNS1_3repE0EEENS1_52radix_sort_onesweep_histogram_config_static_selectorELNS0_4arch9wavefront6targetE1EEEvSI_,"axG",@progbits,_ZN7rocprim17ROCPRIM_400000_NS6detail17trampoline_kernelINS0_14default_configENS1_35radix_sort_onesweep_config_selectorIfNS0_10empty_typeEEEZNS1_34radix_sort_onesweep_global_offsetsIS3_Lb0EN6thrust23THRUST_200600_302600_NS6detail15normal_iteratorINS9_10device_ptrIfEEEEPS5_jNS0_19identity_decomposerEEE10hipError_tT1_T2_PT3_SK_jT4_jjP12ihipStream_tbEUlT_E_NS1_11comp_targetILNS1_3genE10ELNS1_11target_archE1201ELNS1_3gpuE5ELNS1_3repE0EEENS1_52radix_sort_onesweep_histogram_config_static_selectorELNS0_4arch9wavefront6targetE1EEEvSI_,comdat
	.protected	_ZN7rocprim17ROCPRIM_400000_NS6detail17trampoline_kernelINS0_14default_configENS1_35radix_sort_onesweep_config_selectorIfNS0_10empty_typeEEEZNS1_34radix_sort_onesweep_global_offsetsIS3_Lb0EN6thrust23THRUST_200600_302600_NS6detail15normal_iteratorINS9_10device_ptrIfEEEEPS5_jNS0_19identity_decomposerEEE10hipError_tT1_T2_PT3_SK_jT4_jjP12ihipStream_tbEUlT_E_NS1_11comp_targetILNS1_3genE10ELNS1_11target_archE1201ELNS1_3gpuE5ELNS1_3repE0EEENS1_52radix_sort_onesweep_histogram_config_static_selectorELNS0_4arch9wavefront6targetE1EEEvSI_ ; -- Begin function _ZN7rocprim17ROCPRIM_400000_NS6detail17trampoline_kernelINS0_14default_configENS1_35radix_sort_onesweep_config_selectorIfNS0_10empty_typeEEEZNS1_34radix_sort_onesweep_global_offsetsIS3_Lb0EN6thrust23THRUST_200600_302600_NS6detail15normal_iteratorINS9_10device_ptrIfEEEEPS5_jNS0_19identity_decomposerEEE10hipError_tT1_T2_PT3_SK_jT4_jjP12ihipStream_tbEUlT_E_NS1_11comp_targetILNS1_3genE10ELNS1_11target_archE1201ELNS1_3gpuE5ELNS1_3repE0EEENS1_52radix_sort_onesweep_histogram_config_static_selectorELNS0_4arch9wavefront6targetE1EEEvSI_
	.globl	_ZN7rocprim17ROCPRIM_400000_NS6detail17trampoline_kernelINS0_14default_configENS1_35radix_sort_onesweep_config_selectorIfNS0_10empty_typeEEEZNS1_34radix_sort_onesweep_global_offsetsIS3_Lb0EN6thrust23THRUST_200600_302600_NS6detail15normal_iteratorINS9_10device_ptrIfEEEEPS5_jNS0_19identity_decomposerEEE10hipError_tT1_T2_PT3_SK_jT4_jjP12ihipStream_tbEUlT_E_NS1_11comp_targetILNS1_3genE10ELNS1_11target_archE1201ELNS1_3gpuE5ELNS1_3repE0EEENS1_52radix_sort_onesweep_histogram_config_static_selectorELNS0_4arch9wavefront6targetE1EEEvSI_
	.p2align	8
	.type	_ZN7rocprim17ROCPRIM_400000_NS6detail17trampoline_kernelINS0_14default_configENS1_35radix_sort_onesweep_config_selectorIfNS0_10empty_typeEEEZNS1_34radix_sort_onesweep_global_offsetsIS3_Lb0EN6thrust23THRUST_200600_302600_NS6detail15normal_iteratorINS9_10device_ptrIfEEEEPS5_jNS0_19identity_decomposerEEE10hipError_tT1_T2_PT3_SK_jT4_jjP12ihipStream_tbEUlT_E_NS1_11comp_targetILNS1_3genE10ELNS1_11target_archE1201ELNS1_3gpuE5ELNS1_3repE0EEENS1_52radix_sort_onesweep_histogram_config_static_selectorELNS0_4arch9wavefront6targetE1EEEvSI_,@function
_ZN7rocprim17ROCPRIM_400000_NS6detail17trampoline_kernelINS0_14default_configENS1_35radix_sort_onesweep_config_selectorIfNS0_10empty_typeEEEZNS1_34radix_sort_onesweep_global_offsetsIS3_Lb0EN6thrust23THRUST_200600_302600_NS6detail15normal_iteratorINS9_10device_ptrIfEEEEPS5_jNS0_19identity_decomposerEEE10hipError_tT1_T2_PT3_SK_jT4_jjP12ihipStream_tbEUlT_E_NS1_11comp_targetILNS1_3genE10ELNS1_11target_archE1201ELNS1_3gpuE5ELNS1_3repE0EEENS1_52radix_sort_onesweep_histogram_config_static_selectorELNS0_4arch9wavefront6targetE1EEEvSI_: ; @_ZN7rocprim17ROCPRIM_400000_NS6detail17trampoline_kernelINS0_14default_configENS1_35radix_sort_onesweep_config_selectorIfNS0_10empty_typeEEEZNS1_34radix_sort_onesweep_global_offsetsIS3_Lb0EN6thrust23THRUST_200600_302600_NS6detail15normal_iteratorINS9_10device_ptrIfEEEEPS5_jNS0_19identity_decomposerEEE10hipError_tT1_T2_PT3_SK_jT4_jjP12ihipStream_tbEUlT_E_NS1_11comp_targetILNS1_3genE10ELNS1_11target_archE1201ELNS1_3gpuE5ELNS1_3repE0EEENS1_52radix_sort_onesweep_histogram_config_static_selectorELNS0_4arch9wavefront6targetE1EEEvSI_
; %bb.0:
	.section	.rodata,"a",@progbits
	.p2align	6, 0x0
	.amdhsa_kernel _ZN7rocprim17ROCPRIM_400000_NS6detail17trampoline_kernelINS0_14default_configENS1_35radix_sort_onesweep_config_selectorIfNS0_10empty_typeEEEZNS1_34radix_sort_onesweep_global_offsetsIS3_Lb0EN6thrust23THRUST_200600_302600_NS6detail15normal_iteratorINS9_10device_ptrIfEEEEPS5_jNS0_19identity_decomposerEEE10hipError_tT1_T2_PT3_SK_jT4_jjP12ihipStream_tbEUlT_E_NS1_11comp_targetILNS1_3genE10ELNS1_11target_archE1201ELNS1_3gpuE5ELNS1_3repE0EEENS1_52radix_sort_onesweep_histogram_config_static_selectorELNS0_4arch9wavefront6targetE1EEEvSI_
		.amdhsa_group_segment_fixed_size 0
		.amdhsa_private_segment_fixed_size 0
		.amdhsa_kernarg_size 40
		.amdhsa_user_sgpr_count 2
		.amdhsa_user_sgpr_dispatch_ptr 0
		.amdhsa_user_sgpr_queue_ptr 0
		.amdhsa_user_sgpr_kernarg_segment_ptr 1
		.amdhsa_user_sgpr_dispatch_id 0
		.amdhsa_user_sgpr_kernarg_preload_length 0
		.amdhsa_user_sgpr_kernarg_preload_offset 0
		.amdhsa_user_sgpr_private_segment_size 0
		.amdhsa_uses_dynamic_stack 0
		.amdhsa_enable_private_segment 0
		.amdhsa_system_sgpr_workgroup_id_x 1
		.amdhsa_system_sgpr_workgroup_id_y 0
		.amdhsa_system_sgpr_workgroup_id_z 0
		.amdhsa_system_sgpr_workgroup_info 0
		.amdhsa_system_vgpr_workitem_id 0
		.amdhsa_next_free_vgpr 1
		.amdhsa_next_free_sgpr 0
		.amdhsa_accum_offset 4
		.amdhsa_reserve_vcc 0
		.amdhsa_float_round_mode_32 0
		.amdhsa_float_round_mode_16_64 0
		.amdhsa_float_denorm_mode_32 3
		.amdhsa_float_denorm_mode_16_64 3
		.amdhsa_dx10_clamp 1
		.amdhsa_ieee_mode 1
		.amdhsa_fp16_overflow 0
		.amdhsa_tg_split 0
		.amdhsa_exception_fp_ieee_invalid_op 0
		.amdhsa_exception_fp_denorm_src 0
		.amdhsa_exception_fp_ieee_div_zero 0
		.amdhsa_exception_fp_ieee_overflow 0
		.amdhsa_exception_fp_ieee_underflow 0
		.amdhsa_exception_fp_ieee_inexact 0
		.amdhsa_exception_int_div_zero 0
	.end_amdhsa_kernel
	.section	.text._ZN7rocprim17ROCPRIM_400000_NS6detail17trampoline_kernelINS0_14default_configENS1_35radix_sort_onesweep_config_selectorIfNS0_10empty_typeEEEZNS1_34radix_sort_onesweep_global_offsetsIS3_Lb0EN6thrust23THRUST_200600_302600_NS6detail15normal_iteratorINS9_10device_ptrIfEEEEPS5_jNS0_19identity_decomposerEEE10hipError_tT1_T2_PT3_SK_jT4_jjP12ihipStream_tbEUlT_E_NS1_11comp_targetILNS1_3genE10ELNS1_11target_archE1201ELNS1_3gpuE5ELNS1_3repE0EEENS1_52radix_sort_onesweep_histogram_config_static_selectorELNS0_4arch9wavefront6targetE1EEEvSI_,"axG",@progbits,_ZN7rocprim17ROCPRIM_400000_NS6detail17trampoline_kernelINS0_14default_configENS1_35radix_sort_onesweep_config_selectorIfNS0_10empty_typeEEEZNS1_34radix_sort_onesweep_global_offsetsIS3_Lb0EN6thrust23THRUST_200600_302600_NS6detail15normal_iteratorINS9_10device_ptrIfEEEEPS5_jNS0_19identity_decomposerEEE10hipError_tT1_T2_PT3_SK_jT4_jjP12ihipStream_tbEUlT_E_NS1_11comp_targetILNS1_3genE10ELNS1_11target_archE1201ELNS1_3gpuE5ELNS1_3repE0EEENS1_52radix_sort_onesweep_histogram_config_static_selectorELNS0_4arch9wavefront6targetE1EEEvSI_,comdat
.Lfunc_end538:
	.size	_ZN7rocprim17ROCPRIM_400000_NS6detail17trampoline_kernelINS0_14default_configENS1_35radix_sort_onesweep_config_selectorIfNS0_10empty_typeEEEZNS1_34radix_sort_onesweep_global_offsetsIS3_Lb0EN6thrust23THRUST_200600_302600_NS6detail15normal_iteratorINS9_10device_ptrIfEEEEPS5_jNS0_19identity_decomposerEEE10hipError_tT1_T2_PT3_SK_jT4_jjP12ihipStream_tbEUlT_E_NS1_11comp_targetILNS1_3genE10ELNS1_11target_archE1201ELNS1_3gpuE5ELNS1_3repE0EEENS1_52radix_sort_onesweep_histogram_config_static_selectorELNS0_4arch9wavefront6targetE1EEEvSI_, .Lfunc_end538-_ZN7rocprim17ROCPRIM_400000_NS6detail17trampoline_kernelINS0_14default_configENS1_35radix_sort_onesweep_config_selectorIfNS0_10empty_typeEEEZNS1_34radix_sort_onesweep_global_offsetsIS3_Lb0EN6thrust23THRUST_200600_302600_NS6detail15normal_iteratorINS9_10device_ptrIfEEEEPS5_jNS0_19identity_decomposerEEE10hipError_tT1_T2_PT3_SK_jT4_jjP12ihipStream_tbEUlT_E_NS1_11comp_targetILNS1_3genE10ELNS1_11target_archE1201ELNS1_3gpuE5ELNS1_3repE0EEENS1_52radix_sort_onesweep_histogram_config_static_selectorELNS0_4arch9wavefront6targetE1EEEvSI_
                                        ; -- End function
	.set _ZN7rocprim17ROCPRIM_400000_NS6detail17trampoline_kernelINS0_14default_configENS1_35radix_sort_onesweep_config_selectorIfNS0_10empty_typeEEEZNS1_34radix_sort_onesweep_global_offsetsIS3_Lb0EN6thrust23THRUST_200600_302600_NS6detail15normal_iteratorINS9_10device_ptrIfEEEEPS5_jNS0_19identity_decomposerEEE10hipError_tT1_T2_PT3_SK_jT4_jjP12ihipStream_tbEUlT_E_NS1_11comp_targetILNS1_3genE10ELNS1_11target_archE1201ELNS1_3gpuE5ELNS1_3repE0EEENS1_52radix_sort_onesweep_histogram_config_static_selectorELNS0_4arch9wavefront6targetE1EEEvSI_.num_vgpr, 0
	.set _ZN7rocprim17ROCPRIM_400000_NS6detail17trampoline_kernelINS0_14default_configENS1_35radix_sort_onesweep_config_selectorIfNS0_10empty_typeEEEZNS1_34radix_sort_onesweep_global_offsetsIS3_Lb0EN6thrust23THRUST_200600_302600_NS6detail15normal_iteratorINS9_10device_ptrIfEEEEPS5_jNS0_19identity_decomposerEEE10hipError_tT1_T2_PT3_SK_jT4_jjP12ihipStream_tbEUlT_E_NS1_11comp_targetILNS1_3genE10ELNS1_11target_archE1201ELNS1_3gpuE5ELNS1_3repE0EEENS1_52radix_sort_onesweep_histogram_config_static_selectorELNS0_4arch9wavefront6targetE1EEEvSI_.num_agpr, 0
	.set _ZN7rocprim17ROCPRIM_400000_NS6detail17trampoline_kernelINS0_14default_configENS1_35radix_sort_onesweep_config_selectorIfNS0_10empty_typeEEEZNS1_34radix_sort_onesweep_global_offsetsIS3_Lb0EN6thrust23THRUST_200600_302600_NS6detail15normal_iteratorINS9_10device_ptrIfEEEEPS5_jNS0_19identity_decomposerEEE10hipError_tT1_T2_PT3_SK_jT4_jjP12ihipStream_tbEUlT_E_NS1_11comp_targetILNS1_3genE10ELNS1_11target_archE1201ELNS1_3gpuE5ELNS1_3repE0EEENS1_52radix_sort_onesweep_histogram_config_static_selectorELNS0_4arch9wavefront6targetE1EEEvSI_.numbered_sgpr, 0
	.set _ZN7rocprim17ROCPRIM_400000_NS6detail17trampoline_kernelINS0_14default_configENS1_35radix_sort_onesweep_config_selectorIfNS0_10empty_typeEEEZNS1_34radix_sort_onesweep_global_offsetsIS3_Lb0EN6thrust23THRUST_200600_302600_NS6detail15normal_iteratorINS9_10device_ptrIfEEEEPS5_jNS0_19identity_decomposerEEE10hipError_tT1_T2_PT3_SK_jT4_jjP12ihipStream_tbEUlT_E_NS1_11comp_targetILNS1_3genE10ELNS1_11target_archE1201ELNS1_3gpuE5ELNS1_3repE0EEENS1_52radix_sort_onesweep_histogram_config_static_selectorELNS0_4arch9wavefront6targetE1EEEvSI_.num_named_barrier, 0
	.set _ZN7rocprim17ROCPRIM_400000_NS6detail17trampoline_kernelINS0_14default_configENS1_35radix_sort_onesweep_config_selectorIfNS0_10empty_typeEEEZNS1_34radix_sort_onesweep_global_offsetsIS3_Lb0EN6thrust23THRUST_200600_302600_NS6detail15normal_iteratorINS9_10device_ptrIfEEEEPS5_jNS0_19identity_decomposerEEE10hipError_tT1_T2_PT3_SK_jT4_jjP12ihipStream_tbEUlT_E_NS1_11comp_targetILNS1_3genE10ELNS1_11target_archE1201ELNS1_3gpuE5ELNS1_3repE0EEENS1_52radix_sort_onesweep_histogram_config_static_selectorELNS0_4arch9wavefront6targetE1EEEvSI_.private_seg_size, 0
	.set _ZN7rocprim17ROCPRIM_400000_NS6detail17trampoline_kernelINS0_14default_configENS1_35radix_sort_onesweep_config_selectorIfNS0_10empty_typeEEEZNS1_34radix_sort_onesweep_global_offsetsIS3_Lb0EN6thrust23THRUST_200600_302600_NS6detail15normal_iteratorINS9_10device_ptrIfEEEEPS5_jNS0_19identity_decomposerEEE10hipError_tT1_T2_PT3_SK_jT4_jjP12ihipStream_tbEUlT_E_NS1_11comp_targetILNS1_3genE10ELNS1_11target_archE1201ELNS1_3gpuE5ELNS1_3repE0EEENS1_52radix_sort_onesweep_histogram_config_static_selectorELNS0_4arch9wavefront6targetE1EEEvSI_.uses_vcc, 0
	.set _ZN7rocprim17ROCPRIM_400000_NS6detail17trampoline_kernelINS0_14default_configENS1_35radix_sort_onesweep_config_selectorIfNS0_10empty_typeEEEZNS1_34radix_sort_onesweep_global_offsetsIS3_Lb0EN6thrust23THRUST_200600_302600_NS6detail15normal_iteratorINS9_10device_ptrIfEEEEPS5_jNS0_19identity_decomposerEEE10hipError_tT1_T2_PT3_SK_jT4_jjP12ihipStream_tbEUlT_E_NS1_11comp_targetILNS1_3genE10ELNS1_11target_archE1201ELNS1_3gpuE5ELNS1_3repE0EEENS1_52radix_sort_onesweep_histogram_config_static_selectorELNS0_4arch9wavefront6targetE1EEEvSI_.uses_flat_scratch, 0
	.set _ZN7rocprim17ROCPRIM_400000_NS6detail17trampoline_kernelINS0_14default_configENS1_35radix_sort_onesweep_config_selectorIfNS0_10empty_typeEEEZNS1_34radix_sort_onesweep_global_offsetsIS3_Lb0EN6thrust23THRUST_200600_302600_NS6detail15normal_iteratorINS9_10device_ptrIfEEEEPS5_jNS0_19identity_decomposerEEE10hipError_tT1_T2_PT3_SK_jT4_jjP12ihipStream_tbEUlT_E_NS1_11comp_targetILNS1_3genE10ELNS1_11target_archE1201ELNS1_3gpuE5ELNS1_3repE0EEENS1_52radix_sort_onesweep_histogram_config_static_selectorELNS0_4arch9wavefront6targetE1EEEvSI_.has_dyn_sized_stack, 0
	.set _ZN7rocprim17ROCPRIM_400000_NS6detail17trampoline_kernelINS0_14default_configENS1_35radix_sort_onesweep_config_selectorIfNS0_10empty_typeEEEZNS1_34radix_sort_onesweep_global_offsetsIS3_Lb0EN6thrust23THRUST_200600_302600_NS6detail15normal_iteratorINS9_10device_ptrIfEEEEPS5_jNS0_19identity_decomposerEEE10hipError_tT1_T2_PT3_SK_jT4_jjP12ihipStream_tbEUlT_E_NS1_11comp_targetILNS1_3genE10ELNS1_11target_archE1201ELNS1_3gpuE5ELNS1_3repE0EEENS1_52radix_sort_onesweep_histogram_config_static_selectorELNS0_4arch9wavefront6targetE1EEEvSI_.has_recursion, 0
	.set _ZN7rocprim17ROCPRIM_400000_NS6detail17trampoline_kernelINS0_14default_configENS1_35radix_sort_onesweep_config_selectorIfNS0_10empty_typeEEEZNS1_34radix_sort_onesweep_global_offsetsIS3_Lb0EN6thrust23THRUST_200600_302600_NS6detail15normal_iteratorINS9_10device_ptrIfEEEEPS5_jNS0_19identity_decomposerEEE10hipError_tT1_T2_PT3_SK_jT4_jjP12ihipStream_tbEUlT_E_NS1_11comp_targetILNS1_3genE10ELNS1_11target_archE1201ELNS1_3gpuE5ELNS1_3repE0EEENS1_52radix_sort_onesweep_histogram_config_static_selectorELNS0_4arch9wavefront6targetE1EEEvSI_.has_indirect_call, 0
	.section	.AMDGPU.csdata,"",@progbits
; Kernel info:
; codeLenInByte = 0
; TotalNumSgprs: 6
; NumVgprs: 0
; NumAgprs: 0
; TotalNumVgprs: 0
; ScratchSize: 0
; MemoryBound: 0
; FloatMode: 240
; IeeeMode: 1
; LDSByteSize: 0 bytes/workgroup (compile time only)
; SGPRBlocks: 0
; VGPRBlocks: 0
; NumSGPRsForWavesPerEU: 6
; NumVGPRsForWavesPerEU: 1
; AccumOffset: 4
; Occupancy: 8
; WaveLimiterHint : 0
; COMPUTE_PGM_RSRC2:SCRATCH_EN: 0
; COMPUTE_PGM_RSRC2:USER_SGPR: 2
; COMPUTE_PGM_RSRC2:TRAP_HANDLER: 0
; COMPUTE_PGM_RSRC2:TGID_X_EN: 1
; COMPUTE_PGM_RSRC2:TGID_Y_EN: 0
; COMPUTE_PGM_RSRC2:TGID_Z_EN: 0
; COMPUTE_PGM_RSRC2:TIDIG_COMP_CNT: 0
; COMPUTE_PGM_RSRC3_GFX90A:ACCUM_OFFSET: 0
; COMPUTE_PGM_RSRC3_GFX90A:TG_SPLIT: 0
	.section	.text._ZN7rocprim17ROCPRIM_400000_NS6detail17trampoline_kernelINS0_14default_configENS1_35radix_sort_onesweep_config_selectorIfNS0_10empty_typeEEEZNS1_34radix_sort_onesweep_global_offsetsIS3_Lb0EN6thrust23THRUST_200600_302600_NS6detail15normal_iteratorINS9_10device_ptrIfEEEEPS5_jNS0_19identity_decomposerEEE10hipError_tT1_T2_PT3_SK_jT4_jjP12ihipStream_tbEUlT_E_NS1_11comp_targetILNS1_3genE9ELNS1_11target_archE1100ELNS1_3gpuE3ELNS1_3repE0EEENS1_52radix_sort_onesweep_histogram_config_static_selectorELNS0_4arch9wavefront6targetE1EEEvSI_,"axG",@progbits,_ZN7rocprim17ROCPRIM_400000_NS6detail17trampoline_kernelINS0_14default_configENS1_35radix_sort_onesweep_config_selectorIfNS0_10empty_typeEEEZNS1_34radix_sort_onesweep_global_offsetsIS3_Lb0EN6thrust23THRUST_200600_302600_NS6detail15normal_iteratorINS9_10device_ptrIfEEEEPS5_jNS0_19identity_decomposerEEE10hipError_tT1_T2_PT3_SK_jT4_jjP12ihipStream_tbEUlT_E_NS1_11comp_targetILNS1_3genE9ELNS1_11target_archE1100ELNS1_3gpuE3ELNS1_3repE0EEENS1_52radix_sort_onesweep_histogram_config_static_selectorELNS0_4arch9wavefront6targetE1EEEvSI_,comdat
	.protected	_ZN7rocprim17ROCPRIM_400000_NS6detail17trampoline_kernelINS0_14default_configENS1_35radix_sort_onesweep_config_selectorIfNS0_10empty_typeEEEZNS1_34radix_sort_onesweep_global_offsetsIS3_Lb0EN6thrust23THRUST_200600_302600_NS6detail15normal_iteratorINS9_10device_ptrIfEEEEPS5_jNS0_19identity_decomposerEEE10hipError_tT1_T2_PT3_SK_jT4_jjP12ihipStream_tbEUlT_E_NS1_11comp_targetILNS1_3genE9ELNS1_11target_archE1100ELNS1_3gpuE3ELNS1_3repE0EEENS1_52radix_sort_onesweep_histogram_config_static_selectorELNS0_4arch9wavefront6targetE1EEEvSI_ ; -- Begin function _ZN7rocprim17ROCPRIM_400000_NS6detail17trampoline_kernelINS0_14default_configENS1_35radix_sort_onesweep_config_selectorIfNS0_10empty_typeEEEZNS1_34radix_sort_onesweep_global_offsetsIS3_Lb0EN6thrust23THRUST_200600_302600_NS6detail15normal_iteratorINS9_10device_ptrIfEEEEPS5_jNS0_19identity_decomposerEEE10hipError_tT1_T2_PT3_SK_jT4_jjP12ihipStream_tbEUlT_E_NS1_11comp_targetILNS1_3genE9ELNS1_11target_archE1100ELNS1_3gpuE3ELNS1_3repE0EEENS1_52radix_sort_onesweep_histogram_config_static_selectorELNS0_4arch9wavefront6targetE1EEEvSI_
	.globl	_ZN7rocprim17ROCPRIM_400000_NS6detail17trampoline_kernelINS0_14default_configENS1_35radix_sort_onesweep_config_selectorIfNS0_10empty_typeEEEZNS1_34radix_sort_onesweep_global_offsetsIS3_Lb0EN6thrust23THRUST_200600_302600_NS6detail15normal_iteratorINS9_10device_ptrIfEEEEPS5_jNS0_19identity_decomposerEEE10hipError_tT1_T2_PT3_SK_jT4_jjP12ihipStream_tbEUlT_E_NS1_11comp_targetILNS1_3genE9ELNS1_11target_archE1100ELNS1_3gpuE3ELNS1_3repE0EEENS1_52radix_sort_onesweep_histogram_config_static_selectorELNS0_4arch9wavefront6targetE1EEEvSI_
	.p2align	8
	.type	_ZN7rocprim17ROCPRIM_400000_NS6detail17trampoline_kernelINS0_14default_configENS1_35radix_sort_onesweep_config_selectorIfNS0_10empty_typeEEEZNS1_34radix_sort_onesweep_global_offsetsIS3_Lb0EN6thrust23THRUST_200600_302600_NS6detail15normal_iteratorINS9_10device_ptrIfEEEEPS5_jNS0_19identity_decomposerEEE10hipError_tT1_T2_PT3_SK_jT4_jjP12ihipStream_tbEUlT_E_NS1_11comp_targetILNS1_3genE9ELNS1_11target_archE1100ELNS1_3gpuE3ELNS1_3repE0EEENS1_52radix_sort_onesweep_histogram_config_static_selectorELNS0_4arch9wavefront6targetE1EEEvSI_,@function
_ZN7rocprim17ROCPRIM_400000_NS6detail17trampoline_kernelINS0_14default_configENS1_35radix_sort_onesweep_config_selectorIfNS0_10empty_typeEEEZNS1_34radix_sort_onesweep_global_offsetsIS3_Lb0EN6thrust23THRUST_200600_302600_NS6detail15normal_iteratorINS9_10device_ptrIfEEEEPS5_jNS0_19identity_decomposerEEE10hipError_tT1_T2_PT3_SK_jT4_jjP12ihipStream_tbEUlT_E_NS1_11comp_targetILNS1_3genE9ELNS1_11target_archE1100ELNS1_3gpuE3ELNS1_3repE0EEENS1_52radix_sort_onesweep_histogram_config_static_selectorELNS0_4arch9wavefront6targetE1EEEvSI_: ; @_ZN7rocprim17ROCPRIM_400000_NS6detail17trampoline_kernelINS0_14default_configENS1_35radix_sort_onesweep_config_selectorIfNS0_10empty_typeEEEZNS1_34radix_sort_onesweep_global_offsetsIS3_Lb0EN6thrust23THRUST_200600_302600_NS6detail15normal_iteratorINS9_10device_ptrIfEEEEPS5_jNS0_19identity_decomposerEEE10hipError_tT1_T2_PT3_SK_jT4_jjP12ihipStream_tbEUlT_E_NS1_11comp_targetILNS1_3genE9ELNS1_11target_archE1100ELNS1_3gpuE3ELNS1_3repE0EEENS1_52radix_sort_onesweep_histogram_config_static_selectorELNS0_4arch9wavefront6targetE1EEEvSI_
; %bb.0:
	.section	.rodata,"a",@progbits
	.p2align	6, 0x0
	.amdhsa_kernel _ZN7rocprim17ROCPRIM_400000_NS6detail17trampoline_kernelINS0_14default_configENS1_35radix_sort_onesweep_config_selectorIfNS0_10empty_typeEEEZNS1_34radix_sort_onesweep_global_offsetsIS3_Lb0EN6thrust23THRUST_200600_302600_NS6detail15normal_iteratorINS9_10device_ptrIfEEEEPS5_jNS0_19identity_decomposerEEE10hipError_tT1_T2_PT3_SK_jT4_jjP12ihipStream_tbEUlT_E_NS1_11comp_targetILNS1_3genE9ELNS1_11target_archE1100ELNS1_3gpuE3ELNS1_3repE0EEENS1_52radix_sort_onesweep_histogram_config_static_selectorELNS0_4arch9wavefront6targetE1EEEvSI_
		.amdhsa_group_segment_fixed_size 0
		.amdhsa_private_segment_fixed_size 0
		.amdhsa_kernarg_size 40
		.amdhsa_user_sgpr_count 2
		.amdhsa_user_sgpr_dispatch_ptr 0
		.amdhsa_user_sgpr_queue_ptr 0
		.amdhsa_user_sgpr_kernarg_segment_ptr 1
		.amdhsa_user_sgpr_dispatch_id 0
		.amdhsa_user_sgpr_kernarg_preload_length 0
		.amdhsa_user_sgpr_kernarg_preload_offset 0
		.amdhsa_user_sgpr_private_segment_size 0
		.amdhsa_uses_dynamic_stack 0
		.amdhsa_enable_private_segment 0
		.amdhsa_system_sgpr_workgroup_id_x 1
		.amdhsa_system_sgpr_workgroup_id_y 0
		.amdhsa_system_sgpr_workgroup_id_z 0
		.amdhsa_system_sgpr_workgroup_info 0
		.amdhsa_system_vgpr_workitem_id 0
		.amdhsa_next_free_vgpr 1
		.amdhsa_next_free_sgpr 0
		.amdhsa_accum_offset 4
		.amdhsa_reserve_vcc 0
		.amdhsa_float_round_mode_32 0
		.amdhsa_float_round_mode_16_64 0
		.amdhsa_float_denorm_mode_32 3
		.amdhsa_float_denorm_mode_16_64 3
		.amdhsa_dx10_clamp 1
		.amdhsa_ieee_mode 1
		.amdhsa_fp16_overflow 0
		.amdhsa_tg_split 0
		.amdhsa_exception_fp_ieee_invalid_op 0
		.amdhsa_exception_fp_denorm_src 0
		.amdhsa_exception_fp_ieee_div_zero 0
		.amdhsa_exception_fp_ieee_overflow 0
		.amdhsa_exception_fp_ieee_underflow 0
		.amdhsa_exception_fp_ieee_inexact 0
		.amdhsa_exception_int_div_zero 0
	.end_amdhsa_kernel
	.section	.text._ZN7rocprim17ROCPRIM_400000_NS6detail17trampoline_kernelINS0_14default_configENS1_35radix_sort_onesweep_config_selectorIfNS0_10empty_typeEEEZNS1_34radix_sort_onesweep_global_offsetsIS3_Lb0EN6thrust23THRUST_200600_302600_NS6detail15normal_iteratorINS9_10device_ptrIfEEEEPS5_jNS0_19identity_decomposerEEE10hipError_tT1_T2_PT3_SK_jT4_jjP12ihipStream_tbEUlT_E_NS1_11comp_targetILNS1_3genE9ELNS1_11target_archE1100ELNS1_3gpuE3ELNS1_3repE0EEENS1_52radix_sort_onesweep_histogram_config_static_selectorELNS0_4arch9wavefront6targetE1EEEvSI_,"axG",@progbits,_ZN7rocprim17ROCPRIM_400000_NS6detail17trampoline_kernelINS0_14default_configENS1_35radix_sort_onesweep_config_selectorIfNS0_10empty_typeEEEZNS1_34radix_sort_onesweep_global_offsetsIS3_Lb0EN6thrust23THRUST_200600_302600_NS6detail15normal_iteratorINS9_10device_ptrIfEEEEPS5_jNS0_19identity_decomposerEEE10hipError_tT1_T2_PT3_SK_jT4_jjP12ihipStream_tbEUlT_E_NS1_11comp_targetILNS1_3genE9ELNS1_11target_archE1100ELNS1_3gpuE3ELNS1_3repE0EEENS1_52radix_sort_onesweep_histogram_config_static_selectorELNS0_4arch9wavefront6targetE1EEEvSI_,comdat
.Lfunc_end539:
	.size	_ZN7rocprim17ROCPRIM_400000_NS6detail17trampoline_kernelINS0_14default_configENS1_35radix_sort_onesweep_config_selectorIfNS0_10empty_typeEEEZNS1_34radix_sort_onesweep_global_offsetsIS3_Lb0EN6thrust23THRUST_200600_302600_NS6detail15normal_iteratorINS9_10device_ptrIfEEEEPS5_jNS0_19identity_decomposerEEE10hipError_tT1_T2_PT3_SK_jT4_jjP12ihipStream_tbEUlT_E_NS1_11comp_targetILNS1_3genE9ELNS1_11target_archE1100ELNS1_3gpuE3ELNS1_3repE0EEENS1_52radix_sort_onesweep_histogram_config_static_selectorELNS0_4arch9wavefront6targetE1EEEvSI_, .Lfunc_end539-_ZN7rocprim17ROCPRIM_400000_NS6detail17trampoline_kernelINS0_14default_configENS1_35radix_sort_onesweep_config_selectorIfNS0_10empty_typeEEEZNS1_34radix_sort_onesweep_global_offsetsIS3_Lb0EN6thrust23THRUST_200600_302600_NS6detail15normal_iteratorINS9_10device_ptrIfEEEEPS5_jNS0_19identity_decomposerEEE10hipError_tT1_T2_PT3_SK_jT4_jjP12ihipStream_tbEUlT_E_NS1_11comp_targetILNS1_3genE9ELNS1_11target_archE1100ELNS1_3gpuE3ELNS1_3repE0EEENS1_52radix_sort_onesweep_histogram_config_static_selectorELNS0_4arch9wavefront6targetE1EEEvSI_
                                        ; -- End function
	.set _ZN7rocprim17ROCPRIM_400000_NS6detail17trampoline_kernelINS0_14default_configENS1_35radix_sort_onesweep_config_selectorIfNS0_10empty_typeEEEZNS1_34radix_sort_onesweep_global_offsetsIS3_Lb0EN6thrust23THRUST_200600_302600_NS6detail15normal_iteratorINS9_10device_ptrIfEEEEPS5_jNS0_19identity_decomposerEEE10hipError_tT1_T2_PT3_SK_jT4_jjP12ihipStream_tbEUlT_E_NS1_11comp_targetILNS1_3genE9ELNS1_11target_archE1100ELNS1_3gpuE3ELNS1_3repE0EEENS1_52radix_sort_onesweep_histogram_config_static_selectorELNS0_4arch9wavefront6targetE1EEEvSI_.num_vgpr, 0
	.set _ZN7rocprim17ROCPRIM_400000_NS6detail17trampoline_kernelINS0_14default_configENS1_35radix_sort_onesweep_config_selectorIfNS0_10empty_typeEEEZNS1_34radix_sort_onesweep_global_offsetsIS3_Lb0EN6thrust23THRUST_200600_302600_NS6detail15normal_iteratorINS9_10device_ptrIfEEEEPS5_jNS0_19identity_decomposerEEE10hipError_tT1_T2_PT3_SK_jT4_jjP12ihipStream_tbEUlT_E_NS1_11comp_targetILNS1_3genE9ELNS1_11target_archE1100ELNS1_3gpuE3ELNS1_3repE0EEENS1_52radix_sort_onesweep_histogram_config_static_selectorELNS0_4arch9wavefront6targetE1EEEvSI_.num_agpr, 0
	.set _ZN7rocprim17ROCPRIM_400000_NS6detail17trampoline_kernelINS0_14default_configENS1_35radix_sort_onesweep_config_selectorIfNS0_10empty_typeEEEZNS1_34radix_sort_onesweep_global_offsetsIS3_Lb0EN6thrust23THRUST_200600_302600_NS6detail15normal_iteratorINS9_10device_ptrIfEEEEPS5_jNS0_19identity_decomposerEEE10hipError_tT1_T2_PT3_SK_jT4_jjP12ihipStream_tbEUlT_E_NS1_11comp_targetILNS1_3genE9ELNS1_11target_archE1100ELNS1_3gpuE3ELNS1_3repE0EEENS1_52radix_sort_onesweep_histogram_config_static_selectorELNS0_4arch9wavefront6targetE1EEEvSI_.numbered_sgpr, 0
	.set _ZN7rocprim17ROCPRIM_400000_NS6detail17trampoline_kernelINS0_14default_configENS1_35radix_sort_onesweep_config_selectorIfNS0_10empty_typeEEEZNS1_34radix_sort_onesweep_global_offsetsIS3_Lb0EN6thrust23THRUST_200600_302600_NS6detail15normal_iteratorINS9_10device_ptrIfEEEEPS5_jNS0_19identity_decomposerEEE10hipError_tT1_T2_PT3_SK_jT4_jjP12ihipStream_tbEUlT_E_NS1_11comp_targetILNS1_3genE9ELNS1_11target_archE1100ELNS1_3gpuE3ELNS1_3repE0EEENS1_52radix_sort_onesweep_histogram_config_static_selectorELNS0_4arch9wavefront6targetE1EEEvSI_.num_named_barrier, 0
	.set _ZN7rocprim17ROCPRIM_400000_NS6detail17trampoline_kernelINS0_14default_configENS1_35radix_sort_onesweep_config_selectorIfNS0_10empty_typeEEEZNS1_34radix_sort_onesweep_global_offsetsIS3_Lb0EN6thrust23THRUST_200600_302600_NS6detail15normal_iteratorINS9_10device_ptrIfEEEEPS5_jNS0_19identity_decomposerEEE10hipError_tT1_T2_PT3_SK_jT4_jjP12ihipStream_tbEUlT_E_NS1_11comp_targetILNS1_3genE9ELNS1_11target_archE1100ELNS1_3gpuE3ELNS1_3repE0EEENS1_52radix_sort_onesweep_histogram_config_static_selectorELNS0_4arch9wavefront6targetE1EEEvSI_.private_seg_size, 0
	.set _ZN7rocprim17ROCPRIM_400000_NS6detail17trampoline_kernelINS0_14default_configENS1_35radix_sort_onesweep_config_selectorIfNS0_10empty_typeEEEZNS1_34radix_sort_onesweep_global_offsetsIS3_Lb0EN6thrust23THRUST_200600_302600_NS6detail15normal_iteratorINS9_10device_ptrIfEEEEPS5_jNS0_19identity_decomposerEEE10hipError_tT1_T2_PT3_SK_jT4_jjP12ihipStream_tbEUlT_E_NS1_11comp_targetILNS1_3genE9ELNS1_11target_archE1100ELNS1_3gpuE3ELNS1_3repE0EEENS1_52radix_sort_onesweep_histogram_config_static_selectorELNS0_4arch9wavefront6targetE1EEEvSI_.uses_vcc, 0
	.set _ZN7rocprim17ROCPRIM_400000_NS6detail17trampoline_kernelINS0_14default_configENS1_35radix_sort_onesweep_config_selectorIfNS0_10empty_typeEEEZNS1_34radix_sort_onesweep_global_offsetsIS3_Lb0EN6thrust23THRUST_200600_302600_NS6detail15normal_iteratorINS9_10device_ptrIfEEEEPS5_jNS0_19identity_decomposerEEE10hipError_tT1_T2_PT3_SK_jT4_jjP12ihipStream_tbEUlT_E_NS1_11comp_targetILNS1_3genE9ELNS1_11target_archE1100ELNS1_3gpuE3ELNS1_3repE0EEENS1_52radix_sort_onesweep_histogram_config_static_selectorELNS0_4arch9wavefront6targetE1EEEvSI_.uses_flat_scratch, 0
	.set _ZN7rocprim17ROCPRIM_400000_NS6detail17trampoline_kernelINS0_14default_configENS1_35radix_sort_onesweep_config_selectorIfNS0_10empty_typeEEEZNS1_34radix_sort_onesweep_global_offsetsIS3_Lb0EN6thrust23THRUST_200600_302600_NS6detail15normal_iteratorINS9_10device_ptrIfEEEEPS5_jNS0_19identity_decomposerEEE10hipError_tT1_T2_PT3_SK_jT4_jjP12ihipStream_tbEUlT_E_NS1_11comp_targetILNS1_3genE9ELNS1_11target_archE1100ELNS1_3gpuE3ELNS1_3repE0EEENS1_52radix_sort_onesweep_histogram_config_static_selectorELNS0_4arch9wavefront6targetE1EEEvSI_.has_dyn_sized_stack, 0
	.set _ZN7rocprim17ROCPRIM_400000_NS6detail17trampoline_kernelINS0_14default_configENS1_35radix_sort_onesweep_config_selectorIfNS0_10empty_typeEEEZNS1_34radix_sort_onesweep_global_offsetsIS3_Lb0EN6thrust23THRUST_200600_302600_NS6detail15normal_iteratorINS9_10device_ptrIfEEEEPS5_jNS0_19identity_decomposerEEE10hipError_tT1_T2_PT3_SK_jT4_jjP12ihipStream_tbEUlT_E_NS1_11comp_targetILNS1_3genE9ELNS1_11target_archE1100ELNS1_3gpuE3ELNS1_3repE0EEENS1_52radix_sort_onesweep_histogram_config_static_selectorELNS0_4arch9wavefront6targetE1EEEvSI_.has_recursion, 0
	.set _ZN7rocprim17ROCPRIM_400000_NS6detail17trampoline_kernelINS0_14default_configENS1_35radix_sort_onesweep_config_selectorIfNS0_10empty_typeEEEZNS1_34radix_sort_onesweep_global_offsetsIS3_Lb0EN6thrust23THRUST_200600_302600_NS6detail15normal_iteratorINS9_10device_ptrIfEEEEPS5_jNS0_19identity_decomposerEEE10hipError_tT1_T2_PT3_SK_jT4_jjP12ihipStream_tbEUlT_E_NS1_11comp_targetILNS1_3genE9ELNS1_11target_archE1100ELNS1_3gpuE3ELNS1_3repE0EEENS1_52radix_sort_onesweep_histogram_config_static_selectorELNS0_4arch9wavefront6targetE1EEEvSI_.has_indirect_call, 0
	.section	.AMDGPU.csdata,"",@progbits
; Kernel info:
; codeLenInByte = 0
; TotalNumSgprs: 6
; NumVgprs: 0
; NumAgprs: 0
; TotalNumVgprs: 0
; ScratchSize: 0
; MemoryBound: 0
; FloatMode: 240
; IeeeMode: 1
; LDSByteSize: 0 bytes/workgroup (compile time only)
; SGPRBlocks: 0
; VGPRBlocks: 0
; NumSGPRsForWavesPerEU: 6
; NumVGPRsForWavesPerEU: 1
; AccumOffset: 4
; Occupancy: 8
; WaveLimiterHint : 0
; COMPUTE_PGM_RSRC2:SCRATCH_EN: 0
; COMPUTE_PGM_RSRC2:USER_SGPR: 2
; COMPUTE_PGM_RSRC2:TRAP_HANDLER: 0
; COMPUTE_PGM_RSRC2:TGID_X_EN: 1
; COMPUTE_PGM_RSRC2:TGID_Y_EN: 0
; COMPUTE_PGM_RSRC2:TGID_Z_EN: 0
; COMPUTE_PGM_RSRC2:TIDIG_COMP_CNT: 0
; COMPUTE_PGM_RSRC3_GFX90A:ACCUM_OFFSET: 0
; COMPUTE_PGM_RSRC3_GFX90A:TG_SPLIT: 0
	.section	.text._ZN7rocprim17ROCPRIM_400000_NS6detail17trampoline_kernelINS0_14default_configENS1_35radix_sort_onesweep_config_selectorIfNS0_10empty_typeEEEZNS1_34radix_sort_onesweep_global_offsetsIS3_Lb0EN6thrust23THRUST_200600_302600_NS6detail15normal_iteratorINS9_10device_ptrIfEEEEPS5_jNS0_19identity_decomposerEEE10hipError_tT1_T2_PT3_SK_jT4_jjP12ihipStream_tbEUlT_E_NS1_11comp_targetILNS1_3genE8ELNS1_11target_archE1030ELNS1_3gpuE2ELNS1_3repE0EEENS1_52radix_sort_onesweep_histogram_config_static_selectorELNS0_4arch9wavefront6targetE1EEEvSI_,"axG",@progbits,_ZN7rocprim17ROCPRIM_400000_NS6detail17trampoline_kernelINS0_14default_configENS1_35radix_sort_onesweep_config_selectorIfNS0_10empty_typeEEEZNS1_34radix_sort_onesweep_global_offsetsIS3_Lb0EN6thrust23THRUST_200600_302600_NS6detail15normal_iteratorINS9_10device_ptrIfEEEEPS5_jNS0_19identity_decomposerEEE10hipError_tT1_T2_PT3_SK_jT4_jjP12ihipStream_tbEUlT_E_NS1_11comp_targetILNS1_3genE8ELNS1_11target_archE1030ELNS1_3gpuE2ELNS1_3repE0EEENS1_52radix_sort_onesweep_histogram_config_static_selectorELNS0_4arch9wavefront6targetE1EEEvSI_,comdat
	.protected	_ZN7rocprim17ROCPRIM_400000_NS6detail17trampoline_kernelINS0_14default_configENS1_35radix_sort_onesweep_config_selectorIfNS0_10empty_typeEEEZNS1_34radix_sort_onesweep_global_offsetsIS3_Lb0EN6thrust23THRUST_200600_302600_NS6detail15normal_iteratorINS9_10device_ptrIfEEEEPS5_jNS0_19identity_decomposerEEE10hipError_tT1_T2_PT3_SK_jT4_jjP12ihipStream_tbEUlT_E_NS1_11comp_targetILNS1_3genE8ELNS1_11target_archE1030ELNS1_3gpuE2ELNS1_3repE0EEENS1_52radix_sort_onesweep_histogram_config_static_selectorELNS0_4arch9wavefront6targetE1EEEvSI_ ; -- Begin function _ZN7rocprim17ROCPRIM_400000_NS6detail17trampoline_kernelINS0_14default_configENS1_35radix_sort_onesweep_config_selectorIfNS0_10empty_typeEEEZNS1_34radix_sort_onesweep_global_offsetsIS3_Lb0EN6thrust23THRUST_200600_302600_NS6detail15normal_iteratorINS9_10device_ptrIfEEEEPS5_jNS0_19identity_decomposerEEE10hipError_tT1_T2_PT3_SK_jT4_jjP12ihipStream_tbEUlT_E_NS1_11comp_targetILNS1_3genE8ELNS1_11target_archE1030ELNS1_3gpuE2ELNS1_3repE0EEENS1_52radix_sort_onesweep_histogram_config_static_selectorELNS0_4arch9wavefront6targetE1EEEvSI_
	.globl	_ZN7rocprim17ROCPRIM_400000_NS6detail17trampoline_kernelINS0_14default_configENS1_35radix_sort_onesweep_config_selectorIfNS0_10empty_typeEEEZNS1_34radix_sort_onesweep_global_offsetsIS3_Lb0EN6thrust23THRUST_200600_302600_NS6detail15normal_iteratorINS9_10device_ptrIfEEEEPS5_jNS0_19identity_decomposerEEE10hipError_tT1_T2_PT3_SK_jT4_jjP12ihipStream_tbEUlT_E_NS1_11comp_targetILNS1_3genE8ELNS1_11target_archE1030ELNS1_3gpuE2ELNS1_3repE0EEENS1_52radix_sort_onesweep_histogram_config_static_selectorELNS0_4arch9wavefront6targetE1EEEvSI_
	.p2align	8
	.type	_ZN7rocprim17ROCPRIM_400000_NS6detail17trampoline_kernelINS0_14default_configENS1_35radix_sort_onesweep_config_selectorIfNS0_10empty_typeEEEZNS1_34radix_sort_onesweep_global_offsetsIS3_Lb0EN6thrust23THRUST_200600_302600_NS6detail15normal_iteratorINS9_10device_ptrIfEEEEPS5_jNS0_19identity_decomposerEEE10hipError_tT1_T2_PT3_SK_jT4_jjP12ihipStream_tbEUlT_E_NS1_11comp_targetILNS1_3genE8ELNS1_11target_archE1030ELNS1_3gpuE2ELNS1_3repE0EEENS1_52radix_sort_onesweep_histogram_config_static_selectorELNS0_4arch9wavefront6targetE1EEEvSI_,@function
_ZN7rocprim17ROCPRIM_400000_NS6detail17trampoline_kernelINS0_14default_configENS1_35radix_sort_onesweep_config_selectorIfNS0_10empty_typeEEEZNS1_34radix_sort_onesweep_global_offsetsIS3_Lb0EN6thrust23THRUST_200600_302600_NS6detail15normal_iteratorINS9_10device_ptrIfEEEEPS5_jNS0_19identity_decomposerEEE10hipError_tT1_T2_PT3_SK_jT4_jjP12ihipStream_tbEUlT_E_NS1_11comp_targetILNS1_3genE8ELNS1_11target_archE1030ELNS1_3gpuE2ELNS1_3repE0EEENS1_52radix_sort_onesweep_histogram_config_static_selectorELNS0_4arch9wavefront6targetE1EEEvSI_: ; @_ZN7rocprim17ROCPRIM_400000_NS6detail17trampoline_kernelINS0_14default_configENS1_35radix_sort_onesweep_config_selectorIfNS0_10empty_typeEEEZNS1_34radix_sort_onesweep_global_offsetsIS3_Lb0EN6thrust23THRUST_200600_302600_NS6detail15normal_iteratorINS9_10device_ptrIfEEEEPS5_jNS0_19identity_decomposerEEE10hipError_tT1_T2_PT3_SK_jT4_jjP12ihipStream_tbEUlT_E_NS1_11comp_targetILNS1_3genE8ELNS1_11target_archE1030ELNS1_3gpuE2ELNS1_3repE0EEENS1_52radix_sort_onesweep_histogram_config_static_selectorELNS0_4arch9wavefront6targetE1EEEvSI_
; %bb.0:
	.section	.rodata,"a",@progbits
	.p2align	6, 0x0
	.amdhsa_kernel _ZN7rocprim17ROCPRIM_400000_NS6detail17trampoline_kernelINS0_14default_configENS1_35radix_sort_onesweep_config_selectorIfNS0_10empty_typeEEEZNS1_34radix_sort_onesweep_global_offsetsIS3_Lb0EN6thrust23THRUST_200600_302600_NS6detail15normal_iteratorINS9_10device_ptrIfEEEEPS5_jNS0_19identity_decomposerEEE10hipError_tT1_T2_PT3_SK_jT4_jjP12ihipStream_tbEUlT_E_NS1_11comp_targetILNS1_3genE8ELNS1_11target_archE1030ELNS1_3gpuE2ELNS1_3repE0EEENS1_52radix_sort_onesweep_histogram_config_static_selectorELNS0_4arch9wavefront6targetE1EEEvSI_
		.amdhsa_group_segment_fixed_size 0
		.amdhsa_private_segment_fixed_size 0
		.amdhsa_kernarg_size 40
		.amdhsa_user_sgpr_count 2
		.amdhsa_user_sgpr_dispatch_ptr 0
		.amdhsa_user_sgpr_queue_ptr 0
		.amdhsa_user_sgpr_kernarg_segment_ptr 1
		.amdhsa_user_sgpr_dispatch_id 0
		.amdhsa_user_sgpr_kernarg_preload_length 0
		.amdhsa_user_sgpr_kernarg_preload_offset 0
		.amdhsa_user_sgpr_private_segment_size 0
		.amdhsa_uses_dynamic_stack 0
		.amdhsa_enable_private_segment 0
		.amdhsa_system_sgpr_workgroup_id_x 1
		.amdhsa_system_sgpr_workgroup_id_y 0
		.amdhsa_system_sgpr_workgroup_id_z 0
		.amdhsa_system_sgpr_workgroup_info 0
		.amdhsa_system_vgpr_workitem_id 0
		.amdhsa_next_free_vgpr 1
		.amdhsa_next_free_sgpr 0
		.amdhsa_accum_offset 4
		.amdhsa_reserve_vcc 0
		.amdhsa_float_round_mode_32 0
		.amdhsa_float_round_mode_16_64 0
		.amdhsa_float_denorm_mode_32 3
		.amdhsa_float_denorm_mode_16_64 3
		.amdhsa_dx10_clamp 1
		.amdhsa_ieee_mode 1
		.amdhsa_fp16_overflow 0
		.amdhsa_tg_split 0
		.amdhsa_exception_fp_ieee_invalid_op 0
		.amdhsa_exception_fp_denorm_src 0
		.amdhsa_exception_fp_ieee_div_zero 0
		.amdhsa_exception_fp_ieee_overflow 0
		.amdhsa_exception_fp_ieee_underflow 0
		.amdhsa_exception_fp_ieee_inexact 0
		.amdhsa_exception_int_div_zero 0
	.end_amdhsa_kernel
	.section	.text._ZN7rocprim17ROCPRIM_400000_NS6detail17trampoline_kernelINS0_14default_configENS1_35radix_sort_onesweep_config_selectorIfNS0_10empty_typeEEEZNS1_34radix_sort_onesweep_global_offsetsIS3_Lb0EN6thrust23THRUST_200600_302600_NS6detail15normal_iteratorINS9_10device_ptrIfEEEEPS5_jNS0_19identity_decomposerEEE10hipError_tT1_T2_PT3_SK_jT4_jjP12ihipStream_tbEUlT_E_NS1_11comp_targetILNS1_3genE8ELNS1_11target_archE1030ELNS1_3gpuE2ELNS1_3repE0EEENS1_52radix_sort_onesweep_histogram_config_static_selectorELNS0_4arch9wavefront6targetE1EEEvSI_,"axG",@progbits,_ZN7rocprim17ROCPRIM_400000_NS6detail17trampoline_kernelINS0_14default_configENS1_35radix_sort_onesweep_config_selectorIfNS0_10empty_typeEEEZNS1_34radix_sort_onesweep_global_offsetsIS3_Lb0EN6thrust23THRUST_200600_302600_NS6detail15normal_iteratorINS9_10device_ptrIfEEEEPS5_jNS0_19identity_decomposerEEE10hipError_tT1_T2_PT3_SK_jT4_jjP12ihipStream_tbEUlT_E_NS1_11comp_targetILNS1_3genE8ELNS1_11target_archE1030ELNS1_3gpuE2ELNS1_3repE0EEENS1_52radix_sort_onesweep_histogram_config_static_selectorELNS0_4arch9wavefront6targetE1EEEvSI_,comdat
.Lfunc_end540:
	.size	_ZN7rocprim17ROCPRIM_400000_NS6detail17trampoline_kernelINS0_14default_configENS1_35radix_sort_onesweep_config_selectorIfNS0_10empty_typeEEEZNS1_34radix_sort_onesweep_global_offsetsIS3_Lb0EN6thrust23THRUST_200600_302600_NS6detail15normal_iteratorINS9_10device_ptrIfEEEEPS5_jNS0_19identity_decomposerEEE10hipError_tT1_T2_PT3_SK_jT4_jjP12ihipStream_tbEUlT_E_NS1_11comp_targetILNS1_3genE8ELNS1_11target_archE1030ELNS1_3gpuE2ELNS1_3repE0EEENS1_52radix_sort_onesweep_histogram_config_static_selectorELNS0_4arch9wavefront6targetE1EEEvSI_, .Lfunc_end540-_ZN7rocprim17ROCPRIM_400000_NS6detail17trampoline_kernelINS0_14default_configENS1_35radix_sort_onesweep_config_selectorIfNS0_10empty_typeEEEZNS1_34radix_sort_onesweep_global_offsetsIS3_Lb0EN6thrust23THRUST_200600_302600_NS6detail15normal_iteratorINS9_10device_ptrIfEEEEPS5_jNS0_19identity_decomposerEEE10hipError_tT1_T2_PT3_SK_jT4_jjP12ihipStream_tbEUlT_E_NS1_11comp_targetILNS1_3genE8ELNS1_11target_archE1030ELNS1_3gpuE2ELNS1_3repE0EEENS1_52radix_sort_onesweep_histogram_config_static_selectorELNS0_4arch9wavefront6targetE1EEEvSI_
                                        ; -- End function
	.set _ZN7rocprim17ROCPRIM_400000_NS6detail17trampoline_kernelINS0_14default_configENS1_35radix_sort_onesweep_config_selectorIfNS0_10empty_typeEEEZNS1_34radix_sort_onesweep_global_offsetsIS3_Lb0EN6thrust23THRUST_200600_302600_NS6detail15normal_iteratorINS9_10device_ptrIfEEEEPS5_jNS0_19identity_decomposerEEE10hipError_tT1_T2_PT3_SK_jT4_jjP12ihipStream_tbEUlT_E_NS1_11comp_targetILNS1_3genE8ELNS1_11target_archE1030ELNS1_3gpuE2ELNS1_3repE0EEENS1_52radix_sort_onesweep_histogram_config_static_selectorELNS0_4arch9wavefront6targetE1EEEvSI_.num_vgpr, 0
	.set _ZN7rocprim17ROCPRIM_400000_NS6detail17trampoline_kernelINS0_14default_configENS1_35radix_sort_onesweep_config_selectorIfNS0_10empty_typeEEEZNS1_34radix_sort_onesweep_global_offsetsIS3_Lb0EN6thrust23THRUST_200600_302600_NS6detail15normal_iteratorINS9_10device_ptrIfEEEEPS5_jNS0_19identity_decomposerEEE10hipError_tT1_T2_PT3_SK_jT4_jjP12ihipStream_tbEUlT_E_NS1_11comp_targetILNS1_3genE8ELNS1_11target_archE1030ELNS1_3gpuE2ELNS1_3repE0EEENS1_52radix_sort_onesweep_histogram_config_static_selectorELNS0_4arch9wavefront6targetE1EEEvSI_.num_agpr, 0
	.set _ZN7rocprim17ROCPRIM_400000_NS6detail17trampoline_kernelINS0_14default_configENS1_35radix_sort_onesweep_config_selectorIfNS0_10empty_typeEEEZNS1_34radix_sort_onesweep_global_offsetsIS3_Lb0EN6thrust23THRUST_200600_302600_NS6detail15normal_iteratorINS9_10device_ptrIfEEEEPS5_jNS0_19identity_decomposerEEE10hipError_tT1_T2_PT3_SK_jT4_jjP12ihipStream_tbEUlT_E_NS1_11comp_targetILNS1_3genE8ELNS1_11target_archE1030ELNS1_3gpuE2ELNS1_3repE0EEENS1_52radix_sort_onesweep_histogram_config_static_selectorELNS0_4arch9wavefront6targetE1EEEvSI_.numbered_sgpr, 0
	.set _ZN7rocprim17ROCPRIM_400000_NS6detail17trampoline_kernelINS0_14default_configENS1_35radix_sort_onesweep_config_selectorIfNS0_10empty_typeEEEZNS1_34radix_sort_onesweep_global_offsetsIS3_Lb0EN6thrust23THRUST_200600_302600_NS6detail15normal_iteratorINS9_10device_ptrIfEEEEPS5_jNS0_19identity_decomposerEEE10hipError_tT1_T2_PT3_SK_jT4_jjP12ihipStream_tbEUlT_E_NS1_11comp_targetILNS1_3genE8ELNS1_11target_archE1030ELNS1_3gpuE2ELNS1_3repE0EEENS1_52radix_sort_onesweep_histogram_config_static_selectorELNS0_4arch9wavefront6targetE1EEEvSI_.num_named_barrier, 0
	.set _ZN7rocprim17ROCPRIM_400000_NS6detail17trampoline_kernelINS0_14default_configENS1_35radix_sort_onesweep_config_selectorIfNS0_10empty_typeEEEZNS1_34radix_sort_onesweep_global_offsetsIS3_Lb0EN6thrust23THRUST_200600_302600_NS6detail15normal_iteratorINS9_10device_ptrIfEEEEPS5_jNS0_19identity_decomposerEEE10hipError_tT1_T2_PT3_SK_jT4_jjP12ihipStream_tbEUlT_E_NS1_11comp_targetILNS1_3genE8ELNS1_11target_archE1030ELNS1_3gpuE2ELNS1_3repE0EEENS1_52radix_sort_onesweep_histogram_config_static_selectorELNS0_4arch9wavefront6targetE1EEEvSI_.private_seg_size, 0
	.set _ZN7rocprim17ROCPRIM_400000_NS6detail17trampoline_kernelINS0_14default_configENS1_35radix_sort_onesweep_config_selectorIfNS0_10empty_typeEEEZNS1_34radix_sort_onesweep_global_offsetsIS3_Lb0EN6thrust23THRUST_200600_302600_NS6detail15normal_iteratorINS9_10device_ptrIfEEEEPS5_jNS0_19identity_decomposerEEE10hipError_tT1_T2_PT3_SK_jT4_jjP12ihipStream_tbEUlT_E_NS1_11comp_targetILNS1_3genE8ELNS1_11target_archE1030ELNS1_3gpuE2ELNS1_3repE0EEENS1_52radix_sort_onesweep_histogram_config_static_selectorELNS0_4arch9wavefront6targetE1EEEvSI_.uses_vcc, 0
	.set _ZN7rocprim17ROCPRIM_400000_NS6detail17trampoline_kernelINS0_14default_configENS1_35radix_sort_onesweep_config_selectorIfNS0_10empty_typeEEEZNS1_34radix_sort_onesweep_global_offsetsIS3_Lb0EN6thrust23THRUST_200600_302600_NS6detail15normal_iteratorINS9_10device_ptrIfEEEEPS5_jNS0_19identity_decomposerEEE10hipError_tT1_T2_PT3_SK_jT4_jjP12ihipStream_tbEUlT_E_NS1_11comp_targetILNS1_3genE8ELNS1_11target_archE1030ELNS1_3gpuE2ELNS1_3repE0EEENS1_52radix_sort_onesweep_histogram_config_static_selectorELNS0_4arch9wavefront6targetE1EEEvSI_.uses_flat_scratch, 0
	.set _ZN7rocprim17ROCPRIM_400000_NS6detail17trampoline_kernelINS0_14default_configENS1_35radix_sort_onesweep_config_selectorIfNS0_10empty_typeEEEZNS1_34radix_sort_onesweep_global_offsetsIS3_Lb0EN6thrust23THRUST_200600_302600_NS6detail15normal_iteratorINS9_10device_ptrIfEEEEPS5_jNS0_19identity_decomposerEEE10hipError_tT1_T2_PT3_SK_jT4_jjP12ihipStream_tbEUlT_E_NS1_11comp_targetILNS1_3genE8ELNS1_11target_archE1030ELNS1_3gpuE2ELNS1_3repE0EEENS1_52radix_sort_onesweep_histogram_config_static_selectorELNS0_4arch9wavefront6targetE1EEEvSI_.has_dyn_sized_stack, 0
	.set _ZN7rocprim17ROCPRIM_400000_NS6detail17trampoline_kernelINS0_14default_configENS1_35radix_sort_onesweep_config_selectorIfNS0_10empty_typeEEEZNS1_34radix_sort_onesweep_global_offsetsIS3_Lb0EN6thrust23THRUST_200600_302600_NS6detail15normal_iteratorINS9_10device_ptrIfEEEEPS5_jNS0_19identity_decomposerEEE10hipError_tT1_T2_PT3_SK_jT4_jjP12ihipStream_tbEUlT_E_NS1_11comp_targetILNS1_3genE8ELNS1_11target_archE1030ELNS1_3gpuE2ELNS1_3repE0EEENS1_52radix_sort_onesweep_histogram_config_static_selectorELNS0_4arch9wavefront6targetE1EEEvSI_.has_recursion, 0
	.set _ZN7rocprim17ROCPRIM_400000_NS6detail17trampoline_kernelINS0_14default_configENS1_35radix_sort_onesweep_config_selectorIfNS0_10empty_typeEEEZNS1_34radix_sort_onesweep_global_offsetsIS3_Lb0EN6thrust23THRUST_200600_302600_NS6detail15normal_iteratorINS9_10device_ptrIfEEEEPS5_jNS0_19identity_decomposerEEE10hipError_tT1_T2_PT3_SK_jT4_jjP12ihipStream_tbEUlT_E_NS1_11comp_targetILNS1_3genE8ELNS1_11target_archE1030ELNS1_3gpuE2ELNS1_3repE0EEENS1_52radix_sort_onesweep_histogram_config_static_selectorELNS0_4arch9wavefront6targetE1EEEvSI_.has_indirect_call, 0
	.section	.AMDGPU.csdata,"",@progbits
; Kernel info:
; codeLenInByte = 0
; TotalNumSgprs: 6
; NumVgprs: 0
; NumAgprs: 0
; TotalNumVgprs: 0
; ScratchSize: 0
; MemoryBound: 0
; FloatMode: 240
; IeeeMode: 1
; LDSByteSize: 0 bytes/workgroup (compile time only)
; SGPRBlocks: 0
; VGPRBlocks: 0
; NumSGPRsForWavesPerEU: 6
; NumVGPRsForWavesPerEU: 1
; AccumOffset: 4
; Occupancy: 8
; WaveLimiterHint : 0
; COMPUTE_PGM_RSRC2:SCRATCH_EN: 0
; COMPUTE_PGM_RSRC2:USER_SGPR: 2
; COMPUTE_PGM_RSRC2:TRAP_HANDLER: 0
; COMPUTE_PGM_RSRC2:TGID_X_EN: 1
; COMPUTE_PGM_RSRC2:TGID_Y_EN: 0
; COMPUTE_PGM_RSRC2:TGID_Z_EN: 0
; COMPUTE_PGM_RSRC2:TIDIG_COMP_CNT: 0
; COMPUTE_PGM_RSRC3_GFX90A:ACCUM_OFFSET: 0
; COMPUTE_PGM_RSRC3_GFX90A:TG_SPLIT: 0
	.section	.text._ZN7rocprim17ROCPRIM_400000_NS6detail17trampoline_kernelINS0_14default_configENS1_35radix_sort_onesweep_config_selectorIfNS0_10empty_typeEEEZNS1_34radix_sort_onesweep_global_offsetsIS3_Lb0EN6thrust23THRUST_200600_302600_NS6detail15normal_iteratorINS9_10device_ptrIfEEEEPS5_jNS0_19identity_decomposerEEE10hipError_tT1_T2_PT3_SK_jT4_jjP12ihipStream_tbEUlT_E0_NS1_11comp_targetILNS1_3genE0ELNS1_11target_archE4294967295ELNS1_3gpuE0ELNS1_3repE0EEENS1_52radix_sort_onesweep_histogram_config_static_selectorELNS0_4arch9wavefront6targetE1EEEvSI_,"axG",@progbits,_ZN7rocprim17ROCPRIM_400000_NS6detail17trampoline_kernelINS0_14default_configENS1_35radix_sort_onesweep_config_selectorIfNS0_10empty_typeEEEZNS1_34radix_sort_onesweep_global_offsetsIS3_Lb0EN6thrust23THRUST_200600_302600_NS6detail15normal_iteratorINS9_10device_ptrIfEEEEPS5_jNS0_19identity_decomposerEEE10hipError_tT1_T2_PT3_SK_jT4_jjP12ihipStream_tbEUlT_E0_NS1_11comp_targetILNS1_3genE0ELNS1_11target_archE4294967295ELNS1_3gpuE0ELNS1_3repE0EEENS1_52radix_sort_onesweep_histogram_config_static_selectorELNS0_4arch9wavefront6targetE1EEEvSI_,comdat
	.protected	_ZN7rocprim17ROCPRIM_400000_NS6detail17trampoline_kernelINS0_14default_configENS1_35radix_sort_onesweep_config_selectorIfNS0_10empty_typeEEEZNS1_34radix_sort_onesweep_global_offsetsIS3_Lb0EN6thrust23THRUST_200600_302600_NS6detail15normal_iteratorINS9_10device_ptrIfEEEEPS5_jNS0_19identity_decomposerEEE10hipError_tT1_T2_PT3_SK_jT4_jjP12ihipStream_tbEUlT_E0_NS1_11comp_targetILNS1_3genE0ELNS1_11target_archE4294967295ELNS1_3gpuE0ELNS1_3repE0EEENS1_52radix_sort_onesweep_histogram_config_static_selectorELNS0_4arch9wavefront6targetE1EEEvSI_ ; -- Begin function _ZN7rocprim17ROCPRIM_400000_NS6detail17trampoline_kernelINS0_14default_configENS1_35radix_sort_onesweep_config_selectorIfNS0_10empty_typeEEEZNS1_34radix_sort_onesweep_global_offsetsIS3_Lb0EN6thrust23THRUST_200600_302600_NS6detail15normal_iteratorINS9_10device_ptrIfEEEEPS5_jNS0_19identity_decomposerEEE10hipError_tT1_T2_PT3_SK_jT4_jjP12ihipStream_tbEUlT_E0_NS1_11comp_targetILNS1_3genE0ELNS1_11target_archE4294967295ELNS1_3gpuE0ELNS1_3repE0EEENS1_52radix_sort_onesweep_histogram_config_static_selectorELNS0_4arch9wavefront6targetE1EEEvSI_
	.globl	_ZN7rocprim17ROCPRIM_400000_NS6detail17trampoline_kernelINS0_14default_configENS1_35radix_sort_onesweep_config_selectorIfNS0_10empty_typeEEEZNS1_34radix_sort_onesweep_global_offsetsIS3_Lb0EN6thrust23THRUST_200600_302600_NS6detail15normal_iteratorINS9_10device_ptrIfEEEEPS5_jNS0_19identity_decomposerEEE10hipError_tT1_T2_PT3_SK_jT4_jjP12ihipStream_tbEUlT_E0_NS1_11comp_targetILNS1_3genE0ELNS1_11target_archE4294967295ELNS1_3gpuE0ELNS1_3repE0EEENS1_52radix_sort_onesweep_histogram_config_static_selectorELNS0_4arch9wavefront6targetE1EEEvSI_
	.p2align	8
	.type	_ZN7rocprim17ROCPRIM_400000_NS6detail17trampoline_kernelINS0_14default_configENS1_35radix_sort_onesweep_config_selectorIfNS0_10empty_typeEEEZNS1_34radix_sort_onesweep_global_offsetsIS3_Lb0EN6thrust23THRUST_200600_302600_NS6detail15normal_iteratorINS9_10device_ptrIfEEEEPS5_jNS0_19identity_decomposerEEE10hipError_tT1_T2_PT3_SK_jT4_jjP12ihipStream_tbEUlT_E0_NS1_11comp_targetILNS1_3genE0ELNS1_11target_archE4294967295ELNS1_3gpuE0ELNS1_3repE0EEENS1_52radix_sort_onesweep_histogram_config_static_selectorELNS0_4arch9wavefront6targetE1EEEvSI_,@function
_ZN7rocprim17ROCPRIM_400000_NS6detail17trampoline_kernelINS0_14default_configENS1_35radix_sort_onesweep_config_selectorIfNS0_10empty_typeEEEZNS1_34radix_sort_onesweep_global_offsetsIS3_Lb0EN6thrust23THRUST_200600_302600_NS6detail15normal_iteratorINS9_10device_ptrIfEEEEPS5_jNS0_19identity_decomposerEEE10hipError_tT1_T2_PT3_SK_jT4_jjP12ihipStream_tbEUlT_E0_NS1_11comp_targetILNS1_3genE0ELNS1_11target_archE4294967295ELNS1_3gpuE0ELNS1_3repE0EEENS1_52radix_sort_onesweep_histogram_config_static_selectorELNS0_4arch9wavefront6targetE1EEEvSI_: ; @_ZN7rocprim17ROCPRIM_400000_NS6detail17trampoline_kernelINS0_14default_configENS1_35radix_sort_onesweep_config_selectorIfNS0_10empty_typeEEEZNS1_34radix_sort_onesweep_global_offsetsIS3_Lb0EN6thrust23THRUST_200600_302600_NS6detail15normal_iteratorINS9_10device_ptrIfEEEEPS5_jNS0_19identity_decomposerEEE10hipError_tT1_T2_PT3_SK_jT4_jjP12ihipStream_tbEUlT_E0_NS1_11comp_targetILNS1_3genE0ELNS1_11target_archE4294967295ELNS1_3gpuE0ELNS1_3repE0EEENS1_52radix_sort_onesweep_histogram_config_static_selectorELNS0_4arch9wavefront6targetE1EEEvSI_
; %bb.0:
	.section	.rodata,"a",@progbits
	.p2align	6, 0x0
	.amdhsa_kernel _ZN7rocprim17ROCPRIM_400000_NS6detail17trampoline_kernelINS0_14default_configENS1_35radix_sort_onesweep_config_selectorIfNS0_10empty_typeEEEZNS1_34radix_sort_onesweep_global_offsetsIS3_Lb0EN6thrust23THRUST_200600_302600_NS6detail15normal_iteratorINS9_10device_ptrIfEEEEPS5_jNS0_19identity_decomposerEEE10hipError_tT1_T2_PT3_SK_jT4_jjP12ihipStream_tbEUlT_E0_NS1_11comp_targetILNS1_3genE0ELNS1_11target_archE4294967295ELNS1_3gpuE0ELNS1_3repE0EEENS1_52radix_sort_onesweep_histogram_config_static_selectorELNS0_4arch9wavefront6targetE1EEEvSI_
		.amdhsa_group_segment_fixed_size 0
		.amdhsa_private_segment_fixed_size 0
		.amdhsa_kernarg_size 8
		.amdhsa_user_sgpr_count 2
		.amdhsa_user_sgpr_dispatch_ptr 0
		.amdhsa_user_sgpr_queue_ptr 0
		.amdhsa_user_sgpr_kernarg_segment_ptr 1
		.amdhsa_user_sgpr_dispatch_id 0
		.amdhsa_user_sgpr_kernarg_preload_length 0
		.amdhsa_user_sgpr_kernarg_preload_offset 0
		.amdhsa_user_sgpr_private_segment_size 0
		.amdhsa_uses_dynamic_stack 0
		.amdhsa_enable_private_segment 0
		.amdhsa_system_sgpr_workgroup_id_x 1
		.amdhsa_system_sgpr_workgroup_id_y 0
		.amdhsa_system_sgpr_workgroup_id_z 0
		.amdhsa_system_sgpr_workgroup_info 0
		.amdhsa_system_vgpr_workitem_id 0
		.amdhsa_next_free_vgpr 1
		.amdhsa_next_free_sgpr 0
		.amdhsa_accum_offset 4
		.amdhsa_reserve_vcc 0
		.amdhsa_float_round_mode_32 0
		.amdhsa_float_round_mode_16_64 0
		.amdhsa_float_denorm_mode_32 3
		.amdhsa_float_denorm_mode_16_64 3
		.amdhsa_dx10_clamp 1
		.amdhsa_ieee_mode 1
		.amdhsa_fp16_overflow 0
		.amdhsa_tg_split 0
		.amdhsa_exception_fp_ieee_invalid_op 0
		.amdhsa_exception_fp_denorm_src 0
		.amdhsa_exception_fp_ieee_div_zero 0
		.amdhsa_exception_fp_ieee_overflow 0
		.amdhsa_exception_fp_ieee_underflow 0
		.amdhsa_exception_fp_ieee_inexact 0
		.amdhsa_exception_int_div_zero 0
	.end_amdhsa_kernel
	.section	.text._ZN7rocprim17ROCPRIM_400000_NS6detail17trampoline_kernelINS0_14default_configENS1_35radix_sort_onesweep_config_selectorIfNS0_10empty_typeEEEZNS1_34radix_sort_onesweep_global_offsetsIS3_Lb0EN6thrust23THRUST_200600_302600_NS6detail15normal_iteratorINS9_10device_ptrIfEEEEPS5_jNS0_19identity_decomposerEEE10hipError_tT1_T2_PT3_SK_jT4_jjP12ihipStream_tbEUlT_E0_NS1_11comp_targetILNS1_3genE0ELNS1_11target_archE4294967295ELNS1_3gpuE0ELNS1_3repE0EEENS1_52radix_sort_onesweep_histogram_config_static_selectorELNS0_4arch9wavefront6targetE1EEEvSI_,"axG",@progbits,_ZN7rocprim17ROCPRIM_400000_NS6detail17trampoline_kernelINS0_14default_configENS1_35radix_sort_onesweep_config_selectorIfNS0_10empty_typeEEEZNS1_34radix_sort_onesweep_global_offsetsIS3_Lb0EN6thrust23THRUST_200600_302600_NS6detail15normal_iteratorINS9_10device_ptrIfEEEEPS5_jNS0_19identity_decomposerEEE10hipError_tT1_T2_PT3_SK_jT4_jjP12ihipStream_tbEUlT_E0_NS1_11comp_targetILNS1_3genE0ELNS1_11target_archE4294967295ELNS1_3gpuE0ELNS1_3repE0EEENS1_52radix_sort_onesweep_histogram_config_static_selectorELNS0_4arch9wavefront6targetE1EEEvSI_,comdat
.Lfunc_end541:
	.size	_ZN7rocprim17ROCPRIM_400000_NS6detail17trampoline_kernelINS0_14default_configENS1_35radix_sort_onesweep_config_selectorIfNS0_10empty_typeEEEZNS1_34radix_sort_onesweep_global_offsetsIS3_Lb0EN6thrust23THRUST_200600_302600_NS6detail15normal_iteratorINS9_10device_ptrIfEEEEPS5_jNS0_19identity_decomposerEEE10hipError_tT1_T2_PT3_SK_jT4_jjP12ihipStream_tbEUlT_E0_NS1_11comp_targetILNS1_3genE0ELNS1_11target_archE4294967295ELNS1_3gpuE0ELNS1_3repE0EEENS1_52radix_sort_onesweep_histogram_config_static_selectorELNS0_4arch9wavefront6targetE1EEEvSI_, .Lfunc_end541-_ZN7rocprim17ROCPRIM_400000_NS6detail17trampoline_kernelINS0_14default_configENS1_35radix_sort_onesweep_config_selectorIfNS0_10empty_typeEEEZNS1_34radix_sort_onesweep_global_offsetsIS3_Lb0EN6thrust23THRUST_200600_302600_NS6detail15normal_iteratorINS9_10device_ptrIfEEEEPS5_jNS0_19identity_decomposerEEE10hipError_tT1_T2_PT3_SK_jT4_jjP12ihipStream_tbEUlT_E0_NS1_11comp_targetILNS1_3genE0ELNS1_11target_archE4294967295ELNS1_3gpuE0ELNS1_3repE0EEENS1_52radix_sort_onesweep_histogram_config_static_selectorELNS0_4arch9wavefront6targetE1EEEvSI_
                                        ; -- End function
	.set _ZN7rocprim17ROCPRIM_400000_NS6detail17trampoline_kernelINS0_14default_configENS1_35radix_sort_onesweep_config_selectorIfNS0_10empty_typeEEEZNS1_34radix_sort_onesweep_global_offsetsIS3_Lb0EN6thrust23THRUST_200600_302600_NS6detail15normal_iteratorINS9_10device_ptrIfEEEEPS5_jNS0_19identity_decomposerEEE10hipError_tT1_T2_PT3_SK_jT4_jjP12ihipStream_tbEUlT_E0_NS1_11comp_targetILNS1_3genE0ELNS1_11target_archE4294967295ELNS1_3gpuE0ELNS1_3repE0EEENS1_52radix_sort_onesweep_histogram_config_static_selectorELNS0_4arch9wavefront6targetE1EEEvSI_.num_vgpr, 0
	.set _ZN7rocprim17ROCPRIM_400000_NS6detail17trampoline_kernelINS0_14default_configENS1_35radix_sort_onesweep_config_selectorIfNS0_10empty_typeEEEZNS1_34radix_sort_onesweep_global_offsetsIS3_Lb0EN6thrust23THRUST_200600_302600_NS6detail15normal_iteratorINS9_10device_ptrIfEEEEPS5_jNS0_19identity_decomposerEEE10hipError_tT1_T2_PT3_SK_jT4_jjP12ihipStream_tbEUlT_E0_NS1_11comp_targetILNS1_3genE0ELNS1_11target_archE4294967295ELNS1_3gpuE0ELNS1_3repE0EEENS1_52radix_sort_onesweep_histogram_config_static_selectorELNS0_4arch9wavefront6targetE1EEEvSI_.num_agpr, 0
	.set _ZN7rocprim17ROCPRIM_400000_NS6detail17trampoline_kernelINS0_14default_configENS1_35radix_sort_onesweep_config_selectorIfNS0_10empty_typeEEEZNS1_34radix_sort_onesweep_global_offsetsIS3_Lb0EN6thrust23THRUST_200600_302600_NS6detail15normal_iteratorINS9_10device_ptrIfEEEEPS5_jNS0_19identity_decomposerEEE10hipError_tT1_T2_PT3_SK_jT4_jjP12ihipStream_tbEUlT_E0_NS1_11comp_targetILNS1_3genE0ELNS1_11target_archE4294967295ELNS1_3gpuE0ELNS1_3repE0EEENS1_52radix_sort_onesweep_histogram_config_static_selectorELNS0_4arch9wavefront6targetE1EEEvSI_.numbered_sgpr, 0
	.set _ZN7rocprim17ROCPRIM_400000_NS6detail17trampoline_kernelINS0_14default_configENS1_35radix_sort_onesweep_config_selectorIfNS0_10empty_typeEEEZNS1_34radix_sort_onesweep_global_offsetsIS3_Lb0EN6thrust23THRUST_200600_302600_NS6detail15normal_iteratorINS9_10device_ptrIfEEEEPS5_jNS0_19identity_decomposerEEE10hipError_tT1_T2_PT3_SK_jT4_jjP12ihipStream_tbEUlT_E0_NS1_11comp_targetILNS1_3genE0ELNS1_11target_archE4294967295ELNS1_3gpuE0ELNS1_3repE0EEENS1_52radix_sort_onesweep_histogram_config_static_selectorELNS0_4arch9wavefront6targetE1EEEvSI_.num_named_barrier, 0
	.set _ZN7rocprim17ROCPRIM_400000_NS6detail17trampoline_kernelINS0_14default_configENS1_35radix_sort_onesweep_config_selectorIfNS0_10empty_typeEEEZNS1_34radix_sort_onesweep_global_offsetsIS3_Lb0EN6thrust23THRUST_200600_302600_NS6detail15normal_iteratorINS9_10device_ptrIfEEEEPS5_jNS0_19identity_decomposerEEE10hipError_tT1_T2_PT3_SK_jT4_jjP12ihipStream_tbEUlT_E0_NS1_11comp_targetILNS1_3genE0ELNS1_11target_archE4294967295ELNS1_3gpuE0ELNS1_3repE0EEENS1_52radix_sort_onesweep_histogram_config_static_selectorELNS0_4arch9wavefront6targetE1EEEvSI_.private_seg_size, 0
	.set _ZN7rocprim17ROCPRIM_400000_NS6detail17trampoline_kernelINS0_14default_configENS1_35radix_sort_onesweep_config_selectorIfNS0_10empty_typeEEEZNS1_34radix_sort_onesweep_global_offsetsIS3_Lb0EN6thrust23THRUST_200600_302600_NS6detail15normal_iteratorINS9_10device_ptrIfEEEEPS5_jNS0_19identity_decomposerEEE10hipError_tT1_T2_PT3_SK_jT4_jjP12ihipStream_tbEUlT_E0_NS1_11comp_targetILNS1_3genE0ELNS1_11target_archE4294967295ELNS1_3gpuE0ELNS1_3repE0EEENS1_52radix_sort_onesweep_histogram_config_static_selectorELNS0_4arch9wavefront6targetE1EEEvSI_.uses_vcc, 0
	.set _ZN7rocprim17ROCPRIM_400000_NS6detail17trampoline_kernelINS0_14default_configENS1_35radix_sort_onesweep_config_selectorIfNS0_10empty_typeEEEZNS1_34radix_sort_onesweep_global_offsetsIS3_Lb0EN6thrust23THRUST_200600_302600_NS6detail15normal_iteratorINS9_10device_ptrIfEEEEPS5_jNS0_19identity_decomposerEEE10hipError_tT1_T2_PT3_SK_jT4_jjP12ihipStream_tbEUlT_E0_NS1_11comp_targetILNS1_3genE0ELNS1_11target_archE4294967295ELNS1_3gpuE0ELNS1_3repE0EEENS1_52radix_sort_onesweep_histogram_config_static_selectorELNS0_4arch9wavefront6targetE1EEEvSI_.uses_flat_scratch, 0
	.set _ZN7rocprim17ROCPRIM_400000_NS6detail17trampoline_kernelINS0_14default_configENS1_35radix_sort_onesweep_config_selectorIfNS0_10empty_typeEEEZNS1_34radix_sort_onesweep_global_offsetsIS3_Lb0EN6thrust23THRUST_200600_302600_NS6detail15normal_iteratorINS9_10device_ptrIfEEEEPS5_jNS0_19identity_decomposerEEE10hipError_tT1_T2_PT3_SK_jT4_jjP12ihipStream_tbEUlT_E0_NS1_11comp_targetILNS1_3genE0ELNS1_11target_archE4294967295ELNS1_3gpuE0ELNS1_3repE0EEENS1_52radix_sort_onesweep_histogram_config_static_selectorELNS0_4arch9wavefront6targetE1EEEvSI_.has_dyn_sized_stack, 0
	.set _ZN7rocprim17ROCPRIM_400000_NS6detail17trampoline_kernelINS0_14default_configENS1_35radix_sort_onesweep_config_selectorIfNS0_10empty_typeEEEZNS1_34radix_sort_onesweep_global_offsetsIS3_Lb0EN6thrust23THRUST_200600_302600_NS6detail15normal_iteratorINS9_10device_ptrIfEEEEPS5_jNS0_19identity_decomposerEEE10hipError_tT1_T2_PT3_SK_jT4_jjP12ihipStream_tbEUlT_E0_NS1_11comp_targetILNS1_3genE0ELNS1_11target_archE4294967295ELNS1_3gpuE0ELNS1_3repE0EEENS1_52radix_sort_onesweep_histogram_config_static_selectorELNS0_4arch9wavefront6targetE1EEEvSI_.has_recursion, 0
	.set _ZN7rocprim17ROCPRIM_400000_NS6detail17trampoline_kernelINS0_14default_configENS1_35radix_sort_onesweep_config_selectorIfNS0_10empty_typeEEEZNS1_34radix_sort_onesweep_global_offsetsIS3_Lb0EN6thrust23THRUST_200600_302600_NS6detail15normal_iteratorINS9_10device_ptrIfEEEEPS5_jNS0_19identity_decomposerEEE10hipError_tT1_T2_PT3_SK_jT4_jjP12ihipStream_tbEUlT_E0_NS1_11comp_targetILNS1_3genE0ELNS1_11target_archE4294967295ELNS1_3gpuE0ELNS1_3repE0EEENS1_52radix_sort_onesweep_histogram_config_static_selectorELNS0_4arch9wavefront6targetE1EEEvSI_.has_indirect_call, 0
	.section	.AMDGPU.csdata,"",@progbits
; Kernel info:
; codeLenInByte = 0
; TotalNumSgprs: 6
; NumVgprs: 0
; NumAgprs: 0
; TotalNumVgprs: 0
; ScratchSize: 0
; MemoryBound: 0
; FloatMode: 240
; IeeeMode: 1
; LDSByteSize: 0 bytes/workgroup (compile time only)
; SGPRBlocks: 0
; VGPRBlocks: 0
; NumSGPRsForWavesPerEU: 6
; NumVGPRsForWavesPerEU: 1
; AccumOffset: 4
; Occupancy: 8
; WaveLimiterHint : 0
; COMPUTE_PGM_RSRC2:SCRATCH_EN: 0
; COMPUTE_PGM_RSRC2:USER_SGPR: 2
; COMPUTE_PGM_RSRC2:TRAP_HANDLER: 0
; COMPUTE_PGM_RSRC2:TGID_X_EN: 1
; COMPUTE_PGM_RSRC2:TGID_Y_EN: 0
; COMPUTE_PGM_RSRC2:TGID_Z_EN: 0
; COMPUTE_PGM_RSRC2:TIDIG_COMP_CNT: 0
; COMPUTE_PGM_RSRC3_GFX90A:ACCUM_OFFSET: 0
; COMPUTE_PGM_RSRC3_GFX90A:TG_SPLIT: 0
	.section	.text._ZN7rocprim17ROCPRIM_400000_NS6detail17trampoline_kernelINS0_14default_configENS1_35radix_sort_onesweep_config_selectorIfNS0_10empty_typeEEEZNS1_34radix_sort_onesweep_global_offsetsIS3_Lb0EN6thrust23THRUST_200600_302600_NS6detail15normal_iteratorINS9_10device_ptrIfEEEEPS5_jNS0_19identity_decomposerEEE10hipError_tT1_T2_PT3_SK_jT4_jjP12ihipStream_tbEUlT_E0_NS1_11comp_targetILNS1_3genE6ELNS1_11target_archE950ELNS1_3gpuE13ELNS1_3repE0EEENS1_52radix_sort_onesweep_histogram_config_static_selectorELNS0_4arch9wavefront6targetE1EEEvSI_,"axG",@progbits,_ZN7rocprim17ROCPRIM_400000_NS6detail17trampoline_kernelINS0_14default_configENS1_35radix_sort_onesweep_config_selectorIfNS0_10empty_typeEEEZNS1_34radix_sort_onesweep_global_offsetsIS3_Lb0EN6thrust23THRUST_200600_302600_NS6detail15normal_iteratorINS9_10device_ptrIfEEEEPS5_jNS0_19identity_decomposerEEE10hipError_tT1_T2_PT3_SK_jT4_jjP12ihipStream_tbEUlT_E0_NS1_11comp_targetILNS1_3genE6ELNS1_11target_archE950ELNS1_3gpuE13ELNS1_3repE0EEENS1_52radix_sort_onesweep_histogram_config_static_selectorELNS0_4arch9wavefront6targetE1EEEvSI_,comdat
	.protected	_ZN7rocprim17ROCPRIM_400000_NS6detail17trampoline_kernelINS0_14default_configENS1_35radix_sort_onesweep_config_selectorIfNS0_10empty_typeEEEZNS1_34radix_sort_onesweep_global_offsetsIS3_Lb0EN6thrust23THRUST_200600_302600_NS6detail15normal_iteratorINS9_10device_ptrIfEEEEPS5_jNS0_19identity_decomposerEEE10hipError_tT1_T2_PT3_SK_jT4_jjP12ihipStream_tbEUlT_E0_NS1_11comp_targetILNS1_3genE6ELNS1_11target_archE950ELNS1_3gpuE13ELNS1_3repE0EEENS1_52radix_sort_onesweep_histogram_config_static_selectorELNS0_4arch9wavefront6targetE1EEEvSI_ ; -- Begin function _ZN7rocprim17ROCPRIM_400000_NS6detail17trampoline_kernelINS0_14default_configENS1_35radix_sort_onesweep_config_selectorIfNS0_10empty_typeEEEZNS1_34radix_sort_onesweep_global_offsetsIS3_Lb0EN6thrust23THRUST_200600_302600_NS6detail15normal_iteratorINS9_10device_ptrIfEEEEPS5_jNS0_19identity_decomposerEEE10hipError_tT1_T2_PT3_SK_jT4_jjP12ihipStream_tbEUlT_E0_NS1_11comp_targetILNS1_3genE6ELNS1_11target_archE950ELNS1_3gpuE13ELNS1_3repE0EEENS1_52radix_sort_onesweep_histogram_config_static_selectorELNS0_4arch9wavefront6targetE1EEEvSI_
	.globl	_ZN7rocprim17ROCPRIM_400000_NS6detail17trampoline_kernelINS0_14default_configENS1_35radix_sort_onesweep_config_selectorIfNS0_10empty_typeEEEZNS1_34radix_sort_onesweep_global_offsetsIS3_Lb0EN6thrust23THRUST_200600_302600_NS6detail15normal_iteratorINS9_10device_ptrIfEEEEPS5_jNS0_19identity_decomposerEEE10hipError_tT1_T2_PT3_SK_jT4_jjP12ihipStream_tbEUlT_E0_NS1_11comp_targetILNS1_3genE6ELNS1_11target_archE950ELNS1_3gpuE13ELNS1_3repE0EEENS1_52radix_sort_onesweep_histogram_config_static_selectorELNS0_4arch9wavefront6targetE1EEEvSI_
	.p2align	8
	.type	_ZN7rocprim17ROCPRIM_400000_NS6detail17trampoline_kernelINS0_14default_configENS1_35radix_sort_onesweep_config_selectorIfNS0_10empty_typeEEEZNS1_34radix_sort_onesweep_global_offsetsIS3_Lb0EN6thrust23THRUST_200600_302600_NS6detail15normal_iteratorINS9_10device_ptrIfEEEEPS5_jNS0_19identity_decomposerEEE10hipError_tT1_T2_PT3_SK_jT4_jjP12ihipStream_tbEUlT_E0_NS1_11comp_targetILNS1_3genE6ELNS1_11target_archE950ELNS1_3gpuE13ELNS1_3repE0EEENS1_52radix_sort_onesweep_histogram_config_static_selectorELNS0_4arch9wavefront6targetE1EEEvSI_,@function
_ZN7rocprim17ROCPRIM_400000_NS6detail17trampoline_kernelINS0_14default_configENS1_35radix_sort_onesweep_config_selectorIfNS0_10empty_typeEEEZNS1_34radix_sort_onesweep_global_offsetsIS3_Lb0EN6thrust23THRUST_200600_302600_NS6detail15normal_iteratorINS9_10device_ptrIfEEEEPS5_jNS0_19identity_decomposerEEE10hipError_tT1_T2_PT3_SK_jT4_jjP12ihipStream_tbEUlT_E0_NS1_11comp_targetILNS1_3genE6ELNS1_11target_archE950ELNS1_3gpuE13ELNS1_3repE0EEENS1_52radix_sort_onesweep_histogram_config_static_selectorELNS0_4arch9wavefront6targetE1EEEvSI_: ; @_ZN7rocprim17ROCPRIM_400000_NS6detail17trampoline_kernelINS0_14default_configENS1_35radix_sort_onesweep_config_selectorIfNS0_10empty_typeEEEZNS1_34radix_sort_onesweep_global_offsetsIS3_Lb0EN6thrust23THRUST_200600_302600_NS6detail15normal_iteratorINS9_10device_ptrIfEEEEPS5_jNS0_19identity_decomposerEEE10hipError_tT1_T2_PT3_SK_jT4_jjP12ihipStream_tbEUlT_E0_NS1_11comp_targetILNS1_3genE6ELNS1_11target_archE950ELNS1_3gpuE13ELNS1_3repE0EEENS1_52radix_sort_onesweep_histogram_config_static_selectorELNS0_4arch9wavefront6targetE1EEEvSI_
; %bb.0:
	s_load_dwordx2 s[0:1], s[0:1], 0x0
	s_lshl_b32 s2, s2, 8
	s_mov_b32 s3, 0
	s_lshl_b64 s[2:3], s[2:3], 2
	v_lshlrev_b32_e32 v1, 2, v0
	s_waitcnt lgkmcnt(0)
	s_add_u32 s10, s0, s2
	s_movk_i32 s0, 0x100
	s_addc_u32 s11, s1, s3
	v_cmp_gt_u32_e32 vcc, s0, v0
                                        ; implicit-def: $vgpr3
	s_and_saveexec_b64 s[0:1], vcc
	s_cbranch_execz .LBB542_2
; %bb.1:
	global_load_dword v3, v1, s[10:11]
.LBB542_2:
	s_or_b64 exec, exec, s[0:1]
	v_mbcnt_lo_u32_b32 v2, -1, 0
	v_mbcnt_hi_u32_b32 v2, -1, v2
	v_and_b32_e32 v4, 15, v2
	s_waitcnt vmcnt(0)
	v_mov_b32_dpp v5, v3 row_shr:1 row_mask:0xf bank_mask:0xf
	v_cmp_eq_u32_e64 s[0:1], 0, v4
	v_cmp_lt_u32_e64 s[2:3], 1, v4
	v_cmp_lt_u32_e64 s[4:5], 3, v4
	v_cndmask_b32_e64 v5, v5, 0, s[0:1]
	v_add_u32_e32 v3, v5, v3
	v_cmp_lt_u32_e64 s[6:7], 7, v4
	v_cmp_lt_u32_e64 s[8:9], 31, v2
	v_mov_b32_dpp v5, v3 row_shr:2 row_mask:0xf bank_mask:0xf
	v_cndmask_b32_e64 v5, 0, v5, s[2:3]
	v_add_u32_e32 v3, v3, v5
	s_nop 1
	v_mov_b32_dpp v5, v3 row_shr:4 row_mask:0xf bank_mask:0xf
	v_cndmask_b32_e64 v5, 0, v5, s[4:5]
	v_add_u32_e32 v3, v3, v5
	s_nop 1
	v_mov_b32_dpp v5, v3 row_shr:8 row_mask:0xf bank_mask:0xf
	v_cndmask_b32_e64 v4, 0, v5, s[6:7]
	v_add_u32_e32 v3, v3, v4
	v_bfe_i32 v5, v2, 4, 1
	s_nop 0
	v_mov_b32_dpp v4, v3 row_bcast:15 row_mask:0xf bank_mask:0xf
	v_and_b32_e32 v4, v5, v4
	v_add_u32_e32 v3, v3, v4
	v_and_b32_e32 v5, 63, v0
	s_nop 0
	v_mov_b32_dpp v4, v3 row_bcast:31 row_mask:0xf bank_mask:0xf
	v_cndmask_b32_e64 v4, 0, v4, s[8:9]
	v_add_u32_e32 v3, v3, v4
	v_lshrrev_b32_e32 v4, 6, v0
	v_cmp_eq_u32_e64 s[8:9], 63, v5
	s_and_saveexec_b64 s[12:13], s[8:9]
; %bb.3:
	v_lshlrev_b32_e32 v5, 2, v4
	ds_write_b32 v5, v3
; %bb.4:
	s_or_b64 exec, exec, s[12:13]
	v_cmp_gt_u32_e64 s[8:9], 16, v0
	s_waitcnt lgkmcnt(0)
	s_barrier
	s_and_saveexec_b64 s[12:13], s[8:9]
	s_cbranch_execz .LBB542_6
; %bb.5:
	ds_read_b32 v5, v1
	s_waitcnt lgkmcnt(0)
	s_nop 0
	v_mov_b32_dpp v6, v5 row_shr:1 row_mask:0xf bank_mask:0xf
	v_cndmask_b32_e64 v6, v6, 0, s[0:1]
	v_add_u32_e32 v5, v6, v5
	s_nop 1
	v_mov_b32_dpp v6, v5 row_shr:2 row_mask:0xf bank_mask:0xf
	v_cndmask_b32_e64 v6, 0, v6, s[2:3]
	v_add_u32_e32 v5, v5, v6
	;; [unrolled: 4-line block ×4, first 2 shown]
	ds_write_b32 v1, v5
.LBB542_6:
	s_or_b64 exec, exec, s[12:13]
	v_cmp_lt_u32_e64 s[0:1], 63, v0
	v_mov_b32_e32 v0, 0
	s_waitcnt lgkmcnt(0)
	s_barrier
	s_and_saveexec_b64 s[2:3], s[0:1]
; %bb.7:
	v_lshl_add_u32 v0, v4, 2, -4
	ds_read_b32 v0, v0
; %bb.8:
	s_or_b64 exec, exec, s[2:3]
	v_add_u32_e32 v4, -1, v2
	v_and_b32_e32 v5, 64, v2
	v_cmp_lt_i32_e64 s[0:1], v4, v5
	s_waitcnt lgkmcnt(0)
	v_add_u32_e32 v3, v0, v3
	v_cndmask_b32_e64 v4, v4, v2, s[0:1]
	v_lshlrev_b32_e32 v4, 2, v4
	ds_bpermute_b32 v3, v4, v3
	s_and_saveexec_b64 s[0:1], vcc
	s_cbranch_execz .LBB542_10
; %bb.9:
	v_cmp_eq_u32_e32 vcc, 0, v2
	s_waitcnt lgkmcnt(0)
	s_nop 0
	v_cndmask_b32_e32 v0, v3, v0, vcc
	global_store_dword v1, v0, s[10:11]
.LBB542_10:
	s_endpgm
	.section	.rodata,"a",@progbits
	.p2align	6, 0x0
	.amdhsa_kernel _ZN7rocprim17ROCPRIM_400000_NS6detail17trampoline_kernelINS0_14default_configENS1_35radix_sort_onesweep_config_selectorIfNS0_10empty_typeEEEZNS1_34radix_sort_onesweep_global_offsetsIS3_Lb0EN6thrust23THRUST_200600_302600_NS6detail15normal_iteratorINS9_10device_ptrIfEEEEPS5_jNS0_19identity_decomposerEEE10hipError_tT1_T2_PT3_SK_jT4_jjP12ihipStream_tbEUlT_E0_NS1_11comp_targetILNS1_3genE6ELNS1_11target_archE950ELNS1_3gpuE13ELNS1_3repE0EEENS1_52radix_sort_onesweep_histogram_config_static_selectorELNS0_4arch9wavefront6targetE1EEEvSI_
		.amdhsa_group_segment_fixed_size 64
		.amdhsa_private_segment_fixed_size 0
		.amdhsa_kernarg_size 8
		.amdhsa_user_sgpr_count 2
		.amdhsa_user_sgpr_dispatch_ptr 0
		.amdhsa_user_sgpr_queue_ptr 0
		.amdhsa_user_sgpr_kernarg_segment_ptr 1
		.amdhsa_user_sgpr_dispatch_id 0
		.amdhsa_user_sgpr_kernarg_preload_length 0
		.amdhsa_user_sgpr_kernarg_preload_offset 0
		.amdhsa_user_sgpr_private_segment_size 0
		.amdhsa_uses_dynamic_stack 0
		.amdhsa_enable_private_segment 0
		.amdhsa_system_sgpr_workgroup_id_x 1
		.amdhsa_system_sgpr_workgroup_id_y 0
		.amdhsa_system_sgpr_workgroup_id_z 0
		.amdhsa_system_sgpr_workgroup_info 0
		.amdhsa_system_vgpr_workitem_id 0
		.amdhsa_next_free_vgpr 7
		.amdhsa_next_free_sgpr 14
		.amdhsa_accum_offset 8
		.amdhsa_reserve_vcc 1
		.amdhsa_float_round_mode_32 0
		.amdhsa_float_round_mode_16_64 0
		.amdhsa_float_denorm_mode_32 3
		.amdhsa_float_denorm_mode_16_64 3
		.amdhsa_dx10_clamp 1
		.amdhsa_ieee_mode 1
		.amdhsa_fp16_overflow 0
		.amdhsa_tg_split 0
		.amdhsa_exception_fp_ieee_invalid_op 0
		.amdhsa_exception_fp_denorm_src 0
		.amdhsa_exception_fp_ieee_div_zero 0
		.amdhsa_exception_fp_ieee_overflow 0
		.amdhsa_exception_fp_ieee_underflow 0
		.amdhsa_exception_fp_ieee_inexact 0
		.amdhsa_exception_int_div_zero 0
	.end_amdhsa_kernel
	.section	.text._ZN7rocprim17ROCPRIM_400000_NS6detail17trampoline_kernelINS0_14default_configENS1_35radix_sort_onesweep_config_selectorIfNS0_10empty_typeEEEZNS1_34radix_sort_onesweep_global_offsetsIS3_Lb0EN6thrust23THRUST_200600_302600_NS6detail15normal_iteratorINS9_10device_ptrIfEEEEPS5_jNS0_19identity_decomposerEEE10hipError_tT1_T2_PT3_SK_jT4_jjP12ihipStream_tbEUlT_E0_NS1_11comp_targetILNS1_3genE6ELNS1_11target_archE950ELNS1_3gpuE13ELNS1_3repE0EEENS1_52radix_sort_onesweep_histogram_config_static_selectorELNS0_4arch9wavefront6targetE1EEEvSI_,"axG",@progbits,_ZN7rocprim17ROCPRIM_400000_NS6detail17trampoline_kernelINS0_14default_configENS1_35radix_sort_onesweep_config_selectorIfNS0_10empty_typeEEEZNS1_34radix_sort_onesweep_global_offsetsIS3_Lb0EN6thrust23THRUST_200600_302600_NS6detail15normal_iteratorINS9_10device_ptrIfEEEEPS5_jNS0_19identity_decomposerEEE10hipError_tT1_T2_PT3_SK_jT4_jjP12ihipStream_tbEUlT_E0_NS1_11comp_targetILNS1_3genE6ELNS1_11target_archE950ELNS1_3gpuE13ELNS1_3repE0EEENS1_52radix_sort_onesweep_histogram_config_static_selectorELNS0_4arch9wavefront6targetE1EEEvSI_,comdat
.Lfunc_end542:
	.size	_ZN7rocprim17ROCPRIM_400000_NS6detail17trampoline_kernelINS0_14default_configENS1_35radix_sort_onesweep_config_selectorIfNS0_10empty_typeEEEZNS1_34radix_sort_onesweep_global_offsetsIS3_Lb0EN6thrust23THRUST_200600_302600_NS6detail15normal_iteratorINS9_10device_ptrIfEEEEPS5_jNS0_19identity_decomposerEEE10hipError_tT1_T2_PT3_SK_jT4_jjP12ihipStream_tbEUlT_E0_NS1_11comp_targetILNS1_3genE6ELNS1_11target_archE950ELNS1_3gpuE13ELNS1_3repE0EEENS1_52radix_sort_onesweep_histogram_config_static_selectorELNS0_4arch9wavefront6targetE1EEEvSI_, .Lfunc_end542-_ZN7rocprim17ROCPRIM_400000_NS6detail17trampoline_kernelINS0_14default_configENS1_35radix_sort_onesweep_config_selectorIfNS0_10empty_typeEEEZNS1_34radix_sort_onesweep_global_offsetsIS3_Lb0EN6thrust23THRUST_200600_302600_NS6detail15normal_iteratorINS9_10device_ptrIfEEEEPS5_jNS0_19identity_decomposerEEE10hipError_tT1_T2_PT3_SK_jT4_jjP12ihipStream_tbEUlT_E0_NS1_11comp_targetILNS1_3genE6ELNS1_11target_archE950ELNS1_3gpuE13ELNS1_3repE0EEENS1_52radix_sort_onesweep_histogram_config_static_selectorELNS0_4arch9wavefront6targetE1EEEvSI_
                                        ; -- End function
	.set _ZN7rocprim17ROCPRIM_400000_NS6detail17trampoline_kernelINS0_14default_configENS1_35radix_sort_onesweep_config_selectorIfNS0_10empty_typeEEEZNS1_34radix_sort_onesweep_global_offsetsIS3_Lb0EN6thrust23THRUST_200600_302600_NS6detail15normal_iteratorINS9_10device_ptrIfEEEEPS5_jNS0_19identity_decomposerEEE10hipError_tT1_T2_PT3_SK_jT4_jjP12ihipStream_tbEUlT_E0_NS1_11comp_targetILNS1_3genE6ELNS1_11target_archE950ELNS1_3gpuE13ELNS1_3repE0EEENS1_52radix_sort_onesweep_histogram_config_static_selectorELNS0_4arch9wavefront6targetE1EEEvSI_.num_vgpr, 7
	.set _ZN7rocprim17ROCPRIM_400000_NS6detail17trampoline_kernelINS0_14default_configENS1_35radix_sort_onesweep_config_selectorIfNS0_10empty_typeEEEZNS1_34radix_sort_onesweep_global_offsetsIS3_Lb0EN6thrust23THRUST_200600_302600_NS6detail15normal_iteratorINS9_10device_ptrIfEEEEPS5_jNS0_19identity_decomposerEEE10hipError_tT1_T2_PT3_SK_jT4_jjP12ihipStream_tbEUlT_E0_NS1_11comp_targetILNS1_3genE6ELNS1_11target_archE950ELNS1_3gpuE13ELNS1_3repE0EEENS1_52radix_sort_onesweep_histogram_config_static_selectorELNS0_4arch9wavefront6targetE1EEEvSI_.num_agpr, 0
	.set _ZN7rocprim17ROCPRIM_400000_NS6detail17trampoline_kernelINS0_14default_configENS1_35radix_sort_onesweep_config_selectorIfNS0_10empty_typeEEEZNS1_34radix_sort_onesweep_global_offsetsIS3_Lb0EN6thrust23THRUST_200600_302600_NS6detail15normal_iteratorINS9_10device_ptrIfEEEEPS5_jNS0_19identity_decomposerEEE10hipError_tT1_T2_PT3_SK_jT4_jjP12ihipStream_tbEUlT_E0_NS1_11comp_targetILNS1_3genE6ELNS1_11target_archE950ELNS1_3gpuE13ELNS1_3repE0EEENS1_52radix_sort_onesweep_histogram_config_static_selectorELNS0_4arch9wavefront6targetE1EEEvSI_.numbered_sgpr, 14
	.set _ZN7rocprim17ROCPRIM_400000_NS6detail17trampoline_kernelINS0_14default_configENS1_35radix_sort_onesweep_config_selectorIfNS0_10empty_typeEEEZNS1_34radix_sort_onesweep_global_offsetsIS3_Lb0EN6thrust23THRUST_200600_302600_NS6detail15normal_iteratorINS9_10device_ptrIfEEEEPS5_jNS0_19identity_decomposerEEE10hipError_tT1_T2_PT3_SK_jT4_jjP12ihipStream_tbEUlT_E0_NS1_11comp_targetILNS1_3genE6ELNS1_11target_archE950ELNS1_3gpuE13ELNS1_3repE0EEENS1_52radix_sort_onesweep_histogram_config_static_selectorELNS0_4arch9wavefront6targetE1EEEvSI_.num_named_barrier, 0
	.set _ZN7rocprim17ROCPRIM_400000_NS6detail17trampoline_kernelINS0_14default_configENS1_35radix_sort_onesweep_config_selectorIfNS0_10empty_typeEEEZNS1_34radix_sort_onesweep_global_offsetsIS3_Lb0EN6thrust23THRUST_200600_302600_NS6detail15normal_iteratorINS9_10device_ptrIfEEEEPS5_jNS0_19identity_decomposerEEE10hipError_tT1_T2_PT3_SK_jT4_jjP12ihipStream_tbEUlT_E0_NS1_11comp_targetILNS1_3genE6ELNS1_11target_archE950ELNS1_3gpuE13ELNS1_3repE0EEENS1_52radix_sort_onesweep_histogram_config_static_selectorELNS0_4arch9wavefront6targetE1EEEvSI_.private_seg_size, 0
	.set _ZN7rocprim17ROCPRIM_400000_NS6detail17trampoline_kernelINS0_14default_configENS1_35radix_sort_onesweep_config_selectorIfNS0_10empty_typeEEEZNS1_34radix_sort_onesweep_global_offsetsIS3_Lb0EN6thrust23THRUST_200600_302600_NS6detail15normal_iteratorINS9_10device_ptrIfEEEEPS5_jNS0_19identity_decomposerEEE10hipError_tT1_T2_PT3_SK_jT4_jjP12ihipStream_tbEUlT_E0_NS1_11comp_targetILNS1_3genE6ELNS1_11target_archE950ELNS1_3gpuE13ELNS1_3repE0EEENS1_52radix_sort_onesweep_histogram_config_static_selectorELNS0_4arch9wavefront6targetE1EEEvSI_.uses_vcc, 1
	.set _ZN7rocprim17ROCPRIM_400000_NS6detail17trampoline_kernelINS0_14default_configENS1_35radix_sort_onesweep_config_selectorIfNS0_10empty_typeEEEZNS1_34radix_sort_onesweep_global_offsetsIS3_Lb0EN6thrust23THRUST_200600_302600_NS6detail15normal_iteratorINS9_10device_ptrIfEEEEPS5_jNS0_19identity_decomposerEEE10hipError_tT1_T2_PT3_SK_jT4_jjP12ihipStream_tbEUlT_E0_NS1_11comp_targetILNS1_3genE6ELNS1_11target_archE950ELNS1_3gpuE13ELNS1_3repE0EEENS1_52radix_sort_onesweep_histogram_config_static_selectorELNS0_4arch9wavefront6targetE1EEEvSI_.uses_flat_scratch, 0
	.set _ZN7rocprim17ROCPRIM_400000_NS6detail17trampoline_kernelINS0_14default_configENS1_35radix_sort_onesweep_config_selectorIfNS0_10empty_typeEEEZNS1_34radix_sort_onesweep_global_offsetsIS3_Lb0EN6thrust23THRUST_200600_302600_NS6detail15normal_iteratorINS9_10device_ptrIfEEEEPS5_jNS0_19identity_decomposerEEE10hipError_tT1_T2_PT3_SK_jT4_jjP12ihipStream_tbEUlT_E0_NS1_11comp_targetILNS1_3genE6ELNS1_11target_archE950ELNS1_3gpuE13ELNS1_3repE0EEENS1_52radix_sort_onesweep_histogram_config_static_selectorELNS0_4arch9wavefront6targetE1EEEvSI_.has_dyn_sized_stack, 0
	.set _ZN7rocprim17ROCPRIM_400000_NS6detail17trampoline_kernelINS0_14default_configENS1_35radix_sort_onesweep_config_selectorIfNS0_10empty_typeEEEZNS1_34radix_sort_onesweep_global_offsetsIS3_Lb0EN6thrust23THRUST_200600_302600_NS6detail15normal_iteratorINS9_10device_ptrIfEEEEPS5_jNS0_19identity_decomposerEEE10hipError_tT1_T2_PT3_SK_jT4_jjP12ihipStream_tbEUlT_E0_NS1_11comp_targetILNS1_3genE6ELNS1_11target_archE950ELNS1_3gpuE13ELNS1_3repE0EEENS1_52radix_sort_onesweep_histogram_config_static_selectorELNS0_4arch9wavefront6targetE1EEEvSI_.has_recursion, 0
	.set _ZN7rocprim17ROCPRIM_400000_NS6detail17trampoline_kernelINS0_14default_configENS1_35radix_sort_onesweep_config_selectorIfNS0_10empty_typeEEEZNS1_34radix_sort_onesweep_global_offsetsIS3_Lb0EN6thrust23THRUST_200600_302600_NS6detail15normal_iteratorINS9_10device_ptrIfEEEEPS5_jNS0_19identity_decomposerEEE10hipError_tT1_T2_PT3_SK_jT4_jjP12ihipStream_tbEUlT_E0_NS1_11comp_targetILNS1_3genE6ELNS1_11target_archE950ELNS1_3gpuE13ELNS1_3repE0EEENS1_52radix_sort_onesweep_histogram_config_static_selectorELNS0_4arch9wavefront6targetE1EEEvSI_.has_indirect_call, 0
	.section	.AMDGPU.csdata,"",@progbits
; Kernel info:
; codeLenInByte = 572
; TotalNumSgprs: 20
; NumVgprs: 7
; NumAgprs: 0
; TotalNumVgprs: 7
; ScratchSize: 0
; MemoryBound: 0
; FloatMode: 240
; IeeeMode: 1
; LDSByteSize: 64 bytes/workgroup (compile time only)
; SGPRBlocks: 2
; VGPRBlocks: 0
; NumSGPRsForWavesPerEU: 20
; NumVGPRsForWavesPerEU: 7
; AccumOffset: 8
; Occupancy: 8
; WaveLimiterHint : 0
; COMPUTE_PGM_RSRC2:SCRATCH_EN: 0
; COMPUTE_PGM_RSRC2:USER_SGPR: 2
; COMPUTE_PGM_RSRC2:TRAP_HANDLER: 0
; COMPUTE_PGM_RSRC2:TGID_X_EN: 1
; COMPUTE_PGM_RSRC2:TGID_Y_EN: 0
; COMPUTE_PGM_RSRC2:TGID_Z_EN: 0
; COMPUTE_PGM_RSRC2:TIDIG_COMP_CNT: 0
; COMPUTE_PGM_RSRC3_GFX90A:ACCUM_OFFSET: 1
; COMPUTE_PGM_RSRC3_GFX90A:TG_SPLIT: 0
	.section	.text._ZN7rocprim17ROCPRIM_400000_NS6detail17trampoline_kernelINS0_14default_configENS1_35radix_sort_onesweep_config_selectorIfNS0_10empty_typeEEEZNS1_34radix_sort_onesweep_global_offsetsIS3_Lb0EN6thrust23THRUST_200600_302600_NS6detail15normal_iteratorINS9_10device_ptrIfEEEEPS5_jNS0_19identity_decomposerEEE10hipError_tT1_T2_PT3_SK_jT4_jjP12ihipStream_tbEUlT_E0_NS1_11comp_targetILNS1_3genE5ELNS1_11target_archE942ELNS1_3gpuE9ELNS1_3repE0EEENS1_52radix_sort_onesweep_histogram_config_static_selectorELNS0_4arch9wavefront6targetE1EEEvSI_,"axG",@progbits,_ZN7rocprim17ROCPRIM_400000_NS6detail17trampoline_kernelINS0_14default_configENS1_35radix_sort_onesweep_config_selectorIfNS0_10empty_typeEEEZNS1_34radix_sort_onesweep_global_offsetsIS3_Lb0EN6thrust23THRUST_200600_302600_NS6detail15normal_iteratorINS9_10device_ptrIfEEEEPS5_jNS0_19identity_decomposerEEE10hipError_tT1_T2_PT3_SK_jT4_jjP12ihipStream_tbEUlT_E0_NS1_11comp_targetILNS1_3genE5ELNS1_11target_archE942ELNS1_3gpuE9ELNS1_3repE0EEENS1_52radix_sort_onesweep_histogram_config_static_selectorELNS0_4arch9wavefront6targetE1EEEvSI_,comdat
	.protected	_ZN7rocprim17ROCPRIM_400000_NS6detail17trampoline_kernelINS0_14default_configENS1_35radix_sort_onesweep_config_selectorIfNS0_10empty_typeEEEZNS1_34radix_sort_onesweep_global_offsetsIS3_Lb0EN6thrust23THRUST_200600_302600_NS6detail15normal_iteratorINS9_10device_ptrIfEEEEPS5_jNS0_19identity_decomposerEEE10hipError_tT1_T2_PT3_SK_jT4_jjP12ihipStream_tbEUlT_E0_NS1_11comp_targetILNS1_3genE5ELNS1_11target_archE942ELNS1_3gpuE9ELNS1_3repE0EEENS1_52radix_sort_onesweep_histogram_config_static_selectorELNS0_4arch9wavefront6targetE1EEEvSI_ ; -- Begin function _ZN7rocprim17ROCPRIM_400000_NS6detail17trampoline_kernelINS0_14default_configENS1_35radix_sort_onesweep_config_selectorIfNS0_10empty_typeEEEZNS1_34radix_sort_onesweep_global_offsetsIS3_Lb0EN6thrust23THRUST_200600_302600_NS6detail15normal_iteratorINS9_10device_ptrIfEEEEPS5_jNS0_19identity_decomposerEEE10hipError_tT1_T2_PT3_SK_jT4_jjP12ihipStream_tbEUlT_E0_NS1_11comp_targetILNS1_3genE5ELNS1_11target_archE942ELNS1_3gpuE9ELNS1_3repE0EEENS1_52radix_sort_onesweep_histogram_config_static_selectorELNS0_4arch9wavefront6targetE1EEEvSI_
	.globl	_ZN7rocprim17ROCPRIM_400000_NS6detail17trampoline_kernelINS0_14default_configENS1_35radix_sort_onesweep_config_selectorIfNS0_10empty_typeEEEZNS1_34radix_sort_onesweep_global_offsetsIS3_Lb0EN6thrust23THRUST_200600_302600_NS6detail15normal_iteratorINS9_10device_ptrIfEEEEPS5_jNS0_19identity_decomposerEEE10hipError_tT1_T2_PT3_SK_jT4_jjP12ihipStream_tbEUlT_E0_NS1_11comp_targetILNS1_3genE5ELNS1_11target_archE942ELNS1_3gpuE9ELNS1_3repE0EEENS1_52radix_sort_onesweep_histogram_config_static_selectorELNS0_4arch9wavefront6targetE1EEEvSI_
	.p2align	8
	.type	_ZN7rocprim17ROCPRIM_400000_NS6detail17trampoline_kernelINS0_14default_configENS1_35radix_sort_onesweep_config_selectorIfNS0_10empty_typeEEEZNS1_34radix_sort_onesweep_global_offsetsIS3_Lb0EN6thrust23THRUST_200600_302600_NS6detail15normal_iteratorINS9_10device_ptrIfEEEEPS5_jNS0_19identity_decomposerEEE10hipError_tT1_T2_PT3_SK_jT4_jjP12ihipStream_tbEUlT_E0_NS1_11comp_targetILNS1_3genE5ELNS1_11target_archE942ELNS1_3gpuE9ELNS1_3repE0EEENS1_52radix_sort_onesweep_histogram_config_static_selectorELNS0_4arch9wavefront6targetE1EEEvSI_,@function
_ZN7rocprim17ROCPRIM_400000_NS6detail17trampoline_kernelINS0_14default_configENS1_35radix_sort_onesweep_config_selectorIfNS0_10empty_typeEEEZNS1_34radix_sort_onesweep_global_offsetsIS3_Lb0EN6thrust23THRUST_200600_302600_NS6detail15normal_iteratorINS9_10device_ptrIfEEEEPS5_jNS0_19identity_decomposerEEE10hipError_tT1_T2_PT3_SK_jT4_jjP12ihipStream_tbEUlT_E0_NS1_11comp_targetILNS1_3genE5ELNS1_11target_archE942ELNS1_3gpuE9ELNS1_3repE0EEENS1_52radix_sort_onesweep_histogram_config_static_selectorELNS0_4arch9wavefront6targetE1EEEvSI_: ; @_ZN7rocprim17ROCPRIM_400000_NS6detail17trampoline_kernelINS0_14default_configENS1_35radix_sort_onesweep_config_selectorIfNS0_10empty_typeEEEZNS1_34radix_sort_onesweep_global_offsetsIS3_Lb0EN6thrust23THRUST_200600_302600_NS6detail15normal_iteratorINS9_10device_ptrIfEEEEPS5_jNS0_19identity_decomposerEEE10hipError_tT1_T2_PT3_SK_jT4_jjP12ihipStream_tbEUlT_E0_NS1_11comp_targetILNS1_3genE5ELNS1_11target_archE942ELNS1_3gpuE9ELNS1_3repE0EEENS1_52radix_sort_onesweep_histogram_config_static_selectorELNS0_4arch9wavefront6targetE1EEEvSI_
; %bb.0:
	.section	.rodata,"a",@progbits
	.p2align	6, 0x0
	.amdhsa_kernel _ZN7rocprim17ROCPRIM_400000_NS6detail17trampoline_kernelINS0_14default_configENS1_35radix_sort_onesweep_config_selectorIfNS0_10empty_typeEEEZNS1_34radix_sort_onesweep_global_offsetsIS3_Lb0EN6thrust23THRUST_200600_302600_NS6detail15normal_iteratorINS9_10device_ptrIfEEEEPS5_jNS0_19identity_decomposerEEE10hipError_tT1_T2_PT3_SK_jT4_jjP12ihipStream_tbEUlT_E0_NS1_11comp_targetILNS1_3genE5ELNS1_11target_archE942ELNS1_3gpuE9ELNS1_3repE0EEENS1_52radix_sort_onesweep_histogram_config_static_selectorELNS0_4arch9wavefront6targetE1EEEvSI_
		.amdhsa_group_segment_fixed_size 0
		.amdhsa_private_segment_fixed_size 0
		.amdhsa_kernarg_size 8
		.amdhsa_user_sgpr_count 2
		.amdhsa_user_sgpr_dispatch_ptr 0
		.amdhsa_user_sgpr_queue_ptr 0
		.amdhsa_user_sgpr_kernarg_segment_ptr 1
		.amdhsa_user_sgpr_dispatch_id 0
		.amdhsa_user_sgpr_kernarg_preload_length 0
		.amdhsa_user_sgpr_kernarg_preload_offset 0
		.amdhsa_user_sgpr_private_segment_size 0
		.amdhsa_uses_dynamic_stack 0
		.amdhsa_enable_private_segment 0
		.amdhsa_system_sgpr_workgroup_id_x 1
		.amdhsa_system_sgpr_workgroup_id_y 0
		.amdhsa_system_sgpr_workgroup_id_z 0
		.amdhsa_system_sgpr_workgroup_info 0
		.amdhsa_system_vgpr_workitem_id 0
		.amdhsa_next_free_vgpr 1
		.amdhsa_next_free_sgpr 0
		.amdhsa_accum_offset 4
		.amdhsa_reserve_vcc 0
		.amdhsa_float_round_mode_32 0
		.amdhsa_float_round_mode_16_64 0
		.amdhsa_float_denorm_mode_32 3
		.amdhsa_float_denorm_mode_16_64 3
		.amdhsa_dx10_clamp 1
		.amdhsa_ieee_mode 1
		.amdhsa_fp16_overflow 0
		.amdhsa_tg_split 0
		.amdhsa_exception_fp_ieee_invalid_op 0
		.amdhsa_exception_fp_denorm_src 0
		.amdhsa_exception_fp_ieee_div_zero 0
		.amdhsa_exception_fp_ieee_overflow 0
		.amdhsa_exception_fp_ieee_underflow 0
		.amdhsa_exception_fp_ieee_inexact 0
		.amdhsa_exception_int_div_zero 0
	.end_amdhsa_kernel
	.section	.text._ZN7rocprim17ROCPRIM_400000_NS6detail17trampoline_kernelINS0_14default_configENS1_35radix_sort_onesweep_config_selectorIfNS0_10empty_typeEEEZNS1_34radix_sort_onesweep_global_offsetsIS3_Lb0EN6thrust23THRUST_200600_302600_NS6detail15normal_iteratorINS9_10device_ptrIfEEEEPS5_jNS0_19identity_decomposerEEE10hipError_tT1_T2_PT3_SK_jT4_jjP12ihipStream_tbEUlT_E0_NS1_11comp_targetILNS1_3genE5ELNS1_11target_archE942ELNS1_3gpuE9ELNS1_3repE0EEENS1_52radix_sort_onesweep_histogram_config_static_selectorELNS0_4arch9wavefront6targetE1EEEvSI_,"axG",@progbits,_ZN7rocprim17ROCPRIM_400000_NS6detail17trampoline_kernelINS0_14default_configENS1_35radix_sort_onesweep_config_selectorIfNS0_10empty_typeEEEZNS1_34radix_sort_onesweep_global_offsetsIS3_Lb0EN6thrust23THRUST_200600_302600_NS6detail15normal_iteratorINS9_10device_ptrIfEEEEPS5_jNS0_19identity_decomposerEEE10hipError_tT1_T2_PT3_SK_jT4_jjP12ihipStream_tbEUlT_E0_NS1_11comp_targetILNS1_3genE5ELNS1_11target_archE942ELNS1_3gpuE9ELNS1_3repE0EEENS1_52radix_sort_onesweep_histogram_config_static_selectorELNS0_4arch9wavefront6targetE1EEEvSI_,comdat
.Lfunc_end543:
	.size	_ZN7rocprim17ROCPRIM_400000_NS6detail17trampoline_kernelINS0_14default_configENS1_35radix_sort_onesweep_config_selectorIfNS0_10empty_typeEEEZNS1_34radix_sort_onesweep_global_offsetsIS3_Lb0EN6thrust23THRUST_200600_302600_NS6detail15normal_iteratorINS9_10device_ptrIfEEEEPS5_jNS0_19identity_decomposerEEE10hipError_tT1_T2_PT3_SK_jT4_jjP12ihipStream_tbEUlT_E0_NS1_11comp_targetILNS1_3genE5ELNS1_11target_archE942ELNS1_3gpuE9ELNS1_3repE0EEENS1_52radix_sort_onesweep_histogram_config_static_selectorELNS0_4arch9wavefront6targetE1EEEvSI_, .Lfunc_end543-_ZN7rocprim17ROCPRIM_400000_NS6detail17trampoline_kernelINS0_14default_configENS1_35radix_sort_onesweep_config_selectorIfNS0_10empty_typeEEEZNS1_34radix_sort_onesweep_global_offsetsIS3_Lb0EN6thrust23THRUST_200600_302600_NS6detail15normal_iteratorINS9_10device_ptrIfEEEEPS5_jNS0_19identity_decomposerEEE10hipError_tT1_T2_PT3_SK_jT4_jjP12ihipStream_tbEUlT_E0_NS1_11comp_targetILNS1_3genE5ELNS1_11target_archE942ELNS1_3gpuE9ELNS1_3repE0EEENS1_52radix_sort_onesweep_histogram_config_static_selectorELNS0_4arch9wavefront6targetE1EEEvSI_
                                        ; -- End function
	.set _ZN7rocprim17ROCPRIM_400000_NS6detail17trampoline_kernelINS0_14default_configENS1_35radix_sort_onesweep_config_selectorIfNS0_10empty_typeEEEZNS1_34radix_sort_onesweep_global_offsetsIS3_Lb0EN6thrust23THRUST_200600_302600_NS6detail15normal_iteratorINS9_10device_ptrIfEEEEPS5_jNS0_19identity_decomposerEEE10hipError_tT1_T2_PT3_SK_jT4_jjP12ihipStream_tbEUlT_E0_NS1_11comp_targetILNS1_3genE5ELNS1_11target_archE942ELNS1_3gpuE9ELNS1_3repE0EEENS1_52radix_sort_onesweep_histogram_config_static_selectorELNS0_4arch9wavefront6targetE1EEEvSI_.num_vgpr, 0
	.set _ZN7rocprim17ROCPRIM_400000_NS6detail17trampoline_kernelINS0_14default_configENS1_35radix_sort_onesweep_config_selectorIfNS0_10empty_typeEEEZNS1_34radix_sort_onesweep_global_offsetsIS3_Lb0EN6thrust23THRUST_200600_302600_NS6detail15normal_iteratorINS9_10device_ptrIfEEEEPS5_jNS0_19identity_decomposerEEE10hipError_tT1_T2_PT3_SK_jT4_jjP12ihipStream_tbEUlT_E0_NS1_11comp_targetILNS1_3genE5ELNS1_11target_archE942ELNS1_3gpuE9ELNS1_3repE0EEENS1_52radix_sort_onesweep_histogram_config_static_selectorELNS0_4arch9wavefront6targetE1EEEvSI_.num_agpr, 0
	.set _ZN7rocprim17ROCPRIM_400000_NS6detail17trampoline_kernelINS0_14default_configENS1_35radix_sort_onesweep_config_selectorIfNS0_10empty_typeEEEZNS1_34radix_sort_onesweep_global_offsetsIS3_Lb0EN6thrust23THRUST_200600_302600_NS6detail15normal_iteratorINS9_10device_ptrIfEEEEPS5_jNS0_19identity_decomposerEEE10hipError_tT1_T2_PT3_SK_jT4_jjP12ihipStream_tbEUlT_E0_NS1_11comp_targetILNS1_3genE5ELNS1_11target_archE942ELNS1_3gpuE9ELNS1_3repE0EEENS1_52radix_sort_onesweep_histogram_config_static_selectorELNS0_4arch9wavefront6targetE1EEEvSI_.numbered_sgpr, 0
	.set _ZN7rocprim17ROCPRIM_400000_NS6detail17trampoline_kernelINS0_14default_configENS1_35radix_sort_onesweep_config_selectorIfNS0_10empty_typeEEEZNS1_34radix_sort_onesweep_global_offsetsIS3_Lb0EN6thrust23THRUST_200600_302600_NS6detail15normal_iteratorINS9_10device_ptrIfEEEEPS5_jNS0_19identity_decomposerEEE10hipError_tT1_T2_PT3_SK_jT4_jjP12ihipStream_tbEUlT_E0_NS1_11comp_targetILNS1_3genE5ELNS1_11target_archE942ELNS1_3gpuE9ELNS1_3repE0EEENS1_52radix_sort_onesweep_histogram_config_static_selectorELNS0_4arch9wavefront6targetE1EEEvSI_.num_named_barrier, 0
	.set _ZN7rocprim17ROCPRIM_400000_NS6detail17trampoline_kernelINS0_14default_configENS1_35radix_sort_onesweep_config_selectorIfNS0_10empty_typeEEEZNS1_34radix_sort_onesweep_global_offsetsIS3_Lb0EN6thrust23THRUST_200600_302600_NS6detail15normal_iteratorINS9_10device_ptrIfEEEEPS5_jNS0_19identity_decomposerEEE10hipError_tT1_T2_PT3_SK_jT4_jjP12ihipStream_tbEUlT_E0_NS1_11comp_targetILNS1_3genE5ELNS1_11target_archE942ELNS1_3gpuE9ELNS1_3repE0EEENS1_52radix_sort_onesweep_histogram_config_static_selectorELNS0_4arch9wavefront6targetE1EEEvSI_.private_seg_size, 0
	.set _ZN7rocprim17ROCPRIM_400000_NS6detail17trampoline_kernelINS0_14default_configENS1_35radix_sort_onesweep_config_selectorIfNS0_10empty_typeEEEZNS1_34radix_sort_onesweep_global_offsetsIS3_Lb0EN6thrust23THRUST_200600_302600_NS6detail15normal_iteratorINS9_10device_ptrIfEEEEPS5_jNS0_19identity_decomposerEEE10hipError_tT1_T2_PT3_SK_jT4_jjP12ihipStream_tbEUlT_E0_NS1_11comp_targetILNS1_3genE5ELNS1_11target_archE942ELNS1_3gpuE9ELNS1_3repE0EEENS1_52radix_sort_onesweep_histogram_config_static_selectorELNS0_4arch9wavefront6targetE1EEEvSI_.uses_vcc, 0
	.set _ZN7rocprim17ROCPRIM_400000_NS6detail17trampoline_kernelINS0_14default_configENS1_35radix_sort_onesweep_config_selectorIfNS0_10empty_typeEEEZNS1_34radix_sort_onesweep_global_offsetsIS3_Lb0EN6thrust23THRUST_200600_302600_NS6detail15normal_iteratorINS9_10device_ptrIfEEEEPS5_jNS0_19identity_decomposerEEE10hipError_tT1_T2_PT3_SK_jT4_jjP12ihipStream_tbEUlT_E0_NS1_11comp_targetILNS1_3genE5ELNS1_11target_archE942ELNS1_3gpuE9ELNS1_3repE0EEENS1_52radix_sort_onesweep_histogram_config_static_selectorELNS0_4arch9wavefront6targetE1EEEvSI_.uses_flat_scratch, 0
	.set _ZN7rocprim17ROCPRIM_400000_NS6detail17trampoline_kernelINS0_14default_configENS1_35radix_sort_onesweep_config_selectorIfNS0_10empty_typeEEEZNS1_34radix_sort_onesweep_global_offsetsIS3_Lb0EN6thrust23THRUST_200600_302600_NS6detail15normal_iteratorINS9_10device_ptrIfEEEEPS5_jNS0_19identity_decomposerEEE10hipError_tT1_T2_PT3_SK_jT4_jjP12ihipStream_tbEUlT_E0_NS1_11comp_targetILNS1_3genE5ELNS1_11target_archE942ELNS1_3gpuE9ELNS1_3repE0EEENS1_52radix_sort_onesweep_histogram_config_static_selectorELNS0_4arch9wavefront6targetE1EEEvSI_.has_dyn_sized_stack, 0
	.set _ZN7rocprim17ROCPRIM_400000_NS6detail17trampoline_kernelINS0_14default_configENS1_35radix_sort_onesweep_config_selectorIfNS0_10empty_typeEEEZNS1_34radix_sort_onesweep_global_offsetsIS3_Lb0EN6thrust23THRUST_200600_302600_NS6detail15normal_iteratorINS9_10device_ptrIfEEEEPS5_jNS0_19identity_decomposerEEE10hipError_tT1_T2_PT3_SK_jT4_jjP12ihipStream_tbEUlT_E0_NS1_11comp_targetILNS1_3genE5ELNS1_11target_archE942ELNS1_3gpuE9ELNS1_3repE0EEENS1_52radix_sort_onesweep_histogram_config_static_selectorELNS0_4arch9wavefront6targetE1EEEvSI_.has_recursion, 0
	.set _ZN7rocprim17ROCPRIM_400000_NS6detail17trampoline_kernelINS0_14default_configENS1_35radix_sort_onesweep_config_selectorIfNS0_10empty_typeEEEZNS1_34radix_sort_onesweep_global_offsetsIS3_Lb0EN6thrust23THRUST_200600_302600_NS6detail15normal_iteratorINS9_10device_ptrIfEEEEPS5_jNS0_19identity_decomposerEEE10hipError_tT1_T2_PT3_SK_jT4_jjP12ihipStream_tbEUlT_E0_NS1_11comp_targetILNS1_3genE5ELNS1_11target_archE942ELNS1_3gpuE9ELNS1_3repE0EEENS1_52radix_sort_onesweep_histogram_config_static_selectorELNS0_4arch9wavefront6targetE1EEEvSI_.has_indirect_call, 0
	.section	.AMDGPU.csdata,"",@progbits
; Kernel info:
; codeLenInByte = 0
; TotalNumSgprs: 6
; NumVgprs: 0
; NumAgprs: 0
; TotalNumVgprs: 0
; ScratchSize: 0
; MemoryBound: 0
; FloatMode: 240
; IeeeMode: 1
; LDSByteSize: 0 bytes/workgroup (compile time only)
; SGPRBlocks: 0
; VGPRBlocks: 0
; NumSGPRsForWavesPerEU: 6
; NumVGPRsForWavesPerEU: 1
; AccumOffset: 4
; Occupancy: 8
; WaveLimiterHint : 0
; COMPUTE_PGM_RSRC2:SCRATCH_EN: 0
; COMPUTE_PGM_RSRC2:USER_SGPR: 2
; COMPUTE_PGM_RSRC2:TRAP_HANDLER: 0
; COMPUTE_PGM_RSRC2:TGID_X_EN: 1
; COMPUTE_PGM_RSRC2:TGID_Y_EN: 0
; COMPUTE_PGM_RSRC2:TGID_Z_EN: 0
; COMPUTE_PGM_RSRC2:TIDIG_COMP_CNT: 0
; COMPUTE_PGM_RSRC3_GFX90A:ACCUM_OFFSET: 0
; COMPUTE_PGM_RSRC3_GFX90A:TG_SPLIT: 0
	.section	.text._ZN7rocprim17ROCPRIM_400000_NS6detail17trampoline_kernelINS0_14default_configENS1_35radix_sort_onesweep_config_selectorIfNS0_10empty_typeEEEZNS1_34radix_sort_onesweep_global_offsetsIS3_Lb0EN6thrust23THRUST_200600_302600_NS6detail15normal_iteratorINS9_10device_ptrIfEEEEPS5_jNS0_19identity_decomposerEEE10hipError_tT1_T2_PT3_SK_jT4_jjP12ihipStream_tbEUlT_E0_NS1_11comp_targetILNS1_3genE2ELNS1_11target_archE906ELNS1_3gpuE6ELNS1_3repE0EEENS1_52radix_sort_onesweep_histogram_config_static_selectorELNS0_4arch9wavefront6targetE1EEEvSI_,"axG",@progbits,_ZN7rocprim17ROCPRIM_400000_NS6detail17trampoline_kernelINS0_14default_configENS1_35radix_sort_onesweep_config_selectorIfNS0_10empty_typeEEEZNS1_34radix_sort_onesweep_global_offsetsIS3_Lb0EN6thrust23THRUST_200600_302600_NS6detail15normal_iteratorINS9_10device_ptrIfEEEEPS5_jNS0_19identity_decomposerEEE10hipError_tT1_T2_PT3_SK_jT4_jjP12ihipStream_tbEUlT_E0_NS1_11comp_targetILNS1_3genE2ELNS1_11target_archE906ELNS1_3gpuE6ELNS1_3repE0EEENS1_52radix_sort_onesweep_histogram_config_static_selectorELNS0_4arch9wavefront6targetE1EEEvSI_,comdat
	.protected	_ZN7rocprim17ROCPRIM_400000_NS6detail17trampoline_kernelINS0_14default_configENS1_35radix_sort_onesweep_config_selectorIfNS0_10empty_typeEEEZNS1_34radix_sort_onesweep_global_offsetsIS3_Lb0EN6thrust23THRUST_200600_302600_NS6detail15normal_iteratorINS9_10device_ptrIfEEEEPS5_jNS0_19identity_decomposerEEE10hipError_tT1_T2_PT3_SK_jT4_jjP12ihipStream_tbEUlT_E0_NS1_11comp_targetILNS1_3genE2ELNS1_11target_archE906ELNS1_3gpuE6ELNS1_3repE0EEENS1_52radix_sort_onesweep_histogram_config_static_selectorELNS0_4arch9wavefront6targetE1EEEvSI_ ; -- Begin function _ZN7rocprim17ROCPRIM_400000_NS6detail17trampoline_kernelINS0_14default_configENS1_35radix_sort_onesweep_config_selectorIfNS0_10empty_typeEEEZNS1_34radix_sort_onesweep_global_offsetsIS3_Lb0EN6thrust23THRUST_200600_302600_NS6detail15normal_iteratorINS9_10device_ptrIfEEEEPS5_jNS0_19identity_decomposerEEE10hipError_tT1_T2_PT3_SK_jT4_jjP12ihipStream_tbEUlT_E0_NS1_11comp_targetILNS1_3genE2ELNS1_11target_archE906ELNS1_3gpuE6ELNS1_3repE0EEENS1_52radix_sort_onesweep_histogram_config_static_selectorELNS0_4arch9wavefront6targetE1EEEvSI_
	.globl	_ZN7rocprim17ROCPRIM_400000_NS6detail17trampoline_kernelINS0_14default_configENS1_35radix_sort_onesweep_config_selectorIfNS0_10empty_typeEEEZNS1_34radix_sort_onesweep_global_offsetsIS3_Lb0EN6thrust23THRUST_200600_302600_NS6detail15normal_iteratorINS9_10device_ptrIfEEEEPS5_jNS0_19identity_decomposerEEE10hipError_tT1_T2_PT3_SK_jT4_jjP12ihipStream_tbEUlT_E0_NS1_11comp_targetILNS1_3genE2ELNS1_11target_archE906ELNS1_3gpuE6ELNS1_3repE0EEENS1_52radix_sort_onesweep_histogram_config_static_selectorELNS0_4arch9wavefront6targetE1EEEvSI_
	.p2align	8
	.type	_ZN7rocprim17ROCPRIM_400000_NS6detail17trampoline_kernelINS0_14default_configENS1_35radix_sort_onesweep_config_selectorIfNS0_10empty_typeEEEZNS1_34radix_sort_onesweep_global_offsetsIS3_Lb0EN6thrust23THRUST_200600_302600_NS6detail15normal_iteratorINS9_10device_ptrIfEEEEPS5_jNS0_19identity_decomposerEEE10hipError_tT1_T2_PT3_SK_jT4_jjP12ihipStream_tbEUlT_E0_NS1_11comp_targetILNS1_3genE2ELNS1_11target_archE906ELNS1_3gpuE6ELNS1_3repE0EEENS1_52radix_sort_onesweep_histogram_config_static_selectorELNS0_4arch9wavefront6targetE1EEEvSI_,@function
_ZN7rocprim17ROCPRIM_400000_NS6detail17trampoline_kernelINS0_14default_configENS1_35radix_sort_onesweep_config_selectorIfNS0_10empty_typeEEEZNS1_34radix_sort_onesweep_global_offsetsIS3_Lb0EN6thrust23THRUST_200600_302600_NS6detail15normal_iteratorINS9_10device_ptrIfEEEEPS5_jNS0_19identity_decomposerEEE10hipError_tT1_T2_PT3_SK_jT4_jjP12ihipStream_tbEUlT_E0_NS1_11comp_targetILNS1_3genE2ELNS1_11target_archE906ELNS1_3gpuE6ELNS1_3repE0EEENS1_52radix_sort_onesweep_histogram_config_static_selectorELNS0_4arch9wavefront6targetE1EEEvSI_: ; @_ZN7rocprim17ROCPRIM_400000_NS6detail17trampoline_kernelINS0_14default_configENS1_35radix_sort_onesweep_config_selectorIfNS0_10empty_typeEEEZNS1_34radix_sort_onesweep_global_offsetsIS3_Lb0EN6thrust23THRUST_200600_302600_NS6detail15normal_iteratorINS9_10device_ptrIfEEEEPS5_jNS0_19identity_decomposerEEE10hipError_tT1_T2_PT3_SK_jT4_jjP12ihipStream_tbEUlT_E0_NS1_11comp_targetILNS1_3genE2ELNS1_11target_archE906ELNS1_3gpuE6ELNS1_3repE0EEENS1_52radix_sort_onesweep_histogram_config_static_selectorELNS0_4arch9wavefront6targetE1EEEvSI_
; %bb.0:
	.section	.rodata,"a",@progbits
	.p2align	6, 0x0
	.amdhsa_kernel _ZN7rocprim17ROCPRIM_400000_NS6detail17trampoline_kernelINS0_14default_configENS1_35radix_sort_onesweep_config_selectorIfNS0_10empty_typeEEEZNS1_34radix_sort_onesweep_global_offsetsIS3_Lb0EN6thrust23THRUST_200600_302600_NS6detail15normal_iteratorINS9_10device_ptrIfEEEEPS5_jNS0_19identity_decomposerEEE10hipError_tT1_T2_PT3_SK_jT4_jjP12ihipStream_tbEUlT_E0_NS1_11comp_targetILNS1_3genE2ELNS1_11target_archE906ELNS1_3gpuE6ELNS1_3repE0EEENS1_52radix_sort_onesweep_histogram_config_static_selectorELNS0_4arch9wavefront6targetE1EEEvSI_
		.amdhsa_group_segment_fixed_size 0
		.amdhsa_private_segment_fixed_size 0
		.amdhsa_kernarg_size 8
		.amdhsa_user_sgpr_count 2
		.amdhsa_user_sgpr_dispatch_ptr 0
		.amdhsa_user_sgpr_queue_ptr 0
		.amdhsa_user_sgpr_kernarg_segment_ptr 1
		.amdhsa_user_sgpr_dispatch_id 0
		.amdhsa_user_sgpr_kernarg_preload_length 0
		.amdhsa_user_sgpr_kernarg_preload_offset 0
		.amdhsa_user_sgpr_private_segment_size 0
		.amdhsa_uses_dynamic_stack 0
		.amdhsa_enable_private_segment 0
		.amdhsa_system_sgpr_workgroup_id_x 1
		.amdhsa_system_sgpr_workgroup_id_y 0
		.amdhsa_system_sgpr_workgroup_id_z 0
		.amdhsa_system_sgpr_workgroup_info 0
		.amdhsa_system_vgpr_workitem_id 0
		.amdhsa_next_free_vgpr 1
		.amdhsa_next_free_sgpr 0
		.amdhsa_accum_offset 4
		.amdhsa_reserve_vcc 0
		.amdhsa_float_round_mode_32 0
		.amdhsa_float_round_mode_16_64 0
		.amdhsa_float_denorm_mode_32 3
		.amdhsa_float_denorm_mode_16_64 3
		.amdhsa_dx10_clamp 1
		.amdhsa_ieee_mode 1
		.amdhsa_fp16_overflow 0
		.amdhsa_tg_split 0
		.amdhsa_exception_fp_ieee_invalid_op 0
		.amdhsa_exception_fp_denorm_src 0
		.amdhsa_exception_fp_ieee_div_zero 0
		.amdhsa_exception_fp_ieee_overflow 0
		.amdhsa_exception_fp_ieee_underflow 0
		.amdhsa_exception_fp_ieee_inexact 0
		.amdhsa_exception_int_div_zero 0
	.end_amdhsa_kernel
	.section	.text._ZN7rocprim17ROCPRIM_400000_NS6detail17trampoline_kernelINS0_14default_configENS1_35radix_sort_onesweep_config_selectorIfNS0_10empty_typeEEEZNS1_34radix_sort_onesweep_global_offsetsIS3_Lb0EN6thrust23THRUST_200600_302600_NS6detail15normal_iteratorINS9_10device_ptrIfEEEEPS5_jNS0_19identity_decomposerEEE10hipError_tT1_T2_PT3_SK_jT4_jjP12ihipStream_tbEUlT_E0_NS1_11comp_targetILNS1_3genE2ELNS1_11target_archE906ELNS1_3gpuE6ELNS1_3repE0EEENS1_52radix_sort_onesweep_histogram_config_static_selectorELNS0_4arch9wavefront6targetE1EEEvSI_,"axG",@progbits,_ZN7rocprim17ROCPRIM_400000_NS6detail17trampoline_kernelINS0_14default_configENS1_35radix_sort_onesweep_config_selectorIfNS0_10empty_typeEEEZNS1_34radix_sort_onesweep_global_offsetsIS3_Lb0EN6thrust23THRUST_200600_302600_NS6detail15normal_iteratorINS9_10device_ptrIfEEEEPS5_jNS0_19identity_decomposerEEE10hipError_tT1_T2_PT3_SK_jT4_jjP12ihipStream_tbEUlT_E0_NS1_11comp_targetILNS1_3genE2ELNS1_11target_archE906ELNS1_3gpuE6ELNS1_3repE0EEENS1_52radix_sort_onesweep_histogram_config_static_selectorELNS0_4arch9wavefront6targetE1EEEvSI_,comdat
.Lfunc_end544:
	.size	_ZN7rocprim17ROCPRIM_400000_NS6detail17trampoline_kernelINS0_14default_configENS1_35radix_sort_onesweep_config_selectorIfNS0_10empty_typeEEEZNS1_34radix_sort_onesweep_global_offsetsIS3_Lb0EN6thrust23THRUST_200600_302600_NS6detail15normal_iteratorINS9_10device_ptrIfEEEEPS5_jNS0_19identity_decomposerEEE10hipError_tT1_T2_PT3_SK_jT4_jjP12ihipStream_tbEUlT_E0_NS1_11comp_targetILNS1_3genE2ELNS1_11target_archE906ELNS1_3gpuE6ELNS1_3repE0EEENS1_52radix_sort_onesweep_histogram_config_static_selectorELNS0_4arch9wavefront6targetE1EEEvSI_, .Lfunc_end544-_ZN7rocprim17ROCPRIM_400000_NS6detail17trampoline_kernelINS0_14default_configENS1_35radix_sort_onesweep_config_selectorIfNS0_10empty_typeEEEZNS1_34radix_sort_onesweep_global_offsetsIS3_Lb0EN6thrust23THRUST_200600_302600_NS6detail15normal_iteratorINS9_10device_ptrIfEEEEPS5_jNS0_19identity_decomposerEEE10hipError_tT1_T2_PT3_SK_jT4_jjP12ihipStream_tbEUlT_E0_NS1_11comp_targetILNS1_3genE2ELNS1_11target_archE906ELNS1_3gpuE6ELNS1_3repE0EEENS1_52radix_sort_onesweep_histogram_config_static_selectorELNS0_4arch9wavefront6targetE1EEEvSI_
                                        ; -- End function
	.set _ZN7rocprim17ROCPRIM_400000_NS6detail17trampoline_kernelINS0_14default_configENS1_35radix_sort_onesweep_config_selectorIfNS0_10empty_typeEEEZNS1_34radix_sort_onesweep_global_offsetsIS3_Lb0EN6thrust23THRUST_200600_302600_NS6detail15normal_iteratorINS9_10device_ptrIfEEEEPS5_jNS0_19identity_decomposerEEE10hipError_tT1_T2_PT3_SK_jT4_jjP12ihipStream_tbEUlT_E0_NS1_11comp_targetILNS1_3genE2ELNS1_11target_archE906ELNS1_3gpuE6ELNS1_3repE0EEENS1_52radix_sort_onesweep_histogram_config_static_selectorELNS0_4arch9wavefront6targetE1EEEvSI_.num_vgpr, 0
	.set _ZN7rocprim17ROCPRIM_400000_NS6detail17trampoline_kernelINS0_14default_configENS1_35radix_sort_onesweep_config_selectorIfNS0_10empty_typeEEEZNS1_34radix_sort_onesweep_global_offsetsIS3_Lb0EN6thrust23THRUST_200600_302600_NS6detail15normal_iteratorINS9_10device_ptrIfEEEEPS5_jNS0_19identity_decomposerEEE10hipError_tT1_T2_PT3_SK_jT4_jjP12ihipStream_tbEUlT_E0_NS1_11comp_targetILNS1_3genE2ELNS1_11target_archE906ELNS1_3gpuE6ELNS1_3repE0EEENS1_52radix_sort_onesweep_histogram_config_static_selectorELNS0_4arch9wavefront6targetE1EEEvSI_.num_agpr, 0
	.set _ZN7rocprim17ROCPRIM_400000_NS6detail17trampoline_kernelINS0_14default_configENS1_35radix_sort_onesweep_config_selectorIfNS0_10empty_typeEEEZNS1_34radix_sort_onesweep_global_offsetsIS3_Lb0EN6thrust23THRUST_200600_302600_NS6detail15normal_iteratorINS9_10device_ptrIfEEEEPS5_jNS0_19identity_decomposerEEE10hipError_tT1_T2_PT3_SK_jT4_jjP12ihipStream_tbEUlT_E0_NS1_11comp_targetILNS1_3genE2ELNS1_11target_archE906ELNS1_3gpuE6ELNS1_3repE0EEENS1_52radix_sort_onesweep_histogram_config_static_selectorELNS0_4arch9wavefront6targetE1EEEvSI_.numbered_sgpr, 0
	.set _ZN7rocprim17ROCPRIM_400000_NS6detail17trampoline_kernelINS0_14default_configENS1_35radix_sort_onesweep_config_selectorIfNS0_10empty_typeEEEZNS1_34radix_sort_onesweep_global_offsetsIS3_Lb0EN6thrust23THRUST_200600_302600_NS6detail15normal_iteratorINS9_10device_ptrIfEEEEPS5_jNS0_19identity_decomposerEEE10hipError_tT1_T2_PT3_SK_jT4_jjP12ihipStream_tbEUlT_E0_NS1_11comp_targetILNS1_3genE2ELNS1_11target_archE906ELNS1_3gpuE6ELNS1_3repE0EEENS1_52radix_sort_onesweep_histogram_config_static_selectorELNS0_4arch9wavefront6targetE1EEEvSI_.num_named_barrier, 0
	.set _ZN7rocprim17ROCPRIM_400000_NS6detail17trampoline_kernelINS0_14default_configENS1_35radix_sort_onesweep_config_selectorIfNS0_10empty_typeEEEZNS1_34radix_sort_onesweep_global_offsetsIS3_Lb0EN6thrust23THRUST_200600_302600_NS6detail15normal_iteratorINS9_10device_ptrIfEEEEPS5_jNS0_19identity_decomposerEEE10hipError_tT1_T2_PT3_SK_jT4_jjP12ihipStream_tbEUlT_E0_NS1_11comp_targetILNS1_3genE2ELNS1_11target_archE906ELNS1_3gpuE6ELNS1_3repE0EEENS1_52radix_sort_onesweep_histogram_config_static_selectorELNS0_4arch9wavefront6targetE1EEEvSI_.private_seg_size, 0
	.set _ZN7rocprim17ROCPRIM_400000_NS6detail17trampoline_kernelINS0_14default_configENS1_35radix_sort_onesweep_config_selectorIfNS0_10empty_typeEEEZNS1_34radix_sort_onesweep_global_offsetsIS3_Lb0EN6thrust23THRUST_200600_302600_NS6detail15normal_iteratorINS9_10device_ptrIfEEEEPS5_jNS0_19identity_decomposerEEE10hipError_tT1_T2_PT3_SK_jT4_jjP12ihipStream_tbEUlT_E0_NS1_11comp_targetILNS1_3genE2ELNS1_11target_archE906ELNS1_3gpuE6ELNS1_3repE0EEENS1_52radix_sort_onesweep_histogram_config_static_selectorELNS0_4arch9wavefront6targetE1EEEvSI_.uses_vcc, 0
	.set _ZN7rocprim17ROCPRIM_400000_NS6detail17trampoline_kernelINS0_14default_configENS1_35radix_sort_onesweep_config_selectorIfNS0_10empty_typeEEEZNS1_34radix_sort_onesweep_global_offsetsIS3_Lb0EN6thrust23THRUST_200600_302600_NS6detail15normal_iteratorINS9_10device_ptrIfEEEEPS5_jNS0_19identity_decomposerEEE10hipError_tT1_T2_PT3_SK_jT4_jjP12ihipStream_tbEUlT_E0_NS1_11comp_targetILNS1_3genE2ELNS1_11target_archE906ELNS1_3gpuE6ELNS1_3repE0EEENS1_52radix_sort_onesweep_histogram_config_static_selectorELNS0_4arch9wavefront6targetE1EEEvSI_.uses_flat_scratch, 0
	.set _ZN7rocprim17ROCPRIM_400000_NS6detail17trampoline_kernelINS0_14default_configENS1_35radix_sort_onesweep_config_selectorIfNS0_10empty_typeEEEZNS1_34radix_sort_onesweep_global_offsetsIS3_Lb0EN6thrust23THRUST_200600_302600_NS6detail15normal_iteratorINS9_10device_ptrIfEEEEPS5_jNS0_19identity_decomposerEEE10hipError_tT1_T2_PT3_SK_jT4_jjP12ihipStream_tbEUlT_E0_NS1_11comp_targetILNS1_3genE2ELNS1_11target_archE906ELNS1_3gpuE6ELNS1_3repE0EEENS1_52radix_sort_onesweep_histogram_config_static_selectorELNS0_4arch9wavefront6targetE1EEEvSI_.has_dyn_sized_stack, 0
	.set _ZN7rocprim17ROCPRIM_400000_NS6detail17trampoline_kernelINS0_14default_configENS1_35radix_sort_onesweep_config_selectorIfNS0_10empty_typeEEEZNS1_34radix_sort_onesweep_global_offsetsIS3_Lb0EN6thrust23THRUST_200600_302600_NS6detail15normal_iteratorINS9_10device_ptrIfEEEEPS5_jNS0_19identity_decomposerEEE10hipError_tT1_T2_PT3_SK_jT4_jjP12ihipStream_tbEUlT_E0_NS1_11comp_targetILNS1_3genE2ELNS1_11target_archE906ELNS1_3gpuE6ELNS1_3repE0EEENS1_52radix_sort_onesweep_histogram_config_static_selectorELNS0_4arch9wavefront6targetE1EEEvSI_.has_recursion, 0
	.set _ZN7rocprim17ROCPRIM_400000_NS6detail17trampoline_kernelINS0_14default_configENS1_35radix_sort_onesweep_config_selectorIfNS0_10empty_typeEEEZNS1_34radix_sort_onesweep_global_offsetsIS3_Lb0EN6thrust23THRUST_200600_302600_NS6detail15normal_iteratorINS9_10device_ptrIfEEEEPS5_jNS0_19identity_decomposerEEE10hipError_tT1_T2_PT3_SK_jT4_jjP12ihipStream_tbEUlT_E0_NS1_11comp_targetILNS1_3genE2ELNS1_11target_archE906ELNS1_3gpuE6ELNS1_3repE0EEENS1_52radix_sort_onesweep_histogram_config_static_selectorELNS0_4arch9wavefront6targetE1EEEvSI_.has_indirect_call, 0
	.section	.AMDGPU.csdata,"",@progbits
; Kernel info:
; codeLenInByte = 0
; TotalNumSgprs: 6
; NumVgprs: 0
; NumAgprs: 0
; TotalNumVgprs: 0
; ScratchSize: 0
; MemoryBound: 0
; FloatMode: 240
; IeeeMode: 1
; LDSByteSize: 0 bytes/workgroup (compile time only)
; SGPRBlocks: 0
; VGPRBlocks: 0
; NumSGPRsForWavesPerEU: 6
; NumVGPRsForWavesPerEU: 1
; AccumOffset: 4
; Occupancy: 8
; WaveLimiterHint : 0
; COMPUTE_PGM_RSRC2:SCRATCH_EN: 0
; COMPUTE_PGM_RSRC2:USER_SGPR: 2
; COMPUTE_PGM_RSRC2:TRAP_HANDLER: 0
; COMPUTE_PGM_RSRC2:TGID_X_EN: 1
; COMPUTE_PGM_RSRC2:TGID_Y_EN: 0
; COMPUTE_PGM_RSRC2:TGID_Z_EN: 0
; COMPUTE_PGM_RSRC2:TIDIG_COMP_CNT: 0
; COMPUTE_PGM_RSRC3_GFX90A:ACCUM_OFFSET: 0
; COMPUTE_PGM_RSRC3_GFX90A:TG_SPLIT: 0
	.section	.text._ZN7rocprim17ROCPRIM_400000_NS6detail17trampoline_kernelINS0_14default_configENS1_35radix_sort_onesweep_config_selectorIfNS0_10empty_typeEEEZNS1_34radix_sort_onesweep_global_offsetsIS3_Lb0EN6thrust23THRUST_200600_302600_NS6detail15normal_iteratorINS9_10device_ptrIfEEEEPS5_jNS0_19identity_decomposerEEE10hipError_tT1_T2_PT3_SK_jT4_jjP12ihipStream_tbEUlT_E0_NS1_11comp_targetILNS1_3genE4ELNS1_11target_archE910ELNS1_3gpuE8ELNS1_3repE0EEENS1_52radix_sort_onesweep_histogram_config_static_selectorELNS0_4arch9wavefront6targetE1EEEvSI_,"axG",@progbits,_ZN7rocprim17ROCPRIM_400000_NS6detail17trampoline_kernelINS0_14default_configENS1_35radix_sort_onesweep_config_selectorIfNS0_10empty_typeEEEZNS1_34radix_sort_onesweep_global_offsetsIS3_Lb0EN6thrust23THRUST_200600_302600_NS6detail15normal_iteratorINS9_10device_ptrIfEEEEPS5_jNS0_19identity_decomposerEEE10hipError_tT1_T2_PT3_SK_jT4_jjP12ihipStream_tbEUlT_E0_NS1_11comp_targetILNS1_3genE4ELNS1_11target_archE910ELNS1_3gpuE8ELNS1_3repE0EEENS1_52radix_sort_onesweep_histogram_config_static_selectorELNS0_4arch9wavefront6targetE1EEEvSI_,comdat
	.protected	_ZN7rocprim17ROCPRIM_400000_NS6detail17trampoline_kernelINS0_14default_configENS1_35radix_sort_onesweep_config_selectorIfNS0_10empty_typeEEEZNS1_34radix_sort_onesweep_global_offsetsIS3_Lb0EN6thrust23THRUST_200600_302600_NS6detail15normal_iteratorINS9_10device_ptrIfEEEEPS5_jNS0_19identity_decomposerEEE10hipError_tT1_T2_PT3_SK_jT4_jjP12ihipStream_tbEUlT_E0_NS1_11comp_targetILNS1_3genE4ELNS1_11target_archE910ELNS1_3gpuE8ELNS1_3repE0EEENS1_52radix_sort_onesweep_histogram_config_static_selectorELNS0_4arch9wavefront6targetE1EEEvSI_ ; -- Begin function _ZN7rocprim17ROCPRIM_400000_NS6detail17trampoline_kernelINS0_14default_configENS1_35radix_sort_onesweep_config_selectorIfNS0_10empty_typeEEEZNS1_34radix_sort_onesweep_global_offsetsIS3_Lb0EN6thrust23THRUST_200600_302600_NS6detail15normal_iteratorINS9_10device_ptrIfEEEEPS5_jNS0_19identity_decomposerEEE10hipError_tT1_T2_PT3_SK_jT4_jjP12ihipStream_tbEUlT_E0_NS1_11comp_targetILNS1_3genE4ELNS1_11target_archE910ELNS1_3gpuE8ELNS1_3repE0EEENS1_52radix_sort_onesweep_histogram_config_static_selectorELNS0_4arch9wavefront6targetE1EEEvSI_
	.globl	_ZN7rocprim17ROCPRIM_400000_NS6detail17trampoline_kernelINS0_14default_configENS1_35radix_sort_onesweep_config_selectorIfNS0_10empty_typeEEEZNS1_34radix_sort_onesweep_global_offsetsIS3_Lb0EN6thrust23THRUST_200600_302600_NS6detail15normal_iteratorINS9_10device_ptrIfEEEEPS5_jNS0_19identity_decomposerEEE10hipError_tT1_T2_PT3_SK_jT4_jjP12ihipStream_tbEUlT_E0_NS1_11comp_targetILNS1_3genE4ELNS1_11target_archE910ELNS1_3gpuE8ELNS1_3repE0EEENS1_52radix_sort_onesweep_histogram_config_static_selectorELNS0_4arch9wavefront6targetE1EEEvSI_
	.p2align	8
	.type	_ZN7rocprim17ROCPRIM_400000_NS6detail17trampoline_kernelINS0_14default_configENS1_35radix_sort_onesweep_config_selectorIfNS0_10empty_typeEEEZNS1_34radix_sort_onesweep_global_offsetsIS3_Lb0EN6thrust23THRUST_200600_302600_NS6detail15normal_iteratorINS9_10device_ptrIfEEEEPS5_jNS0_19identity_decomposerEEE10hipError_tT1_T2_PT3_SK_jT4_jjP12ihipStream_tbEUlT_E0_NS1_11comp_targetILNS1_3genE4ELNS1_11target_archE910ELNS1_3gpuE8ELNS1_3repE0EEENS1_52radix_sort_onesweep_histogram_config_static_selectorELNS0_4arch9wavefront6targetE1EEEvSI_,@function
_ZN7rocprim17ROCPRIM_400000_NS6detail17trampoline_kernelINS0_14default_configENS1_35radix_sort_onesweep_config_selectorIfNS0_10empty_typeEEEZNS1_34radix_sort_onesweep_global_offsetsIS3_Lb0EN6thrust23THRUST_200600_302600_NS6detail15normal_iteratorINS9_10device_ptrIfEEEEPS5_jNS0_19identity_decomposerEEE10hipError_tT1_T2_PT3_SK_jT4_jjP12ihipStream_tbEUlT_E0_NS1_11comp_targetILNS1_3genE4ELNS1_11target_archE910ELNS1_3gpuE8ELNS1_3repE0EEENS1_52radix_sort_onesweep_histogram_config_static_selectorELNS0_4arch9wavefront6targetE1EEEvSI_: ; @_ZN7rocprim17ROCPRIM_400000_NS6detail17trampoline_kernelINS0_14default_configENS1_35radix_sort_onesweep_config_selectorIfNS0_10empty_typeEEEZNS1_34radix_sort_onesweep_global_offsetsIS3_Lb0EN6thrust23THRUST_200600_302600_NS6detail15normal_iteratorINS9_10device_ptrIfEEEEPS5_jNS0_19identity_decomposerEEE10hipError_tT1_T2_PT3_SK_jT4_jjP12ihipStream_tbEUlT_E0_NS1_11comp_targetILNS1_3genE4ELNS1_11target_archE910ELNS1_3gpuE8ELNS1_3repE0EEENS1_52radix_sort_onesweep_histogram_config_static_selectorELNS0_4arch9wavefront6targetE1EEEvSI_
; %bb.0:
	.section	.rodata,"a",@progbits
	.p2align	6, 0x0
	.amdhsa_kernel _ZN7rocprim17ROCPRIM_400000_NS6detail17trampoline_kernelINS0_14default_configENS1_35radix_sort_onesweep_config_selectorIfNS0_10empty_typeEEEZNS1_34radix_sort_onesweep_global_offsetsIS3_Lb0EN6thrust23THRUST_200600_302600_NS6detail15normal_iteratorINS9_10device_ptrIfEEEEPS5_jNS0_19identity_decomposerEEE10hipError_tT1_T2_PT3_SK_jT4_jjP12ihipStream_tbEUlT_E0_NS1_11comp_targetILNS1_3genE4ELNS1_11target_archE910ELNS1_3gpuE8ELNS1_3repE0EEENS1_52radix_sort_onesweep_histogram_config_static_selectorELNS0_4arch9wavefront6targetE1EEEvSI_
		.amdhsa_group_segment_fixed_size 0
		.amdhsa_private_segment_fixed_size 0
		.amdhsa_kernarg_size 8
		.amdhsa_user_sgpr_count 2
		.amdhsa_user_sgpr_dispatch_ptr 0
		.amdhsa_user_sgpr_queue_ptr 0
		.amdhsa_user_sgpr_kernarg_segment_ptr 1
		.amdhsa_user_sgpr_dispatch_id 0
		.amdhsa_user_sgpr_kernarg_preload_length 0
		.amdhsa_user_sgpr_kernarg_preload_offset 0
		.amdhsa_user_sgpr_private_segment_size 0
		.amdhsa_uses_dynamic_stack 0
		.amdhsa_enable_private_segment 0
		.amdhsa_system_sgpr_workgroup_id_x 1
		.amdhsa_system_sgpr_workgroup_id_y 0
		.amdhsa_system_sgpr_workgroup_id_z 0
		.amdhsa_system_sgpr_workgroup_info 0
		.amdhsa_system_vgpr_workitem_id 0
		.amdhsa_next_free_vgpr 1
		.amdhsa_next_free_sgpr 0
		.amdhsa_accum_offset 4
		.amdhsa_reserve_vcc 0
		.amdhsa_float_round_mode_32 0
		.amdhsa_float_round_mode_16_64 0
		.amdhsa_float_denorm_mode_32 3
		.amdhsa_float_denorm_mode_16_64 3
		.amdhsa_dx10_clamp 1
		.amdhsa_ieee_mode 1
		.amdhsa_fp16_overflow 0
		.amdhsa_tg_split 0
		.amdhsa_exception_fp_ieee_invalid_op 0
		.amdhsa_exception_fp_denorm_src 0
		.amdhsa_exception_fp_ieee_div_zero 0
		.amdhsa_exception_fp_ieee_overflow 0
		.amdhsa_exception_fp_ieee_underflow 0
		.amdhsa_exception_fp_ieee_inexact 0
		.amdhsa_exception_int_div_zero 0
	.end_amdhsa_kernel
	.section	.text._ZN7rocprim17ROCPRIM_400000_NS6detail17trampoline_kernelINS0_14default_configENS1_35radix_sort_onesweep_config_selectorIfNS0_10empty_typeEEEZNS1_34radix_sort_onesweep_global_offsetsIS3_Lb0EN6thrust23THRUST_200600_302600_NS6detail15normal_iteratorINS9_10device_ptrIfEEEEPS5_jNS0_19identity_decomposerEEE10hipError_tT1_T2_PT3_SK_jT4_jjP12ihipStream_tbEUlT_E0_NS1_11comp_targetILNS1_3genE4ELNS1_11target_archE910ELNS1_3gpuE8ELNS1_3repE0EEENS1_52radix_sort_onesweep_histogram_config_static_selectorELNS0_4arch9wavefront6targetE1EEEvSI_,"axG",@progbits,_ZN7rocprim17ROCPRIM_400000_NS6detail17trampoline_kernelINS0_14default_configENS1_35radix_sort_onesweep_config_selectorIfNS0_10empty_typeEEEZNS1_34radix_sort_onesweep_global_offsetsIS3_Lb0EN6thrust23THRUST_200600_302600_NS6detail15normal_iteratorINS9_10device_ptrIfEEEEPS5_jNS0_19identity_decomposerEEE10hipError_tT1_T2_PT3_SK_jT4_jjP12ihipStream_tbEUlT_E0_NS1_11comp_targetILNS1_3genE4ELNS1_11target_archE910ELNS1_3gpuE8ELNS1_3repE0EEENS1_52radix_sort_onesweep_histogram_config_static_selectorELNS0_4arch9wavefront6targetE1EEEvSI_,comdat
.Lfunc_end545:
	.size	_ZN7rocprim17ROCPRIM_400000_NS6detail17trampoline_kernelINS0_14default_configENS1_35radix_sort_onesweep_config_selectorIfNS0_10empty_typeEEEZNS1_34radix_sort_onesweep_global_offsetsIS3_Lb0EN6thrust23THRUST_200600_302600_NS6detail15normal_iteratorINS9_10device_ptrIfEEEEPS5_jNS0_19identity_decomposerEEE10hipError_tT1_T2_PT3_SK_jT4_jjP12ihipStream_tbEUlT_E0_NS1_11comp_targetILNS1_3genE4ELNS1_11target_archE910ELNS1_3gpuE8ELNS1_3repE0EEENS1_52radix_sort_onesweep_histogram_config_static_selectorELNS0_4arch9wavefront6targetE1EEEvSI_, .Lfunc_end545-_ZN7rocprim17ROCPRIM_400000_NS6detail17trampoline_kernelINS0_14default_configENS1_35radix_sort_onesweep_config_selectorIfNS0_10empty_typeEEEZNS1_34radix_sort_onesweep_global_offsetsIS3_Lb0EN6thrust23THRUST_200600_302600_NS6detail15normal_iteratorINS9_10device_ptrIfEEEEPS5_jNS0_19identity_decomposerEEE10hipError_tT1_T2_PT3_SK_jT4_jjP12ihipStream_tbEUlT_E0_NS1_11comp_targetILNS1_3genE4ELNS1_11target_archE910ELNS1_3gpuE8ELNS1_3repE0EEENS1_52radix_sort_onesweep_histogram_config_static_selectorELNS0_4arch9wavefront6targetE1EEEvSI_
                                        ; -- End function
	.set _ZN7rocprim17ROCPRIM_400000_NS6detail17trampoline_kernelINS0_14default_configENS1_35radix_sort_onesweep_config_selectorIfNS0_10empty_typeEEEZNS1_34radix_sort_onesweep_global_offsetsIS3_Lb0EN6thrust23THRUST_200600_302600_NS6detail15normal_iteratorINS9_10device_ptrIfEEEEPS5_jNS0_19identity_decomposerEEE10hipError_tT1_T2_PT3_SK_jT4_jjP12ihipStream_tbEUlT_E0_NS1_11comp_targetILNS1_3genE4ELNS1_11target_archE910ELNS1_3gpuE8ELNS1_3repE0EEENS1_52radix_sort_onesweep_histogram_config_static_selectorELNS0_4arch9wavefront6targetE1EEEvSI_.num_vgpr, 0
	.set _ZN7rocprim17ROCPRIM_400000_NS6detail17trampoline_kernelINS0_14default_configENS1_35radix_sort_onesweep_config_selectorIfNS0_10empty_typeEEEZNS1_34radix_sort_onesweep_global_offsetsIS3_Lb0EN6thrust23THRUST_200600_302600_NS6detail15normal_iteratorINS9_10device_ptrIfEEEEPS5_jNS0_19identity_decomposerEEE10hipError_tT1_T2_PT3_SK_jT4_jjP12ihipStream_tbEUlT_E0_NS1_11comp_targetILNS1_3genE4ELNS1_11target_archE910ELNS1_3gpuE8ELNS1_3repE0EEENS1_52radix_sort_onesweep_histogram_config_static_selectorELNS0_4arch9wavefront6targetE1EEEvSI_.num_agpr, 0
	.set _ZN7rocprim17ROCPRIM_400000_NS6detail17trampoline_kernelINS0_14default_configENS1_35radix_sort_onesweep_config_selectorIfNS0_10empty_typeEEEZNS1_34radix_sort_onesweep_global_offsetsIS3_Lb0EN6thrust23THRUST_200600_302600_NS6detail15normal_iteratorINS9_10device_ptrIfEEEEPS5_jNS0_19identity_decomposerEEE10hipError_tT1_T2_PT3_SK_jT4_jjP12ihipStream_tbEUlT_E0_NS1_11comp_targetILNS1_3genE4ELNS1_11target_archE910ELNS1_3gpuE8ELNS1_3repE0EEENS1_52radix_sort_onesweep_histogram_config_static_selectorELNS0_4arch9wavefront6targetE1EEEvSI_.numbered_sgpr, 0
	.set _ZN7rocprim17ROCPRIM_400000_NS6detail17trampoline_kernelINS0_14default_configENS1_35radix_sort_onesweep_config_selectorIfNS0_10empty_typeEEEZNS1_34radix_sort_onesweep_global_offsetsIS3_Lb0EN6thrust23THRUST_200600_302600_NS6detail15normal_iteratorINS9_10device_ptrIfEEEEPS5_jNS0_19identity_decomposerEEE10hipError_tT1_T2_PT3_SK_jT4_jjP12ihipStream_tbEUlT_E0_NS1_11comp_targetILNS1_3genE4ELNS1_11target_archE910ELNS1_3gpuE8ELNS1_3repE0EEENS1_52radix_sort_onesweep_histogram_config_static_selectorELNS0_4arch9wavefront6targetE1EEEvSI_.num_named_barrier, 0
	.set _ZN7rocprim17ROCPRIM_400000_NS6detail17trampoline_kernelINS0_14default_configENS1_35radix_sort_onesweep_config_selectorIfNS0_10empty_typeEEEZNS1_34radix_sort_onesweep_global_offsetsIS3_Lb0EN6thrust23THRUST_200600_302600_NS6detail15normal_iteratorINS9_10device_ptrIfEEEEPS5_jNS0_19identity_decomposerEEE10hipError_tT1_T2_PT3_SK_jT4_jjP12ihipStream_tbEUlT_E0_NS1_11comp_targetILNS1_3genE4ELNS1_11target_archE910ELNS1_3gpuE8ELNS1_3repE0EEENS1_52radix_sort_onesweep_histogram_config_static_selectorELNS0_4arch9wavefront6targetE1EEEvSI_.private_seg_size, 0
	.set _ZN7rocprim17ROCPRIM_400000_NS6detail17trampoline_kernelINS0_14default_configENS1_35radix_sort_onesweep_config_selectorIfNS0_10empty_typeEEEZNS1_34radix_sort_onesweep_global_offsetsIS3_Lb0EN6thrust23THRUST_200600_302600_NS6detail15normal_iteratorINS9_10device_ptrIfEEEEPS5_jNS0_19identity_decomposerEEE10hipError_tT1_T2_PT3_SK_jT4_jjP12ihipStream_tbEUlT_E0_NS1_11comp_targetILNS1_3genE4ELNS1_11target_archE910ELNS1_3gpuE8ELNS1_3repE0EEENS1_52radix_sort_onesweep_histogram_config_static_selectorELNS0_4arch9wavefront6targetE1EEEvSI_.uses_vcc, 0
	.set _ZN7rocprim17ROCPRIM_400000_NS6detail17trampoline_kernelINS0_14default_configENS1_35radix_sort_onesweep_config_selectorIfNS0_10empty_typeEEEZNS1_34radix_sort_onesweep_global_offsetsIS3_Lb0EN6thrust23THRUST_200600_302600_NS6detail15normal_iteratorINS9_10device_ptrIfEEEEPS5_jNS0_19identity_decomposerEEE10hipError_tT1_T2_PT3_SK_jT4_jjP12ihipStream_tbEUlT_E0_NS1_11comp_targetILNS1_3genE4ELNS1_11target_archE910ELNS1_3gpuE8ELNS1_3repE0EEENS1_52radix_sort_onesweep_histogram_config_static_selectorELNS0_4arch9wavefront6targetE1EEEvSI_.uses_flat_scratch, 0
	.set _ZN7rocprim17ROCPRIM_400000_NS6detail17trampoline_kernelINS0_14default_configENS1_35radix_sort_onesweep_config_selectorIfNS0_10empty_typeEEEZNS1_34radix_sort_onesweep_global_offsetsIS3_Lb0EN6thrust23THRUST_200600_302600_NS6detail15normal_iteratorINS9_10device_ptrIfEEEEPS5_jNS0_19identity_decomposerEEE10hipError_tT1_T2_PT3_SK_jT4_jjP12ihipStream_tbEUlT_E0_NS1_11comp_targetILNS1_3genE4ELNS1_11target_archE910ELNS1_3gpuE8ELNS1_3repE0EEENS1_52radix_sort_onesweep_histogram_config_static_selectorELNS0_4arch9wavefront6targetE1EEEvSI_.has_dyn_sized_stack, 0
	.set _ZN7rocprim17ROCPRIM_400000_NS6detail17trampoline_kernelINS0_14default_configENS1_35radix_sort_onesweep_config_selectorIfNS0_10empty_typeEEEZNS1_34radix_sort_onesweep_global_offsetsIS3_Lb0EN6thrust23THRUST_200600_302600_NS6detail15normal_iteratorINS9_10device_ptrIfEEEEPS5_jNS0_19identity_decomposerEEE10hipError_tT1_T2_PT3_SK_jT4_jjP12ihipStream_tbEUlT_E0_NS1_11comp_targetILNS1_3genE4ELNS1_11target_archE910ELNS1_3gpuE8ELNS1_3repE0EEENS1_52radix_sort_onesweep_histogram_config_static_selectorELNS0_4arch9wavefront6targetE1EEEvSI_.has_recursion, 0
	.set _ZN7rocprim17ROCPRIM_400000_NS6detail17trampoline_kernelINS0_14default_configENS1_35radix_sort_onesweep_config_selectorIfNS0_10empty_typeEEEZNS1_34radix_sort_onesweep_global_offsetsIS3_Lb0EN6thrust23THRUST_200600_302600_NS6detail15normal_iteratorINS9_10device_ptrIfEEEEPS5_jNS0_19identity_decomposerEEE10hipError_tT1_T2_PT3_SK_jT4_jjP12ihipStream_tbEUlT_E0_NS1_11comp_targetILNS1_3genE4ELNS1_11target_archE910ELNS1_3gpuE8ELNS1_3repE0EEENS1_52radix_sort_onesweep_histogram_config_static_selectorELNS0_4arch9wavefront6targetE1EEEvSI_.has_indirect_call, 0
	.section	.AMDGPU.csdata,"",@progbits
; Kernel info:
; codeLenInByte = 0
; TotalNumSgprs: 6
; NumVgprs: 0
; NumAgprs: 0
; TotalNumVgprs: 0
; ScratchSize: 0
; MemoryBound: 0
; FloatMode: 240
; IeeeMode: 1
; LDSByteSize: 0 bytes/workgroup (compile time only)
; SGPRBlocks: 0
; VGPRBlocks: 0
; NumSGPRsForWavesPerEU: 6
; NumVGPRsForWavesPerEU: 1
; AccumOffset: 4
; Occupancy: 8
; WaveLimiterHint : 0
; COMPUTE_PGM_RSRC2:SCRATCH_EN: 0
; COMPUTE_PGM_RSRC2:USER_SGPR: 2
; COMPUTE_PGM_RSRC2:TRAP_HANDLER: 0
; COMPUTE_PGM_RSRC2:TGID_X_EN: 1
; COMPUTE_PGM_RSRC2:TGID_Y_EN: 0
; COMPUTE_PGM_RSRC2:TGID_Z_EN: 0
; COMPUTE_PGM_RSRC2:TIDIG_COMP_CNT: 0
; COMPUTE_PGM_RSRC3_GFX90A:ACCUM_OFFSET: 0
; COMPUTE_PGM_RSRC3_GFX90A:TG_SPLIT: 0
	.section	.text._ZN7rocprim17ROCPRIM_400000_NS6detail17trampoline_kernelINS0_14default_configENS1_35radix_sort_onesweep_config_selectorIfNS0_10empty_typeEEEZNS1_34radix_sort_onesweep_global_offsetsIS3_Lb0EN6thrust23THRUST_200600_302600_NS6detail15normal_iteratorINS9_10device_ptrIfEEEEPS5_jNS0_19identity_decomposerEEE10hipError_tT1_T2_PT3_SK_jT4_jjP12ihipStream_tbEUlT_E0_NS1_11comp_targetILNS1_3genE3ELNS1_11target_archE908ELNS1_3gpuE7ELNS1_3repE0EEENS1_52radix_sort_onesweep_histogram_config_static_selectorELNS0_4arch9wavefront6targetE1EEEvSI_,"axG",@progbits,_ZN7rocprim17ROCPRIM_400000_NS6detail17trampoline_kernelINS0_14default_configENS1_35radix_sort_onesweep_config_selectorIfNS0_10empty_typeEEEZNS1_34radix_sort_onesweep_global_offsetsIS3_Lb0EN6thrust23THRUST_200600_302600_NS6detail15normal_iteratorINS9_10device_ptrIfEEEEPS5_jNS0_19identity_decomposerEEE10hipError_tT1_T2_PT3_SK_jT4_jjP12ihipStream_tbEUlT_E0_NS1_11comp_targetILNS1_3genE3ELNS1_11target_archE908ELNS1_3gpuE7ELNS1_3repE0EEENS1_52radix_sort_onesweep_histogram_config_static_selectorELNS0_4arch9wavefront6targetE1EEEvSI_,comdat
	.protected	_ZN7rocprim17ROCPRIM_400000_NS6detail17trampoline_kernelINS0_14default_configENS1_35radix_sort_onesweep_config_selectorIfNS0_10empty_typeEEEZNS1_34radix_sort_onesweep_global_offsetsIS3_Lb0EN6thrust23THRUST_200600_302600_NS6detail15normal_iteratorINS9_10device_ptrIfEEEEPS5_jNS0_19identity_decomposerEEE10hipError_tT1_T2_PT3_SK_jT4_jjP12ihipStream_tbEUlT_E0_NS1_11comp_targetILNS1_3genE3ELNS1_11target_archE908ELNS1_3gpuE7ELNS1_3repE0EEENS1_52radix_sort_onesweep_histogram_config_static_selectorELNS0_4arch9wavefront6targetE1EEEvSI_ ; -- Begin function _ZN7rocprim17ROCPRIM_400000_NS6detail17trampoline_kernelINS0_14default_configENS1_35radix_sort_onesweep_config_selectorIfNS0_10empty_typeEEEZNS1_34radix_sort_onesweep_global_offsetsIS3_Lb0EN6thrust23THRUST_200600_302600_NS6detail15normal_iteratorINS9_10device_ptrIfEEEEPS5_jNS0_19identity_decomposerEEE10hipError_tT1_T2_PT3_SK_jT4_jjP12ihipStream_tbEUlT_E0_NS1_11comp_targetILNS1_3genE3ELNS1_11target_archE908ELNS1_3gpuE7ELNS1_3repE0EEENS1_52radix_sort_onesweep_histogram_config_static_selectorELNS0_4arch9wavefront6targetE1EEEvSI_
	.globl	_ZN7rocprim17ROCPRIM_400000_NS6detail17trampoline_kernelINS0_14default_configENS1_35radix_sort_onesweep_config_selectorIfNS0_10empty_typeEEEZNS1_34radix_sort_onesweep_global_offsetsIS3_Lb0EN6thrust23THRUST_200600_302600_NS6detail15normal_iteratorINS9_10device_ptrIfEEEEPS5_jNS0_19identity_decomposerEEE10hipError_tT1_T2_PT3_SK_jT4_jjP12ihipStream_tbEUlT_E0_NS1_11comp_targetILNS1_3genE3ELNS1_11target_archE908ELNS1_3gpuE7ELNS1_3repE0EEENS1_52radix_sort_onesweep_histogram_config_static_selectorELNS0_4arch9wavefront6targetE1EEEvSI_
	.p2align	8
	.type	_ZN7rocprim17ROCPRIM_400000_NS6detail17trampoline_kernelINS0_14default_configENS1_35radix_sort_onesweep_config_selectorIfNS0_10empty_typeEEEZNS1_34radix_sort_onesweep_global_offsetsIS3_Lb0EN6thrust23THRUST_200600_302600_NS6detail15normal_iteratorINS9_10device_ptrIfEEEEPS5_jNS0_19identity_decomposerEEE10hipError_tT1_T2_PT3_SK_jT4_jjP12ihipStream_tbEUlT_E0_NS1_11comp_targetILNS1_3genE3ELNS1_11target_archE908ELNS1_3gpuE7ELNS1_3repE0EEENS1_52radix_sort_onesweep_histogram_config_static_selectorELNS0_4arch9wavefront6targetE1EEEvSI_,@function
_ZN7rocprim17ROCPRIM_400000_NS6detail17trampoline_kernelINS0_14default_configENS1_35radix_sort_onesweep_config_selectorIfNS0_10empty_typeEEEZNS1_34radix_sort_onesweep_global_offsetsIS3_Lb0EN6thrust23THRUST_200600_302600_NS6detail15normal_iteratorINS9_10device_ptrIfEEEEPS5_jNS0_19identity_decomposerEEE10hipError_tT1_T2_PT3_SK_jT4_jjP12ihipStream_tbEUlT_E0_NS1_11comp_targetILNS1_3genE3ELNS1_11target_archE908ELNS1_3gpuE7ELNS1_3repE0EEENS1_52radix_sort_onesweep_histogram_config_static_selectorELNS0_4arch9wavefront6targetE1EEEvSI_: ; @_ZN7rocprim17ROCPRIM_400000_NS6detail17trampoline_kernelINS0_14default_configENS1_35radix_sort_onesweep_config_selectorIfNS0_10empty_typeEEEZNS1_34radix_sort_onesweep_global_offsetsIS3_Lb0EN6thrust23THRUST_200600_302600_NS6detail15normal_iteratorINS9_10device_ptrIfEEEEPS5_jNS0_19identity_decomposerEEE10hipError_tT1_T2_PT3_SK_jT4_jjP12ihipStream_tbEUlT_E0_NS1_11comp_targetILNS1_3genE3ELNS1_11target_archE908ELNS1_3gpuE7ELNS1_3repE0EEENS1_52radix_sort_onesweep_histogram_config_static_selectorELNS0_4arch9wavefront6targetE1EEEvSI_
; %bb.0:
	.section	.rodata,"a",@progbits
	.p2align	6, 0x0
	.amdhsa_kernel _ZN7rocprim17ROCPRIM_400000_NS6detail17trampoline_kernelINS0_14default_configENS1_35radix_sort_onesweep_config_selectorIfNS0_10empty_typeEEEZNS1_34radix_sort_onesweep_global_offsetsIS3_Lb0EN6thrust23THRUST_200600_302600_NS6detail15normal_iteratorINS9_10device_ptrIfEEEEPS5_jNS0_19identity_decomposerEEE10hipError_tT1_T2_PT3_SK_jT4_jjP12ihipStream_tbEUlT_E0_NS1_11comp_targetILNS1_3genE3ELNS1_11target_archE908ELNS1_3gpuE7ELNS1_3repE0EEENS1_52radix_sort_onesweep_histogram_config_static_selectorELNS0_4arch9wavefront6targetE1EEEvSI_
		.amdhsa_group_segment_fixed_size 0
		.amdhsa_private_segment_fixed_size 0
		.amdhsa_kernarg_size 8
		.amdhsa_user_sgpr_count 2
		.amdhsa_user_sgpr_dispatch_ptr 0
		.amdhsa_user_sgpr_queue_ptr 0
		.amdhsa_user_sgpr_kernarg_segment_ptr 1
		.amdhsa_user_sgpr_dispatch_id 0
		.amdhsa_user_sgpr_kernarg_preload_length 0
		.amdhsa_user_sgpr_kernarg_preload_offset 0
		.amdhsa_user_sgpr_private_segment_size 0
		.amdhsa_uses_dynamic_stack 0
		.amdhsa_enable_private_segment 0
		.amdhsa_system_sgpr_workgroup_id_x 1
		.amdhsa_system_sgpr_workgroup_id_y 0
		.amdhsa_system_sgpr_workgroup_id_z 0
		.amdhsa_system_sgpr_workgroup_info 0
		.amdhsa_system_vgpr_workitem_id 0
		.amdhsa_next_free_vgpr 1
		.amdhsa_next_free_sgpr 0
		.amdhsa_accum_offset 4
		.amdhsa_reserve_vcc 0
		.amdhsa_float_round_mode_32 0
		.amdhsa_float_round_mode_16_64 0
		.amdhsa_float_denorm_mode_32 3
		.amdhsa_float_denorm_mode_16_64 3
		.amdhsa_dx10_clamp 1
		.amdhsa_ieee_mode 1
		.amdhsa_fp16_overflow 0
		.amdhsa_tg_split 0
		.amdhsa_exception_fp_ieee_invalid_op 0
		.amdhsa_exception_fp_denorm_src 0
		.amdhsa_exception_fp_ieee_div_zero 0
		.amdhsa_exception_fp_ieee_overflow 0
		.amdhsa_exception_fp_ieee_underflow 0
		.amdhsa_exception_fp_ieee_inexact 0
		.amdhsa_exception_int_div_zero 0
	.end_amdhsa_kernel
	.section	.text._ZN7rocprim17ROCPRIM_400000_NS6detail17trampoline_kernelINS0_14default_configENS1_35radix_sort_onesweep_config_selectorIfNS0_10empty_typeEEEZNS1_34radix_sort_onesweep_global_offsetsIS3_Lb0EN6thrust23THRUST_200600_302600_NS6detail15normal_iteratorINS9_10device_ptrIfEEEEPS5_jNS0_19identity_decomposerEEE10hipError_tT1_T2_PT3_SK_jT4_jjP12ihipStream_tbEUlT_E0_NS1_11comp_targetILNS1_3genE3ELNS1_11target_archE908ELNS1_3gpuE7ELNS1_3repE0EEENS1_52radix_sort_onesweep_histogram_config_static_selectorELNS0_4arch9wavefront6targetE1EEEvSI_,"axG",@progbits,_ZN7rocprim17ROCPRIM_400000_NS6detail17trampoline_kernelINS0_14default_configENS1_35radix_sort_onesweep_config_selectorIfNS0_10empty_typeEEEZNS1_34radix_sort_onesweep_global_offsetsIS3_Lb0EN6thrust23THRUST_200600_302600_NS6detail15normal_iteratorINS9_10device_ptrIfEEEEPS5_jNS0_19identity_decomposerEEE10hipError_tT1_T2_PT3_SK_jT4_jjP12ihipStream_tbEUlT_E0_NS1_11comp_targetILNS1_3genE3ELNS1_11target_archE908ELNS1_3gpuE7ELNS1_3repE0EEENS1_52radix_sort_onesweep_histogram_config_static_selectorELNS0_4arch9wavefront6targetE1EEEvSI_,comdat
.Lfunc_end546:
	.size	_ZN7rocprim17ROCPRIM_400000_NS6detail17trampoline_kernelINS0_14default_configENS1_35radix_sort_onesweep_config_selectorIfNS0_10empty_typeEEEZNS1_34radix_sort_onesweep_global_offsetsIS3_Lb0EN6thrust23THRUST_200600_302600_NS6detail15normal_iteratorINS9_10device_ptrIfEEEEPS5_jNS0_19identity_decomposerEEE10hipError_tT1_T2_PT3_SK_jT4_jjP12ihipStream_tbEUlT_E0_NS1_11comp_targetILNS1_3genE3ELNS1_11target_archE908ELNS1_3gpuE7ELNS1_3repE0EEENS1_52radix_sort_onesweep_histogram_config_static_selectorELNS0_4arch9wavefront6targetE1EEEvSI_, .Lfunc_end546-_ZN7rocprim17ROCPRIM_400000_NS6detail17trampoline_kernelINS0_14default_configENS1_35radix_sort_onesweep_config_selectorIfNS0_10empty_typeEEEZNS1_34radix_sort_onesweep_global_offsetsIS3_Lb0EN6thrust23THRUST_200600_302600_NS6detail15normal_iteratorINS9_10device_ptrIfEEEEPS5_jNS0_19identity_decomposerEEE10hipError_tT1_T2_PT3_SK_jT4_jjP12ihipStream_tbEUlT_E0_NS1_11comp_targetILNS1_3genE3ELNS1_11target_archE908ELNS1_3gpuE7ELNS1_3repE0EEENS1_52radix_sort_onesweep_histogram_config_static_selectorELNS0_4arch9wavefront6targetE1EEEvSI_
                                        ; -- End function
	.set _ZN7rocprim17ROCPRIM_400000_NS6detail17trampoline_kernelINS0_14default_configENS1_35radix_sort_onesweep_config_selectorIfNS0_10empty_typeEEEZNS1_34radix_sort_onesweep_global_offsetsIS3_Lb0EN6thrust23THRUST_200600_302600_NS6detail15normal_iteratorINS9_10device_ptrIfEEEEPS5_jNS0_19identity_decomposerEEE10hipError_tT1_T2_PT3_SK_jT4_jjP12ihipStream_tbEUlT_E0_NS1_11comp_targetILNS1_3genE3ELNS1_11target_archE908ELNS1_3gpuE7ELNS1_3repE0EEENS1_52radix_sort_onesweep_histogram_config_static_selectorELNS0_4arch9wavefront6targetE1EEEvSI_.num_vgpr, 0
	.set _ZN7rocprim17ROCPRIM_400000_NS6detail17trampoline_kernelINS0_14default_configENS1_35radix_sort_onesweep_config_selectorIfNS0_10empty_typeEEEZNS1_34radix_sort_onesweep_global_offsetsIS3_Lb0EN6thrust23THRUST_200600_302600_NS6detail15normal_iteratorINS9_10device_ptrIfEEEEPS5_jNS0_19identity_decomposerEEE10hipError_tT1_T2_PT3_SK_jT4_jjP12ihipStream_tbEUlT_E0_NS1_11comp_targetILNS1_3genE3ELNS1_11target_archE908ELNS1_3gpuE7ELNS1_3repE0EEENS1_52radix_sort_onesweep_histogram_config_static_selectorELNS0_4arch9wavefront6targetE1EEEvSI_.num_agpr, 0
	.set _ZN7rocprim17ROCPRIM_400000_NS6detail17trampoline_kernelINS0_14default_configENS1_35radix_sort_onesweep_config_selectorIfNS0_10empty_typeEEEZNS1_34radix_sort_onesweep_global_offsetsIS3_Lb0EN6thrust23THRUST_200600_302600_NS6detail15normal_iteratorINS9_10device_ptrIfEEEEPS5_jNS0_19identity_decomposerEEE10hipError_tT1_T2_PT3_SK_jT4_jjP12ihipStream_tbEUlT_E0_NS1_11comp_targetILNS1_3genE3ELNS1_11target_archE908ELNS1_3gpuE7ELNS1_3repE0EEENS1_52radix_sort_onesweep_histogram_config_static_selectorELNS0_4arch9wavefront6targetE1EEEvSI_.numbered_sgpr, 0
	.set _ZN7rocprim17ROCPRIM_400000_NS6detail17trampoline_kernelINS0_14default_configENS1_35radix_sort_onesweep_config_selectorIfNS0_10empty_typeEEEZNS1_34radix_sort_onesweep_global_offsetsIS3_Lb0EN6thrust23THRUST_200600_302600_NS6detail15normal_iteratorINS9_10device_ptrIfEEEEPS5_jNS0_19identity_decomposerEEE10hipError_tT1_T2_PT3_SK_jT4_jjP12ihipStream_tbEUlT_E0_NS1_11comp_targetILNS1_3genE3ELNS1_11target_archE908ELNS1_3gpuE7ELNS1_3repE0EEENS1_52radix_sort_onesweep_histogram_config_static_selectorELNS0_4arch9wavefront6targetE1EEEvSI_.num_named_barrier, 0
	.set _ZN7rocprim17ROCPRIM_400000_NS6detail17trampoline_kernelINS0_14default_configENS1_35radix_sort_onesweep_config_selectorIfNS0_10empty_typeEEEZNS1_34radix_sort_onesweep_global_offsetsIS3_Lb0EN6thrust23THRUST_200600_302600_NS6detail15normal_iteratorINS9_10device_ptrIfEEEEPS5_jNS0_19identity_decomposerEEE10hipError_tT1_T2_PT3_SK_jT4_jjP12ihipStream_tbEUlT_E0_NS1_11comp_targetILNS1_3genE3ELNS1_11target_archE908ELNS1_3gpuE7ELNS1_3repE0EEENS1_52radix_sort_onesweep_histogram_config_static_selectorELNS0_4arch9wavefront6targetE1EEEvSI_.private_seg_size, 0
	.set _ZN7rocprim17ROCPRIM_400000_NS6detail17trampoline_kernelINS0_14default_configENS1_35radix_sort_onesweep_config_selectorIfNS0_10empty_typeEEEZNS1_34radix_sort_onesweep_global_offsetsIS3_Lb0EN6thrust23THRUST_200600_302600_NS6detail15normal_iteratorINS9_10device_ptrIfEEEEPS5_jNS0_19identity_decomposerEEE10hipError_tT1_T2_PT3_SK_jT4_jjP12ihipStream_tbEUlT_E0_NS1_11comp_targetILNS1_3genE3ELNS1_11target_archE908ELNS1_3gpuE7ELNS1_3repE0EEENS1_52radix_sort_onesweep_histogram_config_static_selectorELNS0_4arch9wavefront6targetE1EEEvSI_.uses_vcc, 0
	.set _ZN7rocprim17ROCPRIM_400000_NS6detail17trampoline_kernelINS0_14default_configENS1_35radix_sort_onesweep_config_selectorIfNS0_10empty_typeEEEZNS1_34radix_sort_onesweep_global_offsetsIS3_Lb0EN6thrust23THRUST_200600_302600_NS6detail15normal_iteratorINS9_10device_ptrIfEEEEPS5_jNS0_19identity_decomposerEEE10hipError_tT1_T2_PT3_SK_jT4_jjP12ihipStream_tbEUlT_E0_NS1_11comp_targetILNS1_3genE3ELNS1_11target_archE908ELNS1_3gpuE7ELNS1_3repE0EEENS1_52radix_sort_onesweep_histogram_config_static_selectorELNS0_4arch9wavefront6targetE1EEEvSI_.uses_flat_scratch, 0
	.set _ZN7rocprim17ROCPRIM_400000_NS6detail17trampoline_kernelINS0_14default_configENS1_35radix_sort_onesweep_config_selectorIfNS0_10empty_typeEEEZNS1_34radix_sort_onesweep_global_offsetsIS3_Lb0EN6thrust23THRUST_200600_302600_NS6detail15normal_iteratorINS9_10device_ptrIfEEEEPS5_jNS0_19identity_decomposerEEE10hipError_tT1_T2_PT3_SK_jT4_jjP12ihipStream_tbEUlT_E0_NS1_11comp_targetILNS1_3genE3ELNS1_11target_archE908ELNS1_3gpuE7ELNS1_3repE0EEENS1_52radix_sort_onesweep_histogram_config_static_selectorELNS0_4arch9wavefront6targetE1EEEvSI_.has_dyn_sized_stack, 0
	.set _ZN7rocprim17ROCPRIM_400000_NS6detail17trampoline_kernelINS0_14default_configENS1_35radix_sort_onesweep_config_selectorIfNS0_10empty_typeEEEZNS1_34radix_sort_onesweep_global_offsetsIS3_Lb0EN6thrust23THRUST_200600_302600_NS6detail15normal_iteratorINS9_10device_ptrIfEEEEPS5_jNS0_19identity_decomposerEEE10hipError_tT1_T2_PT3_SK_jT4_jjP12ihipStream_tbEUlT_E0_NS1_11comp_targetILNS1_3genE3ELNS1_11target_archE908ELNS1_3gpuE7ELNS1_3repE0EEENS1_52radix_sort_onesweep_histogram_config_static_selectorELNS0_4arch9wavefront6targetE1EEEvSI_.has_recursion, 0
	.set _ZN7rocprim17ROCPRIM_400000_NS6detail17trampoline_kernelINS0_14default_configENS1_35radix_sort_onesweep_config_selectorIfNS0_10empty_typeEEEZNS1_34radix_sort_onesweep_global_offsetsIS3_Lb0EN6thrust23THRUST_200600_302600_NS6detail15normal_iteratorINS9_10device_ptrIfEEEEPS5_jNS0_19identity_decomposerEEE10hipError_tT1_T2_PT3_SK_jT4_jjP12ihipStream_tbEUlT_E0_NS1_11comp_targetILNS1_3genE3ELNS1_11target_archE908ELNS1_3gpuE7ELNS1_3repE0EEENS1_52radix_sort_onesweep_histogram_config_static_selectorELNS0_4arch9wavefront6targetE1EEEvSI_.has_indirect_call, 0
	.section	.AMDGPU.csdata,"",@progbits
; Kernel info:
; codeLenInByte = 0
; TotalNumSgprs: 6
; NumVgprs: 0
; NumAgprs: 0
; TotalNumVgprs: 0
; ScratchSize: 0
; MemoryBound: 0
; FloatMode: 240
; IeeeMode: 1
; LDSByteSize: 0 bytes/workgroup (compile time only)
; SGPRBlocks: 0
; VGPRBlocks: 0
; NumSGPRsForWavesPerEU: 6
; NumVGPRsForWavesPerEU: 1
; AccumOffset: 4
; Occupancy: 8
; WaveLimiterHint : 0
; COMPUTE_PGM_RSRC2:SCRATCH_EN: 0
; COMPUTE_PGM_RSRC2:USER_SGPR: 2
; COMPUTE_PGM_RSRC2:TRAP_HANDLER: 0
; COMPUTE_PGM_RSRC2:TGID_X_EN: 1
; COMPUTE_PGM_RSRC2:TGID_Y_EN: 0
; COMPUTE_PGM_RSRC2:TGID_Z_EN: 0
; COMPUTE_PGM_RSRC2:TIDIG_COMP_CNT: 0
; COMPUTE_PGM_RSRC3_GFX90A:ACCUM_OFFSET: 0
; COMPUTE_PGM_RSRC3_GFX90A:TG_SPLIT: 0
	.section	.text._ZN7rocprim17ROCPRIM_400000_NS6detail17trampoline_kernelINS0_14default_configENS1_35radix_sort_onesweep_config_selectorIfNS0_10empty_typeEEEZNS1_34radix_sort_onesweep_global_offsetsIS3_Lb0EN6thrust23THRUST_200600_302600_NS6detail15normal_iteratorINS9_10device_ptrIfEEEEPS5_jNS0_19identity_decomposerEEE10hipError_tT1_T2_PT3_SK_jT4_jjP12ihipStream_tbEUlT_E0_NS1_11comp_targetILNS1_3genE10ELNS1_11target_archE1201ELNS1_3gpuE5ELNS1_3repE0EEENS1_52radix_sort_onesweep_histogram_config_static_selectorELNS0_4arch9wavefront6targetE1EEEvSI_,"axG",@progbits,_ZN7rocprim17ROCPRIM_400000_NS6detail17trampoline_kernelINS0_14default_configENS1_35radix_sort_onesweep_config_selectorIfNS0_10empty_typeEEEZNS1_34radix_sort_onesweep_global_offsetsIS3_Lb0EN6thrust23THRUST_200600_302600_NS6detail15normal_iteratorINS9_10device_ptrIfEEEEPS5_jNS0_19identity_decomposerEEE10hipError_tT1_T2_PT3_SK_jT4_jjP12ihipStream_tbEUlT_E0_NS1_11comp_targetILNS1_3genE10ELNS1_11target_archE1201ELNS1_3gpuE5ELNS1_3repE0EEENS1_52radix_sort_onesweep_histogram_config_static_selectorELNS0_4arch9wavefront6targetE1EEEvSI_,comdat
	.protected	_ZN7rocprim17ROCPRIM_400000_NS6detail17trampoline_kernelINS0_14default_configENS1_35radix_sort_onesweep_config_selectorIfNS0_10empty_typeEEEZNS1_34radix_sort_onesweep_global_offsetsIS3_Lb0EN6thrust23THRUST_200600_302600_NS6detail15normal_iteratorINS9_10device_ptrIfEEEEPS5_jNS0_19identity_decomposerEEE10hipError_tT1_T2_PT3_SK_jT4_jjP12ihipStream_tbEUlT_E0_NS1_11comp_targetILNS1_3genE10ELNS1_11target_archE1201ELNS1_3gpuE5ELNS1_3repE0EEENS1_52radix_sort_onesweep_histogram_config_static_selectorELNS0_4arch9wavefront6targetE1EEEvSI_ ; -- Begin function _ZN7rocprim17ROCPRIM_400000_NS6detail17trampoline_kernelINS0_14default_configENS1_35radix_sort_onesweep_config_selectorIfNS0_10empty_typeEEEZNS1_34radix_sort_onesweep_global_offsetsIS3_Lb0EN6thrust23THRUST_200600_302600_NS6detail15normal_iteratorINS9_10device_ptrIfEEEEPS5_jNS0_19identity_decomposerEEE10hipError_tT1_T2_PT3_SK_jT4_jjP12ihipStream_tbEUlT_E0_NS1_11comp_targetILNS1_3genE10ELNS1_11target_archE1201ELNS1_3gpuE5ELNS1_3repE0EEENS1_52radix_sort_onesweep_histogram_config_static_selectorELNS0_4arch9wavefront6targetE1EEEvSI_
	.globl	_ZN7rocprim17ROCPRIM_400000_NS6detail17trampoline_kernelINS0_14default_configENS1_35radix_sort_onesweep_config_selectorIfNS0_10empty_typeEEEZNS1_34radix_sort_onesweep_global_offsetsIS3_Lb0EN6thrust23THRUST_200600_302600_NS6detail15normal_iteratorINS9_10device_ptrIfEEEEPS5_jNS0_19identity_decomposerEEE10hipError_tT1_T2_PT3_SK_jT4_jjP12ihipStream_tbEUlT_E0_NS1_11comp_targetILNS1_3genE10ELNS1_11target_archE1201ELNS1_3gpuE5ELNS1_3repE0EEENS1_52radix_sort_onesweep_histogram_config_static_selectorELNS0_4arch9wavefront6targetE1EEEvSI_
	.p2align	8
	.type	_ZN7rocprim17ROCPRIM_400000_NS6detail17trampoline_kernelINS0_14default_configENS1_35radix_sort_onesweep_config_selectorIfNS0_10empty_typeEEEZNS1_34radix_sort_onesweep_global_offsetsIS3_Lb0EN6thrust23THRUST_200600_302600_NS6detail15normal_iteratorINS9_10device_ptrIfEEEEPS5_jNS0_19identity_decomposerEEE10hipError_tT1_T2_PT3_SK_jT4_jjP12ihipStream_tbEUlT_E0_NS1_11comp_targetILNS1_3genE10ELNS1_11target_archE1201ELNS1_3gpuE5ELNS1_3repE0EEENS1_52radix_sort_onesweep_histogram_config_static_selectorELNS0_4arch9wavefront6targetE1EEEvSI_,@function
_ZN7rocprim17ROCPRIM_400000_NS6detail17trampoline_kernelINS0_14default_configENS1_35radix_sort_onesweep_config_selectorIfNS0_10empty_typeEEEZNS1_34radix_sort_onesweep_global_offsetsIS3_Lb0EN6thrust23THRUST_200600_302600_NS6detail15normal_iteratorINS9_10device_ptrIfEEEEPS5_jNS0_19identity_decomposerEEE10hipError_tT1_T2_PT3_SK_jT4_jjP12ihipStream_tbEUlT_E0_NS1_11comp_targetILNS1_3genE10ELNS1_11target_archE1201ELNS1_3gpuE5ELNS1_3repE0EEENS1_52radix_sort_onesweep_histogram_config_static_selectorELNS0_4arch9wavefront6targetE1EEEvSI_: ; @_ZN7rocprim17ROCPRIM_400000_NS6detail17trampoline_kernelINS0_14default_configENS1_35radix_sort_onesweep_config_selectorIfNS0_10empty_typeEEEZNS1_34radix_sort_onesweep_global_offsetsIS3_Lb0EN6thrust23THRUST_200600_302600_NS6detail15normal_iteratorINS9_10device_ptrIfEEEEPS5_jNS0_19identity_decomposerEEE10hipError_tT1_T2_PT3_SK_jT4_jjP12ihipStream_tbEUlT_E0_NS1_11comp_targetILNS1_3genE10ELNS1_11target_archE1201ELNS1_3gpuE5ELNS1_3repE0EEENS1_52radix_sort_onesweep_histogram_config_static_selectorELNS0_4arch9wavefront6targetE1EEEvSI_
; %bb.0:
	.section	.rodata,"a",@progbits
	.p2align	6, 0x0
	.amdhsa_kernel _ZN7rocprim17ROCPRIM_400000_NS6detail17trampoline_kernelINS0_14default_configENS1_35radix_sort_onesweep_config_selectorIfNS0_10empty_typeEEEZNS1_34radix_sort_onesweep_global_offsetsIS3_Lb0EN6thrust23THRUST_200600_302600_NS6detail15normal_iteratorINS9_10device_ptrIfEEEEPS5_jNS0_19identity_decomposerEEE10hipError_tT1_T2_PT3_SK_jT4_jjP12ihipStream_tbEUlT_E0_NS1_11comp_targetILNS1_3genE10ELNS1_11target_archE1201ELNS1_3gpuE5ELNS1_3repE0EEENS1_52radix_sort_onesweep_histogram_config_static_selectorELNS0_4arch9wavefront6targetE1EEEvSI_
		.amdhsa_group_segment_fixed_size 0
		.amdhsa_private_segment_fixed_size 0
		.amdhsa_kernarg_size 8
		.amdhsa_user_sgpr_count 2
		.amdhsa_user_sgpr_dispatch_ptr 0
		.amdhsa_user_sgpr_queue_ptr 0
		.amdhsa_user_sgpr_kernarg_segment_ptr 1
		.amdhsa_user_sgpr_dispatch_id 0
		.amdhsa_user_sgpr_kernarg_preload_length 0
		.amdhsa_user_sgpr_kernarg_preload_offset 0
		.amdhsa_user_sgpr_private_segment_size 0
		.amdhsa_uses_dynamic_stack 0
		.amdhsa_enable_private_segment 0
		.amdhsa_system_sgpr_workgroup_id_x 1
		.amdhsa_system_sgpr_workgroup_id_y 0
		.amdhsa_system_sgpr_workgroup_id_z 0
		.amdhsa_system_sgpr_workgroup_info 0
		.amdhsa_system_vgpr_workitem_id 0
		.amdhsa_next_free_vgpr 1
		.amdhsa_next_free_sgpr 0
		.amdhsa_accum_offset 4
		.amdhsa_reserve_vcc 0
		.amdhsa_float_round_mode_32 0
		.amdhsa_float_round_mode_16_64 0
		.amdhsa_float_denorm_mode_32 3
		.amdhsa_float_denorm_mode_16_64 3
		.amdhsa_dx10_clamp 1
		.amdhsa_ieee_mode 1
		.amdhsa_fp16_overflow 0
		.amdhsa_tg_split 0
		.amdhsa_exception_fp_ieee_invalid_op 0
		.amdhsa_exception_fp_denorm_src 0
		.amdhsa_exception_fp_ieee_div_zero 0
		.amdhsa_exception_fp_ieee_overflow 0
		.amdhsa_exception_fp_ieee_underflow 0
		.amdhsa_exception_fp_ieee_inexact 0
		.amdhsa_exception_int_div_zero 0
	.end_amdhsa_kernel
	.section	.text._ZN7rocprim17ROCPRIM_400000_NS6detail17trampoline_kernelINS0_14default_configENS1_35radix_sort_onesweep_config_selectorIfNS0_10empty_typeEEEZNS1_34radix_sort_onesweep_global_offsetsIS3_Lb0EN6thrust23THRUST_200600_302600_NS6detail15normal_iteratorINS9_10device_ptrIfEEEEPS5_jNS0_19identity_decomposerEEE10hipError_tT1_T2_PT3_SK_jT4_jjP12ihipStream_tbEUlT_E0_NS1_11comp_targetILNS1_3genE10ELNS1_11target_archE1201ELNS1_3gpuE5ELNS1_3repE0EEENS1_52radix_sort_onesweep_histogram_config_static_selectorELNS0_4arch9wavefront6targetE1EEEvSI_,"axG",@progbits,_ZN7rocprim17ROCPRIM_400000_NS6detail17trampoline_kernelINS0_14default_configENS1_35radix_sort_onesweep_config_selectorIfNS0_10empty_typeEEEZNS1_34radix_sort_onesweep_global_offsetsIS3_Lb0EN6thrust23THRUST_200600_302600_NS6detail15normal_iteratorINS9_10device_ptrIfEEEEPS5_jNS0_19identity_decomposerEEE10hipError_tT1_T2_PT3_SK_jT4_jjP12ihipStream_tbEUlT_E0_NS1_11comp_targetILNS1_3genE10ELNS1_11target_archE1201ELNS1_3gpuE5ELNS1_3repE0EEENS1_52radix_sort_onesweep_histogram_config_static_selectorELNS0_4arch9wavefront6targetE1EEEvSI_,comdat
.Lfunc_end547:
	.size	_ZN7rocprim17ROCPRIM_400000_NS6detail17trampoline_kernelINS0_14default_configENS1_35radix_sort_onesweep_config_selectorIfNS0_10empty_typeEEEZNS1_34radix_sort_onesweep_global_offsetsIS3_Lb0EN6thrust23THRUST_200600_302600_NS6detail15normal_iteratorINS9_10device_ptrIfEEEEPS5_jNS0_19identity_decomposerEEE10hipError_tT1_T2_PT3_SK_jT4_jjP12ihipStream_tbEUlT_E0_NS1_11comp_targetILNS1_3genE10ELNS1_11target_archE1201ELNS1_3gpuE5ELNS1_3repE0EEENS1_52radix_sort_onesweep_histogram_config_static_selectorELNS0_4arch9wavefront6targetE1EEEvSI_, .Lfunc_end547-_ZN7rocprim17ROCPRIM_400000_NS6detail17trampoline_kernelINS0_14default_configENS1_35radix_sort_onesweep_config_selectorIfNS0_10empty_typeEEEZNS1_34radix_sort_onesweep_global_offsetsIS3_Lb0EN6thrust23THRUST_200600_302600_NS6detail15normal_iteratorINS9_10device_ptrIfEEEEPS5_jNS0_19identity_decomposerEEE10hipError_tT1_T2_PT3_SK_jT4_jjP12ihipStream_tbEUlT_E0_NS1_11comp_targetILNS1_3genE10ELNS1_11target_archE1201ELNS1_3gpuE5ELNS1_3repE0EEENS1_52radix_sort_onesweep_histogram_config_static_selectorELNS0_4arch9wavefront6targetE1EEEvSI_
                                        ; -- End function
	.set _ZN7rocprim17ROCPRIM_400000_NS6detail17trampoline_kernelINS0_14default_configENS1_35radix_sort_onesweep_config_selectorIfNS0_10empty_typeEEEZNS1_34radix_sort_onesweep_global_offsetsIS3_Lb0EN6thrust23THRUST_200600_302600_NS6detail15normal_iteratorINS9_10device_ptrIfEEEEPS5_jNS0_19identity_decomposerEEE10hipError_tT1_T2_PT3_SK_jT4_jjP12ihipStream_tbEUlT_E0_NS1_11comp_targetILNS1_3genE10ELNS1_11target_archE1201ELNS1_3gpuE5ELNS1_3repE0EEENS1_52radix_sort_onesweep_histogram_config_static_selectorELNS0_4arch9wavefront6targetE1EEEvSI_.num_vgpr, 0
	.set _ZN7rocprim17ROCPRIM_400000_NS6detail17trampoline_kernelINS0_14default_configENS1_35radix_sort_onesweep_config_selectorIfNS0_10empty_typeEEEZNS1_34radix_sort_onesweep_global_offsetsIS3_Lb0EN6thrust23THRUST_200600_302600_NS6detail15normal_iteratorINS9_10device_ptrIfEEEEPS5_jNS0_19identity_decomposerEEE10hipError_tT1_T2_PT3_SK_jT4_jjP12ihipStream_tbEUlT_E0_NS1_11comp_targetILNS1_3genE10ELNS1_11target_archE1201ELNS1_3gpuE5ELNS1_3repE0EEENS1_52radix_sort_onesweep_histogram_config_static_selectorELNS0_4arch9wavefront6targetE1EEEvSI_.num_agpr, 0
	.set _ZN7rocprim17ROCPRIM_400000_NS6detail17trampoline_kernelINS0_14default_configENS1_35radix_sort_onesweep_config_selectorIfNS0_10empty_typeEEEZNS1_34radix_sort_onesweep_global_offsetsIS3_Lb0EN6thrust23THRUST_200600_302600_NS6detail15normal_iteratorINS9_10device_ptrIfEEEEPS5_jNS0_19identity_decomposerEEE10hipError_tT1_T2_PT3_SK_jT4_jjP12ihipStream_tbEUlT_E0_NS1_11comp_targetILNS1_3genE10ELNS1_11target_archE1201ELNS1_3gpuE5ELNS1_3repE0EEENS1_52radix_sort_onesweep_histogram_config_static_selectorELNS0_4arch9wavefront6targetE1EEEvSI_.numbered_sgpr, 0
	.set _ZN7rocprim17ROCPRIM_400000_NS6detail17trampoline_kernelINS0_14default_configENS1_35radix_sort_onesweep_config_selectorIfNS0_10empty_typeEEEZNS1_34radix_sort_onesweep_global_offsetsIS3_Lb0EN6thrust23THRUST_200600_302600_NS6detail15normal_iteratorINS9_10device_ptrIfEEEEPS5_jNS0_19identity_decomposerEEE10hipError_tT1_T2_PT3_SK_jT4_jjP12ihipStream_tbEUlT_E0_NS1_11comp_targetILNS1_3genE10ELNS1_11target_archE1201ELNS1_3gpuE5ELNS1_3repE0EEENS1_52radix_sort_onesweep_histogram_config_static_selectorELNS0_4arch9wavefront6targetE1EEEvSI_.num_named_barrier, 0
	.set _ZN7rocprim17ROCPRIM_400000_NS6detail17trampoline_kernelINS0_14default_configENS1_35radix_sort_onesweep_config_selectorIfNS0_10empty_typeEEEZNS1_34radix_sort_onesweep_global_offsetsIS3_Lb0EN6thrust23THRUST_200600_302600_NS6detail15normal_iteratorINS9_10device_ptrIfEEEEPS5_jNS0_19identity_decomposerEEE10hipError_tT1_T2_PT3_SK_jT4_jjP12ihipStream_tbEUlT_E0_NS1_11comp_targetILNS1_3genE10ELNS1_11target_archE1201ELNS1_3gpuE5ELNS1_3repE0EEENS1_52radix_sort_onesweep_histogram_config_static_selectorELNS0_4arch9wavefront6targetE1EEEvSI_.private_seg_size, 0
	.set _ZN7rocprim17ROCPRIM_400000_NS6detail17trampoline_kernelINS0_14default_configENS1_35radix_sort_onesweep_config_selectorIfNS0_10empty_typeEEEZNS1_34radix_sort_onesweep_global_offsetsIS3_Lb0EN6thrust23THRUST_200600_302600_NS6detail15normal_iteratorINS9_10device_ptrIfEEEEPS5_jNS0_19identity_decomposerEEE10hipError_tT1_T2_PT3_SK_jT4_jjP12ihipStream_tbEUlT_E0_NS1_11comp_targetILNS1_3genE10ELNS1_11target_archE1201ELNS1_3gpuE5ELNS1_3repE0EEENS1_52radix_sort_onesweep_histogram_config_static_selectorELNS0_4arch9wavefront6targetE1EEEvSI_.uses_vcc, 0
	.set _ZN7rocprim17ROCPRIM_400000_NS6detail17trampoline_kernelINS0_14default_configENS1_35radix_sort_onesweep_config_selectorIfNS0_10empty_typeEEEZNS1_34radix_sort_onesweep_global_offsetsIS3_Lb0EN6thrust23THRUST_200600_302600_NS6detail15normal_iteratorINS9_10device_ptrIfEEEEPS5_jNS0_19identity_decomposerEEE10hipError_tT1_T2_PT3_SK_jT4_jjP12ihipStream_tbEUlT_E0_NS1_11comp_targetILNS1_3genE10ELNS1_11target_archE1201ELNS1_3gpuE5ELNS1_3repE0EEENS1_52radix_sort_onesweep_histogram_config_static_selectorELNS0_4arch9wavefront6targetE1EEEvSI_.uses_flat_scratch, 0
	.set _ZN7rocprim17ROCPRIM_400000_NS6detail17trampoline_kernelINS0_14default_configENS1_35radix_sort_onesweep_config_selectorIfNS0_10empty_typeEEEZNS1_34radix_sort_onesweep_global_offsetsIS3_Lb0EN6thrust23THRUST_200600_302600_NS6detail15normal_iteratorINS9_10device_ptrIfEEEEPS5_jNS0_19identity_decomposerEEE10hipError_tT1_T2_PT3_SK_jT4_jjP12ihipStream_tbEUlT_E0_NS1_11comp_targetILNS1_3genE10ELNS1_11target_archE1201ELNS1_3gpuE5ELNS1_3repE0EEENS1_52radix_sort_onesweep_histogram_config_static_selectorELNS0_4arch9wavefront6targetE1EEEvSI_.has_dyn_sized_stack, 0
	.set _ZN7rocprim17ROCPRIM_400000_NS6detail17trampoline_kernelINS0_14default_configENS1_35radix_sort_onesweep_config_selectorIfNS0_10empty_typeEEEZNS1_34radix_sort_onesweep_global_offsetsIS3_Lb0EN6thrust23THRUST_200600_302600_NS6detail15normal_iteratorINS9_10device_ptrIfEEEEPS5_jNS0_19identity_decomposerEEE10hipError_tT1_T2_PT3_SK_jT4_jjP12ihipStream_tbEUlT_E0_NS1_11comp_targetILNS1_3genE10ELNS1_11target_archE1201ELNS1_3gpuE5ELNS1_3repE0EEENS1_52radix_sort_onesweep_histogram_config_static_selectorELNS0_4arch9wavefront6targetE1EEEvSI_.has_recursion, 0
	.set _ZN7rocprim17ROCPRIM_400000_NS6detail17trampoline_kernelINS0_14default_configENS1_35radix_sort_onesweep_config_selectorIfNS0_10empty_typeEEEZNS1_34radix_sort_onesweep_global_offsetsIS3_Lb0EN6thrust23THRUST_200600_302600_NS6detail15normal_iteratorINS9_10device_ptrIfEEEEPS5_jNS0_19identity_decomposerEEE10hipError_tT1_T2_PT3_SK_jT4_jjP12ihipStream_tbEUlT_E0_NS1_11comp_targetILNS1_3genE10ELNS1_11target_archE1201ELNS1_3gpuE5ELNS1_3repE0EEENS1_52radix_sort_onesweep_histogram_config_static_selectorELNS0_4arch9wavefront6targetE1EEEvSI_.has_indirect_call, 0
	.section	.AMDGPU.csdata,"",@progbits
; Kernel info:
; codeLenInByte = 0
; TotalNumSgprs: 6
; NumVgprs: 0
; NumAgprs: 0
; TotalNumVgprs: 0
; ScratchSize: 0
; MemoryBound: 0
; FloatMode: 240
; IeeeMode: 1
; LDSByteSize: 0 bytes/workgroup (compile time only)
; SGPRBlocks: 0
; VGPRBlocks: 0
; NumSGPRsForWavesPerEU: 6
; NumVGPRsForWavesPerEU: 1
; AccumOffset: 4
; Occupancy: 8
; WaveLimiterHint : 0
; COMPUTE_PGM_RSRC2:SCRATCH_EN: 0
; COMPUTE_PGM_RSRC2:USER_SGPR: 2
; COMPUTE_PGM_RSRC2:TRAP_HANDLER: 0
; COMPUTE_PGM_RSRC2:TGID_X_EN: 1
; COMPUTE_PGM_RSRC2:TGID_Y_EN: 0
; COMPUTE_PGM_RSRC2:TGID_Z_EN: 0
; COMPUTE_PGM_RSRC2:TIDIG_COMP_CNT: 0
; COMPUTE_PGM_RSRC3_GFX90A:ACCUM_OFFSET: 0
; COMPUTE_PGM_RSRC3_GFX90A:TG_SPLIT: 0
	.section	.text._ZN7rocprim17ROCPRIM_400000_NS6detail17trampoline_kernelINS0_14default_configENS1_35radix_sort_onesweep_config_selectorIfNS0_10empty_typeEEEZNS1_34radix_sort_onesweep_global_offsetsIS3_Lb0EN6thrust23THRUST_200600_302600_NS6detail15normal_iteratorINS9_10device_ptrIfEEEEPS5_jNS0_19identity_decomposerEEE10hipError_tT1_T2_PT3_SK_jT4_jjP12ihipStream_tbEUlT_E0_NS1_11comp_targetILNS1_3genE9ELNS1_11target_archE1100ELNS1_3gpuE3ELNS1_3repE0EEENS1_52radix_sort_onesweep_histogram_config_static_selectorELNS0_4arch9wavefront6targetE1EEEvSI_,"axG",@progbits,_ZN7rocprim17ROCPRIM_400000_NS6detail17trampoline_kernelINS0_14default_configENS1_35radix_sort_onesweep_config_selectorIfNS0_10empty_typeEEEZNS1_34radix_sort_onesweep_global_offsetsIS3_Lb0EN6thrust23THRUST_200600_302600_NS6detail15normal_iteratorINS9_10device_ptrIfEEEEPS5_jNS0_19identity_decomposerEEE10hipError_tT1_T2_PT3_SK_jT4_jjP12ihipStream_tbEUlT_E0_NS1_11comp_targetILNS1_3genE9ELNS1_11target_archE1100ELNS1_3gpuE3ELNS1_3repE0EEENS1_52radix_sort_onesweep_histogram_config_static_selectorELNS0_4arch9wavefront6targetE1EEEvSI_,comdat
	.protected	_ZN7rocprim17ROCPRIM_400000_NS6detail17trampoline_kernelINS0_14default_configENS1_35radix_sort_onesweep_config_selectorIfNS0_10empty_typeEEEZNS1_34radix_sort_onesweep_global_offsetsIS3_Lb0EN6thrust23THRUST_200600_302600_NS6detail15normal_iteratorINS9_10device_ptrIfEEEEPS5_jNS0_19identity_decomposerEEE10hipError_tT1_T2_PT3_SK_jT4_jjP12ihipStream_tbEUlT_E0_NS1_11comp_targetILNS1_3genE9ELNS1_11target_archE1100ELNS1_3gpuE3ELNS1_3repE0EEENS1_52radix_sort_onesweep_histogram_config_static_selectorELNS0_4arch9wavefront6targetE1EEEvSI_ ; -- Begin function _ZN7rocprim17ROCPRIM_400000_NS6detail17trampoline_kernelINS0_14default_configENS1_35radix_sort_onesweep_config_selectorIfNS0_10empty_typeEEEZNS1_34radix_sort_onesweep_global_offsetsIS3_Lb0EN6thrust23THRUST_200600_302600_NS6detail15normal_iteratorINS9_10device_ptrIfEEEEPS5_jNS0_19identity_decomposerEEE10hipError_tT1_T2_PT3_SK_jT4_jjP12ihipStream_tbEUlT_E0_NS1_11comp_targetILNS1_3genE9ELNS1_11target_archE1100ELNS1_3gpuE3ELNS1_3repE0EEENS1_52radix_sort_onesweep_histogram_config_static_selectorELNS0_4arch9wavefront6targetE1EEEvSI_
	.globl	_ZN7rocprim17ROCPRIM_400000_NS6detail17trampoline_kernelINS0_14default_configENS1_35radix_sort_onesweep_config_selectorIfNS0_10empty_typeEEEZNS1_34radix_sort_onesweep_global_offsetsIS3_Lb0EN6thrust23THRUST_200600_302600_NS6detail15normal_iteratorINS9_10device_ptrIfEEEEPS5_jNS0_19identity_decomposerEEE10hipError_tT1_T2_PT3_SK_jT4_jjP12ihipStream_tbEUlT_E0_NS1_11comp_targetILNS1_3genE9ELNS1_11target_archE1100ELNS1_3gpuE3ELNS1_3repE0EEENS1_52radix_sort_onesweep_histogram_config_static_selectorELNS0_4arch9wavefront6targetE1EEEvSI_
	.p2align	8
	.type	_ZN7rocprim17ROCPRIM_400000_NS6detail17trampoline_kernelINS0_14default_configENS1_35radix_sort_onesweep_config_selectorIfNS0_10empty_typeEEEZNS1_34radix_sort_onesweep_global_offsetsIS3_Lb0EN6thrust23THRUST_200600_302600_NS6detail15normal_iteratorINS9_10device_ptrIfEEEEPS5_jNS0_19identity_decomposerEEE10hipError_tT1_T2_PT3_SK_jT4_jjP12ihipStream_tbEUlT_E0_NS1_11comp_targetILNS1_3genE9ELNS1_11target_archE1100ELNS1_3gpuE3ELNS1_3repE0EEENS1_52radix_sort_onesweep_histogram_config_static_selectorELNS0_4arch9wavefront6targetE1EEEvSI_,@function
_ZN7rocprim17ROCPRIM_400000_NS6detail17trampoline_kernelINS0_14default_configENS1_35radix_sort_onesweep_config_selectorIfNS0_10empty_typeEEEZNS1_34radix_sort_onesweep_global_offsetsIS3_Lb0EN6thrust23THRUST_200600_302600_NS6detail15normal_iteratorINS9_10device_ptrIfEEEEPS5_jNS0_19identity_decomposerEEE10hipError_tT1_T2_PT3_SK_jT4_jjP12ihipStream_tbEUlT_E0_NS1_11comp_targetILNS1_3genE9ELNS1_11target_archE1100ELNS1_3gpuE3ELNS1_3repE0EEENS1_52radix_sort_onesweep_histogram_config_static_selectorELNS0_4arch9wavefront6targetE1EEEvSI_: ; @_ZN7rocprim17ROCPRIM_400000_NS6detail17trampoline_kernelINS0_14default_configENS1_35radix_sort_onesweep_config_selectorIfNS0_10empty_typeEEEZNS1_34radix_sort_onesweep_global_offsetsIS3_Lb0EN6thrust23THRUST_200600_302600_NS6detail15normal_iteratorINS9_10device_ptrIfEEEEPS5_jNS0_19identity_decomposerEEE10hipError_tT1_T2_PT3_SK_jT4_jjP12ihipStream_tbEUlT_E0_NS1_11comp_targetILNS1_3genE9ELNS1_11target_archE1100ELNS1_3gpuE3ELNS1_3repE0EEENS1_52radix_sort_onesweep_histogram_config_static_selectorELNS0_4arch9wavefront6targetE1EEEvSI_
; %bb.0:
	.section	.rodata,"a",@progbits
	.p2align	6, 0x0
	.amdhsa_kernel _ZN7rocprim17ROCPRIM_400000_NS6detail17trampoline_kernelINS0_14default_configENS1_35radix_sort_onesweep_config_selectorIfNS0_10empty_typeEEEZNS1_34radix_sort_onesweep_global_offsetsIS3_Lb0EN6thrust23THRUST_200600_302600_NS6detail15normal_iteratorINS9_10device_ptrIfEEEEPS5_jNS0_19identity_decomposerEEE10hipError_tT1_T2_PT3_SK_jT4_jjP12ihipStream_tbEUlT_E0_NS1_11comp_targetILNS1_3genE9ELNS1_11target_archE1100ELNS1_3gpuE3ELNS1_3repE0EEENS1_52radix_sort_onesweep_histogram_config_static_selectorELNS0_4arch9wavefront6targetE1EEEvSI_
		.amdhsa_group_segment_fixed_size 0
		.amdhsa_private_segment_fixed_size 0
		.amdhsa_kernarg_size 8
		.amdhsa_user_sgpr_count 2
		.amdhsa_user_sgpr_dispatch_ptr 0
		.amdhsa_user_sgpr_queue_ptr 0
		.amdhsa_user_sgpr_kernarg_segment_ptr 1
		.amdhsa_user_sgpr_dispatch_id 0
		.amdhsa_user_sgpr_kernarg_preload_length 0
		.amdhsa_user_sgpr_kernarg_preload_offset 0
		.amdhsa_user_sgpr_private_segment_size 0
		.amdhsa_uses_dynamic_stack 0
		.amdhsa_enable_private_segment 0
		.amdhsa_system_sgpr_workgroup_id_x 1
		.amdhsa_system_sgpr_workgroup_id_y 0
		.amdhsa_system_sgpr_workgroup_id_z 0
		.amdhsa_system_sgpr_workgroup_info 0
		.amdhsa_system_vgpr_workitem_id 0
		.amdhsa_next_free_vgpr 1
		.amdhsa_next_free_sgpr 0
		.amdhsa_accum_offset 4
		.amdhsa_reserve_vcc 0
		.amdhsa_float_round_mode_32 0
		.amdhsa_float_round_mode_16_64 0
		.amdhsa_float_denorm_mode_32 3
		.amdhsa_float_denorm_mode_16_64 3
		.amdhsa_dx10_clamp 1
		.amdhsa_ieee_mode 1
		.amdhsa_fp16_overflow 0
		.amdhsa_tg_split 0
		.amdhsa_exception_fp_ieee_invalid_op 0
		.amdhsa_exception_fp_denorm_src 0
		.amdhsa_exception_fp_ieee_div_zero 0
		.amdhsa_exception_fp_ieee_overflow 0
		.amdhsa_exception_fp_ieee_underflow 0
		.amdhsa_exception_fp_ieee_inexact 0
		.amdhsa_exception_int_div_zero 0
	.end_amdhsa_kernel
	.section	.text._ZN7rocprim17ROCPRIM_400000_NS6detail17trampoline_kernelINS0_14default_configENS1_35radix_sort_onesweep_config_selectorIfNS0_10empty_typeEEEZNS1_34radix_sort_onesweep_global_offsetsIS3_Lb0EN6thrust23THRUST_200600_302600_NS6detail15normal_iteratorINS9_10device_ptrIfEEEEPS5_jNS0_19identity_decomposerEEE10hipError_tT1_T2_PT3_SK_jT4_jjP12ihipStream_tbEUlT_E0_NS1_11comp_targetILNS1_3genE9ELNS1_11target_archE1100ELNS1_3gpuE3ELNS1_3repE0EEENS1_52radix_sort_onesweep_histogram_config_static_selectorELNS0_4arch9wavefront6targetE1EEEvSI_,"axG",@progbits,_ZN7rocprim17ROCPRIM_400000_NS6detail17trampoline_kernelINS0_14default_configENS1_35radix_sort_onesweep_config_selectorIfNS0_10empty_typeEEEZNS1_34radix_sort_onesweep_global_offsetsIS3_Lb0EN6thrust23THRUST_200600_302600_NS6detail15normal_iteratorINS9_10device_ptrIfEEEEPS5_jNS0_19identity_decomposerEEE10hipError_tT1_T2_PT3_SK_jT4_jjP12ihipStream_tbEUlT_E0_NS1_11comp_targetILNS1_3genE9ELNS1_11target_archE1100ELNS1_3gpuE3ELNS1_3repE0EEENS1_52radix_sort_onesweep_histogram_config_static_selectorELNS0_4arch9wavefront6targetE1EEEvSI_,comdat
.Lfunc_end548:
	.size	_ZN7rocprim17ROCPRIM_400000_NS6detail17trampoline_kernelINS0_14default_configENS1_35radix_sort_onesweep_config_selectorIfNS0_10empty_typeEEEZNS1_34radix_sort_onesweep_global_offsetsIS3_Lb0EN6thrust23THRUST_200600_302600_NS6detail15normal_iteratorINS9_10device_ptrIfEEEEPS5_jNS0_19identity_decomposerEEE10hipError_tT1_T2_PT3_SK_jT4_jjP12ihipStream_tbEUlT_E0_NS1_11comp_targetILNS1_3genE9ELNS1_11target_archE1100ELNS1_3gpuE3ELNS1_3repE0EEENS1_52radix_sort_onesweep_histogram_config_static_selectorELNS0_4arch9wavefront6targetE1EEEvSI_, .Lfunc_end548-_ZN7rocprim17ROCPRIM_400000_NS6detail17trampoline_kernelINS0_14default_configENS1_35radix_sort_onesweep_config_selectorIfNS0_10empty_typeEEEZNS1_34radix_sort_onesweep_global_offsetsIS3_Lb0EN6thrust23THRUST_200600_302600_NS6detail15normal_iteratorINS9_10device_ptrIfEEEEPS5_jNS0_19identity_decomposerEEE10hipError_tT1_T2_PT3_SK_jT4_jjP12ihipStream_tbEUlT_E0_NS1_11comp_targetILNS1_3genE9ELNS1_11target_archE1100ELNS1_3gpuE3ELNS1_3repE0EEENS1_52radix_sort_onesweep_histogram_config_static_selectorELNS0_4arch9wavefront6targetE1EEEvSI_
                                        ; -- End function
	.set _ZN7rocprim17ROCPRIM_400000_NS6detail17trampoline_kernelINS0_14default_configENS1_35radix_sort_onesweep_config_selectorIfNS0_10empty_typeEEEZNS1_34radix_sort_onesweep_global_offsetsIS3_Lb0EN6thrust23THRUST_200600_302600_NS6detail15normal_iteratorINS9_10device_ptrIfEEEEPS5_jNS0_19identity_decomposerEEE10hipError_tT1_T2_PT3_SK_jT4_jjP12ihipStream_tbEUlT_E0_NS1_11comp_targetILNS1_3genE9ELNS1_11target_archE1100ELNS1_3gpuE3ELNS1_3repE0EEENS1_52radix_sort_onesweep_histogram_config_static_selectorELNS0_4arch9wavefront6targetE1EEEvSI_.num_vgpr, 0
	.set _ZN7rocprim17ROCPRIM_400000_NS6detail17trampoline_kernelINS0_14default_configENS1_35radix_sort_onesweep_config_selectorIfNS0_10empty_typeEEEZNS1_34radix_sort_onesweep_global_offsetsIS3_Lb0EN6thrust23THRUST_200600_302600_NS6detail15normal_iteratorINS9_10device_ptrIfEEEEPS5_jNS0_19identity_decomposerEEE10hipError_tT1_T2_PT3_SK_jT4_jjP12ihipStream_tbEUlT_E0_NS1_11comp_targetILNS1_3genE9ELNS1_11target_archE1100ELNS1_3gpuE3ELNS1_3repE0EEENS1_52radix_sort_onesweep_histogram_config_static_selectorELNS0_4arch9wavefront6targetE1EEEvSI_.num_agpr, 0
	.set _ZN7rocprim17ROCPRIM_400000_NS6detail17trampoline_kernelINS0_14default_configENS1_35radix_sort_onesweep_config_selectorIfNS0_10empty_typeEEEZNS1_34radix_sort_onesweep_global_offsetsIS3_Lb0EN6thrust23THRUST_200600_302600_NS6detail15normal_iteratorINS9_10device_ptrIfEEEEPS5_jNS0_19identity_decomposerEEE10hipError_tT1_T2_PT3_SK_jT4_jjP12ihipStream_tbEUlT_E0_NS1_11comp_targetILNS1_3genE9ELNS1_11target_archE1100ELNS1_3gpuE3ELNS1_3repE0EEENS1_52radix_sort_onesweep_histogram_config_static_selectorELNS0_4arch9wavefront6targetE1EEEvSI_.numbered_sgpr, 0
	.set _ZN7rocprim17ROCPRIM_400000_NS6detail17trampoline_kernelINS0_14default_configENS1_35radix_sort_onesweep_config_selectorIfNS0_10empty_typeEEEZNS1_34radix_sort_onesweep_global_offsetsIS3_Lb0EN6thrust23THRUST_200600_302600_NS6detail15normal_iteratorINS9_10device_ptrIfEEEEPS5_jNS0_19identity_decomposerEEE10hipError_tT1_T2_PT3_SK_jT4_jjP12ihipStream_tbEUlT_E0_NS1_11comp_targetILNS1_3genE9ELNS1_11target_archE1100ELNS1_3gpuE3ELNS1_3repE0EEENS1_52radix_sort_onesweep_histogram_config_static_selectorELNS0_4arch9wavefront6targetE1EEEvSI_.num_named_barrier, 0
	.set _ZN7rocprim17ROCPRIM_400000_NS6detail17trampoline_kernelINS0_14default_configENS1_35radix_sort_onesweep_config_selectorIfNS0_10empty_typeEEEZNS1_34radix_sort_onesweep_global_offsetsIS3_Lb0EN6thrust23THRUST_200600_302600_NS6detail15normal_iteratorINS9_10device_ptrIfEEEEPS5_jNS0_19identity_decomposerEEE10hipError_tT1_T2_PT3_SK_jT4_jjP12ihipStream_tbEUlT_E0_NS1_11comp_targetILNS1_3genE9ELNS1_11target_archE1100ELNS1_3gpuE3ELNS1_3repE0EEENS1_52radix_sort_onesweep_histogram_config_static_selectorELNS0_4arch9wavefront6targetE1EEEvSI_.private_seg_size, 0
	.set _ZN7rocprim17ROCPRIM_400000_NS6detail17trampoline_kernelINS0_14default_configENS1_35radix_sort_onesweep_config_selectorIfNS0_10empty_typeEEEZNS1_34radix_sort_onesweep_global_offsetsIS3_Lb0EN6thrust23THRUST_200600_302600_NS6detail15normal_iteratorINS9_10device_ptrIfEEEEPS5_jNS0_19identity_decomposerEEE10hipError_tT1_T2_PT3_SK_jT4_jjP12ihipStream_tbEUlT_E0_NS1_11comp_targetILNS1_3genE9ELNS1_11target_archE1100ELNS1_3gpuE3ELNS1_3repE0EEENS1_52radix_sort_onesweep_histogram_config_static_selectorELNS0_4arch9wavefront6targetE1EEEvSI_.uses_vcc, 0
	.set _ZN7rocprim17ROCPRIM_400000_NS6detail17trampoline_kernelINS0_14default_configENS1_35radix_sort_onesweep_config_selectorIfNS0_10empty_typeEEEZNS1_34radix_sort_onesweep_global_offsetsIS3_Lb0EN6thrust23THRUST_200600_302600_NS6detail15normal_iteratorINS9_10device_ptrIfEEEEPS5_jNS0_19identity_decomposerEEE10hipError_tT1_T2_PT3_SK_jT4_jjP12ihipStream_tbEUlT_E0_NS1_11comp_targetILNS1_3genE9ELNS1_11target_archE1100ELNS1_3gpuE3ELNS1_3repE0EEENS1_52radix_sort_onesweep_histogram_config_static_selectorELNS0_4arch9wavefront6targetE1EEEvSI_.uses_flat_scratch, 0
	.set _ZN7rocprim17ROCPRIM_400000_NS6detail17trampoline_kernelINS0_14default_configENS1_35radix_sort_onesweep_config_selectorIfNS0_10empty_typeEEEZNS1_34radix_sort_onesweep_global_offsetsIS3_Lb0EN6thrust23THRUST_200600_302600_NS6detail15normal_iteratorINS9_10device_ptrIfEEEEPS5_jNS0_19identity_decomposerEEE10hipError_tT1_T2_PT3_SK_jT4_jjP12ihipStream_tbEUlT_E0_NS1_11comp_targetILNS1_3genE9ELNS1_11target_archE1100ELNS1_3gpuE3ELNS1_3repE0EEENS1_52radix_sort_onesweep_histogram_config_static_selectorELNS0_4arch9wavefront6targetE1EEEvSI_.has_dyn_sized_stack, 0
	.set _ZN7rocprim17ROCPRIM_400000_NS6detail17trampoline_kernelINS0_14default_configENS1_35radix_sort_onesweep_config_selectorIfNS0_10empty_typeEEEZNS1_34radix_sort_onesweep_global_offsetsIS3_Lb0EN6thrust23THRUST_200600_302600_NS6detail15normal_iteratorINS9_10device_ptrIfEEEEPS5_jNS0_19identity_decomposerEEE10hipError_tT1_T2_PT3_SK_jT4_jjP12ihipStream_tbEUlT_E0_NS1_11comp_targetILNS1_3genE9ELNS1_11target_archE1100ELNS1_3gpuE3ELNS1_3repE0EEENS1_52radix_sort_onesweep_histogram_config_static_selectorELNS0_4arch9wavefront6targetE1EEEvSI_.has_recursion, 0
	.set _ZN7rocprim17ROCPRIM_400000_NS6detail17trampoline_kernelINS0_14default_configENS1_35radix_sort_onesweep_config_selectorIfNS0_10empty_typeEEEZNS1_34radix_sort_onesweep_global_offsetsIS3_Lb0EN6thrust23THRUST_200600_302600_NS6detail15normal_iteratorINS9_10device_ptrIfEEEEPS5_jNS0_19identity_decomposerEEE10hipError_tT1_T2_PT3_SK_jT4_jjP12ihipStream_tbEUlT_E0_NS1_11comp_targetILNS1_3genE9ELNS1_11target_archE1100ELNS1_3gpuE3ELNS1_3repE0EEENS1_52radix_sort_onesweep_histogram_config_static_selectorELNS0_4arch9wavefront6targetE1EEEvSI_.has_indirect_call, 0
	.section	.AMDGPU.csdata,"",@progbits
; Kernel info:
; codeLenInByte = 0
; TotalNumSgprs: 6
; NumVgprs: 0
; NumAgprs: 0
; TotalNumVgprs: 0
; ScratchSize: 0
; MemoryBound: 0
; FloatMode: 240
; IeeeMode: 1
; LDSByteSize: 0 bytes/workgroup (compile time only)
; SGPRBlocks: 0
; VGPRBlocks: 0
; NumSGPRsForWavesPerEU: 6
; NumVGPRsForWavesPerEU: 1
; AccumOffset: 4
; Occupancy: 8
; WaveLimiterHint : 0
; COMPUTE_PGM_RSRC2:SCRATCH_EN: 0
; COMPUTE_PGM_RSRC2:USER_SGPR: 2
; COMPUTE_PGM_RSRC2:TRAP_HANDLER: 0
; COMPUTE_PGM_RSRC2:TGID_X_EN: 1
; COMPUTE_PGM_RSRC2:TGID_Y_EN: 0
; COMPUTE_PGM_RSRC2:TGID_Z_EN: 0
; COMPUTE_PGM_RSRC2:TIDIG_COMP_CNT: 0
; COMPUTE_PGM_RSRC3_GFX90A:ACCUM_OFFSET: 0
; COMPUTE_PGM_RSRC3_GFX90A:TG_SPLIT: 0
	.section	.text._ZN7rocprim17ROCPRIM_400000_NS6detail17trampoline_kernelINS0_14default_configENS1_35radix_sort_onesweep_config_selectorIfNS0_10empty_typeEEEZNS1_34radix_sort_onesweep_global_offsetsIS3_Lb0EN6thrust23THRUST_200600_302600_NS6detail15normal_iteratorINS9_10device_ptrIfEEEEPS5_jNS0_19identity_decomposerEEE10hipError_tT1_T2_PT3_SK_jT4_jjP12ihipStream_tbEUlT_E0_NS1_11comp_targetILNS1_3genE8ELNS1_11target_archE1030ELNS1_3gpuE2ELNS1_3repE0EEENS1_52radix_sort_onesweep_histogram_config_static_selectorELNS0_4arch9wavefront6targetE1EEEvSI_,"axG",@progbits,_ZN7rocprim17ROCPRIM_400000_NS6detail17trampoline_kernelINS0_14default_configENS1_35radix_sort_onesweep_config_selectorIfNS0_10empty_typeEEEZNS1_34radix_sort_onesweep_global_offsetsIS3_Lb0EN6thrust23THRUST_200600_302600_NS6detail15normal_iteratorINS9_10device_ptrIfEEEEPS5_jNS0_19identity_decomposerEEE10hipError_tT1_T2_PT3_SK_jT4_jjP12ihipStream_tbEUlT_E0_NS1_11comp_targetILNS1_3genE8ELNS1_11target_archE1030ELNS1_3gpuE2ELNS1_3repE0EEENS1_52radix_sort_onesweep_histogram_config_static_selectorELNS0_4arch9wavefront6targetE1EEEvSI_,comdat
	.protected	_ZN7rocprim17ROCPRIM_400000_NS6detail17trampoline_kernelINS0_14default_configENS1_35radix_sort_onesweep_config_selectorIfNS0_10empty_typeEEEZNS1_34radix_sort_onesweep_global_offsetsIS3_Lb0EN6thrust23THRUST_200600_302600_NS6detail15normal_iteratorINS9_10device_ptrIfEEEEPS5_jNS0_19identity_decomposerEEE10hipError_tT1_T2_PT3_SK_jT4_jjP12ihipStream_tbEUlT_E0_NS1_11comp_targetILNS1_3genE8ELNS1_11target_archE1030ELNS1_3gpuE2ELNS1_3repE0EEENS1_52radix_sort_onesweep_histogram_config_static_selectorELNS0_4arch9wavefront6targetE1EEEvSI_ ; -- Begin function _ZN7rocprim17ROCPRIM_400000_NS6detail17trampoline_kernelINS0_14default_configENS1_35radix_sort_onesweep_config_selectorIfNS0_10empty_typeEEEZNS1_34radix_sort_onesweep_global_offsetsIS3_Lb0EN6thrust23THRUST_200600_302600_NS6detail15normal_iteratorINS9_10device_ptrIfEEEEPS5_jNS0_19identity_decomposerEEE10hipError_tT1_T2_PT3_SK_jT4_jjP12ihipStream_tbEUlT_E0_NS1_11comp_targetILNS1_3genE8ELNS1_11target_archE1030ELNS1_3gpuE2ELNS1_3repE0EEENS1_52radix_sort_onesweep_histogram_config_static_selectorELNS0_4arch9wavefront6targetE1EEEvSI_
	.globl	_ZN7rocprim17ROCPRIM_400000_NS6detail17trampoline_kernelINS0_14default_configENS1_35radix_sort_onesweep_config_selectorIfNS0_10empty_typeEEEZNS1_34radix_sort_onesweep_global_offsetsIS3_Lb0EN6thrust23THRUST_200600_302600_NS6detail15normal_iteratorINS9_10device_ptrIfEEEEPS5_jNS0_19identity_decomposerEEE10hipError_tT1_T2_PT3_SK_jT4_jjP12ihipStream_tbEUlT_E0_NS1_11comp_targetILNS1_3genE8ELNS1_11target_archE1030ELNS1_3gpuE2ELNS1_3repE0EEENS1_52radix_sort_onesweep_histogram_config_static_selectorELNS0_4arch9wavefront6targetE1EEEvSI_
	.p2align	8
	.type	_ZN7rocprim17ROCPRIM_400000_NS6detail17trampoline_kernelINS0_14default_configENS1_35radix_sort_onesweep_config_selectorIfNS0_10empty_typeEEEZNS1_34radix_sort_onesweep_global_offsetsIS3_Lb0EN6thrust23THRUST_200600_302600_NS6detail15normal_iteratorINS9_10device_ptrIfEEEEPS5_jNS0_19identity_decomposerEEE10hipError_tT1_T2_PT3_SK_jT4_jjP12ihipStream_tbEUlT_E0_NS1_11comp_targetILNS1_3genE8ELNS1_11target_archE1030ELNS1_3gpuE2ELNS1_3repE0EEENS1_52radix_sort_onesweep_histogram_config_static_selectorELNS0_4arch9wavefront6targetE1EEEvSI_,@function
_ZN7rocprim17ROCPRIM_400000_NS6detail17trampoline_kernelINS0_14default_configENS1_35radix_sort_onesweep_config_selectorIfNS0_10empty_typeEEEZNS1_34radix_sort_onesweep_global_offsetsIS3_Lb0EN6thrust23THRUST_200600_302600_NS6detail15normal_iteratorINS9_10device_ptrIfEEEEPS5_jNS0_19identity_decomposerEEE10hipError_tT1_T2_PT3_SK_jT4_jjP12ihipStream_tbEUlT_E0_NS1_11comp_targetILNS1_3genE8ELNS1_11target_archE1030ELNS1_3gpuE2ELNS1_3repE0EEENS1_52radix_sort_onesweep_histogram_config_static_selectorELNS0_4arch9wavefront6targetE1EEEvSI_: ; @_ZN7rocprim17ROCPRIM_400000_NS6detail17trampoline_kernelINS0_14default_configENS1_35radix_sort_onesweep_config_selectorIfNS0_10empty_typeEEEZNS1_34radix_sort_onesweep_global_offsetsIS3_Lb0EN6thrust23THRUST_200600_302600_NS6detail15normal_iteratorINS9_10device_ptrIfEEEEPS5_jNS0_19identity_decomposerEEE10hipError_tT1_T2_PT3_SK_jT4_jjP12ihipStream_tbEUlT_E0_NS1_11comp_targetILNS1_3genE8ELNS1_11target_archE1030ELNS1_3gpuE2ELNS1_3repE0EEENS1_52radix_sort_onesweep_histogram_config_static_selectorELNS0_4arch9wavefront6targetE1EEEvSI_
; %bb.0:
	.section	.rodata,"a",@progbits
	.p2align	6, 0x0
	.amdhsa_kernel _ZN7rocprim17ROCPRIM_400000_NS6detail17trampoline_kernelINS0_14default_configENS1_35radix_sort_onesweep_config_selectorIfNS0_10empty_typeEEEZNS1_34radix_sort_onesweep_global_offsetsIS3_Lb0EN6thrust23THRUST_200600_302600_NS6detail15normal_iteratorINS9_10device_ptrIfEEEEPS5_jNS0_19identity_decomposerEEE10hipError_tT1_T2_PT3_SK_jT4_jjP12ihipStream_tbEUlT_E0_NS1_11comp_targetILNS1_3genE8ELNS1_11target_archE1030ELNS1_3gpuE2ELNS1_3repE0EEENS1_52radix_sort_onesweep_histogram_config_static_selectorELNS0_4arch9wavefront6targetE1EEEvSI_
		.amdhsa_group_segment_fixed_size 0
		.amdhsa_private_segment_fixed_size 0
		.amdhsa_kernarg_size 8
		.amdhsa_user_sgpr_count 2
		.amdhsa_user_sgpr_dispatch_ptr 0
		.amdhsa_user_sgpr_queue_ptr 0
		.amdhsa_user_sgpr_kernarg_segment_ptr 1
		.amdhsa_user_sgpr_dispatch_id 0
		.amdhsa_user_sgpr_kernarg_preload_length 0
		.amdhsa_user_sgpr_kernarg_preload_offset 0
		.amdhsa_user_sgpr_private_segment_size 0
		.amdhsa_uses_dynamic_stack 0
		.amdhsa_enable_private_segment 0
		.amdhsa_system_sgpr_workgroup_id_x 1
		.amdhsa_system_sgpr_workgroup_id_y 0
		.amdhsa_system_sgpr_workgroup_id_z 0
		.amdhsa_system_sgpr_workgroup_info 0
		.amdhsa_system_vgpr_workitem_id 0
		.amdhsa_next_free_vgpr 1
		.amdhsa_next_free_sgpr 0
		.amdhsa_accum_offset 4
		.amdhsa_reserve_vcc 0
		.amdhsa_float_round_mode_32 0
		.amdhsa_float_round_mode_16_64 0
		.amdhsa_float_denorm_mode_32 3
		.amdhsa_float_denorm_mode_16_64 3
		.amdhsa_dx10_clamp 1
		.amdhsa_ieee_mode 1
		.amdhsa_fp16_overflow 0
		.amdhsa_tg_split 0
		.amdhsa_exception_fp_ieee_invalid_op 0
		.amdhsa_exception_fp_denorm_src 0
		.amdhsa_exception_fp_ieee_div_zero 0
		.amdhsa_exception_fp_ieee_overflow 0
		.amdhsa_exception_fp_ieee_underflow 0
		.amdhsa_exception_fp_ieee_inexact 0
		.amdhsa_exception_int_div_zero 0
	.end_amdhsa_kernel
	.section	.text._ZN7rocprim17ROCPRIM_400000_NS6detail17trampoline_kernelINS0_14default_configENS1_35radix_sort_onesweep_config_selectorIfNS0_10empty_typeEEEZNS1_34radix_sort_onesweep_global_offsetsIS3_Lb0EN6thrust23THRUST_200600_302600_NS6detail15normal_iteratorINS9_10device_ptrIfEEEEPS5_jNS0_19identity_decomposerEEE10hipError_tT1_T2_PT3_SK_jT4_jjP12ihipStream_tbEUlT_E0_NS1_11comp_targetILNS1_3genE8ELNS1_11target_archE1030ELNS1_3gpuE2ELNS1_3repE0EEENS1_52radix_sort_onesweep_histogram_config_static_selectorELNS0_4arch9wavefront6targetE1EEEvSI_,"axG",@progbits,_ZN7rocprim17ROCPRIM_400000_NS6detail17trampoline_kernelINS0_14default_configENS1_35radix_sort_onesweep_config_selectorIfNS0_10empty_typeEEEZNS1_34radix_sort_onesweep_global_offsetsIS3_Lb0EN6thrust23THRUST_200600_302600_NS6detail15normal_iteratorINS9_10device_ptrIfEEEEPS5_jNS0_19identity_decomposerEEE10hipError_tT1_T2_PT3_SK_jT4_jjP12ihipStream_tbEUlT_E0_NS1_11comp_targetILNS1_3genE8ELNS1_11target_archE1030ELNS1_3gpuE2ELNS1_3repE0EEENS1_52radix_sort_onesweep_histogram_config_static_selectorELNS0_4arch9wavefront6targetE1EEEvSI_,comdat
.Lfunc_end549:
	.size	_ZN7rocprim17ROCPRIM_400000_NS6detail17trampoline_kernelINS0_14default_configENS1_35radix_sort_onesweep_config_selectorIfNS0_10empty_typeEEEZNS1_34radix_sort_onesweep_global_offsetsIS3_Lb0EN6thrust23THRUST_200600_302600_NS6detail15normal_iteratorINS9_10device_ptrIfEEEEPS5_jNS0_19identity_decomposerEEE10hipError_tT1_T2_PT3_SK_jT4_jjP12ihipStream_tbEUlT_E0_NS1_11comp_targetILNS1_3genE8ELNS1_11target_archE1030ELNS1_3gpuE2ELNS1_3repE0EEENS1_52radix_sort_onesweep_histogram_config_static_selectorELNS0_4arch9wavefront6targetE1EEEvSI_, .Lfunc_end549-_ZN7rocprim17ROCPRIM_400000_NS6detail17trampoline_kernelINS0_14default_configENS1_35radix_sort_onesweep_config_selectorIfNS0_10empty_typeEEEZNS1_34radix_sort_onesweep_global_offsetsIS3_Lb0EN6thrust23THRUST_200600_302600_NS6detail15normal_iteratorINS9_10device_ptrIfEEEEPS5_jNS0_19identity_decomposerEEE10hipError_tT1_T2_PT3_SK_jT4_jjP12ihipStream_tbEUlT_E0_NS1_11comp_targetILNS1_3genE8ELNS1_11target_archE1030ELNS1_3gpuE2ELNS1_3repE0EEENS1_52radix_sort_onesweep_histogram_config_static_selectorELNS0_4arch9wavefront6targetE1EEEvSI_
                                        ; -- End function
	.set _ZN7rocprim17ROCPRIM_400000_NS6detail17trampoline_kernelINS0_14default_configENS1_35radix_sort_onesweep_config_selectorIfNS0_10empty_typeEEEZNS1_34radix_sort_onesweep_global_offsetsIS3_Lb0EN6thrust23THRUST_200600_302600_NS6detail15normal_iteratorINS9_10device_ptrIfEEEEPS5_jNS0_19identity_decomposerEEE10hipError_tT1_T2_PT3_SK_jT4_jjP12ihipStream_tbEUlT_E0_NS1_11comp_targetILNS1_3genE8ELNS1_11target_archE1030ELNS1_3gpuE2ELNS1_3repE0EEENS1_52radix_sort_onesweep_histogram_config_static_selectorELNS0_4arch9wavefront6targetE1EEEvSI_.num_vgpr, 0
	.set _ZN7rocprim17ROCPRIM_400000_NS6detail17trampoline_kernelINS0_14default_configENS1_35radix_sort_onesweep_config_selectorIfNS0_10empty_typeEEEZNS1_34radix_sort_onesweep_global_offsetsIS3_Lb0EN6thrust23THRUST_200600_302600_NS6detail15normal_iteratorINS9_10device_ptrIfEEEEPS5_jNS0_19identity_decomposerEEE10hipError_tT1_T2_PT3_SK_jT4_jjP12ihipStream_tbEUlT_E0_NS1_11comp_targetILNS1_3genE8ELNS1_11target_archE1030ELNS1_3gpuE2ELNS1_3repE0EEENS1_52radix_sort_onesweep_histogram_config_static_selectorELNS0_4arch9wavefront6targetE1EEEvSI_.num_agpr, 0
	.set _ZN7rocprim17ROCPRIM_400000_NS6detail17trampoline_kernelINS0_14default_configENS1_35radix_sort_onesweep_config_selectorIfNS0_10empty_typeEEEZNS1_34radix_sort_onesweep_global_offsetsIS3_Lb0EN6thrust23THRUST_200600_302600_NS6detail15normal_iteratorINS9_10device_ptrIfEEEEPS5_jNS0_19identity_decomposerEEE10hipError_tT1_T2_PT3_SK_jT4_jjP12ihipStream_tbEUlT_E0_NS1_11comp_targetILNS1_3genE8ELNS1_11target_archE1030ELNS1_3gpuE2ELNS1_3repE0EEENS1_52radix_sort_onesweep_histogram_config_static_selectorELNS0_4arch9wavefront6targetE1EEEvSI_.numbered_sgpr, 0
	.set _ZN7rocprim17ROCPRIM_400000_NS6detail17trampoline_kernelINS0_14default_configENS1_35radix_sort_onesweep_config_selectorIfNS0_10empty_typeEEEZNS1_34radix_sort_onesweep_global_offsetsIS3_Lb0EN6thrust23THRUST_200600_302600_NS6detail15normal_iteratorINS9_10device_ptrIfEEEEPS5_jNS0_19identity_decomposerEEE10hipError_tT1_T2_PT3_SK_jT4_jjP12ihipStream_tbEUlT_E0_NS1_11comp_targetILNS1_3genE8ELNS1_11target_archE1030ELNS1_3gpuE2ELNS1_3repE0EEENS1_52radix_sort_onesweep_histogram_config_static_selectorELNS0_4arch9wavefront6targetE1EEEvSI_.num_named_barrier, 0
	.set _ZN7rocprim17ROCPRIM_400000_NS6detail17trampoline_kernelINS0_14default_configENS1_35radix_sort_onesweep_config_selectorIfNS0_10empty_typeEEEZNS1_34radix_sort_onesweep_global_offsetsIS3_Lb0EN6thrust23THRUST_200600_302600_NS6detail15normal_iteratorINS9_10device_ptrIfEEEEPS5_jNS0_19identity_decomposerEEE10hipError_tT1_T2_PT3_SK_jT4_jjP12ihipStream_tbEUlT_E0_NS1_11comp_targetILNS1_3genE8ELNS1_11target_archE1030ELNS1_3gpuE2ELNS1_3repE0EEENS1_52radix_sort_onesweep_histogram_config_static_selectorELNS0_4arch9wavefront6targetE1EEEvSI_.private_seg_size, 0
	.set _ZN7rocprim17ROCPRIM_400000_NS6detail17trampoline_kernelINS0_14default_configENS1_35radix_sort_onesweep_config_selectorIfNS0_10empty_typeEEEZNS1_34radix_sort_onesweep_global_offsetsIS3_Lb0EN6thrust23THRUST_200600_302600_NS6detail15normal_iteratorINS9_10device_ptrIfEEEEPS5_jNS0_19identity_decomposerEEE10hipError_tT1_T2_PT3_SK_jT4_jjP12ihipStream_tbEUlT_E0_NS1_11comp_targetILNS1_3genE8ELNS1_11target_archE1030ELNS1_3gpuE2ELNS1_3repE0EEENS1_52radix_sort_onesweep_histogram_config_static_selectorELNS0_4arch9wavefront6targetE1EEEvSI_.uses_vcc, 0
	.set _ZN7rocprim17ROCPRIM_400000_NS6detail17trampoline_kernelINS0_14default_configENS1_35radix_sort_onesweep_config_selectorIfNS0_10empty_typeEEEZNS1_34radix_sort_onesweep_global_offsetsIS3_Lb0EN6thrust23THRUST_200600_302600_NS6detail15normal_iteratorINS9_10device_ptrIfEEEEPS5_jNS0_19identity_decomposerEEE10hipError_tT1_T2_PT3_SK_jT4_jjP12ihipStream_tbEUlT_E0_NS1_11comp_targetILNS1_3genE8ELNS1_11target_archE1030ELNS1_3gpuE2ELNS1_3repE0EEENS1_52radix_sort_onesweep_histogram_config_static_selectorELNS0_4arch9wavefront6targetE1EEEvSI_.uses_flat_scratch, 0
	.set _ZN7rocprim17ROCPRIM_400000_NS6detail17trampoline_kernelINS0_14default_configENS1_35radix_sort_onesweep_config_selectorIfNS0_10empty_typeEEEZNS1_34radix_sort_onesweep_global_offsetsIS3_Lb0EN6thrust23THRUST_200600_302600_NS6detail15normal_iteratorINS9_10device_ptrIfEEEEPS5_jNS0_19identity_decomposerEEE10hipError_tT1_T2_PT3_SK_jT4_jjP12ihipStream_tbEUlT_E0_NS1_11comp_targetILNS1_3genE8ELNS1_11target_archE1030ELNS1_3gpuE2ELNS1_3repE0EEENS1_52radix_sort_onesweep_histogram_config_static_selectorELNS0_4arch9wavefront6targetE1EEEvSI_.has_dyn_sized_stack, 0
	.set _ZN7rocprim17ROCPRIM_400000_NS6detail17trampoline_kernelINS0_14default_configENS1_35radix_sort_onesweep_config_selectorIfNS0_10empty_typeEEEZNS1_34radix_sort_onesweep_global_offsetsIS3_Lb0EN6thrust23THRUST_200600_302600_NS6detail15normal_iteratorINS9_10device_ptrIfEEEEPS5_jNS0_19identity_decomposerEEE10hipError_tT1_T2_PT3_SK_jT4_jjP12ihipStream_tbEUlT_E0_NS1_11comp_targetILNS1_3genE8ELNS1_11target_archE1030ELNS1_3gpuE2ELNS1_3repE0EEENS1_52radix_sort_onesweep_histogram_config_static_selectorELNS0_4arch9wavefront6targetE1EEEvSI_.has_recursion, 0
	.set _ZN7rocprim17ROCPRIM_400000_NS6detail17trampoline_kernelINS0_14default_configENS1_35radix_sort_onesweep_config_selectorIfNS0_10empty_typeEEEZNS1_34radix_sort_onesweep_global_offsetsIS3_Lb0EN6thrust23THRUST_200600_302600_NS6detail15normal_iteratorINS9_10device_ptrIfEEEEPS5_jNS0_19identity_decomposerEEE10hipError_tT1_T2_PT3_SK_jT4_jjP12ihipStream_tbEUlT_E0_NS1_11comp_targetILNS1_3genE8ELNS1_11target_archE1030ELNS1_3gpuE2ELNS1_3repE0EEENS1_52radix_sort_onesweep_histogram_config_static_selectorELNS0_4arch9wavefront6targetE1EEEvSI_.has_indirect_call, 0
	.section	.AMDGPU.csdata,"",@progbits
; Kernel info:
; codeLenInByte = 0
; TotalNumSgprs: 6
; NumVgprs: 0
; NumAgprs: 0
; TotalNumVgprs: 0
; ScratchSize: 0
; MemoryBound: 0
; FloatMode: 240
; IeeeMode: 1
; LDSByteSize: 0 bytes/workgroup (compile time only)
; SGPRBlocks: 0
; VGPRBlocks: 0
; NumSGPRsForWavesPerEU: 6
; NumVGPRsForWavesPerEU: 1
; AccumOffset: 4
; Occupancy: 8
; WaveLimiterHint : 0
; COMPUTE_PGM_RSRC2:SCRATCH_EN: 0
; COMPUTE_PGM_RSRC2:USER_SGPR: 2
; COMPUTE_PGM_RSRC2:TRAP_HANDLER: 0
; COMPUTE_PGM_RSRC2:TGID_X_EN: 1
; COMPUTE_PGM_RSRC2:TGID_Y_EN: 0
; COMPUTE_PGM_RSRC2:TGID_Z_EN: 0
; COMPUTE_PGM_RSRC2:TIDIG_COMP_CNT: 0
; COMPUTE_PGM_RSRC3_GFX90A:ACCUM_OFFSET: 0
; COMPUTE_PGM_RSRC3_GFX90A:TG_SPLIT: 0
	.section	.text._ZN7rocprim17ROCPRIM_400000_NS6detail17trampoline_kernelINS0_14default_configENS1_25transform_config_selectorIfLb0EEEZNS1_14transform_implILb0ES3_S5_N6thrust23THRUST_200600_302600_NS6detail15normal_iteratorINS8_10device_ptrIfEEEEPfNS0_8identityIfEEEE10hipError_tT2_T3_mT4_P12ihipStream_tbEUlT_E_NS1_11comp_targetILNS1_3genE0ELNS1_11target_archE4294967295ELNS1_3gpuE0ELNS1_3repE0EEENS1_30default_config_static_selectorELNS0_4arch9wavefront6targetE1EEEvT1_,"axG",@progbits,_ZN7rocprim17ROCPRIM_400000_NS6detail17trampoline_kernelINS0_14default_configENS1_25transform_config_selectorIfLb0EEEZNS1_14transform_implILb0ES3_S5_N6thrust23THRUST_200600_302600_NS6detail15normal_iteratorINS8_10device_ptrIfEEEEPfNS0_8identityIfEEEE10hipError_tT2_T3_mT4_P12ihipStream_tbEUlT_E_NS1_11comp_targetILNS1_3genE0ELNS1_11target_archE4294967295ELNS1_3gpuE0ELNS1_3repE0EEENS1_30default_config_static_selectorELNS0_4arch9wavefront6targetE1EEEvT1_,comdat
	.protected	_ZN7rocprim17ROCPRIM_400000_NS6detail17trampoline_kernelINS0_14default_configENS1_25transform_config_selectorIfLb0EEEZNS1_14transform_implILb0ES3_S5_N6thrust23THRUST_200600_302600_NS6detail15normal_iteratorINS8_10device_ptrIfEEEEPfNS0_8identityIfEEEE10hipError_tT2_T3_mT4_P12ihipStream_tbEUlT_E_NS1_11comp_targetILNS1_3genE0ELNS1_11target_archE4294967295ELNS1_3gpuE0ELNS1_3repE0EEENS1_30default_config_static_selectorELNS0_4arch9wavefront6targetE1EEEvT1_ ; -- Begin function _ZN7rocprim17ROCPRIM_400000_NS6detail17trampoline_kernelINS0_14default_configENS1_25transform_config_selectorIfLb0EEEZNS1_14transform_implILb0ES3_S5_N6thrust23THRUST_200600_302600_NS6detail15normal_iteratorINS8_10device_ptrIfEEEEPfNS0_8identityIfEEEE10hipError_tT2_T3_mT4_P12ihipStream_tbEUlT_E_NS1_11comp_targetILNS1_3genE0ELNS1_11target_archE4294967295ELNS1_3gpuE0ELNS1_3repE0EEENS1_30default_config_static_selectorELNS0_4arch9wavefront6targetE1EEEvT1_
	.globl	_ZN7rocprim17ROCPRIM_400000_NS6detail17trampoline_kernelINS0_14default_configENS1_25transform_config_selectorIfLb0EEEZNS1_14transform_implILb0ES3_S5_N6thrust23THRUST_200600_302600_NS6detail15normal_iteratorINS8_10device_ptrIfEEEEPfNS0_8identityIfEEEE10hipError_tT2_T3_mT4_P12ihipStream_tbEUlT_E_NS1_11comp_targetILNS1_3genE0ELNS1_11target_archE4294967295ELNS1_3gpuE0ELNS1_3repE0EEENS1_30default_config_static_selectorELNS0_4arch9wavefront6targetE1EEEvT1_
	.p2align	8
	.type	_ZN7rocprim17ROCPRIM_400000_NS6detail17trampoline_kernelINS0_14default_configENS1_25transform_config_selectorIfLb0EEEZNS1_14transform_implILb0ES3_S5_N6thrust23THRUST_200600_302600_NS6detail15normal_iteratorINS8_10device_ptrIfEEEEPfNS0_8identityIfEEEE10hipError_tT2_T3_mT4_P12ihipStream_tbEUlT_E_NS1_11comp_targetILNS1_3genE0ELNS1_11target_archE4294967295ELNS1_3gpuE0ELNS1_3repE0EEENS1_30default_config_static_selectorELNS0_4arch9wavefront6targetE1EEEvT1_,@function
_ZN7rocprim17ROCPRIM_400000_NS6detail17trampoline_kernelINS0_14default_configENS1_25transform_config_selectorIfLb0EEEZNS1_14transform_implILb0ES3_S5_N6thrust23THRUST_200600_302600_NS6detail15normal_iteratorINS8_10device_ptrIfEEEEPfNS0_8identityIfEEEE10hipError_tT2_T3_mT4_P12ihipStream_tbEUlT_E_NS1_11comp_targetILNS1_3genE0ELNS1_11target_archE4294967295ELNS1_3gpuE0ELNS1_3repE0EEENS1_30default_config_static_selectorELNS0_4arch9wavefront6targetE1EEEvT1_: ; @_ZN7rocprim17ROCPRIM_400000_NS6detail17trampoline_kernelINS0_14default_configENS1_25transform_config_selectorIfLb0EEEZNS1_14transform_implILb0ES3_S5_N6thrust23THRUST_200600_302600_NS6detail15normal_iteratorINS8_10device_ptrIfEEEEPfNS0_8identityIfEEEE10hipError_tT2_T3_mT4_P12ihipStream_tbEUlT_E_NS1_11comp_targetILNS1_3genE0ELNS1_11target_archE4294967295ELNS1_3gpuE0ELNS1_3repE0EEENS1_30default_config_static_selectorELNS0_4arch9wavefront6targetE1EEEvT1_
; %bb.0:
	s_load_dwordx8 s[4:11], s[0:1], 0x0
	s_load_dword s3, s[0:1], 0x28
	s_waitcnt lgkmcnt(0)
	s_lshl_b64 s[0:1], s[6:7], 2
	s_add_u32 s4, s4, s0
	s_addc_u32 s5, s5, s1
	s_add_u32 s9, s10, s0
	s_addc_u32 s12, s11, s1
	s_lshl_b32 s0, s2, 8
	s_mov_b32 s1, 0
	s_add_i32 s3, s3, -1
	s_lshl_b64 s[6:7], s[0:1], 2
	s_add_u32 s10, s4, s6
	s_addc_u32 s11, s5, s7
	s_cmp_lg_u32 s2, s3
	s_cbranch_scc0 .LBB550_2
; %bb.1:
	v_lshlrev_b32_e32 v2, 2, v0
	v_mov_b32_e32 v3, 0
	v_lshl_add_u64 v[4:5], s[10:11], 0, v[2:3]
	flat_load_dword v6, v[4:5]
	flat_load_dword v1, v[4:5] offset:512
	s_add_u32 s4, s9, s6
	s_addc_u32 s5, s12, s7
	v_lshl_add_u64 v[4:5], s[4:5], 0, v[2:3]
	s_waitcnt vmcnt(0) lgkmcnt(0)
	global_store_dword v2, v6, s[4:5]
	s_mov_b64 s[4:5], -1
	s_cbranch_execz .LBB550_3
	s_branch .LBB550_12
.LBB550_2:
	s_mov_b64 s[4:5], 0
                                        ; implicit-def: $vgpr1
                                        ; implicit-def: $vgpr4_vgpr5
.LBB550_3:
	s_sub_i32 s2, s8, s0
	v_mov_b32_e32 v2, 0
	v_cmp_gt_u32_e32 vcc, s2, v0
	v_mov_b32_e32 v3, v2
	s_and_saveexec_b64 s[0:1], vcc
	s_cbranch_execz .LBB550_5
; %bb.4:
	v_lshlrev_b32_e32 v4, 2, v0
	v_mov_b32_e32 v5, v2
	v_lshl_add_u64 v[4:5], s[10:11], 0, v[4:5]
	flat_load_dword v4, v[4:5]
	v_mov_b32_e32 v5, v2
	s_waitcnt vmcnt(0) lgkmcnt(0)
	v_mov_b64_e32 v[2:3], v[4:5]
.LBB550_5:
	s_or_b64 exec, exec, s[0:1]
	v_or_b32_e32 v1, 0x80, v0
	v_cmp_gt_u32_e64 s[0:1], s2, v1
	v_cmp_le_u32_e64 s[2:3], s2, v1
	s_and_saveexec_b64 s[14:15], s[2:3]
	s_xor_b64 s[2:3], exec, s[14:15]
	s_andn2_saveexec_b64 s[2:3], s[2:3]
	s_cbranch_execz .LBB550_7
; %bb.6:
	v_lshlrev_b32_e32 v4, 2, v0
	v_mov_b32_e32 v5, 0
	v_lshl_add_u64 v[4:5], s[10:11], 0, v[4:5]
	flat_load_dword v3, v[4:5] offset:512
.LBB550_7:
	s_or_b64 exec, exec, s[2:3]
	s_add_u32 s2, s9, s6
	v_mov_b32_e32 v5, 0
	s_addc_u32 s3, s12, s7
	v_lshlrev_b32_e32 v4, 2, v0
	v_cndmask_b32_e32 v1, 0, v2, vcc
	v_lshl_add_u64 v[4:5], s[2:3], 0, v[4:5]
	s_and_saveexec_b64 s[2:3], vcc
	s_cbranch_execz .LBB550_9
; %bb.8:
	global_store_dword v[4:5], v1, off
.LBB550_9:
	s_or_b64 exec, exec, s[2:3]
                                        ; implicit-def: $vgpr1
	s_and_saveexec_b64 s[2:3], s[0:1]
	s_cbranch_execz .LBB550_11
; %bb.10:
	s_waitcnt vmcnt(0) lgkmcnt(0)
	v_cndmask_b32_e64 v1, 0, v3, s[0:1]
	s_or_b64 s[4:5], s[4:5], exec
.LBB550_11:
	s_or_b64 exec, exec, s[2:3]
.LBB550_12:
	s_and_saveexec_b64 s[0:1], s[4:5]
	s_cbranch_execnz .LBB550_14
; %bb.13:
	s_endpgm
.LBB550_14:
	global_store_dword v[4:5], v1, off offset:512
	s_endpgm
	.section	.rodata,"a",@progbits
	.p2align	6, 0x0
	.amdhsa_kernel _ZN7rocprim17ROCPRIM_400000_NS6detail17trampoline_kernelINS0_14default_configENS1_25transform_config_selectorIfLb0EEEZNS1_14transform_implILb0ES3_S5_N6thrust23THRUST_200600_302600_NS6detail15normal_iteratorINS8_10device_ptrIfEEEEPfNS0_8identityIfEEEE10hipError_tT2_T3_mT4_P12ihipStream_tbEUlT_E_NS1_11comp_targetILNS1_3genE0ELNS1_11target_archE4294967295ELNS1_3gpuE0ELNS1_3repE0EEENS1_30default_config_static_selectorELNS0_4arch9wavefront6targetE1EEEvT1_
		.amdhsa_group_segment_fixed_size 0
		.amdhsa_private_segment_fixed_size 0
		.amdhsa_kernarg_size 296
		.amdhsa_user_sgpr_count 2
		.amdhsa_user_sgpr_dispatch_ptr 0
		.amdhsa_user_sgpr_queue_ptr 0
		.amdhsa_user_sgpr_kernarg_segment_ptr 1
		.amdhsa_user_sgpr_dispatch_id 0
		.amdhsa_user_sgpr_kernarg_preload_length 0
		.amdhsa_user_sgpr_kernarg_preload_offset 0
		.amdhsa_user_sgpr_private_segment_size 0
		.amdhsa_uses_dynamic_stack 0
		.amdhsa_enable_private_segment 0
		.amdhsa_system_sgpr_workgroup_id_x 1
		.amdhsa_system_sgpr_workgroup_id_y 0
		.amdhsa_system_sgpr_workgroup_id_z 0
		.amdhsa_system_sgpr_workgroup_info 0
		.amdhsa_system_vgpr_workitem_id 0
		.amdhsa_next_free_vgpr 7
		.amdhsa_next_free_sgpr 16
		.amdhsa_accum_offset 8
		.amdhsa_reserve_vcc 1
		.amdhsa_float_round_mode_32 0
		.amdhsa_float_round_mode_16_64 0
		.amdhsa_float_denorm_mode_32 3
		.amdhsa_float_denorm_mode_16_64 3
		.amdhsa_dx10_clamp 1
		.amdhsa_ieee_mode 1
		.amdhsa_fp16_overflow 0
		.amdhsa_tg_split 0
		.amdhsa_exception_fp_ieee_invalid_op 0
		.amdhsa_exception_fp_denorm_src 0
		.amdhsa_exception_fp_ieee_div_zero 0
		.amdhsa_exception_fp_ieee_overflow 0
		.amdhsa_exception_fp_ieee_underflow 0
		.amdhsa_exception_fp_ieee_inexact 0
		.amdhsa_exception_int_div_zero 0
	.end_amdhsa_kernel
	.section	.text._ZN7rocprim17ROCPRIM_400000_NS6detail17trampoline_kernelINS0_14default_configENS1_25transform_config_selectorIfLb0EEEZNS1_14transform_implILb0ES3_S5_N6thrust23THRUST_200600_302600_NS6detail15normal_iteratorINS8_10device_ptrIfEEEEPfNS0_8identityIfEEEE10hipError_tT2_T3_mT4_P12ihipStream_tbEUlT_E_NS1_11comp_targetILNS1_3genE0ELNS1_11target_archE4294967295ELNS1_3gpuE0ELNS1_3repE0EEENS1_30default_config_static_selectorELNS0_4arch9wavefront6targetE1EEEvT1_,"axG",@progbits,_ZN7rocprim17ROCPRIM_400000_NS6detail17trampoline_kernelINS0_14default_configENS1_25transform_config_selectorIfLb0EEEZNS1_14transform_implILb0ES3_S5_N6thrust23THRUST_200600_302600_NS6detail15normal_iteratorINS8_10device_ptrIfEEEEPfNS0_8identityIfEEEE10hipError_tT2_T3_mT4_P12ihipStream_tbEUlT_E_NS1_11comp_targetILNS1_3genE0ELNS1_11target_archE4294967295ELNS1_3gpuE0ELNS1_3repE0EEENS1_30default_config_static_selectorELNS0_4arch9wavefront6targetE1EEEvT1_,comdat
.Lfunc_end550:
	.size	_ZN7rocprim17ROCPRIM_400000_NS6detail17trampoline_kernelINS0_14default_configENS1_25transform_config_selectorIfLb0EEEZNS1_14transform_implILb0ES3_S5_N6thrust23THRUST_200600_302600_NS6detail15normal_iteratorINS8_10device_ptrIfEEEEPfNS0_8identityIfEEEE10hipError_tT2_T3_mT4_P12ihipStream_tbEUlT_E_NS1_11comp_targetILNS1_3genE0ELNS1_11target_archE4294967295ELNS1_3gpuE0ELNS1_3repE0EEENS1_30default_config_static_selectorELNS0_4arch9wavefront6targetE1EEEvT1_, .Lfunc_end550-_ZN7rocprim17ROCPRIM_400000_NS6detail17trampoline_kernelINS0_14default_configENS1_25transform_config_selectorIfLb0EEEZNS1_14transform_implILb0ES3_S5_N6thrust23THRUST_200600_302600_NS6detail15normal_iteratorINS8_10device_ptrIfEEEEPfNS0_8identityIfEEEE10hipError_tT2_T3_mT4_P12ihipStream_tbEUlT_E_NS1_11comp_targetILNS1_3genE0ELNS1_11target_archE4294967295ELNS1_3gpuE0ELNS1_3repE0EEENS1_30default_config_static_selectorELNS0_4arch9wavefront6targetE1EEEvT1_
                                        ; -- End function
	.set _ZN7rocprim17ROCPRIM_400000_NS6detail17trampoline_kernelINS0_14default_configENS1_25transform_config_selectorIfLb0EEEZNS1_14transform_implILb0ES3_S5_N6thrust23THRUST_200600_302600_NS6detail15normal_iteratorINS8_10device_ptrIfEEEEPfNS0_8identityIfEEEE10hipError_tT2_T3_mT4_P12ihipStream_tbEUlT_E_NS1_11comp_targetILNS1_3genE0ELNS1_11target_archE4294967295ELNS1_3gpuE0ELNS1_3repE0EEENS1_30default_config_static_selectorELNS0_4arch9wavefront6targetE1EEEvT1_.num_vgpr, 7
	.set _ZN7rocprim17ROCPRIM_400000_NS6detail17trampoline_kernelINS0_14default_configENS1_25transform_config_selectorIfLb0EEEZNS1_14transform_implILb0ES3_S5_N6thrust23THRUST_200600_302600_NS6detail15normal_iteratorINS8_10device_ptrIfEEEEPfNS0_8identityIfEEEE10hipError_tT2_T3_mT4_P12ihipStream_tbEUlT_E_NS1_11comp_targetILNS1_3genE0ELNS1_11target_archE4294967295ELNS1_3gpuE0ELNS1_3repE0EEENS1_30default_config_static_selectorELNS0_4arch9wavefront6targetE1EEEvT1_.num_agpr, 0
	.set _ZN7rocprim17ROCPRIM_400000_NS6detail17trampoline_kernelINS0_14default_configENS1_25transform_config_selectorIfLb0EEEZNS1_14transform_implILb0ES3_S5_N6thrust23THRUST_200600_302600_NS6detail15normal_iteratorINS8_10device_ptrIfEEEEPfNS0_8identityIfEEEE10hipError_tT2_T3_mT4_P12ihipStream_tbEUlT_E_NS1_11comp_targetILNS1_3genE0ELNS1_11target_archE4294967295ELNS1_3gpuE0ELNS1_3repE0EEENS1_30default_config_static_selectorELNS0_4arch9wavefront6targetE1EEEvT1_.numbered_sgpr, 16
	.set _ZN7rocprim17ROCPRIM_400000_NS6detail17trampoline_kernelINS0_14default_configENS1_25transform_config_selectorIfLb0EEEZNS1_14transform_implILb0ES3_S5_N6thrust23THRUST_200600_302600_NS6detail15normal_iteratorINS8_10device_ptrIfEEEEPfNS0_8identityIfEEEE10hipError_tT2_T3_mT4_P12ihipStream_tbEUlT_E_NS1_11comp_targetILNS1_3genE0ELNS1_11target_archE4294967295ELNS1_3gpuE0ELNS1_3repE0EEENS1_30default_config_static_selectorELNS0_4arch9wavefront6targetE1EEEvT1_.num_named_barrier, 0
	.set _ZN7rocprim17ROCPRIM_400000_NS6detail17trampoline_kernelINS0_14default_configENS1_25transform_config_selectorIfLb0EEEZNS1_14transform_implILb0ES3_S5_N6thrust23THRUST_200600_302600_NS6detail15normal_iteratorINS8_10device_ptrIfEEEEPfNS0_8identityIfEEEE10hipError_tT2_T3_mT4_P12ihipStream_tbEUlT_E_NS1_11comp_targetILNS1_3genE0ELNS1_11target_archE4294967295ELNS1_3gpuE0ELNS1_3repE0EEENS1_30default_config_static_selectorELNS0_4arch9wavefront6targetE1EEEvT1_.private_seg_size, 0
	.set _ZN7rocprim17ROCPRIM_400000_NS6detail17trampoline_kernelINS0_14default_configENS1_25transform_config_selectorIfLb0EEEZNS1_14transform_implILb0ES3_S5_N6thrust23THRUST_200600_302600_NS6detail15normal_iteratorINS8_10device_ptrIfEEEEPfNS0_8identityIfEEEE10hipError_tT2_T3_mT4_P12ihipStream_tbEUlT_E_NS1_11comp_targetILNS1_3genE0ELNS1_11target_archE4294967295ELNS1_3gpuE0ELNS1_3repE0EEENS1_30default_config_static_selectorELNS0_4arch9wavefront6targetE1EEEvT1_.uses_vcc, 1
	.set _ZN7rocprim17ROCPRIM_400000_NS6detail17trampoline_kernelINS0_14default_configENS1_25transform_config_selectorIfLb0EEEZNS1_14transform_implILb0ES3_S5_N6thrust23THRUST_200600_302600_NS6detail15normal_iteratorINS8_10device_ptrIfEEEEPfNS0_8identityIfEEEE10hipError_tT2_T3_mT4_P12ihipStream_tbEUlT_E_NS1_11comp_targetILNS1_3genE0ELNS1_11target_archE4294967295ELNS1_3gpuE0ELNS1_3repE0EEENS1_30default_config_static_selectorELNS0_4arch9wavefront6targetE1EEEvT1_.uses_flat_scratch, 0
	.set _ZN7rocprim17ROCPRIM_400000_NS6detail17trampoline_kernelINS0_14default_configENS1_25transform_config_selectorIfLb0EEEZNS1_14transform_implILb0ES3_S5_N6thrust23THRUST_200600_302600_NS6detail15normal_iteratorINS8_10device_ptrIfEEEEPfNS0_8identityIfEEEE10hipError_tT2_T3_mT4_P12ihipStream_tbEUlT_E_NS1_11comp_targetILNS1_3genE0ELNS1_11target_archE4294967295ELNS1_3gpuE0ELNS1_3repE0EEENS1_30default_config_static_selectorELNS0_4arch9wavefront6targetE1EEEvT1_.has_dyn_sized_stack, 0
	.set _ZN7rocprim17ROCPRIM_400000_NS6detail17trampoline_kernelINS0_14default_configENS1_25transform_config_selectorIfLb0EEEZNS1_14transform_implILb0ES3_S5_N6thrust23THRUST_200600_302600_NS6detail15normal_iteratorINS8_10device_ptrIfEEEEPfNS0_8identityIfEEEE10hipError_tT2_T3_mT4_P12ihipStream_tbEUlT_E_NS1_11comp_targetILNS1_3genE0ELNS1_11target_archE4294967295ELNS1_3gpuE0ELNS1_3repE0EEENS1_30default_config_static_selectorELNS0_4arch9wavefront6targetE1EEEvT1_.has_recursion, 0
	.set _ZN7rocprim17ROCPRIM_400000_NS6detail17trampoline_kernelINS0_14default_configENS1_25transform_config_selectorIfLb0EEEZNS1_14transform_implILb0ES3_S5_N6thrust23THRUST_200600_302600_NS6detail15normal_iteratorINS8_10device_ptrIfEEEEPfNS0_8identityIfEEEE10hipError_tT2_T3_mT4_P12ihipStream_tbEUlT_E_NS1_11comp_targetILNS1_3genE0ELNS1_11target_archE4294967295ELNS1_3gpuE0ELNS1_3repE0EEENS1_30default_config_static_selectorELNS0_4arch9wavefront6targetE1EEEvT1_.has_indirect_call, 0
	.section	.AMDGPU.csdata,"",@progbits
; Kernel info:
; codeLenInByte = 380
; TotalNumSgprs: 22
; NumVgprs: 7
; NumAgprs: 0
; TotalNumVgprs: 7
; ScratchSize: 0
; MemoryBound: 0
; FloatMode: 240
; IeeeMode: 1
; LDSByteSize: 0 bytes/workgroup (compile time only)
; SGPRBlocks: 2
; VGPRBlocks: 0
; NumSGPRsForWavesPerEU: 22
; NumVGPRsForWavesPerEU: 7
; AccumOffset: 8
; Occupancy: 8
; WaveLimiterHint : 1
; COMPUTE_PGM_RSRC2:SCRATCH_EN: 0
; COMPUTE_PGM_RSRC2:USER_SGPR: 2
; COMPUTE_PGM_RSRC2:TRAP_HANDLER: 0
; COMPUTE_PGM_RSRC2:TGID_X_EN: 1
; COMPUTE_PGM_RSRC2:TGID_Y_EN: 0
; COMPUTE_PGM_RSRC2:TGID_Z_EN: 0
; COMPUTE_PGM_RSRC2:TIDIG_COMP_CNT: 0
; COMPUTE_PGM_RSRC3_GFX90A:ACCUM_OFFSET: 1
; COMPUTE_PGM_RSRC3_GFX90A:TG_SPLIT: 0
	.section	.text._ZN7rocprim17ROCPRIM_400000_NS6detail17trampoline_kernelINS0_14default_configENS1_25transform_config_selectorIfLb0EEEZNS1_14transform_implILb0ES3_S5_N6thrust23THRUST_200600_302600_NS6detail15normal_iteratorINS8_10device_ptrIfEEEEPfNS0_8identityIfEEEE10hipError_tT2_T3_mT4_P12ihipStream_tbEUlT_E_NS1_11comp_targetILNS1_3genE5ELNS1_11target_archE942ELNS1_3gpuE9ELNS1_3repE0EEENS1_30default_config_static_selectorELNS0_4arch9wavefront6targetE1EEEvT1_,"axG",@progbits,_ZN7rocprim17ROCPRIM_400000_NS6detail17trampoline_kernelINS0_14default_configENS1_25transform_config_selectorIfLb0EEEZNS1_14transform_implILb0ES3_S5_N6thrust23THRUST_200600_302600_NS6detail15normal_iteratorINS8_10device_ptrIfEEEEPfNS0_8identityIfEEEE10hipError_tT2_T3_mT4_P12ihipStream_tbEUlT_E_NS1_11comp_targetILNS1_3genE5ELNS1_11target_archE942ELNS1_3gpuE9ELNS1_3repE0EEENS1_30default_config_static_selectorELNS0_4arch9wavefront6targetE1EEEvT1_,comdat
	.protected	_ZN7rocprim17ROCPRIM_400000_NS6detail17trampoline_kernelINS0_14default_configENS1_25transform_config_selectorIfLb0EEEZNS1_14transform_implILb0ES3_S5_N6thrust23THRUST_200600_302600_NS6detail15normal_iteratorINS8_10device_ptrIfEEEEPfNS0_8identityIfEEEE10hipError_tT2_T3_mT4_P12ihipStream_tbEUlT_E_NS1_11comp_targetILNS1_3genE5ELNS1_11target_archE942ELNS1_3gpuE9ELNS1_3repE0EEENS1_30default_config_static_selectorELNS0_4arch9wavefront6targetE1EEEvT1_ ; -- Begin function _ZN7rocprim17ROCPRIM_400000_NS6detail17trampoline_kernelINS0_14default_configENS1_25transform_config_selectorIfLb0EEEZNS1_14transform_implILb0ES3_S5_N6thrust23THRUST_200600_302600_NS6detail15normal_iteratorINS8_10device_ptrIfEEEEPfNS0_8identityIfEEEE10hipError_tT2_T3_mT4_P12ihipStream_tbEUlT_E_NS1_11comp_targetILNS1_3genE5ELNS1_11target_archE942ELNS1_3gpuE9ELNS1_3repE0EEENS1_30default_config_static_selectorELNS0_4arch9wavefront6targetE1EEEvT1_
	.globl	_ZN7rocprim17ROCPRIM_400000_NS6detail17trampoline_kernelINS0_14default_configENS1_25transform_config_selectorIfLb0EEEZNS1_14transform_implILb0ES3_S5_N6thrust23THRUST_200600_302600_NS6detail15normal_iteratorINS8_10device_ptrIfEEEEPfNS0_8identityIfEEEE10hipError_tT2_T3_mT4_P12ihipStream_tbEUlT_E_NS1_11comp_targetILNS1_3genE5ELNS1_11target_archE942ELNS1_3gpuE9ELNS1_3repE0EEENS1_30default_config_static_selectorELNS0_4arch9wavefront6targetE1EEEvT1_
	.p2align	8
	.type	_ZN7rocprim17ROCPRIM_400000_NS6detail17trampoline_kernelINS0_14default_configENS1_25transform_config_selectorIfLb0EEEZNS1_14transform_implILb0ES3_S5_N6thrust23THRUST_200600_302600_NS6detail15normal_iteratorINS8_10device_ptrIfEEEEPfNS0_8identityIfEEEE10hipError_tT2_T3_mT4_P12ihipStream_tbEUlT_E_NS1_11comp_targetILNS1_3genE5ELNS1_11target_archE942ELNS1_3gpuE9ELNS1_3repE0EEENS1_30default_config_static_selectorELNS0_4arch9wavefront6targetE1EEEvT1_,@function
_ZN7rocprim17ROCPRIM_400000_NS6detail17trampoline_kernelINS0_14default_configENS1_25transform_config_selectorIfLb0EEEZNS1_14transform_implILb0ES3_S5_N6thrust23THRUST_200600_302600_NS6detail15normal_iteratorINS8_10device_ptrIfEEEEPfNS0_8identityIfEEEE10hipError_tT2_T3_mT4_P12ihipStream_tbEUlT_E_NS1_11comp_targetILNS1_3genE5ELNS1_11target_archE942ELNS1_3gpuE9ELNS1_3repE0EEENS1_30default_config_static_selectorELNS0_4arch9wavefront6targetE1EEEvT1_: ; @_ZN7rocprim17ROCPRIM_400000_NS6detail17trampoline_kernelINS0_14default_configENS1_25transform_config_selectorIfLb0EEEZNS1_14transform_implILb0ES3_S5_N6thrust23THRUST_200600_302600_NS6detail15normal_iteratorINS8_10device_ptrIfEEEEPfNS0_8identityIfEEEE10hipError_tT2_T3_mT4_P12ihipStream_tbEUlT_E_NS1_11comp_targetILNS1_3genE5ELNS1_11target_archE942ELNS1_3gpuE9ELNS1_3repE0EEENS1_30default_config_static_selectorELNS0_4arch9wavefront6targetE1EEEvT1_
; %bb.0:
	.section	.rodata,"a",@progbits
	.p2align	6, 0x0
	.amdhsa_kernel _ZN7rocprim17ROCPRIM_400000_NS6detail17trampoline_kernelINS0_14default_configENS1_25transform_config_selectorIfLb0EEEZNS1_14transform_implILb0ES3_S5_N6thrust23THRUST_200600_302600_NS6detail15normal_iteratorINS8_10device_ptrIfEEEEPfNS0_8identityIfEEEE10hipError_tT2_T3_mT4_P12ihipStream_tbEUlT_E_NS1_11comp_targetILNS1_3genE5ELNS1_11target_archE942ELNS1_3gpuE9ELNS1_3repE0EEENS1_30default_config_static_selectorELNS0_4arch9wavefront6targetE1EEEvT1_
		.amdhsa_group_segment_fixed_size 0
		.amdhsa_private_segment_fixed_size 0
		.amdhsa_kernarg_size 40
		.amdhsa_user_sgpr_count 2
		.amdhsa_user_sgpr_dispatch_ptr 0
		.amdhsa_user_sgpr_queue_ptr 0
		.amdhsa_user_sgpr_kernarg_segment_ptr 1
		.amdhsa_user_sgpr_dispatch_id 0
		.amdhsa_user_sgpr_kernarg_preload_length 0
		.amdhsa_user_sgpr_kernarg_preload_offset 0
		.amdhsa_user_sgpr_private_segment_size 0
		.amdhsa_uses_dynamic_stack 0
		.amdhsa_enable_private_segment 0
		.amdhsa_system_sgpr_workgroup_id_x 1
		.amdhsa_system_sgpr_workgroup_id_y 0
		.amdhsa_system_sgpr_workgroup_id_z 0
		.amdhsa_system_sgpr_workgroup_info 0
		.amdhsa_system_vgpr_workitem_id 0
		.amdhsa_next_free_vgpr 1
		.amdhsa_next_free_sgpr 0
		.amdhsa_accum_offset 4
		.amdhsa_reserve_vcc 0
		.amdhsa_float_round_mode_32 0
		.amdhsa_float_round_mode_16_64 0
		.amdhsa_float_denorm_mode_32 3
		.amdhsa_float_denorm_mode_16_64 3
		.amdhsa_dx10_clamp 1
		.amdhsa_ieee_mode 1
		.amdhsa_fp16_overflow 0
		.amdhsa_tg_split 0
		.amdhsa_exception_fp_ieee_invalid_op 0
		.amdhsa_exception_fp_denorm_src 0
		.amdhsa_exception_fp_ieee_div_zero 0
		.amdhsa_exception_fp_ieee_overflow 0
		.amdhsa_exception_fp_ieee_underflow 0
		.amdhsa_exception_fp_ieee_inexact 0
		.amdhsa_exception_int_div_zero 0
	.end_amdhsa_kernel
	.section	.text._ZN7rocprim17ROCPRIM_400000_NS6detail17trampoline_kernelINS0_14default_configENS1_25transform_config_selectorIfLb0EEEZNS1_14transform_implILb0ES3_S5_N6thrust23THRUST_200600_302600_NS6detail15normal_iteratorINS8_10device_ptrIfEEEEPfNS0_8identityIfEEEE10hipError_tT2_T3_mT4_P12ihipStream_tbEUlT_E_NS1_11comp_targetILNS1_3genE5ELNS1_11target_archE942ELNS1_3gpuE9ELNS1_3repE0EEENS1_30default_config_static_selectorELNS0_4arch9wavefront6targetE1EEEvT1_,"axG",@progbits,_ZN7rocprim17ROCPRIM_400000_NS6detail17trampoline_kernelINS0_14default_configENS1_25transform_config_selectorIfLb0EEEZNS1_14transform_implILb0ES3_S5_N6thrust23THRUST_200600_302600_NS6detail15normal_iteratorINS8_10device_ptrIfEEEEPfNS0_8identityIfEEEE10hipError_tT2_T3_mT4_P12ihipStream_tbEUlT_E_NS1_11comp_targetILNS1_3genE5ELNS1_11target_archE942ELNS1_3gpuE9ELNS1_3repE0EEENS1_30default_config_static_selectorELNS0_4arch9wavefront6targetE1EEEvT1_,comdat
.Lfunc_end551:
	.size	_ZN7rocprim17ROCPRIM_400000_NS6detail17trampoline_kernelINS0_14default_configENS1_25transform_config_selectorIfLb0EEEZNS1_14transform_implILb0ES3_S5_N6thrust23THRUST_200600_302600_NS6detail15normal_iteratorINS8_10device_ptrIfEEEEPfNS0_8identityIfEEEE10hipError_tT2_T3_mT4_P12ihipStream_tbEUlT_E_NS1_11comp_targetILNS1_3genE5ELNS1_11target_archE942ELNS1_3gpuE9ELNS1_3repE0EEENS1_30default_config_static_selectorELNS0_4arch9wavefront6targetE1EEEvT1_, .Lfunc_end551-_ZN7rocprim17ROCPRIM_400000_NS6detail17trampoline_kernelINS0_14default_configENS1_25transform_config_selectorIfLb0EEEZNS1_14transform_implILb0ES3_S5_N6thrust23THRUST_200600_302600_NS6detail15normal_iteratorINS8_10device_ptrIfEEEEPfNS0_8identityIfEEEE10hipError_tT2_T3_mT4_P12ihipStream_tbEUlT_E_NS1_11comp_targetILNS1_3genE5ELNS1_11target_archE942ELNS1_3gpuE9ELNS1_3repE0EEENS1_30default_config_static_selectorELNS0_4arch9wavefront6targetE1EEEvT1_
                                        ; -- End function
	.set _ZN7rocprim17ROCPRIM_400000_NS6detail17trampoline_kernelINS0_14default_configENS1_25transform_config_selectorIfLb0EEEZNS1_14transform_implILb0ES3_S5_N6thrust23THRUST_200600_302600_NS6detail15normal_iteratorINS8_10device_ptrIfEEEEPfNS0_8identityIfEEEE10hipError_tT2_T3_mT4_P12ihipStream_tbEUlT_E_NS1_11comp_targetILNS1_3genE5ELNS1_11target_archE942ELNS1_3gpuE9ELNS1_3repE0EEENS1_30default_config_static_selectorELNS0_4arch9wavefront6targetE1EEEvT1_.num_vgpr, 0
	.set _ZN7rocprim17ROCPRIM_400000_NS6detail17trampoline_kernelINS0_14default_configENS1_25transform_config_selectorIfLb0EEEZNS1_14transform_implILb0ES3_S5_N6thrust23THRUST_200600_302600_NS6detail15normal_iteratorINS8_10device_ptrIfEEEEPfNS0_8identityIfEEEE10hipError_tT2_T3_mT4_P12ihipStream_tbEUlT_E_NS1_11comp_targetILNS1_3genE5ELNS1_11target_archE942ELNS1_3gpuE9ELNS1_3repE0EEENS1_30default_config_static_selectorELNS0_4arch9wavefront6targetE1EEEvT1_.num_agpr, 0
	.set _ZN7rocprim17ROCPRIM_400000_NS6detail17trampoline_kernelINS0_14default_configENS1_25transform_config_selectorIfLb0EEEZNS1_14transform_implILb0ES3_S5_N6thrust23THRUST_200600_302600_NS6detail15normal_iteratorINS8_10device_ptrIfEEEEPfNS0_8identityIfEEEE10hipError_tT2_T3_mT4_P12ihipStream_tbEUlT_E_NS1_11comp_targetILNS1_3genE5ELNS1_11target_archE942ELNS1_3gpuE9ELNS1_3repE0EEENS1_30default_config_static_selectorELNS0_4arch9wavefront6targetE1EEEvT1_.numbered_sgpr, 0
	.set _ZN7rocprim17ROCPRIM_400000_NS6detail17trampoline_kernelINS0_14default_configENS1_25transform_config_selectorIfLb0EEEZNS1_14transform_implILb0ES3_S5_N6thrust23THRUST_200600_302600_NS6detail15normal_iteratorINS8_10device_ptrIfEEEEPfNS0_8identityIfEEEE10hipError_tT2_T3_mT4_P12ihipStream_tbEUlT_E_NS1_11comp_targetILNS1_3genE5ELNS1_11target_archE942ELNS1_3gpuE9ELNS1_3repE0EEENS1_30default_config_static_selectorELNS0_4arch9wavefront6targetE1EEEvT1_.num_named_barrier, 0
	.set _ZN7rocprim17ROCPRIM_400000_NS6detail17trampoline_kernelINS0_14default_configENS1_25transform_config_selectorIfLb0EEEZNS1_14transform_implILb0ES3_S5_N6thrust23THRUST_200600_302600_NS6detail15normal_iteratorINS8_10device_ptrIfEEEEPfNS0_8identityIfEEEE10hipError_tT2_T3_mT4_P12ihipStream_tbEUlT_E_NS1_11comp_targetILNS1_3genE5ELNS1_11target_archE942ELNS1_3gpuE9ELNS1_3repE0EEENS1_30default_config_static_selectorELNS0_4arch9wavefront6targetE1EEEvT1_.private_seg_size, 0
	.set _ZN7rocprim17ROCPRIM_400000_NS6detail17trampoline_kernelINS0_14default_configENS1_25transform_config_selectorIfLb0EEEZNS1_14transform_implILb0ES3_S5_N6thrust23THRUST_200600_302600_NS6detail15normal_iteratorINS8_10device_ptrIfEEEEPfNS0_8identityIfEEEE10hipError_tT2_T3_mT4_P12ihipStream_tbEUlT_E_NS1_11comp_targetILNS1_3genE5ELNS1_11target_archE942ELNS1_3gpuE9ELNS1_3repE0EEENS1_30default_config_static_selectorELNS0_4arch9wavefront6targetE1EEEvT1_.uses_vcc, 0
	.set _ZN7rocprim17ROCPRIM_400000_NS6detail17trampoline_kernelINS0_14default_configENS1_25transform_config_selectorIfLb0EEEZNS1_14transform_implILb0ES3_S5_N6thrust23THRUST_200600_302600_NS6detail15normal_iteratorINS8_10device_ptrIfEEEEPfNS0_8identityIfEEEE10hipError_tT2_T3_mT4_P12ihipStream_tbEUlT_E_NS1_11comp_targetILNS1_3genE5ELNS1_11target_archE942ELNS1_3gpuE9ELNS1_3repE0EEENS1_30default_config_static_selectorELNS0_4arch9wavefront6targetE1EEEvT1_.uses_flat_scratch, 0
	.set _ZN7rocprim17ROCPRIM_400000_NS6detail17trampoline_kernelINS0_14default_configENS1_25transform_config_selectorIfLb0EEEZNS1_14transform_implILb0ES3_S5_N6thrust23THRUST_200600_302600_NS6detail15normal_iteratorINS8_10device_ptrIfEEEEPfNS0_8identityIfEEEE10hipError_tT2_T3_mT4_P12ihipStream_tbEUlT_E_NS1_11comp_targetILNS1_3genE5ELNS1_11target_archE942ELNS1_3gpuE9ELNS1_3repE0EEENS1_30default_config_static_selectorELNS0_4arch9wavefront6targetE1EEEvT1_.has_dyn_sized_stack, 0
	.set _ZN7rocprim17ROCPRIM_400000_NS6detail17trampoline_kernelINS0_14default_configENS1_25transform_config_selectorIfLb0EEEZNS1_14transform_implILb0ES3_S5_N6thrust23THRUST_200600_302600_NS6detail15normal_iteratorINS8_10device_ptrIfEEEEPfNS0_8identityIfEEEE10hipError_tT2_T3_mT4_P12ihipStream_tbEUlT_E_NS1_11comp_targetILNS1_3genE5ELNS1_11target_archE942ELNS1_3gpuE9ELNS1_3repE0EEENS1_30default_config_static_selectorELNS0_4arch9wavefront6targetE1EEEvT1_.has_recursion, 0
	.set _ZN7rocprim17ROCPRIM_400000_NS6detail17trampoline_kernelINS0_14default_configENS1_25transform_config_selectorIfLb0EEEZNS1_14transform_implILb0ES3_S5_N6thrust23THRUST_200600_302600_NS6detail15normal_iteratorINS8_10device_ptrIfEEEEPfNS0_8identityIfEEEE10hipError_tT2_T3_mT4_P12ihipStream_tbEUlT_E_NS1_11comp_targetILNS1_3genE5ELNS1_11target_archE942ELNS1_3gpuE9ELNS1_3repE0EEENS1_30default_config_static_selectorELNS0_4arch9wavefront6targetE1EEEvT1_.has_indirect_call, 0
	.section	.AMDGPU.csdata,"",@progbits
; Kernel info:
; codeLenInByte = 0
; TotalNumSgprs: 6
; NumVgprs: 0
; NumAgprs: 0
; TotalNumVgprs: 0
; ScratchSize: 0
; MemoryBound: 0
; FloatMode: 240
; IeeeMode: 1
; LDSByteSize: 0 bytes/workgroup (compile time only)
; SGPRBlocks: 0
; VGPRBlocks: 0
; NumSGPRsForWavesPerEU: 6
; NumVGPRsForWavesPerEU: 1
; AccumOffset: 4
; Occupancy: 8
; WaveLimiterHint : 0
; COMPUTE_PGM_RSRC2:SCRATCH_EN: 0
; COMPUTE_PGM_RSRC2:USER_SGPR: 2
; COMPUTE_PGM_RSRC2:TRAP_HANDLER: 0
; COMPUTE_PGM_RSRC2:TGID_X_EN: 1
; COMPUTE_PGM_RSRC2:TGID_Y_EN: 0
; COMPUTE_PGM_RSRC2:TGID_Z_EN: 0
; COMPUTE_PGM_RSRC2:TIDIG_COMP_CNT: 0
; COMPUTE_PGM_RSRC3_GFX90A:ACCUM_OFFSET: 0
; COMPUTE_PGM_RSRC3_GFX90A:TG_SPLIT: 0
	.section	.text._ZN7rocprim17ROCPRIM_400000_NS6detail17trampoline_kernelINS0_14default_configENS1_25transform_config_selectorIfLb0EEEZNS1_14transform_implILb0ES3_S5_N6thrust23THRUST_200600_302600_NS6detail15normal_iteratorINS8_10device_ptrIfEEEEPfNS0_8identityIfEEEE10hipError_tT2_T3_mT4_P12ihipStream_tbEUlT_E_NS1_11comp_targetILNS1_3genE4ELNS1_11target_archE910ELNS1_3gpuE8ELNS1_3repE0EEENS1_30default_config_static_selectorELNS0_4arch9wavefront6targetE1EEEvT1_,"axG",@progbits,_ZN7rocprim17ROCPRIM_400000_NS6detail17trampoline_kernelINS0_14default_configENS1_25transform_config_selectorIfLb0EEEZNS1_14transform_implILb0ES3_S5_N6thrust23THRUST_200600_302600_NS6detail15normal_iteratorINS8_10device_ptrIfEEEEPfNS0_8identityIfEEEE10hipError_tT2_T3_mT4_P12ihipStream_tbEUlT_E_NS1_11comp_targetILNS1_3genE4ELNS1_11target_archE910ELNS1_3gpuE8ELNS1_3repE0EEENS1_30default_config_static_selectorELNS0_4arch9wavefront6targetE1EEEvT1_,comdat
	.protected	_ZN7rocprim17ROCPRIM_400000_NS6detail17trampoline_kernelINS0_14default_configENS1_25transform_config_selectorIfLb0EEEZNS1_14transform_implILb0ES3_S5_N6thrust23THRUST_200600_302600_NS6detail15normal_iteratorINS8_10device_ptrIfEEEEPfNS0_8identityIfEEEE10hipError_tT2_T3_mT4_P12ihipStream_tbEUlT_E_NS1_11comp_targetILNS1_3genE4ELNS1_11target_archE910ELNS1_3gpuE8ELNS1_3repE0EEENS1_30default_config_static_selectorELNS0_4arch9wavefront6targetE1EEEvT1_ ; -- Begin function _ZN7rocprim17ROCPRIM_400000_NS6detail17trampoline_kernelINS0_14default_configENS1_25transform_config_selectorIfLb0EEEZNS1_14transform_implILb0ES3_S5_N6thrust23THRUST_200600_302600_NS6detail15normal_iteratorINS8_10device_ptrIfEEEEPfNS0_8identityIfEEEE10hipError_tT2_T3_mT4_P12ihipStream_tbEUlT_E_NS1_11comp_targetILNS1_3genE4ELNS1_11target_archE910ELNS1_3gpuE8ELNS1_3repE0EEENS1_30default_config_static_selectorELNS0_4arch9wavefront6targetE1EEEvT1_
	.globl	_ZN7rocprim17ROCPRIM_400000_NS6detail17trampoline_kernelINS0_14default_configENS1_25transform_config_selectorIfLb0EEEZNS1_14transform_implILb0ES3_S5_N6thrust23THRUST_200600_302600_NS6detail15normal_iteratorINS8_10device_ptrIfEEEEPfNS0_8identityIfEEEE10hipError_tT2_T3_mT4_P12ihipStream_tbEUlT_E_NS1_11comp_targetILNS1_3genE4ELNS1_11target_archE910ELNS1_3gpuE8ELNS1_3repE0EEENS1_30default_config_static_selectorELNS0_4arch9wavefront6targetE1EEEvT1_
	.p2align	8
	.type	_ZN7rocprim17ROCPRIM_400000_NS6detail17trampoline_kernelINS0_14default_configENS1_25transform_config_selectorIfLb0EEEZNS1_14transform_implILb0ES3_S5_N6thrust23THRUST_200600_302600_NS6detail15normal_iteratorINS8_10device_ptrIfEEEEPfNS0_8identityIfEEEE10hipError_tT2_T3_mT4_P12ihipStream_tbEUlT_E_NS1_11comp_targetILNS1_3genE4ELNS1_11target_archE910ELNS1_3gpuE8ELNS1_3repE0EEENS1_30default_config_static_selectorELNS0_4arch9wavefront6targetE1EEEvT1_,@function
_ZN7rocprim17ROCPRIM_400000_NS6detail17trampoline_kernelINS0_14default_configENS1_25transform_config_selectorIfLb0EEEZNS1_14transform_implILb0ES3_S5_N6thrust23THRUST_200600_302600_NS6detail15normal_iteratorINS8_10device_ptrIfEEEEPfNS0_8identityIfEEEE10hipError_tT2_T3_mT4_P12ihipStream_tbEUlT_E_NS1_11comp_targetILNS1_3genE4ELNS1_11target_archE910ELNS1_3gpuE8ELNS1_3repE0EEENS1_30default_config_static_selectorELNS0_4arch9wavefront6targetE1EEEvT1_: ; @_ZN7rocprim17ROCPRIM_400000_NS6detail17trampoline_kernelINS0_14default_configENS1_25transform_config_selectorIfLb0EEEZNS1_14transform_implILb0ES3_S5_N6thrust23THRUST_200600_302600_NS6detail15normal_iteratorINS8_10device_ptrIfEEEEPfNS0_8identityIfEEEE10hipError_tT2_T3_mT4_P12ihipStream_tbEUlT_E_NS1_11comp_targetILNS1_3genE4ELNS1_11target_archE910ELNS1_3gpuE8ELNS1_3repE0EEENS1_30default_config_static_selectorELNS0_4arch9wavefront6targetE1EEEvT1_
; %bb.0:
	.section	.rodata,"a",@progbits
	.p2align	6, 0x0
	.amdhsa_kernel _ZN7rocprim17ROCPRIM_400000_NS6detail17trampoline_kernelINS0_14default_configENS1_25transform_config_selectorIfLb0EEEZNS1_14transform_implILb0ES3_S5_N6thrust23THRUST_200600_302600_NS6detail15normal_iteratorINS8_10device_ptrIfEEEEPfNS0_8identityIfEEEE10hipError_tT2_T3_mT4_P12ihipStream_tbEUlT_E_NS1_11comp_targetILNS1_3genE4ELNS1_11target_archE910ELNS1_3gpuE8ELNS1_3repE0EEENS1_30default_config_static_selectorELNS0_4arch9wavefront6targetE1EEEvT1_
		.amdhsa_group_segment_fixed_size 0
		.amdhsa_private_segment_fixed_size 0
		.amdhsa_kernarg_size 40
		.amdhsa_user_sgpr_count 2
		.amdhsa_user_sgpr_dispatch_ptr 0
		.amdhsa_user_sgpr_queue_ptr 0
		.amdhsa_user_sgpr_kernarg_segment_ptr 1
		.amdhsa_user_sgpr_dispatch_id 0
		.amdhsa_user_sgpr_kernarg_preload_length 0
		.amdhsa_user_sgpr_kernarg_preload_offset 0
		.amdhsa_user_sgpr_private_segment_size 0
		.amdhsa_uses_dynamic_stack 0
		.amdhsa_enable_private_segment 0
		.amdhsa_system_sgpr_workgroup_id_x 1
		.amdhsa_system_sgpr_workgroup_id_y 0
		.amdhsa_system_sgpr_workgroup_id_z 0
		.amdhsa_system_sgpr_workgroup_info 0
		.amdhsa_system_vgpr_workitem_id 0
		.amdhsa_next_free_vgpr 1
		.amdhsa_next_free_sgpr 0
		.amdhsa_accum_offset 4
		.amdhsa_reserve_vcc 0
		.amdhsa_float_round_mode_32 0
		.amdhsa_float_round_mode_16_64 0
		.amdhsa_float_denorm_mode_32 3
		.amdhsa_float_denorm_mode_16_64 3
		.amdhsa_dx10_clamp 1
		.amdhsa_ieee_mode 1
		.amdhsa_fp16_overflow 0
		.amdhsa_tg_split 0
		.amdhsa_exception_fp_ieee_invalid_op 0
		.amdhsa_exception_fp_denorm_src 0
		.amdhsa_exception_fp_ieee_div_zero 0
		.amdhsa_exception_fp_ieee_overflow 0
		.amdhsa_exception_fp_ieee_underflow 0
		.amdhsa_exception_fp_ieee_inexact 0
		.amdhsa_exception_int_div_zero 0
	.end_amdhsa_kernel
	.section	.text._ZN7rocprim17ROCPRIM_400000_NS6detail17trampoline_kernelINS0_14default_configENS1_25transform_config_selectorIfLb0EEEZNS1_14transform_implILb0ES3_S5_N6thrust23THRUST_200600_302600_NS6detail15normal_iteratorINS8_10device_ptrIfEEEEPfNS0_8identityIfEEEE10hipError_tT2_T3_mT4_P12ihipStream_tbEUlT_E_NS1_11comp_targetILNS1_3genE4ELNS1_11target_archE910ELNS1_3gpuE8ELNS1_3repE0EEENS1_30default_config_static_selectorELNS0_4arch9wavefront6targetE1EEEvT1_,"axG",@progbits,_ZN7rocprim17ROCPRIM_400000_NS6detail17trampoline_kernelINS0_14default_configENS1_25transform_config_selectorIfLb0EEEZNS1_14transform_implILb0ES3_S5_N6thrust23THRUST_200600_302600_NS6detail15normal_iteratorINS8_10device_ptrIfEEEEPfNS0_8identityIfEEEE10hipError_tT2_T3_mT4_P12ihipStream_tbEUlT_E_NS1_11comp_targetILNS1_3genE4ELNS1_11target_archE910ELNS1_3gpuE8ELNS1_3repE0EEENS1_30default_config_static_selectorELNS0_4arch9wavefront6targetE1EEEvT1_,comdat
.Lfunc_end552:
	.size	_ZN7rocprim17ROCPRIM_400000_NS6detail17trampoline_kernelINS0_14default_configENS1_25transform_config_selectorIfLb0EEEZNS1_14transform_implILb0ES3_S5_N6thrust23THRUST_200600_302600_NS6detail15normal_iteratorINS8_10device_ptrIfEEEEPfNS0_8identityIfEEEE10hipError_tT2_T3_mT4_P12ihipStream_tbEUlT_E_NS1_11comp_targetILNS1_3genE4ELNS1_11target_archE910ELNS1_3gpuE8ELNS1_3repE0EEENS1_30default_config_static_selectorELNS0_4arch9wavefront6targetE1EEEvT1_, .Lfunc_end552-_ZN7rocprim17ROCPRIM_400000_NS6detail17trampoline_kernelINS0_14default_configENS1_25transform_config_selectorIfLb0EEEZNS1_14transform_implILb0ES3_S5_N6thrust23THRUST_200600_302600_NS6detail15normal_iteratorINS8_10device_ptrIfEEEEPfNS0_8identityIfEEEE10hipError_tT2_T3_mT4_P12ihipStream_tbEUlT_E_NS1_11comp_targetILNS1_3genE4ELNS1_11target_archE910ELNS1_3gpuE8ELNS1_3repE0EEENS1_30default_config_static_selectorELNS0_4arch9wavefront6targetE1EEEvT1_
                                        ; -- End function
	.set _ZN7rocprim17ROCPRIM_400000_NS6detail17trampoline_kernelINS0_14default_configENS1_25transform_config_selectorIfLb0EEEZNS1_14transform_implILb0ES3_S5_N6thrust23THRUST_200600_302600_NS6detail15normal_iteratorINS8_10device_ptrIfEEEEPfNS0_8identityIfEEEE10hipError_tT2_T3_mT4_P12ihipStream_tbEUlT_E_NS1_11comp_targetILNS1_3genE4ELNS1_11target_archE910ELNS1_3gpuE8ELNS1_3repE0EEENS1_30default_config_static_selectorELNS0_4arch9wavefront6targetE1EEEvT1_.num_vgpr, 0
	.set _ZN7rocprim17ROCPRIM_400000_NS6detail17trampoline_kernelINS0_14default_configENS1_25transform_config_selectorIfLb0EEEZNS1_14transform_implILb0ES3_S5_N6thrust23THRUST_200600_302600_NS6detail15normal_iteratorINS8_10device_ptrIfEEEEPfNS0_8identityIfEEEE10hipError_tT2_T3_mT4_P12ihipStream_tbEUlT_E_NS1_11comp_targetILNS1_3genE4ELNS1_11target_archE910ELNS1_3gpuE8ELNS1_3repE0EEENS1_30default_config_static_selectorELNS0_4arch9wavefront6targetE1EEEvT1_.num_agpr, 0
	.set _ZN7rocprim17ROCPRIM_400000_NS6detail17trampoline_kernelINS0_14default_configENS1_25transform_config_selectorIfLb0EEEZNS1_14transform_implILb0ES3_S5_N6thrust23THRUST_200600_302600_NS6detail15normal_iteratorINS8_10device_ptrIfEEEEPfNS0_8identityIfEEEE10hipError_tT2_T3_mT4_P12ihipStream_tbEUlT_E_NS1_11comp_targetILNS1_3genE4ELNS1_11target_archE910ELNS1_3gpuE8ELNS1_3repE0EEENS1_30default_config_static_selectorELNS0_4arch9wavefront6targetE1EEEvT1_.numbered_sgpr, 0
	.set _ZN7rocprim17ROCPRIM_400000_NS6detail17trampoline_kernelINS0_14default_configENS1_25transform_config_selectorIfLb0EEEZNS1_14transform_implILb0ES3_S5_N6thrust23THRUST_200600_302600_NS6detail15normal_iteratorINS8_10device_ptrIfEEEEPfNS0_8identityIfEEEE10hipError_tT2_T3_mT4_P12ihipStream_tbEUlT_E_NS1_11comp_targetILNS1_3genE4ELNS1_11target_archE910ELNS1_3gpuE8ELNS1_3repE0EEENS1_30default_config_static_selectorELNS0_4arch9wavefront6targetE1EEEvT1_.num_named_barrier, 0
	.set _ZN7rocprim17ROCPRIM_400000_NS6detail17trampoline_kernelINS0_14default_configENS1_25transform_config_selectorIfLb0EEEZNS1_14transform_implILb0ES3_S5_N6thrust23THRUST_200600_302600_NS6detail15normal_iteratorINS8_10device_ptrIfEEEEPfNS0_8identityIfEEEE10hipError_tT2_T3_mT4_P12ihipStream_tbEUlT_E_NS1_11comp_targetILNS1_3genE4ELNS1_11target_archE910ELNS1_3gpuE8ELNS1_3repE0EEENS1_30default_config_static_selectorELNS0_4arch9wavefront6targetE1EEEvT1_.private_seg_size, 0
	.set _ZN7rocprim17ROCPRIM_400000_NS6detail17trampoline_kernelINS0_14default_configENS1_25transform_config_selectorIfLb0EEEZNS1_14transform_implILb0ES3_S5_N6thrust23THRUST_200600_302600_NS6detail15normal_iteratorINS8_10device_ptrIfEEEEPfNS0_8identityIfEEEE10hipError_tT2_T3_mT4_P12ihipStream_tbEUlT_E_NS1_11comp_targetILNS1_3genE4ELNS1_11target_archE910ELNS1_3gpuE8ELNS1_3repE0EEENS1_30default_config_static_selectorELNS0_4arch9wavefront6targetE1EEEvT1_.uses_vcc, 0
	.set _ZN7rocprim17ROCPRIM_400000_NS6detail17trampoline_kernelINS0_14default_configENS1_25transform_config_selectorIfLb0EEEZNS1_14transform_implILb0ES3_S5_N6thrust23THRUST_200600_302600_NS6detail15normal_iteratorINS8_10device_ptrIfEEEEPfNS0_8identityIfEEEE10hipError_tT2_T3_mT4_P12ihipStream_tbEUlT_E_NS1_11comp_targetILNS1_3genE4ELNS1_11target_archE910ELNS1_3gpuE8ELNS1_3repE0EEENS1_30default_config_static_selectorELNS0_4arch9wavefront6targetE1EEEvT1_.uses_flat_scratch, 0
	.set _ZN7rocprim17ROCPRIM_400000_NS6detail17trampoline_kernelINS0_14default_configENS1_25transform_config_selectorIfLb0EEEZNS1_14transform_implILb0ES3_S5_N6thrust23THRUST_200600_302600_NS6detail15normal_iteratorINS8_10device_ptrIfEEEEPfNS0_8identityIfEEEE10hipError_tT2_T3_mT4_P12ihipStream_tbEUlT_E_NS1_11comp_targetILNS1_3genE4ELNS1_11target_archE910ELNS1_3gpuE8ELNS1_3repE0EEENS1_30default_config_static_selectorELNS0_4arch9wavefront6targetE1EEEvT1_.has_dyn_sized_stack, 0
	.set _ZN7rocprim17ROCPRIM_400000_NS6detail17trampoline_kernelINS0_14default_configENS1_25transform_config_selectorIfLb0EEEZNS1_14transform_implILb0ES3_S5_N6thrust23THRUST_200600_302600_NS6detail15normal_iteratorINS8_10device_ptrIfEEEEPfNS0_8identityIfEEEE10hipError_tT2_T3_mT4_P12ihipStream_tbEUlT_E_NS1_11comp_targetILNS1_3genE4ELNS1_11target_archE910ELNS1_3gpuE8ELNS1_3repE0EEENS1_30default_config_static_selectorELNS0_4arch9wavefront6targetE1EEEvT1_.has_recursion, 0
	.set _ZN7rocprim17ROCPRIM_400000_NS6detail17trampoline_kernelINS0_14default_configENS1_25transform_config_selectorIfLb0EEEZNS1_14transform_implILb0ES3_S5_N6thrust23THRUST_200600_302600_NS6detail15normal_iteratorINS8_10device_ptrIfEEEEPfNS0_8identityIfEEEE10hipError_tT2_T3_mT4_P12ihipStream_tbEUlT_E_NS1_11comp_targetILNS1_3genE4ELNS1_11target_archE910ELNS1_3gpuE8ELNS1_3repE0EEENS1_30default_config_static_selectorELNS0_4arch9wavefront6targetE1EEEvT1_.has_indirect_call, 0
	.section	.AMDGPU.csdata,"",@progbits
; Kernel info:
; codeLenInByte = 0
; TotalNumSgprs: 6
; NumVgprs: 0
; NumAgprs: 0
; TotalNumVgprs: 0
; ScratchSize: 0
; MemoryBound: 0
; FloatMode: 240
; IeeeMode: 1
; LDSByteSize: 0 bytes/workgroup (compile time only)
; SGPRBlocks: 0
; VGPRBlocks: 0
; NumSGPRsForWavesPerEU: 6
; NumVGPRsForWavesPerEU: 1
; AccumOffset: 4
; Occupancy: 8
; WaveLimiterHint : 0
; COMPUTE_PGM_RSRC2:SCRATCH_EN: 0
; COMPUTE_PGM_RSRC2:USER_SGPR: 2
; COMPUTE_PGM_RSRC2:TRAP_HANDLER: 0
; COMPUTE_PGM_RSRC2:TGID_X_EN: 1
; COMPUTE_PGM_RSRC2:TGID_Y_EN: 0
; COMPUTE_PGM_RSRC2:TGID_Z_EN: 0
; COMPUTE_PGM_RSRC2:TIDIG_COMP_CNT: 0
; COMPUTE_PGM_RSRC3_GFX90A:ACCUM_OFFSET: 0
; COMPUTE_PGM_RSRC3_GFX90A:TG_SPLIT: 0
	.section	.text._ZN7rocprim17ROCPRIM_400000_NS6detail17trampoline_kernelINS0_14default_configENS1_25transform_config_selectorIfLb0EEEZNS1_14transform_implILb0ES3_S5_N6thrust23THRUST_200600_302600_NS6detail15normal_iteratorINS8_10device_ptrIfEEEEPfNS0_8identityIfEEEE10hipError_tT2_T3_mT4_P12ihipStream_tbEUlT_E_NS1_11comp_targetILNS1_3genE3ELNS1_11target_archE908ELNS1_3gpuE7ELNS1_3repE0EEENS1_30default_config_static_selectorELNS0_4arch9wavefront6targetE1EEEvT1_,"axG",@progbits,_ZN7rocprim17ROCPRIM_400000_NS6detail17trampoline_kernelINS0_14default_configENS1_25transform_config_selectorIfLb0EEEZNS1_14transform_implILb0ES3_S5_N6thrust23THRUST_200600_302600_NS6detail15normal_iteratorINS8_10device_ptrIfEEEEPfNS0_8identityIfEEEE10hipError_tT2_T3_mT4_P12ihipStream_tbEUlT_E_NS1_11comp_targetILNS1_3genE3ELNS1_11target_archE908ELNS1_3gpuE7ELNS1_3repE0EEENS1_30default_config_static_selectorELNS0_4arch9wavefront6targetE1EEEvT1_,comdat
	.protected	_ZN7rocprim17ROCPRIM_400000_NS6detail17trampoline_kernelINS0_14default_configENS1_25transform_config_selectorIfLb0EEEZNS1_14transform_implILb0ES3_S5_N6thrust23THRUST_200600_302600_NS6detail15normal_iteratorINS8_10device_ptrIfEEEEPfNS0_8identityIfEEEE10hipError_tT2_T3_mT4_P12ihipStream_tbEUlT_E_NS1_11comp_targetILNS1_3genE3ELNS1_11target_archE908ELNS1_3gpuE7ELNS1_3repE0EEENS1_30default_config_static_selectorELNS0_4arch9wavefront6targetE1EEEvT1_ ; -- Begin function _ZN7rocprim17ROCPRIM_400000_NS6detail17trampoline_kernelINS0_14default_configENS1_25transform_config_selectorIfLb0EEEZNS1_14transform_implILb0ES3_S5_N6thrust23THRUST_200600_302600_NS6detail15normal_iteratorINS8_10device_ptrIfEEEEPfNS0_8identityIfEEEE10hipError_tT2_T3_mT4_P12ihipStream_tbEUlT_E_NS1_11comp_targetILNS1_3genE3ELNS1_11target_archE908ELNS1_3gpuE7ELNS1_3repE0EEENS1_30default_config_static_selectorELNS0_4arch9wavefront6targetE1EEEvT1_
	.globl	_ZN7rocprim17ROCPRIM_400000_NS6detail17trampoline_kernelINS0_14default_configENS1_25transform_config_selectorIfLb0EEEZNS1_14transform_implILb0ES3_S5_N6thrust23THRUST_200600_302600_NS6detail15normal_iteratorINS8_10device_ptrIfEEEEPfNS0_8identityIfEEEE10hipError_tT2_T3_mT4_P12ihipStream_tbEUlT_E_NS1_11comp_targetILNS1_3genE3ELNS1_11target_archE908ELNS1_3gpuE7ELNS1_3repE0EEENS1_30default_config_static_selectorELNS0_4arch9wavefront6targetE1EEEvT1_
	.p2align	8
	.type	_ZN7rocprim17ROCPRIM_400000_NS6detail17trampoline_kernelINS0_14default_configENS1_25transform_config_selectorIfLb0EEEZNS1_14transform_implILb0ES3_S5_N6thrust23THRUST_200600_302600_NS6detail15normal_iteratorINS8_10device_ptrIfEEEEPfNS0_8identityIfEEEE10hipError_tT2_T3_mT4_P12ihipStream_tbEUlT_E_NS1_11comp_targetILNS1_3genE3ELNS1_11target_archE908ELNS1_3gpuE7ELNS1_3repE0EEENS1_30default_config_static_selectorELNS0_4arch9wavefront6targetE1EEEvT1_,@function
_ZN7rocprim17ROCPRIM_400000_NS6detail17trampoline_kernelINS0_14default_configENS1_25transform_config_selectorIfLb0EEEZNS1_14transform_implILb0ES3_S5_N6thrust23THRUST_200600_302600_NS6detail15normal_iteratorINS8_10device_ptrIfEEEEPfNS0_8identityIfEEEE10hipError_tT2_T3_mT4_P12ihipStream_tbEUlT_E_NS1_11comp_targetILNS1_3genE3ELNS1_11target_archE908ELNS1_3gpuE7ELNS1_3repE0EEENS1_30default_config_static_selectorELNS0_4arch9wavefront6targetE1EEEvT1_: ; @_ZN7rocprim17ROCPRIM_400000_NS6detail17trampoline_kernelINS0_14default_configENS1_25transform_config_selectorIfLb0EEEZNS1_14transform_implILb0ES3_S5_N6thrust23THRUST_200600_302600_NS6detail15normal_iteratorINS8_10device_ptrIfEEEEPfNS0_8identityIfEEEE10hipError_tT2_T3_mT4_P12ihipStream_tbEUlT_E_NS1_11comp_targetILNS1_3genE3ELNS1_11target_archE908ELNS1_3gpuE7ELNS1_3repE0EEENS1_30default_config_static_selectorELNS0_4arch9wavefront6targetE1EEEvT1_
; %bb.0:
	.section	.rodata,"a",@progbits
	.p2align	6, 0x0
	.amdhsa_kernel _ZN7rocprim17ROCPRIM_400000_NS6detail17trampoline_kernelINS0_14default_configENS1_25transform_config_selectorIfLb0EEEZNS1_14transform_implILb0ES3_S5_N6thrust23THRUST_200600_302600_NS6detail15normal_iteratorINS8_10device_ptrIfEEEEPfNS0_8identityIfEEEE10hipError_tT2_T3_mT4_P12ihipStream_tbEUlT_E_NS1_11comp_targetILNS1_3genE3ELNS1_11target_archE908ELNS1_3gpuE7ELNS1_3repE0EEENS1_30default_config_static_selectorELNS0_4arch9wavefront6targetE1EEEvT1_
		.amdhsa_group_segment_fixed_size 0
		.amdhsa_private_segment_fixed_size 0
		.amdhsa_kernarg_size 40
		.amdhsa_user_sgpr_count 2
		.amdhsa_user_sgpr_dispatch_ptr 0
		.amdhsa_user_sgpr_queue_ptr 0
		.amdhsa_user_sgpr_kernarg_segment_ptr 1
		.amdhsa_user_sgpr_dispatch_id 0
		.amdhsa_user_sgpr_kernarg_preload_length 0
		.amdhsa_user_sgpr_kernarg_preload_offset 0
		.amdhsa_user_sgpr_private_segment_size 0
		.amdhsa_uses_dynamic_stack 0
		.amdhsa_enable_private_segment 0
		.amdhsa_system_sgpr_workgroup_id_x 1
		.amdhsa_system_sgpr_workgroup_id_y 0
		.amdhsa_system_sgpr_workgroup_id_z 0
		.amdhsa_system_sgpr_workgroup_info 0
		.amdhsa_system_vgpr_workitem_id 0
		.amdhsa_next_free_vgpr 1
		.amdhsa_next_free_sgpr 0
		.amdhsa_accum_offset 4
		.amdhsa_reserve_vcc 0
		.amdhsa_float_round_mode_32 0
		.amdhsa_float_round_mode_16_64 0
		.amdhsa_float_denorm_mode_32 3
		.amdhsa_float_denorm_mode_16_64 3
		.amdhsa_dx10_clamp 1
		.amdhsa_ieee_mode 1
		.amdhsa_fp16_overflow 0
		.amdhsa_tg_split 0
		.amdhsa_exception_fp_ieee_invalid_op 0
		.amdhsa_exception_fp_denorm_src 0
		.amdhsa_exception_fp_ieee_div_zero 0
		.amdhsa_exception_fp_ieee_overflow 0
		.amdhsa_exception_fp_ieee_underflow 0
		.amdhsa_exception_fp_ieee_inexact 0
		.amdhsa_exception_int_div_zero 0
	.end_amdhsa_kernel
	.section	.text._ZN7rocprim17ROCPRIM_400000_NS6detail17trampoline_kernelINS0_14default_configENS1_25transform_config_selectorIfLb0EEEZNS1_14transform_implILb0ES3_S5_N6thrust23THRUST_200600_302600_NS6detail15normal_iteratorINS8_10device_ptrIfEEEEPfNS0_8identityIfEEEE10hipError_tT2_T3_mT4_P12ihipStream_tbEUlT_E_NS1_11comp_targetILNS1_3genE3ELNS1_11target_archE908ELNS1_3gpuE7ELNS1_3repE0EEENS1_30default_config_static_selectorELNS0_4arch9wavefront6targetE1EEEvT1_,"axG",@progbits,_ZN7rocprim17ROCPRIM_400000_NS6detail17trampoline_kernelINS0_14default_configENS1_25transform_config_selectorIfLb0EEEZNS1_14transform_implILb0ES3_S5_N6thrust23THRUST_200600_302600_NS6detail15normal_iteratorINS8_10device_ptrIfEEEEPfNS0_8identityIfEEEE10hipError_tT2_T3_mT4_P12ihipStream_tbEUlT_E_NS1_11comp_targetILNS1_3genE3ELNS1_11target_archE908ELNS1_3gpuE7ELNS1_3repE0EEENS1_30default_config_static_selectorELNS0_4arch9wavefront6targetE1EEEvT1_,comdat
.Lfunc_end553:
	.size	_ZN7rocprim17ROCPRIM_400000_NS6detail17trampoline_kernelINS0_14default_configENS1_25transform_config_selectorIfLb0EEEZNS1_14transform_implILb0ES3_S5_N6thrust23THRUST_200600_302600_NS6detail15normal_iteratorINS8_10device_ptrIfEEEEPfNS0_8identityIfEEEE10hipError_tT2_T3_mT4_P12ihipStream_tbEUlT_E_NS1_11comp_targetILNS1_3genE3ELNS1_11target_archE908ELNS1_3gpuE7ELNS1_3repE0EEENS1_30default_config_static_selectorELNS0_4arch9wavefront6targetE1EEEvT1_, .Lfunc_end553-_ZN7rocprim17ROCPRIM_400000_NS6detail17trampoline_kernelINS0_14default_configENS1_25transform_config_selectorIfLb0EEEZNS1_14transform_implILb0ES3_S5_N6thrust23THRUST_200600_302600_NS6detail15normal_iteratorINS8_10device_ptrIfEEEEPfNS0_8identityIfEEEE10hipError_tT2_T3_mT4_P12ihipStream_tbEUlT_E_NS1_11comp_targetILNS1_3genE3ELNS1_11target_archE908ELNS1_3gpuE7ELNS1_3repE0EEENS1_30default_config_static_selectorELNS0_4arch9wavefront6targetE1EEEvT1_
                                        ; -- End function
	.set _ZN7rocprim17ROCPRIM_400000_NS6detail17trampoline_kernelINS0_14default_configENS1_25transform_config_selectorIfLb0EEEZNS1_14transform_implILb0ES3_S5_N6thrust23THRUST_200600_302600_NS6detail15normal_iteratorINS8_10device_ptrIfEEEEPfNS0_8identityIfEEEE10hipError_tT2_T3_mT4_P12ihipStream_tbEUlT_E_NS1_11comp_targetILNS1_3genE3ELNS1_11target_archE908ELNS1_3gpuE7ELNS1_3repE0EEENS1_30default_config_static_selectorELNS0_4arch9wavefront6targetE1EEEvT1_.num_vgpr, 0
	.set _ZN7rocprim17ROCPRIM_400000_NS6detail17trampoline_kernelINS0_14default_configENS1_25transform_config_selectorIfLb0EEEZNS1_14transform_implILb0ES3_S5_N6thrust23THRUST_200600_302600_NS6detail15normal_iteratorINS8_10device_ptrIfEEEEPfNS0_8identityIfEEEE10hipError_tT2_T3_mT4_P12ihipStream_tbEUlT_E_NS1_11comp_targetILNS1_3genE3ELNS1_11target_archE908ELNS1_3gpuE7ELNS1_3repE0EEENS1_30default_config_static_selectorELNS0_4arch9wavefront6targetE1EEEvT1_.num_agpr, 0
	.set _ZN7rocprim17ROCPRIM_400000_NS6detail17trampoline_kernelINS0_14default_configENS1_25transform_config_selectorIfLb0EEEZNS1_14transform_implILb0ES3_S5_N6thrust23THRUST_200600_302600_NS6detail15normal_iteratorINS8_10device_ptrIfEEEEPfNS0_8identityIfEEEE10hipError_tT2_T3_mT4_P12ihipStream_tbEUlT_E_NS1_11comp_targetILNS1_3genE3ELNS1_11target_archE908ELNS1_3gpuE7ELNS1_3repE0EEENS1_30default_config_static_selectorELNS0_4arch9wavefront6targetE1EEEvT1_.numbered_sgpr, 0
	.set _ZN7rocprim17ROCPRIM_400000_NS6detail17trampoline_kernelINS0_14default_configENS1_25transform_config_selectorIfLb0EEEZNS1_14transform_implILb0ES3_S5_N6thrust23THRUST_200600_302600_NS6detail15normal_iteratorINS8_10device_ptrIfEEEEPfNS0_8identityIfEEEE10hipError_tT2_T3_mT4_P12ihipStream_tbEUlT_E_NS1_11comp_targetILNS1_3genE3ELNS1_11target_archE908ELNS1_3gpuE7ELNS1_3repE0EEENS1_30default_config_static_selectorELNS0_4arch9wavefront6targetE1EEEvT1_.num_named_barrier, 0
	.set _ZN7rocprim17ROCPRIM_400000_NS6detail17trampoline_kernelINS0_14default_configENS1_25transform_config_selectorIfLb0EEEZNS1_14transform_implILb0ES3_S5_N6thrust23THRUST_200600_302600_NS6detail15normal_iteratorINS8_10device_ptrIfEEEEPfNS0_8identityIfEEEE10hipError_tT2_T3_mT4_P12ihipStream_tbEUlT_E_NS1_11comp_targetILNS1_3genE3ELNS1_11target_archE908ELNS1_3gpuE7ELNS1_3repE0EEENS1_30default_config_static_selectorELNS0_4arch9wavefront6targetE1EEEvT1_.private_seg_size, 0
	.set _ZN7rocprim17ROCPRIM_400000_NS6detail17trampoline_kernelINS0_14default_configENS1_25transform_config_selectorIfLb0EEEZNS1_14transform_implILb0ES3_S5_N6thrust23THRUST_200600_302600_NS6detail15normal_iteratorINS8_10device_ptrIfEEEEPfNS0_8identityIfEEEE10hipError_tT2_T3_mT4_P12ihipStream_tbEUlT_E_NS1_11comp_targetILNS1_3genE3ELNS1_11target_archE908ELNS1_3gpuE7ELNS1_3repE0EEENS1_30default_config_static_selectorELNS0_4arch9wavefront6targetE1EEEvT1_.uses_vcc, 0
	.set _ZN7rocprim17ROCPRIM_400000_NS6detail17trampoline_kernelINS0_14default_configENS1_25transform_config_selectorIfLb0EEEZNS1_14transform_implILb0ES3_S5_N6thrust23THRUST_200600_302600_NS6detail15normal_iteratorINS8_10device_ptrIfEEEEPfNS0_8identityIfEEEE10hipError_tT2_T3_mT4_P12ihipStream_tbEUlT_E_NS1_11comp_targetILNS1_3genE3ELNS1_11target_archE908ELNS1_3gpuE7ELNS1_3repE0EEENS1_30default_config_static_selectorELNS0_4arch9wavefront6targetE1EEEvT1_.uses_flat_scratch, 0
	.set _ZN7rocprim17ROCPRIM_400000_NS6detail17trampoline_kernelINS0_14default_configENS1_25transform_config_selectorIfLb0EEEZNS1_14transform_implILb0ES3_S5_N6thrust23THRUST_200600_302600_NS6detail15normal_iteratorINS8_10device_ptrIfEEEEPfNS0_8identityIfEEEE10hipError_tT2_T3_mT4_P12ihipStream_tbEUlT_E_NS1_11comp_targetILNS1_3genE3ELNS1_11target_archE908ELNS1_3gpuE7ELNS1_3repE0EEENS1_30default_config_static_selectorELNS0_4arch9wavefront6targetE1EEEvT1_.has_dyn_sized_stack, 0
	.set _ZN7rocprim17ROCPRIM_400000_NS6detail17trampoline_kernelINS0_14default_configENS1_25transform_config_selectorIfLb0EEEZNS1_14transform_implILb0ES3_S5_N6thrust23THRUST_200600_302600_NS6detail15normal_iteratorINS8_10device_ptrIfEEEEPfNS0_8identityIfEEEE10hipError_tT2_T3_mT4_P12ihipStream_tbEUlT_E_NS1_11comp_targetILNS1_3genE3ELNS1_11target_archE908ELNS1_3gpuE7ELNS1_3repE0EEENS1_30default_config_static_selectorELNS0_4arch9wavefront6targetE1EEEvT1_.has_recursion, 0
	.set _ZN7rocprim17ROCPRIM_400000_NS6detail17trampoline_kernelINS0_14default_configENS1_25transform_config_selectorIfLb0EEEZNS1_14transform_implILb0ES3_S5_N6thrust23THRUST_200600_302600_NS6detail15normal_iteratorINS8_10device_ptrIfEEEEPfNS0_8identityIfEEEE10hipError_tT2_T3_mT4_P12ihipStream_tbEUlT_E_NS1_11comp_targetILNS1_3genE3ELNS1_11target_archE908ELNS1_3gpuE7ELNS1_3repE0EEENS1_30default_config_static_selectorELNS0_4arch9wavefront6targetE1EEEvT1_.has_indirect_call, 0
	.section	.AMDGPU.csdata,"",@progbits
; Kernel info:
; codeLenInByte = 0
; TotalNumSgprs: 6
; NumVgprs: 0
; NumAgprs: 0
; TotalNumVgprs: 0
; ScratchSize: 0
; MemoryBound: 0
; FloatMode: 240
; IeeeMode: 1
; LDSByteSize: 0 bytes/workgroup (compile time only)
; SGPRBlocks: 0
; VGPRBlocks: 0
; NumSGPRsForWavesPerEU: 6
; NumVGPRsForWavesPerEU: 1
; AccumOffset: 4
; Occupancy: 8
; WaveLimiterHint : 0
; COMPUTE_PGM_RSRC2:SCRATCH_EN: 0
; COMPUTE_PGM_RSRC2:USER_SGPR: 2
; COMPUTE_PGM_RSRC2:TRAP_HANDLER: 0
; COMPUTE_PGM_RSRC2:TGID_X_EN: 1
; COMPUTE_PGM_RSRC2:TGID_Y_EN: 0
; COMPUTE_PGM_RSRC2:TGID_Z_EN: 0
; COMPUTE_PGM_RSRC2:TIDIG_COMP_CNT: 0
; COMPUTE_PGM_RSRC3_GFX90A:ACCUM_OFFSET: 0
; COMPUTE_PGM_RSRC3_GFX90A:TG_SPLIT: 0
	.section	.text._ZN7rocprim17ROCPRIM_400000_NS6detail17trampoline_kernelINS0_14default_configENS1_25transform_config_selectorIfLb0EEEZNS1_14transform_implILb0ES3_S5_N6thrust23THRUST_200600_302600_NS6detail15normal_iteratorINS8_10device_ptrIfEEEEPfNS0_8identityIfEEEE10hipError_tT2_T3_mT4_P12ihipStream_tbEUlT_E_NS1_11comp_targetILNS1_3genE2ELNS1_11target_archE906ELNS1_3gpuE6ELNS1_3repE0EEENS1_30default_config_static_selectorELNS0_4arch9wavefront6targetE1EEEvT1_,"axG",@progbits,_ZN7rocprim17ROCPRIM_400000_NS6detail17trampoline_kernelINS0_14default_configENS1_25transform_config_selectorIfLb0EEEZNS1_14transform_implILb0ES3_S5_N6thrust23THRUST_200600_302600_NS6detail15normal_iteratorINS8_10device_ptrIfEEEEPfNS0_8identityIfEEEE10hipError_tT2_T3_mT4_P12ihipStream_tbEUlT_E_NS1_11comp_targetILNS1_3genE2ELNS1_11target_archE906ELNS1_3gpuE6ELNS1_3repE0EEENS1_30default_config_static_selectorELNS0_4arch9wavefront6targetE1EEEvT1_,comdat
	.protected	_ZN7rocprim17ROCPRIM_400000_NS6detail17trampoline_kernelINS0_14default_configENS1_25transform_config_selectorIfLb0EEEZNS1_14transform_implILb0ES3_S5_N6thrust23THRUST_200600_302600_NS6detail15normal_iteratorINS8_10device_ptrIfEEEEPfNS0_8identityIfEEEE10hipError_tT2_T3_mT4_P12ihipStream_tbEUlT_E_NS1_11comp_targetILNS1_3genE2ELNS1_11target_archE906ELNS1_3gpuE6ELNS1_3repE0EEENS1_30default_config_static_selectorELNS0_4arch9wavefront6targetE1EEEvT1_ ; -- Begin function _ZN7rocprim17ROCPRIM_400000_NS6detail17trampoline_kernelINS0_14default_configENS1_25transform_config_selectorIfLb0EEEZNS1_14transform_implILb0ES3_S5_N6thrust23THRUST_200600_302600_NS6detail15normal_iteratorINS8_10device_ptrIfEEEEPfNS0_8identityIfEEEE10hipError_tT2_T3_mT4_P12ihipStream_tbEUlT_E_NS1_11comp_targetILNS1_3genE2ELNS1_11target_archE906ELNS1_3gpuE6ELNS1_3repE0EEENS1_30default_config_static_selectorELNS0_4arch9wavefront6targetE1EEEvT1_
	.globl	_ZN7rocprim17ROCPRIM_400000_NS6detail17trampoline_kernelINS0_14default_configENS1_25transform_config_selectorIfLb0EEEZNS1_14transform_implILb0ES3_S5_N6thrust23THRUST_200600_302600_NS6detail15normal_iteratorINS8_10device_ptrIfEEEEPfNS0_8identityIfEEEE10hipError_tT2_T3_mT4_P12ihipStream_tbEUlT_E_NS1_11comp_targetILNS1_3genE2ELNS1_11target_archE906ELNS1_3gpuE6ELNS1_3repE0EEENS1_30default_config_static_selectorELNS0_4arch9wavefront6targetE1EEEvT1_
	.p2align	8
	.type	_ZN7rocprim17ROCPRIM_400000_NS6detail17trampoline_kernelINS0_14default_configENS1_25transform_config_selectorIfLb0EEEZNS1_14transform_implILb0ES3_S5_N6thrust23THRUST_200600_302600_NS6detail15normal_iteratorINS8_10device_ptrIfEEEEPfNS0_8identityIfEEEE10hipError_tT2_T3_mT4_P12ihipStream_tbEUlT_E_NS1_11comp_targetILNS1_3genE2ELNS1_11target_archE906ELNS1_3gpuE6ELNS1_3repE0EEENS1_30default_config_static_selectorELNS0_4arch9wavefront6targetE1EEEvT1_,@function
_ZN7rocprim17ROCPRIM_400000_NS6detail17trampoline_kernelINS0_14default_configENS1_25transform_config_selectorIfLb0EEEZNS1_14transform_implILb0ES3_S5_N6thrust23THRUST_200600_302600_NS6detail15normal_iteratorINS8_10device_ptrIfEEEEPfNS0_8identityIfEEEE10hipError_tT2_T3_mT4_P12ihipStream_tbEUlT_E_NS1_11comp_targetILNS1_3genE2ELNS1_11target_archE906ELNS1_3gpuE6ELNS1_3repE0EEENS1_30default_config_static_selectorELNS0_4arch9wavefront6targetE1EEEvT1_: ; @_ZN7rocprim17ROCPRIM_400000_NS6detail17trampoline_kernelINS0_14default_configENS1_25transform_config_selectorIfLb0EEEZNS1_14transform_implILb0ES3_S5_N6thrust23THRUST_200600_302600_NS6detail15normal_iteratorINS8_10device_ptrIfEEEEPfNS0_8identityIfEEEE10hipError_tT2_T3_mT4_P12ihipStream_tbEUlT_E_NS1_11comp_targetILNS1_3genE2ELNS1_11target_archE906ELNS1_3gpuE6ELNS1_3repE0EEENS1_30default_config_static_selectorELNS0_4arch9wavefront6targetE1EEEvT1_
; %bb.0:
	.section	.rodata,"a",@progbits
	.p2align	6, 0x0
	.amdhsa_kernel _ZN7rocprim17ROCPRIM_400000_NS6detail17trampoline_kernelINS0_14default_configENS1_25transform_config_selectorIfLb0EEEZNS1_14transform_implILb0ES3_S5_N6thrust23THRUST_200600_302600_NS6detail15normal_iteratorINS8_10device_ptrIfEEEEPfNS0_8identityIfEEEE10hipError_tT2_T3_mT4_P12ihipStream_tbEUlT_E_NS1_11comp_targetILNS1_3genE2ELNS1_11target_archE906ELNS1_3gpuE6ELNS1_3repE0EEENS1_30default_config_static_selectorELNS0_4arch9wavefront6targetE1EEEvT1_
		.amdhsa_group_segment_fixed_size 0
		.amdhsa_private_segment_fixed_size 0
		.amdhsa_kernarg_size 40
		.amdhsa_user_sgpr_count 2
		.amdhsa_user_sgpr_dispatch_ptr 0
		.amdhsa_user_sgpr_queue_ptr 0
		.amdhsa_user_sgpr_kernarg_segment_ptr 1
		.amdhsa_user_sgpr_dispatch_id 0
		.amdhsa_user_sgpr_kernarg_preload_length 0
		.amdhsa_user_sgpr_kernarg_preload_offset 0
		.amdhsa_user_sgpr_private_segment_size 0
		.amdhsa_uses_dynamic_stack 0
		.amdhsa_enable_private_segment 0
		.amdhsa_system_sgpr_workgroup_id_x 1
		.amdhsa_system_sgpr_workgroup_id_y 0
		.amdhsa_system_sgpr_workgroup_id_z 0
		.amdhsa_system_sgpr_workgroup_info 0
		.amdhsa_system_vgpr_workitem_id 0
		.amdhsa_next_free_vgpr 1
		.amdhsa_next_free_sgpr 0
		.amdhsa_accum_offset 4
		.amdhsa_reserve_vcc 0
		.amdhsa_float_round_mode_32 0
		.amdhsa_float_round_mode_16_64 0
		.amdhsa_float_denorm_mode_32 3
		.amdhsa_float_denorm_mode_16_64 3
		.amdhsa_dx10_clamp 1
		.amdhsa_ieee_mode 1
		.amdhsa_fp16_overflow 0
		.amdhsa_tg_split 0
		.amdhsa_exception_fp_ieee_invalid_op 0
		.amdhsa_exception_fp_denorm_src 0
		.amdhsa_exception_fp_ieee_div_zero 0
		.amdhsa_exception_fp_ieee_overflow 0
		.amdhsa_exception_fp_ieee_underflow 0
		.amdhsa_exception_fp_ieee_inexact 0
		.amdhsa_exception_int_div_zero 0
	.end_amdhsa_kernel
	.section	.text._ZN7rocprim17ROCPRIM_400000_NS6detail17trampoline_kernelINS0_14default_configENS1_25transform_config_selectorIfLb0EEEZNS1_14transform_implILb0ES3_S5_N6thrust23THRUST_200600_302600_NS6detail15normal_iteratorINS8_10device_ptrIfEEEEPfNS0_8identityIfEEEE10hipError_tT2_T3_mT4_P12ihipStream_tbEUlT_E_NS1_11comp_targetILNS1_3genE2ELNS1_11target_archE906ELNS1_3gpuE6ELNS1_3repE0EEENS1_30default_config_static_selectorELNS0_4arch9wavefront6targetE1EEEvT1_,"axG",@progbits,_ZN7rocprim17ROCPRIM_400000_NS6detail17trampoline_kernelINS0_14default_configENS1_25transform_config_selectorIfLb0EEEZNS1_14transform_implILb0ES3_S5_N6thrust23THRUST_200600_302600_NS6detail15normal_iteratorINS8_10device_ptrIfEEEEPfNS0_8identityIfEEEE10hipError_tT2_T3_mT4_P12ihipStream_tbEUlT_E_NS1_11comp_targetILNS1_3genE2ELNS1_11target_archE906ELNS1_3gpuE6ELNS1_3repE0EEENS1_30default_config_static_selectorELNS0_4arch9wavefront6targetE1EEEvT1_,comdat
.Lfunc_end554:
	.size	_ZN7rocprim17ROCPRIM_400000_NS6detail17trampoline_kernelINS0_14default_configENS1_25transform_config_selectorIfLb0EEEZNS1_14transform_implILb0ES3_S5_N6thrust23THRUST_200600_302600_NS6detail15normal_iteratorINS8_10device_ptrIfEEEEPfNS0_8identityIfEEEE10hipError_tT2_T3_mT4_P12ihipStream_tbEUlT_E_NS1_11comp_targetILNS1_3genE2ELNS1_11target_archE906ELNS1_3gpuE6ELNS1_3repE0EEENS1_30default_config_static_selectorELNS0_4arch9wavefront6targetE1EEEvT1_, .Lfunc_end554-_ZN7rocprim17ROCPRIM_400000_NS6detail17trampoline_kernelINS0_14default_configENS1_25transform_config_selectorIfLb0EEEZNS1_14transform_implILb0ES3_S5_N6thrust23THRUST_200600_302600_NS6detail15normal_iteratorINS8_10device_ptrIfEEEEPfNS0_8identityIfEEEE10hipError_tT2_T3_mT4_P12ihipStream_tbEUlT_E_NS1_11comp_targetILNS1_3genE2ELNS1_11target_archE906ELNS1_3gpuE6ELNS1_3repE0EEENS1_30default_config_static_selectorELNS0_4arch9wavefront6targetE1EEEvT1_
                                        ; -- End function
	.set _ZN7rocprim17ROCPRIM_400000_NS6detail17trampoline_kernelINS0_14default_configENS1_25transform_config_selectorIfLb0EEEZNS1_14transform_implILb0ES3_S5_N6thrust23THRUST_200600_302600_NS6detail15normal_iteratorINS8_10device_ptrIfEEEEPfNS0_8identityIfEEEE10hipError_tT2_T3_mT4_P12ihipStream_tbEUlT_E_NS1_11comp_targetILNS1_3genE2ELNS1_11target_archE906ELNS1_3gpuE6ELNS1_3repE0EEENS1_30default_config_static_selectorELNS0_4arch9wavefront6targetE1EEEvT1_.num_vgpr, 0
	.set _ZN7rocprim17ROCPRIM_400000_NS6detail17trampoline_kernelINS0_14default_configENS1_25transform_config_selectorIfLb0EEEZNS1_14transform_implILb0ES3_S5_N6thrust23THRUST_200600_302600_NS6detail15normal_iteratorINS8_10device_ptrIfEEEEPfNS0_8identityIfEEEE10hipError_tT2_T3_mT4_P12ihipStream_tbEUlT_E_NS1_11comp_targetILNS1_3genE2ELNS1_11target_archE906ELNS1_3gpuE6ELNS1_3repE0EEENS1_30default_config_static_selectorELNS0_4arch9wavefront6targetE1EEEvT1_.num_agpr, 0
	.set _ZN7rocprim17ROCPRIM_400000_NS6detail17trampoline_kernelINS0_14default_configENS1_25transform_config_selectorIfLb0EEEZNS1_14transform_implILb0ES3_S5_N6thrust23THRUST_200600_302600_NS6detail15normal_iteratorINS8_10device_ptrIfEEEEPfNS0_8identityIfEEEE10hipError_tT2_T3_mT4_P12ihipStream_tbEUlT_E_NS1_11comp_targetILNS1_3genE2ELNS1_11target_archE906ELNS1_3gpuE6ELNS1_3repE0EEENS1_30default_config_static_selectorELNS0_4arch9wavefront6targetE1EEEvT1_.numbered_sgpr, 0
	.set _ZN7rocprim17ROCPRIM_400000_NS6detail17trampoline_kernelINS0_14default_configENS1_25transform_config_selectorIfLb0EEEZNS1_14transform_implILb0ES3_S5_N6thrust23THRUST_200600_302600_NS6detail15normal_iteratorINS8_10device_ptrIfEEEEPfNS0_8identityIfEEEE10hipError_tT2_T3_mT4_P12ihipStream_tbEUlT_E_NS1_11comp_targetILNS1_3genE2ELNS1_11target_archE906ELNS1_3gpuE6ELNS1_3repE0EEENS1_30default_config_static_selectorELNS0_4arch9wavefront6targetE1EEEvT1_.num_named_barrier, 0
	.set _ZN7rocprim17ROCPRIM_400000_NS6detail17trampoline_kernelINS0_14default_configENS1_25transform_config_selectorIfLb0EEEZNS1_14transform_implILb0ES3_S5_N6thrust23THRUST_200600_302600_NS6detail15normal_iteratorINS8_10device_ptrIfEEEEPfNS0_8identityIfEEEE10hipError_tT2_T3_mT4_P12ihipStream_tbEUlT_E_NS1_11comp_targetILNS1_3genE2ELNS1_11target_archE906ELNS1_3gpuE6ELNS1_3repE0EEENS1_30default_config_static_selectorELNS0_4arch9wavefront6targetE1EEEvT1_.private_seg_size, 0
	.set _ZN7rocprim17ROCPRIM_400000_NS6detail17trampoline_kernelINS0_14default_configENS1_25transform_config_selectorIfLb0EEEZNS1_14transform_implILb0ES3_S5_N6thrust23THRUST_200600_302600_NS6detail15normal_iteratorINS8_10device_ptrIfEEEEPfNS0_8identityIfEEEE10hipError_tT2_T3_mT4_P12ihipStream_tbEUlT_E_NS1_11comp_targetILNS1_3genE2ELNS1_11target_archE906ELNS1_3gpuE6ELNS1_3repE0EEENS1_30default_config_static_selectorELNS0_4arch9wavefront6targetE1EEEvT1_.uses_vcc, 0
	.set _ZN7rocprim17ROCPRIM_400000_NS6detail17trampoline_kernelINS0_14default_configENS1_25transform_config_selectorIfLb0EEEZNS1_14transform_implILb0ES3_S5_N6thrust23THRUST_200600_302600_NS6detail15normal_iteratorINS8_10device_ptrIfEEEEPfNS0_8identityIfEEEE10hipError_tT2_T3_mT4_P12ihipStream_tbEUlT_E_NS1_11comp_targetILNS1_3genE2ELNS1_11target_archE906ELNS1_3gpuE6ELNS1_3repE0EEENS1_30default_config_static_selectorELNS0_4arch9wavefront6targetE1EEEvT1_.uses_flat_scratch, 0
	.set _ZN7rocprim17ROCPRIM_400000_NS6detail17trampoline_kernelINS0_14default_configENS1_25transform_config_selectorIfLb0EEEZNS1_14transform_implILb0ES3_S5_N6thrust23THRUST_200600_302600_NS6detail15normal_iteratorINS8_10device_ptrIfEEEEPfNS0_8identityIfEEEE10hipError_tT2_T3_mT4_P12ihipStream_tbEUlT_E_NS1_11comp_targetILNS1_3genE2ELNS1_11target_archE906ELNS1_3gpuE6ELNS1_3repE0EEENS1_30default_config_static_selectorELNS0_4arch9wavefront6targetE1EEEvT1_.has_dyn_sized_stack, 0
	.set _ZN7rocprim17ROCPRIM_400000_NS6detail17trampoline_kernelINS0_14default_configENS1_25transform_config_selectorIfLb0EEEZNS1_14transform_implILb0ES3_S5_N6thrust23THRUST_200600_302600_NS6detail15normal_iteratorINS8_10device_ptrIfEEEEPfNS0_8identityIfEEEE10hipError_tT2_T3_mT4_P12ihipStream_tbEUlT_E_NS1_11comp_targetILNS1_3genE2ELNS1_11target_archE906ELNS1_3gpuE6ELNS1_3repE0EEENS1_30default_config_static_selectorELNS0_4arch9wavefront6targetE1EEEvT1_.has_recursion, 0
	.set _ZN7rocprim17ROCPRIM_400000_NS6detail17trampoline_kernelINS0_14default_configENS1_25transform_config_selectorIfLb0EEEZNS1_14transform_implILb0ES3_S5_N6thrust23THRUST_200600_302600_NS6detail15normal_iteratorINS8_10device_ptrIfEEEEPfNS0_8identityIfEEEE10hipError_tT2_T3_mT4_P12ihipStream_tbEUlT_E_NS1_11comp_targetILNS1_3genE2ELNS1_11target_archE906ELNS1_3gpuE6ELNS1_3repE0EEENS1_30default_config_static_selectorELNS0_4arch9wavefront6targetE1EEEvT1_.has_indirect_call, 0
	.section	.AMDGPU.csdata,"",@progbits
; Kernel info:
; codeLenInByte = 0
; TotalNumSgprs: 6
; NumVgprs: 0
; NumAgprs: 0
; TotalNumVgprs: 0
; ScratchSize: 0
; MemoryBound: 0
; FloatMode: 240
; IeeeMode: 1
; LDSByteSize: 0 bytes/workgroup (compile time only)
; SGPRBlocks: 0
; VGPRBlocks: 0
; NumSGPRsForWavesPerEU: 6
; NumVGPRsForWavesPerEU: 1
; AccumOffset: 4
; Occupancy: 8
; WaveLimiterHint : 0
; COMPUTE_PGM_RSRC2:SCRATCH_EN: 0
; COMPUTE_PGM_RSRC2:USER_SGPR: 2
; COMPUTE_PGM_RSRC2:TRAP_HANDLER: 0
; COMPUTE_PGM_RSRC2:TGID_X_EN: 1
; COMPUTE_PGM_RSRC2:TGID_Y_EN: 0
; COMPUTE_PGM_RSRC2:TGID_Z_EN: 0
; COMPUTE_PGM_RSRC2:TIDIG_COMP_CNT: 0
; COMPUTE_PGM_RSRC3_GFX90A:ACCUM_OFFSET: 0
; COMPUTE_PGM_RSRC3_GFX90A:TG_SPLIT: 0
	.section	.text._ZN7rocprim17ROCPRIM_400000_NS6detail17trampoline_kernelINS0_14default_configENS1_25transform_config_selectorIfLb0EEEZNS1_14transform_implILb0ES3_S5_N6thrust23THRUST_200600_302600_NS6detail15normal_iteratorINS8_10device_ptrIfEEEEPfNS0_8identityIfEEEE10hipError_tT2_T3_mT4_P12ihipStream_tbEUlT_E_NS1_11comp_targetILNS1_3genE10ELNS1_11target_archE1201ELNS1_3gpuE5ELNS1_3repE0EEENS1_30default_config_static_selectorELNS0_4arch9wavefront6targetE1EEEvT1_,"axG",@progbits,_ZN7rocprim17ROCPRIM_400000_NS6detail17trampoline_kernelINS0_14default_configENS1_25transform_config_selectorIfLb0EEEZNS1_14transform_implILb0ES3_S5_N6thrust23THRUST_200600_302600_NS6detail15normal_iteratorINS8_10device_ptrIfEEEEPfNS0_8identityIfEEEE10hipError_tT2_T3_mT4_P12ihipStream_tbEUlT_E_NS1_11comp_targetILNS1_3genE10ELNS1_11target_archE1201ELNS1_3gpuE5ELNS1_3repE0EEENS1_30default_config_static_selectorELNS0_4arch9wavefront6targetE1EEEvT1_,comdat
	.protected	_ZN7rocprim17ROCPRIM_400000_NS6detail17trampoline_kernelINS0_14default_configENS1_25transform_config_selectorIfLb0EEEZNS1_14transform_implILb0ES3_S5_N6thrust23THRUST_200600_302600_NS6detail15normal_iteratorINS8_10device_ptrIfEEEEPfNS0_8identityIfEEEE10hipError_tT2_T3_mT4_P12ihipStream_tbEUlT_E_NS1_11comp_targetILNS1_3genE10ELNS1_11target_archE1201ELNS1_3gpuE5ELNS1_3repE0EEENS1_30default_config_static_selectorELNS0_4arch9wavefront6targetE1EEEvT1_ ; -- Begin function _ZN7rocprim17ROCPRIM_400000_NS6detail17trampoline_kernelINS0_14default_configENS1_25transform_config_selectorIfLb0EEEZNS1_14transform_implILb0ES3_S5_N6thrust23THRUST_200600_302600_NS6detail15normal_iteratorINS8_10device_ptrIfEEEEPfNS0_8identityIfEEEE10hipError_tT2_T3_mT4_P12ihipStream_tbEUlT_E_NS1_11comp_targetILNS1_3genE10ELNS1_11target_archE1201ELNS1_3gpuE5ELNS1_3repE0EEENS1_30default_config_static_selectorELNS0_4arch9wavefront6targetE1EEEvT1_
	.globl	_ZN7rocprim17ROCPRIM_400000_NS6detail17trampoline_kernelINS0_14default_configENS1_25transform_config_selectorIfLb0EEEZNS1_14transform_implILb0ES3_S5_N6thrust23THRUST_200600_302600_NS6detail15normal_iteratorINS8_10device_ptrIfEEEEPfNS0_8identityIfEEEE10hipError_tT2_T3_mT4_P12ihipStream_tbEUlT_E_NS1_11comp_targetILNS1_3genE10ELNS1_11target_archE1201ELNS1_3gpuE5ELNS1_3repE0EEENS1_30default_config_static_selectorELNS0_4arch9wavefront6targetE1EEEvT1_
	.p2align	8
	.type	_ZN7rocprim17ROCPRIM_400000_NS6detail17trampoline_kernelINS0_14default_configENS1_25transform_config_selectorIfLb0EEEZNS1_14transform_implILb0ES3_S5_N6thrust23THRUST_200600_302600_NS6detail15normal_iteratorINS8_10device_ptrIfEEEEPfNS0_8identityIfEEEE10hipError_tT2_T3_mT4_P12ihipStream_tbEUlT_E_NS1_11comp_targetILNS1_3genE10ELNS1_11target_archE1201ELNS1_3gpuE5ELNS1_3repE0EEENS1_30default_config_static_selectorELNS0_4arch9wavefront6targetE1EEEvT1_,@function
_ZN7rocprim17ROCPRIM_400000_NS6detail17trampoline_kernelINS0_14default_configENS1_25transform_config_selectorIfLb0EEEZNS1_14transform_implILb0ES3_S5_N6thrust23THRUST_200600_302600_NS6detail15normal_iteratorINS8_10device_ptrIfEEEEPfNS0_8identityIfEEEE10hipError_tT2_T3_mT4_P12ihipStream_tbEUlT_E_NS1_11comp_targetILNS1_3genE10ELNS1_11target_archE1201ELNS1_3gpuE5ELNS1_3repE0EEENS1_30default_config_static_selectorELNS0_4arch9wavefront6targetE1EEEvT1_: ; @_ZN7rocprim17ROCPRIM_400000_NS6detail17trampoline_kernelINS0_14default_configENS1_25transform_config_selectorIfLb0EEEZNS1_14transform_implILb0ES3_S5_N6thrust23THRUST_200600_302600_NS6detail15normal_iteratorINS8_10device_ptrIfEEEEPfNS0_8identityIfEEEE10hipError_tT2_T3_mT4_P12ihipStream_tbEUlT_E_NS1_11comp_targetILNS1_3genE10ELNS1_11target_archE1201ELNS1_3gpuE5ELNS1_3repE0EEENS1_30default_config_static_selectorELNS0_4arch9wavefront6targetE1EEEvT1_
; %bb.0:
	.section	.rodata,"a",@progbits
	.p2align	6, 0x0
	.amdhsa_kernel _ZN7rocprim17ROCPRIM_400000_NS6detail17trampoline_kernelINS0_14default_configENS1_25transform_config_selectorIfLb0EEEZNS1_14transform_implILb0ES3_S5_N6thrust23THRUST_200600_302600_NS6detail15normal_iteratorINS8_10device_ptrIfEEEEPfNS0_8identityIfEEEE10hipError_tT2_T3_mT4_P12ihipStream_tbEUlT_E_NS1_11comp_targetILNS1_3genE10ELNS1_11target_archE1201ELNS1_3gpuE5ELNS1_3repE0EEENS1_30default_config_static_selectorELNS0_4arch9wavefront6targetE1EEEvT1_
		.amdhsa_group_segment_fixed_size 0
		.amdhsa_private_segment_fixed_size 0
		.amdhsa_kernarg_size 40
		.amdhsa_user_sgpr_count 2
		.amdhsa_user_sgpr_dispatch_ptr 0
		.amdhsa_user_sgpr_queue_ptr 0
		.amdhsa_user_sgpr_kernarg_segment_ptr 1
		.amdhsa_user_sgpr_dispatch_id 0
		.amdhsa_user_sgpr_kernarg_preload_length 0
		.amdhsa_user_sgpr_kernarg_preload_offset 0
		.amdhsa_user_sgpr_private_segment_size 0
		.amdhsa_uses_dynamic_stack 0
		.amdhsa_enable_private_segment 0
		.amdhsa_system_sgpr_workgroup_id_x 1
		.amdhsa_system_sgpr_workgroup_id_y 0
		.amdhsa_system_sgpr_workgroup_id_z 0
		.amdhsa_system_sgpr_workgroup_info 0
		.amdhsa_system_vgpr_workitem_id 0
		.amdhsa_next_free_vgpr 1
		.amdhsa_next_free_sgpr 0
		.amdhsa_accum_offset 4
		.amdhsa_reserve_vcc 0
		.amdhsa_float_round_mode_32 0
		.amdhsa_float_round_mode_16_64 0
		.amdhsa_float_denorm_mode_32 3
		.amdhsa_float_denorm_mode_16_64 3
		.amdhsa_dx10_clamp 1
		.amdhsa_ieee_mode 1
		.amdhsa_fp16_overflow 0
		.amdhsa_tg_split 0
		.amdhsa_exception_fp_ieee_invalid_op 0
		.amdhsa_exception_fp_denorm_src 0
		.amdhsa_exception_fp_ieee_div_zero 0
		.amdhsa_exception_fp_ieee_overflow 0
		.amdhsa_exception_fp_ieee_underflow 0
		.amdhsa_exception_fp_ieee_inexact 0
		.amdhsa_exception_int_div_zero 0
	.end_amdhsa_kernel
	.section	.text._ZN7rocprim17ROCPRIM_400000_NS6detail17trampoline_kernelINS0_14default_configENS1_25transform_config_selectorIfLb0EEEZNS1_14transform_implILb0ES3_S5_N6thrust23THRUST_200600_302600_NS6detail15normal_iteratorINS8_10device_ptrIfEEEEPfNS0_8identityIfEEEE10hipError_tT2_T3_mT4_P12ihipStream_tbEUlT_E_NS1_11comp_targetILNS1_3genE10ELNS1_11target_archE1201ELNS1_3gpuE5ELNS1_3repE0EEENS1_30default_config_static_selectorELNS0_4arch9wavefront6targetE1EEEvT1_,"axG",@progbits,_ZN7rocprim17ROCPRIM_400000_NS6detail17trampoline_kernelINS0_14default_configENS1_25transform_config_selectorIfLb0EEEZNS1_14transform_implILb0ES3_S5_N6thrust23THRUST_200600_302600_NS6detail15normal_iteratorINS8_10device_ptrIfEEEEPfNS0_8identityIfEEEE10hipError_tT2_T3_mT4_P12ihipStream_tbEUlT_E_NS1_11comp_targetILNS1_3genE10ELNS1_11target_archE1201ELNS1_3gpuE5ELNS1_3repE0EEENS1_30default_config_static_selectorELNS0_4arch9wavefront6targetE1EEEvT1_,comdat
.Lfunc_end555:
	.size	_ZN7rocprim17ROCPRIM_400000_NS6detail17trampoline_kernelINS0_14default_configENS1_25transform_config_selectorIfLb0EEEZNS1_14transform_implILb0ES3_S5_N6thrust23THRUST_200600_302600_NS6detail15normal_iteratorINS8_10device_ptrIfEEEEPfNS0_8identityIfEEEE10hipError_tT2_T3_mT4_P12ihipStream_tbEUlT_E_NS1_11comp_targetILNS1_3genE10ELNS1_11target_archE1201ELNS1_3gpuE5ELNS1_3repE0EEENS1_30default_config_static_selectorELNS0_4arch9wavefront6targetE1EEEvT1_, .Lfunc_end555-_ZN7rocprim17ROCPRIM_400000_NS6detail17trampoline_kernelINS0_14default_configENS1_25transform_config_selectorIfLb0EEEZNS1_14transform_implILb0ES3_S5_N6thrust23THRUST_200600_302600_NS6detail15normal_iteratorINS8_10device_ptrIfEEEEPfNS0_8identityIfEEEE10hipError_tT2_T3_mT4_P12ihipStream_tbEUlT_E_NS1_11comp_targetILNS1_3genE10ELNS1_11target_archE1201ELNS1_3gpuE5ELNS1_3repE0EEENS1_30default_config_static_selectorELNS0_4arch9wavefront6targetE1EEEvT1_
                                        ; -- End function
	.set _ZN7rocprim17ROCPRIM_400000_NS6detail17trampoline_kernelINS0_14default_configENS1_25transform_config_selectorIfLb0EEEZNS1_14transform_implILb0ES3_S5_N6thrust23THRUST_200600_302600_NS6detail15normal_iteratorINS8_10device_ptrIfEEEEPfNS0_8identityIfEEEE10hipError_tT2_T3_mT4_P12ihipStream_tbEUlT_E_NS1_11comp_targetILNS1_3genE10ELNS1_11target_archE1201ELNS1_3gpuE5ELNS1_3repE0EEENS1_30default_config_static_selectorELNS0_4arch9wavefront6targetE1EEEvT1_.num_vgpr, 0
	.set _ZN7rocprim17ROCPRIM_400000_NS6detail17trampoline_kernelINS0_14default_configENS1_25transform_config_selectorIfLb0EEEZNS1_14transform_implILb0ES3_S5_N6thrust23THRUST_200600_302600_NS6detail15normal_iteratorINS8_10device_ptrIfEEEEPfNS0_8identityIfEEEE10hipError_tT2_T3_mT4_P12ihipStream_tbEUlT_E_NS1_11comp_targetILNS1_3genE10ELNS1_11target_archE1201ELNS1_3gpuE5ELNS1_3repE0EEENS1_30default_config_static_selectorELNS0_4arch9wavefront6targetE1EEEvT1_.num_agpr, 0
	.set _ZN7rocprim17ROCPRIM_400000_NS6detail17trampoline_kernelINS0_14default_configENS1_25transform_config_selectorIfLb0EEEZNS1_14transform_implILb0ES3_S5_N6thrust23THRUST_200600_302600_NS6detail15normal_iteratorINS8_10device_ptrIfEEEEPfNS0_8identityIfEEEE10hipError_tT2_T3_mT4_P12ihipStream_tbEUlT_E_NS1_11comp_targetILNS1_3genE10ELNS1_11target_archE1201ELNS1_3gpuE5ELNS1_3repE0EEENS1_30default_config_static_selectorELNS0_4arch9wavefront6targetE1EEEvT1_.numbered_sgpr, 0
	.set _ZN7rocprim17ROCPRIM_400000_NS6detail17trampoline_kernelINS0_14default_configENS1_25transform_config_selectorIfLb0EEEZNS1_14transform_implILb0ES3_S5_N6thrust23THRUST_200600_302600_NS6detail15normal_iteratorINS8_10device_ptrIfEEEEPfNS0_8identityIfEEEE10hipError_tT2_T3_mT4_P12ihipStream_tbEUlT_E_NS1_11comp_targetILNS1_3genE10ELNS1_11target_archE1201ELNS1_3gpuE5ELNS1_3repE0EEENS1_30default_config_static_selectorELNS0_4arch9wavefront6targetE1EEEvT1_.num_named_barrier, 0
	.set _ZN7rocprim17ROCPRIM_400000_NS6detail17trampoline_kernelINS0_14default_configENS1_25transform_config_selectorIfLb0EEEZNS1_14transform_implILb0ES3_S5_N6thrust23THRUST_200600_302600_NS6detail15normal_iteratorINS8_10device_ptrIfEEEEPfNS0_8identityIfEEEE10hipError_tT2_T3_mT4_P12ihipStream_tbEUlT_E_NS1_11comp_targetILNS1_3genE10ELNS1_11target_archE1201ELNS1_3gpuE5ELNS1_3repE0EEENS1_30default_config_static_selectorELNS0_4arch9wavefront6targetE1EEEvT1_.private_seg_size, 0
	.set _ZN7rocprim17ROCPRIM_400000_NS6detail17trampoline_kernelINS0_14default_configENS1_25transform_config_selectorIfLb0EEEZNS1_14transform_implILb0ES3_S5_N6thrust23THRUST_200600_302600_NS6detail15normal_iteratorINS8_10device_ptrIfEEEEPfNS0_8identityIfEEEE10hipError_tT2_T3_mT4_P12ihipStream_tbEUlT_E_NS1_11comp_targetILNS1_3genE10ELNS1_11target_archE1201ELNS1_3gpuE5ELNS1_3repE0EEENS1_30default_config_static_selectorELNS0_4arch9wavefront6targetE1EEEvT1_.uses_vcc, 0
	.set _ZN7rocprim17ROCPRIM_400000_NS6detail17trampoline_kernelINS0_14default_configENS1_25transform_config_selectorIfLb0EEEZNS1_14transform_implILb0ES3_S5_N6thrust23THRUST_200600_302600_NS6detail15normal_iteratorINS8_10device_ptrIfEEEEPfNS0_8identityIfEEEE10hipError_tT2_T3_mT4_P12ihipStream_tbEUlT_E_NS1_11comp_targetILNS1_3genE10ELNS1_11target_archE1201ELNS1_3gpuE5ELNS1_3repE0EEENS1_30default_config_static_selectorELNS0_4arch9wavefront6targetE1EEEvT1_.uses_flat_scratch, 0
	.set _ZN7rocprim17ROCPRIM_400000_NS6detail17trampoline_kernelINS0_14default_configENS1_25transform_config_selectorIfLb0EEEZNS1_14transform_implILb0ES3_S5_N6thrust23THRUST_200600_302600_NS6detail15normal_iteratorINS8_10device_ptrIfEEEEPfNS0_8identityIfEEEE10hipError_tT2_T3_mT4_P12ihipStream_tbEUlT_E_NS1_11comp_targetILNS1_3genE10ELNS1_11target_archE1201ELNS1_3gpuE5ELNS1_3repE0EEENS1_30default_config_static_selectorELNS0_4arch9wavefront6targetE1EEEvT1_.has_dyn_sized_stack, 0
	.set _ZN7rocprim17ROCPRIM_400000_NS6detail17trampoline_kernelINS0_14default_configENS1_25transform_config_selectorIfLb0EEEZNS1_14transform_implILb0ES3_S5_N6thrust23THRUST_200600_302600_NS6detail15normal_iteratorINS8_10device_ptrIfEEEEPfNS0_8identityIfEEEE10hipError_tT2_T3_mT4_P12ihipStream_tbEUlT_E_NS1_11comp_targetILNS1_3genE10ELNS1_11target_archE1201ELNS1_3gpuE5ELNS1_3repE0EEENS1_30default_config_static_selectorELNS0_4arch9wavefront6targetE1EEEvT1_.has_recursion, 0
	.set _ZN7rocprim17ROCPRIM_400000_NS6detail17trampoline_kernelINS0_14default_configENS1_25transform_config_selectorIfLb0EEEZNS1_14transform_implILb0ES3_S5_N6thrust23THRUST_200600_302600_NS6detail15normal_iteratorINS8_10device_ptrIfEEEEPfNS0_8identityIfEEEE10hipError_tT2_T3_mT4_P12ihipStream_tbEUlT_E_NS1_11comp_targetILNS1_3genE10ELNS1_11target_archE1201ELNS1_3gpuE5ELNS1_3repE0EEENS1_30default_config_static_selectorELNS0_4arch9wavefront6targetE1EEEvT1_.has_indirect_call, 0
	.section	.AMDGPU.csdata,"",@progbits
; Kernel info:
; codeLenInByte = 0
; TotalNumSgprs: 6
; NumVgprs: 0
; NumAgprs: 0
; TotalNumVgprs: 0
; ScratchSize: 0
; MemoryBound: 0
; FloatMode: 240
; IeeeMode: 1
; LDSByteSize: 0 bytes/workgroup (compile time only)
; SGPRBlocks: 0
; VGPRBlocks: 0
; NumSGPRsForWavesPerEU: 6
; NumVGPRsForWavesPerEU: 1
; AccumOffset: 4
; Occupancy: 8
; WaveLimiterHint : 0
; COMPUTE_PGM_RSRC2:SCRATCH_EN: 0
; COMPUTE_PGM_RSRC2:USER_SGPR: 2
; COMPUTE_PGM_RSRC2:TRAP_HANDLER: 0
; COMPUTE_PGM_RSRC2:TGID_X_EN: 1
; COMPUTE_PGM_RSRC2:TGID_Y_EN: 0
; COMPUTE_PGM_RSRC2:TGID_Z_EN: 0
; COMPUTE_PGM_RSRC2:TIDIG_COMP_CNT: 0
; COMPUTE_PGM_RSRC3_GFX90A:ACCUM_OFFSET: 0
; COMPUTE_PGM_RSRC3_GFX90A:TG_SPLIT: 0
	.section	.text._ZN7rocprim17ROCPRIM_400000_NS6detail17trampoline_kernelINS0_14default_configENS1_25transform_config_selectorIfLb0EEEZNS1_14transform_implILb0ES3_S5_N6thrust23THRUST_200600_302600_NS6detail15normal_iteratorINS8_10device_ptrIfEEEEPfNS0_8identityIfEEEE10hipError_tT2_T3_mT4_P12ihipStream_tbEUlT_E_NS1_11comp_targetILNS1_3genE10ELNS1_11target_archE1200ELNS1_3gpuE4ELNS1_3repE0EEENS1_30default_config_static_selectorELNS0_4arch9wavefront6targetE1EEEvT1_,"axG",@progbits,_ZN7rocprim17ROCPRIM_400000_NS6detail17trampoline_kernelINS0_14default_configENS1_25transform_config_selectorIfLb0EEEZNS1_14transform_implILb0ES3_S5_N6thrust23THRUST_200600_302600_NS6detail15normal_iteratorINS8_10device_ptrIfEEEEPfNS0_8identityIfEEEE10hipError_tT2_T3_mT4_P12ihipStream_tbEUlT_E_NS1_11comp_targetILNS1_3genE10ELNS1_11target_archE1200ELNS1_3gpuE4ELNS1_3repE0EEENS1_30default_config_static_selectorELNS0_4arch9wavefront6targetE1EEEvT1_,comdat
	.protected	_ZN7rocprim17ROCPRIM_400000_NS6detail17trampoline_kernelINS0_14default_configENS1_25transform_config_selectorIfLb0EEEZNS1_14transform_implILb0ES3_S5_N6thrust23THRUST_200600_302600_NS6detail15normal_iteratorINS8_10device_ptrIfEEEEPfNS0_8identityIfEEEE10hipError_tT2_T3_mT4_P12ihipStream_tbEUlT_E_NS1_11comp_targetILNS1_3genE10ELNS1_11target_archE1200ELNS1_3gpuE4ELNS1_3repE0EEENS1_30default_config_static_selectorELNS0_4arch9wavefront6targetE1EEEvT1_ ; -- Begin function _ZN7rocprim17ROCPRIM_400000_NS6detail17trampoline_kernelINS0_14default_configENS1_25transform_config_selectorIfLb0EEEZNS1_14transform_implILb0ES3_S5_N6thrust23THRUST_200600_302600_NS6detail15normal_iteratorINS8_10device_ptrIfEEEEPfNS0_8identityIfEEEE10hipError_tT2_T3_mT4_P12ihipStream_tbEUlT_E_NS1_11comp_targetILNS1_3genE10ELNS1_11target_archE1200ELNS1_3gpuE4ELNS1_3repE0EEENS1_30default_config_static_selectorELNS0_4arch9wavefront6targetE1EEEvT1_
	.globl	_ZN7rocprim17ROCPRIM_400000_NS6detail17trampoline_kernelINS0_14default_configENS1_25transform_config_selectorIfLb0EEEZNS1_14transform_implILb0ES3_S5_N6thrust23THRUST_200600_302600_NS6detail15normal_iteratorINS8_10device_ptrIfEEEEPfNS0_8identityIfEEEE10hipError_tT2_T3_mT4_P12ihipStream_tbEUlT_E_NS1_11comp_targetILNS1_3genE10ELNS1_11target_archE1200ELNS1_3gpuE4ELNS1_3repE0EEENS1_30default_config_static_selectorELNS0_4arch9wavefront6targetE1EEEvT1_
	.p2align	8
	.type	_ZN7rocprim17ROCPRIM_400000_NS6detail17trampoline_kernelINS0_14default_configENS1_25transform_config_selectorIfLb0EEEZNS1_14transform_implILb0ES3_S5_N6thrust23THRUST_200600_302600_NS6detail15normal_iteratorINS8_10device_ptrIfEEEEPfNS0_8identityIfEEEE10hipError_tT2_T3_mT4_P12ihipStream_tbEUlT_E_NS1_11comp_targetILNS1_3genE10ELNS1_11target_archE1200ELNS1_3gpuE4ELNS1_3repE0EEENS1_30default_config_static_selectorELNS0_4arch9wavefront6targetE1EEEvT1_,@function
_ZN7rocprim17ROCPRIM_400000_NS6detail17trampoline_kernelINS0_14default_configENS1_25transform_config_selectorIfLb0EEEZNS1_14transform_implILb0ES3_S5_N6thrust23THRUST_200600_302600_NS6detail15normal_iteratorINS8_10device_ptrIfEEEEPfNS0_8identityIfEEEE10hipError_tT2_T3_mT4_P12ihipStream_tbEUlT_E_NS1_11comp_targetILNS1_3genE10ELNS1_11target_archE1200ELNS1_3gpuE4ELNS1_3repE0EEENS1_30default_config_static_selectorELNS0_4arch9wavefront6targetE1EEEvT1_: ; @_ZN7rocprim17ROCPRIM_400000_NS6detail17trampoline_kernelINS0_14default_configENS1_25transform_config_selectorIfLb0EEEZNS1_14transform_implILb0ES3_S5_N6thrust23THRUST_200600_302600_NS6detail15normal_iteratorINS8_10device_ptrIfEEEEPfNS0_8identityIfEEEE10hipError_tT2_T3_mT4_P12ihipStream_tbEUlT_E_NS1_11comp_targetILNS1_3genE10ELNS1_11target_archE1200ELNS1_3gpuE4ELNS1_3repE0EEENS1_30default_config_static_selectorELNS0_4arch9wavefront6targetE1EEEvT1_
; %bb.0:
	.section	.rodata,"a",@progbits
	.p2align	6, 0x0
	.amdhsa_kernel _ZN7rocprim17ROCPRIM_400000_NS6detail17trampoline_kernelINS0_14default_configENS1_25transform_config_selectorIfLb0EEEZNS1_14transform_implILb0ES3_S5_N6thrust23THRUST_200600_302600_NS6detail15normal_iteratorINS8_10device_ptrIfEEEEPfNS0_8identityIfEEEE10hipError_tT2_T3_mT4_P12ihipStream_tbEUlT_E_NS1_11comp_targetILNS1_3genE10ELNS1_11target_archE1200ELNS1_3gpuE4ELNS1_3repE0EEENS1_30default_config_static_selectorELNS0_4arch9wavefront6targetE1EEEvT1_
		.amdhsa_group_segment_fixed_size 0
		.amdhsa_private_segment_fixed_size 0
		.amdhsa_kernarg_size 40
		.amdhsa_user_sgpr_count 2
		.amdhsa_user_sgpr_dispatch_ptr 0
		.amdhsa_user_sgpr_queue_ptr 0
		.amdhsa_user_sgpr_kernarg_segment_ptr 1
		.amdhsa_user_sgpr_dispatch_id 0
		.amdhsa_user_sgpr_kernarg_preload_length 0
		.amdhsa_user_sgpr_kernarg_preload_offset 0
		.amdhsa_user_sgpr_private_segment_size 0
		.amdhsa_uses_dynamic_stack 0
		.amdhsa_enable_private_segment 0
		.amdhsa_system_sgpr_workgroup_id_x 1
		.amdhsa_system_sgpr_workgroup_id_y 0
		.amdhsa_system_sgpr_workgroup_id_z 0
		.amdhsa_system_sgpr_workgroup_info 0
		.amdhsa_system_vgpr_workitem_id 0
		.amdhsa_next_free_vgpr 1
		.amdhsa_next_free_sgpr 0
		.amdhsa_accum_offset 4
		.amdhsa_reserve_vcc 0
		.amdhsa_float_round_mode_32 0
		.amdhsa_float_round_mode_16_64 0
		.amdhsa_float_denorm_mode_32 3
		.amdhsa_float_denorm_mode_16_64 3
		.amdhsa_dx10_clamp 1
		.amdhsa_ieee_mode 1
		.amdhsa_fp16_overflow 0
		.amdhsa_tg_split 0
		.amdhsa_exception_fp_ieee_invalid_op 0
		.amdhsa_exception_fp_denorm_src 0
		.amdhsa_exception_fp_ieee_div_zero 0
		.amdhsa_exception_fp_ieee_overflow 0
		.amdhsa_exception_fp_ieee_underflow 0
		.amdhsa_exception_fp_ieee_inexact 0
		.amdhsa_exception_int_div_zero 0
	.end_amdhsa_kernel
	.section	.text._ZN7rocprim17ROCPRIM_400000_NS6detail17trampoline_kernelINS0_14default_configENS1_25transform_config_selectorIfLb0EEEZNS1_14transform_implILb0ES3_S5_N6thrust23THRUST_200600_302600_NS6detail15normal_iteratorINS8_10device_ptrIfEEEEPfNS0_8identityIfEEEE10hipError_tT2_T3_mT4_P12ihipStream_tbEUlT_E_NS1_11comp_targetILNS1_3genE10ELNS1_11target_archE1200ELNS1_3gpuE4ELNS1_3repE0EEENS1_30default_config_static_selectorELNS0_4arch9wavefront6targetE1EEEvT1_,"axG",@progbits,_ZN7rocprim17ROCPRIM_400000_NS6detail17trampoline_kernelINS0_14default_configENS1_25transform_config_selectorIfLb0EEEZNS1_14transform_implILb0ES3_S5_N6thrust23THRUST_200600_302600_NS6detail15normal_iteratorINS8_10device_ptrIfEEEEPfNS0_8identityIfEEEE10hipError_tT2_T3_mT4_P12ihipStream_tbEUlT_E_NS1_11comp_targetILNS1_3genE10ELNS1_11target_archE1200ELNS1_3gpuE4ELNS1_3repE0EEENS1_30default_config_static_selectorELNS0_4arch9wavefront6targetE1EEEvT1_,comdat
.Lfunc_end556:
	.size	_ZN7rocprim17ROCPRIM_400000_NS6detail17trampoline_kernelINS0_14default_configENS1_25transform_config_selectorIfLb0EEEZNS1_14transform_implILb0ES3_S5_N6thrust23THRUST_200600_302600_NS6detail15normal_iteratorINS8_10device_ptrIfEEEEPfNS0_8identityIfEEEE10hipError_tT2_T3_mT4_P12ihipStream_tbEUlT_E_NS1_11comp_targetILNS1_3genE10ELNS1_11target_archE1200ELNS1_3gpuE4ELNS1_3repE0EEENS1_30default_config_static_selectorELNS0_4arch9wavefront6targetE1EEEvT1_, .Lfunc_end556-_ZN7rocprim17ROCPRIM_400000_NS6detail17trampoline_kernelINS0_14default_configENS1_25transform_config_selectorIfLb0EEEZNS1_14transform_implILb0ES3_S5_N6thrust23THRUST_200600_302600_NS6detail15normal_iteratorINS8_10device_ptrIfEEEEPfNS0_8identityIfEEEE10hipError_tT2_T3_mT4_P12ihipStream_tbEUlT_E_NS1_11comp_targetILNS1_3genE10ELNS1_11target_archE1200ELNS1_3gpuE4ELNS1_3repE0EEENS1_30default_config_static_selectorELNS0_4arch9wavefront6targetE1EEEvT1_
                                        ; -- End function
	.set _ZN7rocprim17ROCPRIM_400000_NS6detail17trampoline_kernelINS0_14default_configENS1_25transform_config_selectorIfLb0EEEZNS1_14transform_implILb0ES3_S5_N6thrust23THRUST_200600_302600_NS6detail15normal_iteratorINS8_10device_ptrIfEEEEPfNS0_8identityIfEEEE10hipError_tT2_T3_mT4_P12ihipStream_tbEUlT_E_NS1_11comp_targetILNS1_3genE10ELNS1_11target_archE1200ELNS1_3gpuE4ELNS1_3repE0EEENS1_30default_config_static_selectorELNS0_4arch9wavefront6targetE1EEEvT1_.num_vgpr, 0
	.set _ZN7rocprim17ROCPRIM_400000_NS6detail17trampoline_kernelINS0_14default_configENS1_25transform_config_selectorIfLb0EEEZNS1_14transform_implILb0ES3_S5_N6thrust23THRUST_200600_302600_NS6detail15normal_iteratorINS8_10device_ptrIfEEEEPfNS0_8identityIfEEEE10hipError_tT2_T3_mT4_P12ihipStream_tbEUlT_E_NS1_11comp_targetILNS1_3genE10ELNS1_11target_archE1200ELNS1_3gpuE4ELNS1_3repE0EEENS1_30default_config_static_selectorELNS0_4arch9wavefront6targetE1EEEvT1_.num_agpr, 0
	.set _ZN7rocprim17ROCPRIM_400000_NS6detail17trampoline_kernelINS0_14default_configENS1_25transform_config_selectorIfLb0EEEZNS1_14transform_implILb0ES3_S5_N6thrust23THRUST_200600_302600_NS6detail15normal_iteratorINS8_10device_ptrIfEEEEPfNS0_8identityIfEEEE10hipError_tT2_T3_mT4_P12ihipStream_tbEUlT_E_NS1_11comp_targetILNS1_3genE10ELNS1_11target_archE1200ELNS1_3gpuE4ELNS1_3repE0EEENS1_30default_config_static_selectorELNS0_4arch9wavefront6targetE1EEEvT1_.numbered_sgpr, 0
	.set _ZN7rocprim17ROCPRIM_400000_NS6detail17trampoline_kernelINS0_14default_configENS1_25transform_config_selectorIfLb0EEEZNS1_14transform_implILb0ES3_S5_N6thrust23THRUST_200600_302600_NS6detail15normal_iteratorINS8_10device_ptrIfEEEEPfNS0_8identityIfEEEE10hipError_tT2_T3_mT4_P12ihipStream_tbEUlT_E_NS1_11comp_targetILNS1_3genE10ELNS1_11target_archE1200ELNS1_3gpuE4ELNS1_3repE0EEENS1_30default_config_static_selectorELNS0_4arch9wavefront6targetE1EEEvT1_.num_named_barrier, 0
	.set _ZN7rocprim17ROCPRIM_400000_NS6detail17trampoline_kernelINS0_14default_configENS1_25transform_config_selectorIfLb0EEEZNS1_14transform_implILb0ES3_S5_N6thrust23THRUST_200600_302600_NS6detail15normal_iteratorINS8_10device_ptrIfEEEEPfNS0_8identityIfEEEE10hipError_tT2_T3_mT4_P12ihipStream_tbEUlT_E_NS1_11comp_targetILNS1_3genE10ELNS1_11target_archE1200ELNS1_3gpuE4ELNS1_3repE0EEENS1_30default_config_static_selectorELNS0_4arch9wavefront6targetE1EEEvT1_.private_seg_size, 0
	.set _ZN7rocprim17ROCPRIM_400000_NS6detail17trampoline_kernelINS0_14default_configENS1_25transform_config_selectorIfLb0EEEZNS1_14transform_implILb0ES3_S5_N6thrust23THRUST_200600_302600_NS6detail15normal_iteratorINS8_10device_ptrIfEEEEPfNS0_8identityIfEEEE10hipError_tT2_T3_mT4_P12ihipStream_tbEUlT_E_NS1_11comp_targetILNS1_3genE10ELNS1_11target_archE1200ELNS1_3gpuE4ELNS1_3repE0EEENS1_30default_config_static_selectorELNS0_4arch9wavefront6targetE1EEEvT1_.uses_vcc, 0
	.set _ZN7rocprim17ROCPRIM_400000_NS6detail17trampoline_kernelINS0_14default_configENS1_25transform_config_selectorIfLb0EEEZNS1_14transform_implILb0ES3_S5_N6thrust23THRUST_200600_302600_NS6detail15normal_iteratorINS8_10device_ptrIfEEEEPfNS0_8identityIfEEEE10hipError_tT2_T3_mT4_P12ihipStream_tbEUlT_E_NS1_11comp_targetILNS1_3genE10ELNS1_11target_archE1200ELNS1_3gpuE4ELNS1_3repE0EEENS1_30default_config_static_selectorELNS0_4arch9wavefront6targetE1EEEvT1_.uses_flat_scratch, 0
	.set _ZN7rocprim17ROCPRIM_400000_NS6detail17trampoline_kernelINS0_14default_configENS1_25transform_config_selectorIfLb0EEEZNS1_14transform_implILb0ES3_S5_N6thrust23THRUST_200600_302600_NS6detail15normal_iteratorINS8_10device_ptrIfEEEEPfNS0_8identityIfEEEE10hipError_tT2_T3_mT4_P12ihipStream_tbEUlT_E_NS1_11comp_targetILNS1_3genE10ELNS1_11target_archE1200ELNS1_3gpuE4ELNS1_3repE0EEENS1_30default_config_static_selectorELNS0_4arch9wavefront6targetE1EEEvT1_.has_dyn_sized_stack, 0
	.set _ZN7rocprim17ROCPRIM_400000_NS6detail17trampoline_kernelINS0_14default_configENS1_25transform_config_selectorIfLb0EEEZNS1_14transform_implILb0ES3_S5_N6thrust23THRUST_200600_302600_NS6detail15normal_iteratorINS8_10device_ptrIfEEEEPfNS0_8identityIfEEEE10hipError_tT2_T3_mT4_P12ihipStream_tbEUlT_E_NS1_11comp_targetILNS1_3genE10ELNS1_11target_archE1200ELNS1_3gpuE4ELNS1_3repE0EEENS1_30default_config_static_selectorELNS0_4arch9wavefront6targetE1EEEvT1_.has_recursion, 0
	.set _ZN7rocprim17ROCPRIM_400000_NS6detail17trampoline_kernelINS0_14default_configENS1_25transform_config_selectorIfLb0EEEZNS1_14transform_implILb0ES3_S5_N6thrust23THRUST_200600_302600_NS6detail15normal_iteratorINS8_10device_ptrIfEEEEPfNS0_8identityIfEEEE10hipError_tT2_T3_mT4_P12ihipStream_tbEUlT_E_NS1_11comp_targetILNS1_3genE10ELNS1_11target_archE1200ELNS1_3gpuE4ELNS1_3repE0EEENS1_30default_config_static_selectorELNS0_4arch9wavefront6targetE1EEEvT1_.has_indirect_call, 0
	.section	.AMDGPU.csdata,"",@progbits
; Kernel info:
; codeLenInByte = 0
; TotalNumSgprs: 6
; NumVgprs: 0
; NumAgprs: 0
; TotalNumVgprs: 0
; ScratchSize: 0
; MemoryBound: 0
; FloatMode: 240
; IeeeMode: 1
; LDSByteSize: 0 bytes/workgroup (compile time only)
; SGPRBlocks: 0
; VGPRBlocks: 0
; NumSGPRsForWavesPerEU: 6
; NumVGPRsForWavesPerEU: 1
; AccumOffset: 4
; Occupancy: 8
; WaveLimiterHint : 0
; COMPUTE_PGM_RSRC2:SCRATCH_EN: 0
; COMPUTE_PGM_RSRC2:USER_SGPR: 2
; COMPUTE_PGM_RSRC2:TRAP_HANDLER: 0
; COMPUTE_PGM_RSRC2:TGID_X_EN: 1
; COMPUTE_PGM_RSRC2:TGID_Y_EN: 0
; COMPUTE_PGM_RSRC2:TGID_Z_EN: 0
; COMPUTE_PGM_RSRC2:TIDIG_COMP_CNT: 0
; COMPUTE_PGM_RSRC3_GFX90A:ACCUM_OFFSET: 0
; COMPUTE_PGM_RSRC3_GFX90A:TG_SPLIT: 0
	.section	.text._ZN7rocprim17ROCPRIM_400000_NS6detail17trampoline_kernelINS0_14default_configENS1_25transform_config_selectorIfLb0EEEZNS1_14transform_implILb0ES3_S5_N6thrust23THRUST_200600_302600_NS6detail15normal_iteratorINS8_10device_ptrIfEEEEPfNS0_8identityIfEEEE10hipError_tT2_T3_mT4_P12ihipStream_tbEUlT_E_NS1_11comp_targetILNS1_3genE9ELNS1_11target_archE1100ELNS1_3gpuE3ELNS1_3repE0EEENS1_30default_config_static_selectorELNS0_4arch9wavefront6targetE1EEEvT1_,"axG",@progbits,_ZN7rocprim17ROCPRIM_400000_NS6detail17trampoline_kernelINS0_14default_configENS1_25transform_config_selectorIfLb0EEEZNS1_14transform_implILb0ES3_S5_N6thrust23THRUST_200600_302600_NS6detail15normal_iteratorINS8_10device_ptrIfEEEEPfNS0_8identityIfEEEE10hipError_tT2_T3_mT4_P12ihipStream_tbEUlT_E_NS1_11comp_targetILNS1_3genE9ELNS1_11target_archE1100ELNS1_3gpuE3ELNS1_3repE0EEENS1_30default_config_static_selectorELNS0_4arch9wavefront6targetE1EEEvT1_,comdat
	.protected	_ZN7rocprim17ROCPRIM_400000_NS6detail17trampoline_kernelINS0_14default_configENS1_25transform_config_selectorIfLb0EEEZNS1_14transform_implILb0ES3_S5_N6thrust23THRUST_200600_302600_NS6detail15normal_iteratorINS8_10device_ptrIfEEEEPfNS0_8identityIfEEEE10hipError_tT2_T3_mT4_P12ihipStream_tbEUlT_E_NS1_11comp_targetILNS1_3genE9ELNS1_11target_archE1100ELNS1_3gpuE3ELNS1_3repE0EEENS1_30default_config_static_selectorELNS0_4arch9wavefront6targetE1EEEvT1_ ; -- Begin function _ZN7rocprim17ROCPRIM_400000_NS6detail17trampoline_kernelINS0_14default_configENS1_25transform_config_selectorIfLb0EEEZNS1_14transform_implILb0ES3_S5_N6thrust23THRUST_200600_302600_NS6detail15normal_iteratorINS8_10device_ptrIfEEEEPfNS0_8identityIfEEEE10hipError_tT2_T3_mT4_P12ihipStream_tbEUlT_E_NS1_11comp_targetILNS1_3genE9ELNS1_11target_archE1100ELNS1_3gpuE3ELNS1_3repE0EEENS1_30default_config_static_selectorELNS0_4arch9wavefront6targetE1EEEvT1_
	.globl	_ZN7rocprim17ROCPRIM_400000_NS6detail17trampoline_kernelINS0_14default_configENS1_25transform_config_selectorIfLb0EEEZNS1_14transform_implILb0ES3_S5_N6thrust23THRUST_200600_302600_NS6detail15normal_iteratorINS8_10device_ptrIfEEEEPfNS0_8identityIfEEEE10hipError_tT2_T3_mT4_P12ihipStream_tbEUlT_E_NS1_11comp_targetILNS1_3genE9ELNS1_11target_archE1100ELNS1_3gpuE3ELNS1_3repE0EEENS1_30default_config_static_selectorELNS0_4arch9wavefront6targetE1EEEvT1_
	.p2align	8
	.type	_ZN7rocprim17ROCPRIM_400000_NS6detail17trampoline_kernelINS0_14default_configENS1_25transform_config_selectorIfLb0EEEZNS1_14transform_implILb0ES3_S5_N6thrust23THRUST_200600_302600_NS6detail15normal_iteratorINS8_10device_ptrIfEEEEPfNS0_8identityIfEEEE10hipError_tT2_T3_mT4_P12ihipStream_tbEUlT_E_NS1_11comp_targetILNS1_3genE9ELNS1_11target_archE1100ELNS1_3gpuE3ELNS1_3repE0EEENS1_30default_config_static_selectorELNS0_4arch9wavefront6targetE1EEEvT1_,@function
_ZN7rocprim17ROCPRIM_400000_NS6detail17trampoline_kernelINS0_14default_configENS1_25transform_config_selectorIfLb0EEEZNS1_14transform_implILb0ES3_S5_N6thrust23THRUST_200600_302600_NS6detail15normal_iteratorINS8_10device_ptrIfEEEEPfNS0_8identityIfEEEE10hipError_tT2_T3_mT4_P12ihipStream_tbEUlT_E_NS1_11comp_targetILNS1_3genE9ELNS1_11target_archE1100ELNS1_3gpuE3ELNS1_3repE0EEENS1_30default_config_static_selectorELNS0_4arch9wavefront6targetE1EEEvT1_: ; @_ZN7rocprim17ROCPRIM_400000_NS6detail17trampoline_kernelINS0_14default_configENS1_25transform_config_selectorIfLb0EEEZNS1_14transform_implILb0ES3_S5_N6thrust23THRUST_200600_302600_NS6detail15normal_iteratorINS8_10device_ptrIfEEEEPfNS0_8identityIfEEEE10hipError_tT2_T3_mT4_P12ihipStream_tbEUlT_E_NS1_11comp_targetILNS1_3genE9ELNS1_11target_archE1100ELNS1_3gpuE3ELNS1_3repE0EEENS1_30default_config_static_selectorELNS0_4arch9wavefront6targetE1EEEvT1_
; %bb.0:
	.section	.rodata,"a",@progbits
	.p2align	6, 0x0
	.amdhsa_kernel _ZN7rocprim17ROCPRIM_400000_NS6detail17trampoline_kernelINS0_14default_configENS1_25transform_config_selectorIfLb0EEEZNS1_14transform_implILb0ES3_S5_N6thrust23THRUST_200600_302600_NS6detail15normal_iteratorINS8_10device_ptrIfEEEEPfNS0_8identityIfEEEE10hipError_tT2_T3_mT4_P12ihipStream_tbEUlT_E_NS1_11comp_targetILNS1_3genE9ELNS1_11target_archE1100ELNS1_3gpuE3ELNS1_3repE0EEENS1_30default_config_static_selectorELNS0_4arch9wavefront6targetE1EEEvT1_
		.amdhsa_group_segment_fixed_size 0
		.amdhsa_private_segment_fixed_size 0
		.amdhsa_kernarg_size 40
		.amdhsa_user_sgpr_count 2
		.amdhsa_user_sgpr_dispatch_ptr 0
		.amdhsa_user_sgpr_queue_ptr 0
		.amdhsa_user_sgpr_kernarg_segment_ptr 1
		.amdhsa_user_sgpr_dispatch_id 0
		.amdhsa_user_sgpr_kernarg_preload_length 0
		.amdhsa_user_sgpr_kernarg_preload_offset 0
		.amdhsa_user_sgpr_private_segment_size 0
		.amdhsa_uses_dynamic_stack 0
		.amdhsa_enable_private_segment 0
		.amdhsa_system_sgpr_workgroup_id_x 1
		.amdhsa_system_sgpr_workgroup_id_y 0
		.amdhsa_system_sgpr_workgroup_id_z 0
		.amdhsa_system_sgpr_workgroup_info 0
		.amdhsa_system_vgpr_workitem_id 0
		.amdhsa_next_free_vgpr 1
		.amdhsa_next_free_sgpr 0
		.amdhsa_accum_offset 4
		.amdhsa_reserve_vcc 0
		.amdhsa_float_round_mode_32 0
		.amdhsa_float_round_mode_16_64 0
		.amdhsa_float_denorm_mode_32 3
		.amdhsa_float_denorm_mode_16_64 3
		.amdhsa_dx10_clamp 1
		.amdhsa_ieee_mode 1
		.amdhsa_fp16_overflow 0
		.amdhsa_tg_split 0
		.amdhsa_exception_fp_ieee_invalid_op 0
		.amdhsa_exception_fp_denorm_src 0
		.amdhsa_exception_fp_ieee_div_zero 0
		.amdhsa_exception_fp_ieee_overflow 0
		.amdhsa_exception_fp_ieee_underflow 0
		.amdhsa_exception_fp_ieee_inexact 0
		.amdhsa_exception_int_div_zero 0
	.end_amdhsa_kernel
	.section	.text._ZN7rocprim17ROCPRIM_400000_NS6detail17trampoline_kernelINS0_14default_configENS1_25transform_config_selectorIfLb0EEEZNS1_14transform_implILb0ES3_S5_N6thrust23THRUST_200600_302600_NS6detail15normal_iteratorINS8_10device_ptrIfEEEEPfNS0_8identityIfEEEE10hipError_tT2_T3_mT4_P12ihipStream_tbEUlT_E_NS1_11comp_targetILNS1_3genE9ELNS1_11target_archE1100ELNS1_3gpuE3ELNS1_3repE0EEENS1_30default_config_static_selectorELNS0_4arch9wavefront6targetE1EEEvT1_,"axG",@progbits,_ZN7rocprim17ROCPRIM_400000_NS6detail17trampoline_kernelINS0_14default_configENS1_25transform_config_selectorIfLb0EEEZNS1_14transform_implILb0ES3_S5_N6thrust23THRUST_200600_302600_NS6detail15normal_iteratorINS8_10device_ptrIfEEEEPfNS0_8identityIfEEEE10hipError_tT2_T3_mT4_P12ihipStream_tbEUlT_E_NS1_11comp_targetILNS1_3genE9ELNS1_11target_archE1100ELNS1_3gpuE3ELNS1_3repE0EEENS1_30default_config_static_selectorELNS0_4arch9wavefront6targetE1EEEvT1_,comdat
.Lfunc_end557:
	.size	_ZN7rocprim17ROCPRIM_400000_NS6detail17trampoline_kernelINS0_14default_configENS1_25transform_config_selectorIfLb0EEEZNS1_14transform_implILb0ES3_S5_N6thrust23THRUST_200600_302600_NS6detail15normal_iteratorINS8_10device_ptrIfEEEEPfNS0_8identityIfEEEE10hipError_tT2_T3_mT4_P12ihipStream_tbEUlT_E_NS1_11comp_targetILNS1_3genE9ELNS1_11target_archE1100ELNS1_3gpuE3ELNS1_3repE0EEENS1_30default_config_static_selectorELNS0_4arch9wavefront6targetE1EEEvT1_, .Lfunc_end557-_ZN7rocprim17ROCPRIM_400000_NS6detail17trampoline_kernelINS0_14default_configENS1_25transform_config_selectorIfLb0EEEZNS1_14transform_implILb0ES3_S5_N6thrust23THRUST_200600_302600_NS6detail15normal_iteratorINS8_10device_ptrIfEEEEPfNS0_8identityIfEEEE10hipError_tT2_T3_mT4_P12ihipStream_tbEUlT_E_NS1_11comp_targetILNS1_3genE9ELNS1_11target_archE1100ELNS1_3gpuE3ELNS1_3repE0EEENS1_30default_config_static_selectorELNS0_4arch9wavefront6targetE1EEEvT1_
                                        ; -- End function
	.set _ZN7rocprim17ROCPRIM_400000_NS6detail17trampoline_kernelINS0_14default_configENS1_25transform_config_selectorIfLb0EEEZNS1_14transform_implILb0ES3_S5_N6thrust23THRUST_200600_302600_NS6detail15normal_iteratorINS8_10device_ptrIfEEEEPfNS0_8identityIfEEEE10hipError_tT2_T3_mT4_P12ihipStream_tbEUlT_E_NS1_11comp_targetILNS1_3genE9ELNS1_11target_archE1100ELNS1_3gpuE3ELNS1_3repE0EEENS1_30default_config_static_selectorELNS0_4arch9wavefront6targetE1EEEvT1_.num_vgpr, 0
	.set _ZN7rocprim17ROCPRIM_400000_NS6detail17trampoline_kernelINS0_14default_configENS1_25transform_config_selectorIfLb0EEEZNS1_14transform_implILb0ES3_S5_N6thrust23THRUST_200600_302600_NS6detail15normal_iteratorINS8_10device_ptrIfEEEEPfNS0_8identityIfEEEE10hipError_tT2_T3_mT4_P12ihipStream_tbEUlT_E_NS1_11comp_targetILNS1_3genE9ELNS1_11target_archE1100ELNS1_3gpuE3ELNS1_3repE0EEENS1_30default_config_static_selectorELNS0_4arch9wavefront6targetE1EEEvT1_.num_agpr, 0
	.set _ZN7rocprim17ROCPRIM_400000_NS6detail17trampoline_kernelINS0_14default_configENS1_25transform_config_selectorIfLb0EEEZNS1_14transform_implILb0ES3_S5_N6thrust23THRUST_200600_302600_NS6detail15normal_iteratorINS8_10device_ptrIfEEEEPfNS0_8identityIfEEEE10hipError_tT2_T3_mT4_P12ihipStream_tbEUlT_E_NS1_11comp_targetILNS1_3genE9ELNS1_11target_archE1100ELNS1_3gpuE3ELNS1_3repE0EEENS1_30default_config_static_selectorELNS0_4arch9wavefront6targetE1EEEvT1_.numbered_sgpr, 0
	.set _ZN7rocprim17ROCPRIM_400000_NS6detail17trampoline_kernelINS0_14default_configENS1_25transform_config_selectorIfLb0EEEZNS1_14transform_implILb0ES3_S5_N6thrust23THRUST_200600_302600_NS6detail15normal_iteratorINS8_10device_ptrIfEEEEPfNS0_8identityIfEEEE10hipError_tT2_T3_mT4_P12ihipStream_tbEUlT_E_NS1_11comp_targetILNS1_3genE9ELNS1_11target_archE1100ELNS1_3gpuE3ELNS1_3repE0EEENS1_30default_config_static_selectorELNS0_4arch9wavefront6targetE1EEEvT1_.num_named_barrier, 0
	.set _ZN7rocprim17ROCPRIM_400000_NS6detail17trampoline_kernelINS0_14default_configENS1_25transform_config_selectorIfLb0EEEZNS1_14transform_implILb0ES3_S5_N6thrust23THRUST_200600_302600_NS6detail15normal_iteratorINS8_10device_ptrIfEEEEPfNS0_8identityIfEEEE10hipError_tT2_T3_mT4_P12ihipStream_tbEUlT_E_NS1_11comp_targetILNS1_3genE9ELNS1_11target_archE1100ELNS1_3gpuE3ELNS1_3repE0EEENS1_30default_config_static_selectorELNS0_4arch9wavefront6targetE1EEEvT1_.private_seg_size, 0
	.set _ZN7rocprim17ROCPRIM_400000_NS6detail17trampoline_kernelINS0_14default_configENS1_25transform_config_selectorIfLb0EEEZNS1_14transform_implILb0ES3_S5_N6thrust23THRUST_200600_302600_NS6detail15normal_iteratorINS8_10device_ptrIfEEEEPfNS0_8identityIfEEEE10hipError_tT2_T3_mT4_P12ihipStream_tbEUlT_E_NS1_11comp_targetILNS1_3genE9ELNS1_11target_archE1100ELNS1_3gpuE3ELNS1_3repE0EEENS1_30default_config_static_selectorELNS0_4arch9wavefront6targetE1EEEvT1_.uses_vcc, 0
	.set _ZN7rocprim17ROCPRIM_400000_NS6detail17trampoline_kernelINS0_14default_configENS1_25transform_config_selectorIfLb0EEEZNS1_14transform_implILb0ES3_S5_N6thrust23THRUST_200600_302600_NS6detail15normal_iteratorINS8_10device_ptrIfEEEEPfNS0_8identityIfEEEE10hipError_tT2_T3_mT4_P12ihipStream_tbEUlT_E_NS1_11comp_targetILNS1_3genE9ELNS1_11target_archE1100ELNS1_3gpuE3ELNS1_3repE0EEENS1_30default_config_static_selectorELNS0_4arch9wavefront6targetE1EEEvT1_.uses_flat_scratch, 0
	.set _ZN7rocprim17ROCPRIM_400000_NS6detail17trampoline_kernelINS0_14default_configENS1_25transform_config_selectorIfLb0EEEZNS1_14transform_implILb0ES3_S5_N6thrust23THRUST_200600_302600_NS6detail15normal_iteratorINS8_10device_ptrIfEEEEPfNS0_8identityIfEEEE10hipError_tT2_T3_mT4_P12ihipStream_tbEUlT_E_NS1_11comp_targetILNS1_3genE9ELNS1_11target_archE1100ELNS1_3gpuE3ELNS1_3repE0EEENS1_30default_config_static_selectorELNS0_4arch9wavefront6targetE1EEEvT1_.has_dyn_sized_stack, 0
	.set _ZN7rocprim17ROCPRIM_400000_NS6detail17trampoline_kernelINS0_14default_configENS1_25transform_config_selectorIfLb0EEEZNS1_14transform_implILb0ES3_S5_N6thrust23THRUST_200600_302600_NS6detail15normal_iteratorINS8_10device_ptrIfEEEEPfNS0_8identityIfEEEE10hipError_tT2_T3_mT4_P12ihipStream_tbEUlT_E_NS1_11comp_targetILNS1_3genE9ELNS1_11target_archE1100ELNS1_3gpuE3ELNS1_3repE0EEENS1_30default_config_static_selectorELNS0_4arch9wavefront6targetE1EEEvT1_.has_recursion, 0
	.set _ZN7rocprim17ROCPRIM_400000_NS6detail17trampoline_kernelINS0_14default_configENS1_25transform_config_selectorIfLb0EEEZNS1_14transform_implILb0ES3_S5_N6thrust23THRUST_200600_302600_NS6detail15normal_iteratorINS8_10device_ptrIfEEEEPfNS0_8identityIfEEEE10hipError_tT2_T3_mT4_P12ihipStream_tbEUlT_E_NS1_11comp_targetILNS1_3genE9ELNS1_11target_archE1100ELNS1_3gpuE3ELNS1_3repE0EEENS1_30default_config_static_selectorELNS0_4arch9wavefront6targetE1EEEvT1_.has_indirect_call, 0
	.section	.AMDGPU.csdata,"",@progbits
; Kernel info:
; codeLenInByte = 0
; TotalNumSgprs: 6
; NumVgprs: 0
; NumAgprs: 0
; TotalNumVgprs: 0
; ScratchSize: 0
; MemoryBound: 0
; FloatMode: 240
; IeeeMode: 1
; LDSByteSize: 0 bytes/workgroup (compile time only)
; SGPRBlocks: 0
; VGPRBlocks: 0
; NumSGPRsForWavesPerEU: 6
; NumVGPRsForWavesPerEU: 1
; AccumOffset: 4
; Occupancy: 8
; WaveLimiterHint : 0
; COMPUTE_PGM_RSRC2:SCRATCH_EN: 0
; COMPUTE_PGM_RSRC2:USER_SGPR: 2
; COMPUTE_PGM_RSRC2:TRAP_HANDLER: 0
; COMPUTE_PGM_RSRC2:TGID_X_EN: 1
; COMPUTE_PGM_RSRC2:TGID_Y_EN: 0
; COMPUTE_PGM_RSRC2:TGID_Z_EN: 0
; COMPUTE_PGM_RSRC2:TIDIG_COMP_CNT: 0
; COMPUTE_PGM_RSRC3_GFX90A:ACCUM_OFFSET: 0
; COMPUTE_PGM_RSRC3_GFX90A:TG_SPLIT: 0
	.section	.text._ZN7rocprim17ROCPRIM_400000_NS6detail17trampoline_kernelINS0_14default_configENS1_25transform_config_selectorIfLb0EEEZNS1_14transform_implILb0ES3_S5_N6thrust23THRUST_200600_302600_NS6detail15normal_iteratorINS8_10device_ptrIfEEEEPfNS0_8identityIfEEEE10hipError_tT2_T3_mT4_P12ihipStream_tbEUlT_E_NS1_11comp_targetILNS1_3genE8ELNS1_11target_archE1030ELNS1_3gpuE2ELNS1_3repE0EEENS1_30default_config_static_selectorELNS0_4arch9wavefront6targetE1EEEvT1_,"axG",@progbits,_ZN7rocprim17ROCPRIM_400000_NS6detail17trampoline_kernelINS0_14default_configENS1_25transform_config_selectorIfLb0EEEZNS1_14transform_implILb0ES3_S5_N6thrust23THRUST_200600_302600_NS6detail15normal_iteratorINS8_10device_ptrIfEEEEPfNS0_8identityIfEEEE10hipError_tT2_T3_mT4_P12ihipStream_tbEUlT_E_NS1_11comp_targetILNS1_3genE8ELNS1_11target_archE1030ELNS1_3gpuE2ELNS1_3repE0EEENS1_30default_config_static_selectorELNS0_4arch9wavefront6targetE1EEEvT1_,comdat
	.protected	_ZN7rocprim17ROCPRIM_400000_NS6detail17trampoline_kernelINS0_14default_configENS1_25transform_config_selectorIfLb0EEEZNS1_14transform_implILb0ES3_S5_N6thrust23THRUST_200600_302600_NS6detail15normal_iteratorINS8_10device_ptrIfEEEEPfNS0_8identityIfEEEE10hipError_tT2_T3_mT4_P12ihipStream_tbEUlT_E_NS1_11comp_targetILNS1_3genE8ELNS1_11target_archE1030ELNS1_3gpuE2ELNS1_3repE0EEENS1_30default_config_static_selectorELNS0_4arch9wavefront6targetE1EEEvT1_ ; -- Begin function _ZN7rocprim17ROCPRIM_400000_NS6detail17trampoline_kernelINS0_14default_configENS1_25transform_config_selectorIfLb0EEEZNS1_14transform_implILb0ES3_S5_N6thrust23THRUST_200600_302600_NS6detail15normal_iteratorINS8_10device_ptrIfEEEEPfNS0_8identityIfEEEE10hipError_tT2_T3_mT4_P12ihipStream_tbEUlT_E_NS1_11comp_targetILNS1_3genE8ELNS1_11target_archE1030ELNS1_3gpuE2ELNS1_3repE0EEENS1_30default_config_static_selectorELNS0_4arch9wavefront6targetE1EEEvT1_
	.globl	_ZN7rocprim17ROCPRIM_400000_NS6detail17trampoline_kernelINS0_14default_configENS1_25transform_config_selectorIfLb0EEEZNS1_14transform_implILb0ES3_S5_N6thrust23THRUST_200600_302600_NS6detail15normal_iteratorINS8_10device_ptrIfEEEEPfNS0_8identityIfEEEE10hipError_tT2_T3_mT4_P12ihipStream_tbEUlT_E_NS1_11comp_targetILNS1_3genE8ELNS1_11target_archE1030ELNS1_3gpuE2ELNS1_3repE0EEENS1_30default_config_static_selectorELNS0_4arch9wavefront6targetE1EEEvT1_
	.p2align	8
	.type	_ZN7rocprim17ROCPRIM_400000_NS6detail17trampoline_kernelINS0_14default_configENS1_25transform_config_selectorIfLb0EEEZNS1_14transform_implILb0ES3_S5_N6thrust23THRUST_200600_302600_NS6detail15normal_iteratorINS8_10device_ptrIfEEEEPfNS0_8identityIfEEEE10hipError_tT2_T3_mT4_P12ihipStream_tbEUlT_E_NS1_11comp_targetILNS1_3genE8ELNS1_11target_archE1030ELNS1_3gpuE2ELNS1_3repE0EEENS1_30default_config_static_selectorELNS0_4arch9wavefront6targetE1EEEvT1_,@function
_ZN7rocprim17ROCPRIM_400000_NS6detail17trampoline_kernelINS0_14default_configENS1_25transform_config_selectorIfLb0EEEZNS1_14transform_implILb0ES3_S5_N6thrust23THRUST_200600_302600_NS6detail15normal_iteratorINS8_10device_ptrIfEEEEPfNS0_8identityIfEEEE10hipError_tT2_T3_mT4_P12ihipStream_tbEUlT_E_NS1_11comp_targetILNS1_3genE8ELNS1_11target_archE1030ELNS1_3gpuE2ELNS1_3repE0EEENS1_30default_config_static_selectorELNS0_4arch9wavefront6targetE1EEEvT1_: ; @_ZN7rocprim17ROCPRIM_400000_NS6detail17trampoline_kernelINS0_14default_configENS1_25transform_config_selectorIfLb0EEEZNS1_14transform_implILb0ES3_S5_N6thrust23THRUST_200600_302600_NS6detail15normal_iteratorINS8_10device_ptrIfEEEEPfNS0_8identityIfEEEE10hipError_tT2_T3_mT4_P12ihipStream_tbEUlT_E_NS1_11comp_targetILNS1_3genE8ELNS1_11target_archE1030ELNS1_3gpuE2ELNS1_3repE0EEENS1_30default_config_static_selectorELNS0_4arch9wavefront6targetE1EEEvT1_
; %bb.0:
	.section	.rodata,"a",@progbits
	.p2align	6, 0x0
	.amdhsa_kernel _ZN7rocprim17ROCPRIM_400000_NS6detail17trampoline_kernelINS0_14default_configENS1_25transform_config_selectorIfLb0EEEZNS1_14transform_implILb0ES3_S5_N6thrust23THRUST_200600_302600_NS6detail15normal_iteratorINS8_10device_ptrIfEEEEPfNS0_8identityIfEEEE10hipError_tT2_T3_mT4_P12ihipStream_tbEUlT_E_NS1_11comp_targetILNS1_3genE8ELNS1_11target_archE1030ELNS1_3gpuE2ELNS1_3repE0EEENS1_30default_config_static_selectorELNS0_4arch9wavefront6targetE1EEEvT1_
		.amdhsa_group_segment_fixed_size 0
		.amdhsa_private_segment_fixed_size 0
		.amdhsa_kernarg_size 40
		.amdhsa_user_sgpr_count 2
		.amdhsa_user_sgpr_dispatch_ptr 0
		.amdhsa_user_sgpr_queue_ptr 0
		.amdhsa_user_sgpr_kernarg_segment_ptr 1
		.amdhsa_user_sgpr_dispatch_id 0
		.amdhsa_user_sgpr_kernarg_preload_length 0
		.amdhsa_user_sgpr_kernarg_preload_offset 0
		.amdhsa_user_sgpr_private_segment_size 0
		.amdhsa_uses_dynamic_stack 0
		.amdhsa_enable_private_segment 0
		.amdhsa_system_sgpr_workgroup_id_x 1
		.amdhsa_system_sgpr_workgroup_id_y 0
		.amdhsa_system_sgpr_workgroup_id_z 0
		.amdhsa_system_sgpr_workgroup_info 0
		.amdhsa_system_vgpr_workitem_id 0
		.amdhsa_next_free_vgpr 1
		.amdhsa_next_free_sgpr 0
		.amdhsa_accum_offset 4
		.amdhsa_reserve_vcc 0
		.amdhsa_float_round_mode_32 0
		.amdhsa_float_round_mode_16_64 0
		.amdhsa_float_denorm_mode_32 3
		.amdhsa_float_denorm_mode_16_64 3
		.amdhsa_dx10_clamp 1
		.amdhsa_ieee_mode 1
		.amdhsa_fp16_overflow 0
		.amdhsa_tg_split 0
		.amdhsa_exception_fp_ieee_invalid_op 0
		.amdhsa_exception_fp_denorm_src 0
		.amdhsa_exception_fp_ieee_div_zero 0
		.amdhsa_exception_fp_ieee_overflow 0
		.amdhsa_exception_fp_ieee_underflow 0
		.amdhsa_exception_fp_ieee_inexact 0
		.amdhsa_exception_int_div_zero 0
	.end_amdhsa_kernel
	.section	.text._ZN7rocprim17ROCPRIM_400000_NS6detail17trampoline_kernelINS0_14default_configENS1_25transform_config_selectorIfLb0EEEZNS1_14transform_implILb0ES3_S5_N6thrust23THRUST_200600_302600_NS6detail15normal_iteratorINS8_10device_ptrIfEEEEPfNS0_8identityIfEEEE10hipError_tT2_T3_mT4_P12ihipStream_tbEUlT_E_NS1_11comp_targetILNS1_3genE8ELNS1_11target_archE1030ELNS1_3gpuE2ELNS1_3repE0EEENS1_30default_config_static_selectorELNS0_4arch9wavefront6targetE1EEEvT1_,"axG",@progbits,_ZN7rocprim17ROCPRIM_400000_NS6detail17trampoline_kernelINS0_14default_configENS1_25transform_config_selectorIfLb0EEEZNS1_14transform_implILb0ES3_S5_N6thrust23THRUST_200600_302600_NS6detail15normal_iteratorINS8_10device_ptrIfEEEEPfNS0_8identityIfEEEE10hipError_tT2_T3_mT4_P12ihipStream_tbEUlT_E_NS1_11comp_targetILNS1_3genE8ELNS1_11target_archE1030ELNS1_3gpuE2ELNS1_3repE0EEENS1_30default_config_static_selectorELNS0_4arch9wavefront6targetE1EEEvT1_,comdat
.Lfunc_end558:
	.size	_ZN7rocprim17ROCPRIM_400000_NS6detail17trampoline_kernelINS0_14default_configENS1_25transform_config_selectorIfLb0EEEZNS1_14transform_implILb0ES3_S5_N6thrust23THRUST_200600_302600_NS6detail15normal_iteratorINS8_10device_ptrIfEEEEPfNS0_8identityIfEEEE10hipError_tT2_T3_mT4_P12ihipStream_tbEUlT_E_NS1_11comp_targetILNS1_3genE8ELNS1_11target_archE1030ELNS1_3gpuE2ELNS1_3repE0EEENS1_30default_config_static_selectorELNS0_4arch9wavefront6targetE1EEEvT1_, .Lfunc_end558-_ZN7rocprim17ROCPRIM_400000_NS6detail17trampoline_kernelINS0_14default_configENS1_25transform_config_selectorIfLb0EEEZNS1_14transform_implILb0ES3_S5_N6thrust23THRUST_200600_302600_NS6detail15normal_iteratorINS8_10device_ptrIfEEEEPfNS0_8identityIfEEEE10hipError_tT2_T3_mT4_P12ihipStream_tbEUlT_E_NS1_11comp_targetILNS1_3genE8ELNS1_11target_archE1030ELNS1_3gpuE2ELNS1_3repE0EEENS1_30default_config_static_selectorELNS0_4arch9wavefront6targetE1EEEvT1_
                                        ; -- End function
	.set _ZN7rocprim17ROCPRIM_400000_NS6detail17trampoline_kernelINS0_14default_configENS1_25transform_config_selectorIfLb0EEEZNS1_14transform_implILb0ES3_S5_N6thrust23THRUST_200600_302600_NS6detail15normal_iteratorINS8_10device_ptrIfEEEEPfNS0_8identityIfEEEE10hipError_tT2_T3_mT4_P12ihipStream_tbEUlT_E_NS1_11comp_targetILNS1_3genE8ELNS1_11target_archE1030ELNS1_3gpuE2ELNS1_3repE0EEENS1_30default_config_static_selectorELNS0_4arch9wavefront6targetE1EEEvT1_.num_vgpr, 0
	.set _ZN7rocprim17ROCPRIM_400000_NS6detail17trampoline_kernelINS0_14default_configENS1_25transform_config_selectorIfLb0EEEZNS1_14transform_implILb0ES3_S5_N6thrust23THRUST_200600_302600_NS6detail15normal_iteratorINS8_10device_ptrIfEEEEPfNS0_8identityIfEEEE10hipError_tT2_T3_mT4_P12ihipStream_tbEUlT_E_NS1_11comp_targetILNS1_3genE8ELNS1_11target_archE1030ELNS1_3gpuE2ELNS1_3repE0EEENS1_30default_config_static_selectorELNS0_4arch9wavefront6targetE1EEEvT1_.num_agpr, 0
	.set _ZN7rocprim17ROCPRIM_400000_NS6detail17trampoline_kernelINS0_14default_configENS1_25transform_config_selectorIfLb0EEEZNS1_14transform_implILb0ES3_S5_N6thrust23THRUST_200600_302600_NS6detail15normal_iteratorINS8_10device_ptrIfEEEEPfNS0_8identityIfEEEE10hipError_tT2_T3_mT4_P12ihipStream_tbEUlT_E_NS1_11comp_targetILNS1_3genE8ELNS1_11target_archE1030ELNS1_3gpuE2ELNS1_3repE0EEENS1_30default_config_static_selectorELNS0_4arch9wavefront6targetE1EEEvT1_.numbered_sgpr, 0
	.set _ZN7rocprim17ROCPRIM_400000_NS6detail17trampoline_kernelINS0_14default_configENS1_25transform_config_selectorIfLb0EEEZNS1_14transform_implILb0ES3_S5_N6thrust23THRUST_200600_302600_NS6detail15normal_iteratorINS8_10device_ptrIfEEEEPfNS0_8identityIfEEEE10hipError_tT2_T3_mT4_P12ihipStream_tbEUlT_E_NS1_11comp_targetILNS1_3genE8ELNS1_11target_archE1030ELNS1_3gpuE2ELNS1_3repE0EEENS1_30default_config_static_selectorELNS0_4arch9wavefront6targetE1EEEvT1_.num_named_barrier, 0
	.set _ZN7rocprim17ROCPRIM_400000_NS6detail17trampoline_kernelINS0_14default_configENS1_25transform_config_selectorIfLb0EEEZNS1_14transform_implILb0ES3_S5_N6thrust23THRUST_200600_302600_NS6detail15normal_iteratorINS8_10device_ptrIfEEEEPfNS0_8identityIfEEEE10hipError_tT2_T3_mT4_P12ihipStream_tbEUlT_E_NS1_11comp_targetILNS1_3genE8ELNS1_11target_archE1030ELNS1_3gpuE2ELNS1_3repE0EEENS1_30default_config_static_selectorELNS0_4arch9wavefront6targetE1EEEvT1_.private_seg_size, 0
	.set _ZN7rocprim17ROCPRIM_400000_NS6detail17trampoline_kernelINS0_14default_configENS1_25transform_config_selectorIfLb0EEEZNS1_14transform_implILb0ES3_S5_N6thrust23THRUST_200600_302600_NS6detail15normal_iteratorINS8_10device_ptrIfEEEEPfNS0_8identityIfEEEE10hipError_tT2_T3_mT4_P12ihipStream_tbEUlT_E_NS1_11comp_targetILNS1_3genE8ELNS1_11target_archE1030ELNS1_3gpuE2ELNS1_3repE0EEENS1_30default_config_static_selectorELNS0_4arch9wavefront6targetE1EEEvT1_.uses_vcc, 0
	.set _ZN7rocprim17ROCPRIM_400000_NS6detail17trampoline_kernelINS0_14default_configENS1_25transform_config_selectorIfLb0EEEZNS1_14transform_implILb0ES3_S5_N6thrust23THRUST_200600_302600_NS6detail15normal_iteratorINS8_10device_ptrIfEEEEPfNS0_8identityIfEEEE10hipError_tT2_T3_mT4_P12ihipStream_tbEUlT_E_NS1_11comp_targetILNS1_3genE8ELNS1_11target_archE1030ELNS1_3gpuE2ELNS1_3repE0EEENS1_30default_config_static_selectorELNS0_4arch9wavefront6targetE1EEEvT1_.uses_flat_scratch, 0
	.set _ZN7rocprim17ROCPRIM_400000_NS6detail17trampoline_kernelINS0_14default_configENS1_25transform_config_selectorIfLb0EEEZNS1_14transform_implILb0ES3_S5_N6thrust23THRUST_200600_302600_NS6detail15normal_iteratorINS8_10device_ptrIfEEEEPfNS0_8identityIfEEEE10hipError_tT2_T3_mT4_P12ihipStream_tbEUlT_E_NS1_11comp_targetILNS1_3genE8ELNS1_11target_archE1030ELNS1_3gpuE2ELNS1_3repE0EEENS1_30default_config_static_selectorELNS0_4arch9wavefront6targetE1EEEvT1_.has_dyn_sized_stack, 0
	.set _ZN7rocprim17ROCPRIM_400000_NS6detail17trampoline_kernelINS0_14default_configENS1_25transform_config_selectorIfLb0EEEZNS1_14transform_implILb0ES3_S5_N6thrust23THRUST_200600_302600_NS6detail15normal_iteratorINS8_10device_ptrIfEEEEPfNS0_8identityIfEEEE10hipError_tT2_T3_mT4_P12ihipStream_tbEUlT_E_NS1_11comp_targetILNS1_3genE8ELNS1_11target_archE1030ELNS1_3gpuE2ELNS1_3repE0EEENS1_30default_config_static_selectorELNS0_4arch9wavefront6targetE1EEEvT1_.has_recursion, 0
	.set _ZN7rocprim17ROCPRIM_400000_NS6detail17trampoline_kernelINS0_14default_configENS1_25transform_config_selectorIfLb0EEEZNS1_14transform_implILb0ES3_S5_N6thrust23THRUST_200600_302600_NS6detail15normal_iteratorINS8_10device_ptrIfEEEEPfNS0_8identityIfEEEE10hipError_tT2_T3_mT4_P12ihipStream_tbEUlT_E_NS1_11comp_targetILNS1_3genE8ELNS1_11target_archE1030ELNS1_3gpuE2ELNS1_3repE0EEENS1_30default_config_static_selectorELNS0_4arch9wavefront6targetE1EEEvT1_.has_indirect_call, 0
	.section	.AMDGPU.csdata,"",@progbits
; Kernel info:
; codeLenInByte = 0
; TotalNumSgprs: 6
; NumVgprs: 0
; NumAgprs: 0
; TotalNumVgprs: 0
; ScratchSize: 0
; MemoryBound: 0
; FloatMode: 240
; IeeeMode: 1
; LDSByteSize: 0 bytes/workgroup (compile time only)
; SGPRBlocks: 0
; VGPRBlocks: 0
; NumSGPRsForWavesPerEU: 6
; NumVGPRsForWavesPerEU: 1
; AccumOffset: 4
; Occupancy: 8
; WaveLimiterHint : 0
; COMPUTE_PGM_RSRC2:SCRATCH_EN: 0
; COMPUTE_PGM_RSRC2:USER_SGPR: 2
; COMPUTE_PGM_RSRC2:TRAP_HANDLER: 0
; COMPUTE_PGM_RSRC2:TGID_X_EN: 1
; COMPUTE_PGM_RSRC2:TGID_Y_EN: 0
; COMPUTE_PGM_RSRC2:TGID_Z_EN: 0
; COMPUTE_PGM_RSRC2:TIDIG_COMP_CNT: 0
; COMPUTE_PGM_RSRC3_GFX90A:ACCUM_OFFSET: 0
; COMPUTE_PGM_RSRC3_GFX90A:TG_SPLIT: 0
	.section	.text._ZN7rocprim17ROCPRIM_400000_NS6detail17trampoline_kernelINS0_14default_configENS1_35radix_sort_onesweep_config_selectorIfNS0_10empty_typeEEEZZNS1_29radix_sort_onesweep_iterationIS3_Lb0EN6thrust23THRUST_200600_302600_NS6detail15normal_iteratorINS9_10device_ptrIfEEEESE_PS5_SF_jNS0_19identity_decomposerENS1_16block_id_wrapperIjLb1EEEEE10hipError_tT1_PNSt15iterator_traitsISK_E10value_typeET2_T3_PNSL_ISQ_E10value_typeET4_T5_PSV_SW_PNS1_23onesweep_lookback_stateEbbT6_jjT7_P12ihipStream_tbENKUlT_T0_SK_SP_E_clISE_SE_SF_SF_EEDaS13_S14_SK_SP_EUlS13_E_NS1_11comp_targetILNS1_3genE0ELNS1_11target_archE4294967295ELNS1_3gpuE0ELNS1_3repE0EEENS1_47radix_sort_onesweep_sort_config_static_selectorELNS0_4arch9wavefront6targetE1EEEvSK_,"axG",@progbits,_ZN7rocprim17ROCPRIM_400000_NS6detail17trampoline_kernelINS0_14default_configENS1_35radix_sort_onesweep_config_selectorIfNS0_10empty_typeEEEZZNS1_29radix_sort_onesweep_iterationIS3_Lb0EN6thrust23THRUST_200600_302600_NS6detail15normal_iteratorINS9_10device_ptrIfEEEESE_PS5_SF_jNS0_19identity_decomposerENS1_16block_id_wrapperIjLb1EEEEE10hipError_tT1_PNSt15iterator_traitsISK_E10value_typeET2_T3_PNSL_ISQ_E10value_typeET4_T5_PSV_SW_PNS1_23onesweep_lookback_stateEbbT6_jjT7_P12ihipStream_tbENKUlT_T0_SK_SP_E_clISE_SE_SF_SF_EEDaS13_S14_SK_SP_EUlS13_E_NS1_11comp_targetILNS1_3genE0ELNS1_11target_archE4294967295ELNS1_3gpuE0ELNS1_3repE0EEENS1_47radix_sort_onesweep_sort_config_static_selectorELNS0_4arch9wavefront6targetE1EEEvSK_,comdat
	.protected	_ZN7rocprim17ROCPRIM_400000_NS6detail17trampoline_kernelINS0_14default_configENS1_35radix_sort_onesweep_config_selectorIfNS0_10empty_typeEEEZZNS1_29radix_sort_onesweep_iterationIS3_Lb0EN6thrust23THRUST_200600_302600_NS6detail15normal_iteratorINS9_10device_ptrIfEEEESE_PS5_SF_jNS0_19identity_decomposerENS1_16block_id_wrapperIjLb1EEEEE10hipError_tT1_PNSt15iterator_traitsISK_E10value_typeET2_T3_PNSL_ISQ_E10value_typeET4_T5_PSV_SW_PNS1_23onesweep_lookback_stateEbbT6_jjT7_P12ihipStream_tbENKUlT_T0_SK_SP_E_clISE_SE_SF_SF_EEDaS13_S14_SK_SP_EUlS13_E_NS1_11comp_targetILNS1_3genE0ELNS1_11target_archE4294967295ELNS1_3gpuE0ELNS1_3repE0EEENS1_47radix_sort_onesweep_sort_config_static_selectorELNS0_4arch9wavefront6targetE1EEEvSK_ ; -- Begin function _ZN7rocprim17ROCPRIM_400000_NS6detail17trampoline_kernelINS0_14default_configENS1_35radix_sort_onesweep_config_selectorIfNS0_10empty_typeEEEZZNS1_29radix_sort_onesweep_iterationIS3_Lb0EN6thrust23THRUST_200600_302600_NS6detail15normal_iteratorINS9_10device_ptrIfEEEESE_PS5_SF_jNS0_19identity_decomposerENS1_16block_id_wrapperIjLb1EEEEE10hipError_tT1_PNSt15iterator_traitsISK_E10value_typeET2_T3_PNSL_ISQ_E10value_typeET4_T5_PSV_SW_PNS1_23onesweep_lookback_stateEbbT6_jjT7_P12ihipStream_tbENKUlT_T0_SK_SP_E_clISE_SE_SF_SF_EEDaS13_S14_SK_SP_EUlS13_E_NS1_11comp_targetILNS1_3genE0ELNS1_11target_archE4294967295ELNS1_3gpuE0ELNS1_3repE0EEENS1_47radix_sort_onesweep_sort_config_static_selectorELNS0_4arch9wavefront6targetE1EEEvSK_
	.globl	_ZN7rocprim17ROCPRIM_400000_NS6detail17trampoline_kernelINS0_14default_configENS1_35radix_sort_onesweep_config_selectorIfNS0_10empty_typeEEEZZNS1_29radix_sort_onesweep_iterationIS3_Lb0EN6thrust23THRUST_200600_302600_NS6detail15normal_iteratorINS9_10device_ptrIfEEEESE_PS5_SF_jNS0_19identity_decomposerENS1_16block_id_wrapperIjLb1EEEEE10hipError_tT1_PNSt15iterator_traitsISK_E10value_typeET2_T3_PNSL_ISQ_E10value_typeET4_T5_PSV_SW_PNS1_23onesweep_lookback_stateEbbT6_jjT7_P12ihipStream_tbENKUlT_T0_SK_SP_E_clISE_SE_SF_SF_EEDaS13_S14_SK_SP_EUlS13_E_NS1_11comp_targetILNS1_3genE0ELNS1_11target_archE4294967295ELNS1_3gpuE0ELNS1_3repE0EEENS1_47radix_sort_onesweep_sort_config_static_selectorELNS0_4arch9wavefront6targetE1EEEvSK_
	.p2align	8
	.type	_ZN7rocprim17ROCPRIM_400000_NS6detail17trampoline_kernelINS0_14default_configENS1_35radix_sort_onesweep_config_selectorIfNS0_10empty_typeEEEZZNS1_29radix_sort_onesweep_iterationIS3_Lb0EN6thrust23THRUST_200600_302600_NS6detail15normal_iteratorINS9_10device_ptrIfEEEESE_PS5_SF_jNS0_19identity_decomposerENS1_16block_id_wrapperIjLb1EEEEE10hipError_tT1_PNSt15iterator_traitsISK_E10value_typeET2_T3_PNSL_ISQ_E10value_typeET4_T5_PSV_SW_PNS1_23onesweep_lookback_stateEbbT6_jjT7_P12ihipStream_tbENKUlT_T0_SK_SP_E_clISE_SE_SF_SF_EEDaS13_S14_SK_SP_EUlS13_E_NS1_11comp_targetILNS1_3genE0ELNS1_11target_archE4294967295ELNS1_3gpuE0ELNS1_3repE0EEENS1_47radix_sort_onesweep_sort_config_static_selectorELNS0_4arch9wavefront6targetE1EEEvSK_,@function
_ZN7rocprim17ROCPRIM_400000_NS6detail17trampoline_kernelINS0_14default_configENS1_35radix_sort_onesweep_config_selectorIfNS0_10empty_typeEEEZZNS1_29radix_sort_onesweep_iterationIS3_Lb0EN6thrust23THRUST_200600_302600_NS6detail15normal_iteratorINS9_10device_ptrIfEEEESE_PS5_SF_jNS0_19identity_decomposerENS1_16block_id_wrapperIjLb1EEEEE10hipError_tT1_PNSt15iterator_traitsISK_E10value_typeET2_T3_PNSL_ISQ_E10value_typeET4_T5_PSV_SW_PNS1_23onesweep_lookback_stateEbbT6_jjT7_P12ihipStream_tbENKUlT_T0_SK_SP_E_clISE_SE_SF_SF_EEDaS13_S14_SK_SP_EUlS13_E_NS1_11comp_targetILNS1_3genE0ELNS1_11target_archE4294967295ELNS1_3gpuE0ELNS1_3repE0EEENS1_47radix_sort_onesweep_sort_config_static_selectorELNS0_4arch9wavefront6targetE1EEEvSK_: ; @_ZN7rocprim17ROCPRIM_400000_NS6detail17trampoline_kernelINS0_14default_configENS1_35radix_sort_onesweep_config_selectorIfNS0_10empty_typeEEEZZNS1_29radix_sort_onesweep_iterationIS3_Lb0EN6thrust23THRUST_200600_302600_NS6detail15normal_iteratorINS9_10device_ptrIfEEEESE_PS5_SF_jNS0_19identity_decomposerENS1_16block_id_wrapperIjLb1EEEEE10hipError_tT1_PNSt15iterator_traitsISK_E10value_typeET2_T3_PNSL_ISQ_E10value_typeET4_T5_PSV_SW_PNS1_23onesweep_lookback_stateEbbT6_jjT7_P12ihipStream_tbENKUlT_T0_SK_SP_E_clISE_SE_SF_SF_EEDaS13_S14_SK_SP_EUlS13_E_NS1_11comp_targetILNS1_3genE0ELNS1_11target_archE4294967295ELNS1_3gpuE0ELNS1_3repE0EEENS1_47radix_sort_onesweep_sort_config_static_selectorELNS0_4arch9wavefront6targetE1EEEvSK_
; %bb.0:
	.section	.rodata,"a",@progbits
	.p2align	6, 0x0
	.amdhsa_kernel _ZN7rocprim17ROCPRIM_400000_NS6detail17trampoline_kernelINS0_14default_configENS1_35radix_sort_onesweep_config_selectorIfNS0_10empty_typeEEEZZNS1_29radix_sort_onesweep_iterationIS3_Lb0EN6thrust23THRUST_200600_302600_NS6detail15normal_iteratorINS9_10device_ptrIfEEEESE_PS5_SF_jNS0_19identity_decomposerENS1_16block_id_wrapperIjLb1EEEEE10hipError_tT1_PNSt15iterator_traitsISK_E10value_typeET2_T3_PNSL_ISQ_E10value_typeET4_T5_PSV_SW_PNS1_23onesweep_lookback_stateEbbT6_jjT7_P12ihipStream_tbENKUlT_T0_SK_SP_E_clISE_SE_SF_SF_EEDaS13_S14_SK_SP_EUlS13_E_NS1_11comp_targetILNS1_3genE0ELNS1_11target_archE4294967295ELNS1_3gpuE0ELNS1_3repE0EEENS1_47radix_sort_onesweep_sort_config_static_selectorELNS0_4arch9wavefront6targetE1EEEvSK_
		.amdhsa_group_segment_fixed_size 0
		.amdhsa_private_segment_fixed_size 0
		.amdhsa_kernarg_size 88
		.amdhsa_user_sgpr_count 2
		.amdhsa_user_sgpr_dispatch_ptr 0
		.amdhsa_user_sgpr_queue_ptr 0
		.amdhsa_user_sgpr_kernarg_segment_ptr 1
		.amdhsa_user_sgpr_dispatch_id 0
		.amdhsa_user_sgpr_kernarg_preload_length 0
		.amdhsa_user_sgpr_kernarg_preload_offset 0
		.amdhsa_user_sgpr_private_segment_size 0
		.amdhsa_uses_dynamic_stack 0
		.amdhsa_enable_private_segment 0
		.amdhsa_system_sgpr_workgroup_id_x 1
		.amdhsa_system_sgpr_workgroup_id_y 0
		.amdhsa_system_sgpr_workgroup_id_z 0
		.amdhsa_system_sgpr_workgroup_info 0
		.amdhsa_system_vgpr_workitem_id 0
		.amdhsa_next_free_vgpr 1
		.amdhsa_next_free_sgpr 0
		.amdhsa_accum_offset 4
		.amdhsa_reserve_vcc 0
		.amdhsa_float_round_mode_32 0
		.amdhsa_float_round_mode_16_64 0
		.amdhsa_float_denorm_mode_32 3
		.amdhsa_float_denorm_mode_16_64 3
		.amdhsa_dx10_clamp 1
		.amdhsa_ieee_mode 1
		.amdhsa_fp16_overflow 0
		.amdhsa_tg_split 0
		.amdhsa_exception_fp_ieee_invalid_op 0
		.amdhsa_exception_fp_denorm_src 0
		.amdhsa_exception_fp_ieee_div_zero 0
		.amdhsa_exception_fp_ieee_overflow 0
		.amdhsa_exception_fp_ieee_underflow 0
		.amdhsa_exception_fp_ieee_inexact 0
		.amdhsa_exception_int_div_zero 0
	.end_amdhsa_kernel
	.section	.text._ZN7rocprim17ROCPRIM_400000_NS6detail17trampoline_kernelINS0_14default_configENS1_35radix_sort_onesweep_config_selectorIfNS0_10empty_typeEEEZZNS1_29radix_sort_onesweep_iterationIS3_Lb0EN6thrust23THRUST_200600_302600_NS6detail15normal_iteratorINS9_10device_ptrIfEEEESE_PS5_SF_jNS0_19identity_decomposerENS1_16block_id_wrapperIjLb1EEEEE10hipError_tT1_PNSt15iterator_traitsISK_E10value_typeET2_T3_PNSL_ISQ_E10value_typeET4_T5_PSV_SW_PNS1_23onesweep_lookback_stateEbbT6_jjT7_P12ihipStream_tbENKUlT_T0_SK_SP_E_clISE_SE_SF_SF_EEDaS13_S14_SK_SP_EUlS13_E_NS1_11comp_targetILNS1_3genE0ELNS1_11target_archE4294967295ELNS1_3gpuE0ELNS1_3repE0EEENS1_47radix_sort_onesweep_sort_config_static_selectorELNS0_4arch9wavefront6targetE1EEEvSK_,"axG",@progbits,_ZN7rocprim17ROCPRIM_400000_NS6detail17trampoline_kernelINS0_14default_configENS1_35radix_sort_onesweep_config_selectorIfNS0_10empty_typeEEEZZNS1_29radix_sort_onesweep_iterationIS3_Lb0EN6thrust23THRUST_200600_302600_NS6detail15normal_iteratorINS9_10device_ptrIfEEEESE_PS5_SF_jNS0_19identity_decomposerENS1_16block_id_wrapperIjLb1EEEEE10hipError_tT1_PNSt15iterator_traitsISK_E10value_typeET2_T3_PNSL_ISQ_E10value_typeET4_T5_PSV_SW_PNS1_23onesweep_lookback_stateEbbT6_jjT7_P12ihipStream_tbENKUlT_T0_SK_SP_E_clISE_SE_SF_SF_EEDaS13_S14_SK_SP_EUlS13_E_NS1_11comp_targetILNS1_3genE0ELNS1_11target_archE4294967295ELNS1_3gpuE0ELNS1_3repE0EEENS1_47radix_sort_onesweep_sort_config_static_selectorELNS0_4arch9wavefront6targetE1EEEvSK_,comdat
.Lfunc_end559:
	.size	_ZN7rocprim17ROCPRIM_400000_NS6detail17trampoline_kernelINS0_14default_configENS1_35radix_sort_onesweep_config_selectorIfNS0_10empty_typeEEEZZNS1_29radix_sort_onesweep_iterationIS3_Lb0EN6thrust23THRUST_200600_302600_NS6detail15normal_iteratorINS9_10device_ptrIfEEEESE_PS5_SF_jNS0_19identity_decomposerENS1_16block_id_wrapperIjLb1EEEEE10hipError_tT1_PNSt15iterator_traitsISK_E10value_typeET2_T3_PNSL_ISQ_E10value_typeET4_T5_PSV_SW_PNS1_23onesweep_lookback_stateEbbT6_jjT7_P12ihipStream_tbENKUlT_T0_SK_SP_E_clISE_SE_SF_SF_EEDaS13_S14_SK_SP_EUlS13_E_NS1_11comp_targetILNS1_3genE0ELNS1_11target_archE4294967295ELNS1_3gpuE0ELNS1_3repE0EEENS1_47radix_sort_onesweep_sort_config_static_selectorELNS0_4arch9wavefront6targetE1EEEvSK_, .Lfunc_end559-_ZN7rocprim17ROCPRIM_400000_NS6detail17trampoline_kernelINS0_14default_configENS1_35radix_sort_onesweep_config_selectorIfNS0_10empty_typeEEEZZNS1_29radix_sort_onesweep_iterationIS3_Lb0EN6thrust23THRUST_200600_302600_NS6detail15normal_iteratorINS9_10device_ptrIfEEEESE_PS5_SF_jNS0_19identity_decomposerENS1_16block_id_wrapperIjLb1EEEEE10hipError_tT1_PNSt15iterator_traitsISK_E10value_typeET2_T3_PNSL_ISQ_E10value_typeET4_T5_PSV_SW_PNS1_23onesweep_lookback_stateEbbT6_jjT7_P12ihipStream_tbENKUlT_T0_SK_SP_E_clISE_SE_SF_SF_EEDaS13_S14_SK_SP_EUlS13_E_NS1_11comp_targetILNS1_3genE0ELNS1_11target_archE4294967295ELNS1_3gpuE0ELNS1_3repE0EEENS1_47radix_sort_onesweep_sort_config_static_selectorELNS0_4arch9wavefront6targetE1EEEvSK_
                                        ; -- End function
	.set _ZN7rocprim17ROCPRIM_400000_NS6detail17trampoline_kernelINS0_14default_configENS1_35radix_sort_onesweep_config_selectorIfNS0_10empty_typeEEEZZNS1_29radix_sort_onesweep_iterationIS3_Lb0EN6thrust23THRUST_200600_302600_NS6detail15normal_iteratorINS9_10device_ptrIfEEEESE_PS5_SF_jNS0_19identity_decomposerENS1_16block_id_wrapperIjLb1EEEEE10hipError_tT1_PNSt15iterator_traitsISK_E10value_typeET2_T3_PNSL_ISQ_E10value_typeET4_T5_PSV_SW_PNS1_23onesweep_lookback_stateEbbT6_jjT7_P12ihipStream_tbENKUlT_T0_SK_SP_E_clISE_SE_SF_SF_EEDaS13_S14_SK_SP_EUlS13_E_NS1_11comp_targetILNS1_3genE0ELNS1_11target_archE4294967295ELNS1_3gpuE0ELNS1_3repE0EEENS1_47radix_sort_onesweep_sort_config_static_selectorELNS0_4arch9wavefront6targetE1EEEvSK_.num_vgpr, 0
	.set _ZN7rocprim17ROCPRIM_400000_NS6detail17trampoline_kernelINS0_14default_configENS1_35radix_sort_onesweep_config_selectorIfNS0_10empty_typeEEEZZNS1_29radix_sort_onesweep_iterationIS3_Lb0EN6thrust23THRUST_200600_302600_NS6detail15normal_iteratorINS9_10device_ptrIfEEEESE_PS5_SF_jNS0_19identity_decomposerENS1_16block_id_wrapperIjLb1EEEEE10hipError_tT1_PNSt15iterator_traitsISK_E10value_typeET2_T3_PNSL_ISQ_E10value_typeET4_T5_PSV_SW_PNS1_23onesweep_lookback_stateEbbT6_jjT7_P12ihipStream_tbENKUlT_T0_SK_SP_E_clISE_SE_SF_SF_EEDaS13_S14_SK_SP_EUlS13_E_NS1_11comp_targetILNS1_3genE0ELNS1_11target_archE4294967295ELNS1_3gpuE0ELNS1_3repE0EEENS1_47radix_sort_onesweep_sort_config_static_selectorELNS0_4arch9wavefront6targetE1EEEvSK_.num_agpr, 0
	.set _ZN7rocprim17ROCPRIM_400000_NS6detail17trampoline_kernelINS0_14default_configENS1_35radix_sort_onesweep_config_selectorIfNS0_10empty_typeEEEZZNS1_29radix_sort_onesweep_iterationIS3_Lb0EN6thrust23THRUST_200600_302600_NS6detail15normal_iteratorINS9_10device_ptrIfEEEESE_PS5_SF_jNS0_19identity_decomposerENS1_16block_id_wrapperIjLb1EEEEE10hipError_tT1_PNSt15iterator_traitsISK_E10value_typeET2_T3_PNSL_ISQ_E10value_typeET4_T5_PSV_SW_PNS1_23onesweep_lookback_stateEbbT6_jjT7_P12ihipStream_tbENKUlT_T0_SK_SP_E_clISE_SE_SF_SF_EEDaS13_S14_SK_SP_EUlS13_E_NS1_11comp_targetILNS1_3genE0ELNS1_11target_archE4294967295ELNS1_3gpuE0ELNS1_3repE0EEENS1_47radix_sort_onesweep_sort_config_static_selectorELNS0_4arch9wavefront6targetE1EEEvSK_.numbered_sgpr, 0
	.set _ZN7rocprim17ROCPRIM_400000_NS6detail17trampoline_kernelINS0_14default_configENS1_35radix_sort_onesweep_config_selectorIfNS0_10empty_typeEEEZZNS1_29radix_sort_onesweep_iterationIS3_Lb0EN6thrust23THRUST_200600_302600_NS6detail15normal_iteratorINS9_10device_ptrIfEEEESE_PS5_SF_jNS0_19identity_decomposerENS1_16block_id_wrapperIjLb1EEEEE10hipError_tT1_PNSt15iterator_traitsISK_E10value_typeET2_T3_PNSL_ISQ_E10value_typeET4_T5_PSV_SW_PNS1_23onesweep_lookback_stateEbbT6_jjT7_P12ihipStream_tbENKUlT_T0_SK_SP_E_clISE_SE_SF_SF_EEDaS13_S14_SK_SP_EUlS13_E_NS1_11comp_targetILNS1_3genE0ELNS1_11target_archE4294967295ELNS1_3gpuE0ELNS1_3repE0EEENS1_47radix_sort_onesweep_sort_config_static_selectorELNS0_4arch9wavefront6targetE1EEEvSK_.num_named_barrier, 0
	.set _ZN7rocprim17ROCPRIM_400000_NS6detail17trampoline_kernelINS0_14default_configENS1_35radix_sort_onesweep_config_selectorIfNS0_10empty_typeEEEZZNS1_29radix_sort_onesweep_iterationIS3_Lb0EN6thrust23THRUST_200600_302600_NS6detail15normal_iteratorINS9_10device_ptrIfEEEESE_PS5_SF_jNS0_19identity_decomposerENS1_16block_id_wrapperIjLb1EEEEE10hipError_tT1_PNSt15iterator_traitsISK_E10value_typeET2_T3_PNSL_ISQ_E10value_typeET4_T5_PSV_SW_PNS1_23onesweep_lookback_stateEbbT6_jjT7_P12ihipStream_tbENKUlT_T0_SK_SP_E_clISE_SE_SF_SF_EEDaS13_S14_SK_SP_EUlS13_E_NS1_11comp_targetILNS1_3genE0ELNS1_11target_archE4294967295ELNS1_3gpuE0ELNS1_3repE0EEENS1_47radix_sort_onesweep_sort_config_static_selectorELNS0_4arch9wavefront6targetE1EEEvSK_.private_seg_size, 0
	.set _ZN7rocprim17ROCPRIM_400000_NS6detail17trampoline_kernelINS0_14default_configENS1_35radix_sort_onesweep_config_selectorIfNS0_10empty_typeEEEZZNS1_29radix_sort_onesweep_iterationIS3_Lb0EN6thrust23THRUST_200600_302600_NS6detail15normal_iteratorINS9_10device_ptrIfEEEESE_PS5_SF_jNS0_19identity_decomposerENS1_16block_id_wrapperIjLb1EEEEE10hipError_tT1_PNSt15iterator_traitsISK_E10value_typeET2_T3_PNSL_ISQ_E10value_typeET4_T5_PSV_SW_PNS1_23onesweep_lookback_stateEbbT6_jjT7_P12ihipStream_tbENKUlT_T0_SK_SP_E_clISE_SE_SF_SF_EEDaS13_S14_SK_SP_EUlS13_E_NS1_11comp_targetILNS1_3genE0ELNS1_11target_archE4294967295ELNS1_3gpuE0ELNS1_3repE0EEENS1_47radix_sort_onesweep_sort_config_static_selectorELNS0_4arch9wavefront6targetE1EEEvSK_.uses_vcc, 0
	.set _ZN7rocprim17ROCPRIM_400000_NS6detail17trampoline_kernelINS0_14default_configENS1_35radix_sort_onesweep_config_selectorIfNS0_10empty_typeEEEZZNS1_29radix_sort_onesweep_iterationIS3_Lb0EN6thrust23THRUST_200600_302600_NS6detail15normal_iteratorINS9_10device_ptrIfEEEESE_PS5_SF_jNS0_19identity_decomposerENS1_16block_id_wrapperIjLb1EEEEE10hipError_tT1_PNSt15iterator_traitsISK_E10value_typeET2_T3_PNSL_ISQ_E10value_typeET4_T5_PSV_SW_PNS1_23onesweep_lookback_stateEbbT6_jjT7_P12ihipStream_tbENKUlT_T0_SK_SP_E_clISE_SE_SF_SF_EEDaS13_S14_SK_SP_EUlS13_E_NS1_11comp_targetILNS1_3genE0ELNS1_11target_archE4294967295ELNS1_3gpuE0ELNS1_3repE0EEENS1_47radix_sort_onesweep_sort_config_static_selectorELNS0_4arch9wavefront6targetE1EEEvSK_.uses_flat_scratch, 0
	.set _ZN7rocprim17ROCPRIM_400000_NS6detail17trampoline_kernelINS0_14default_configENS1_35radix_sort_onesweep_config_selectorIfNS0_10empty_typeEEEZZNS1_29radix_sort_onesweep_iterationIS3_Lb0EN6thrust23THRUST_200600_302600_NS6detail15normal_iteratorINS9_10device_ptrIfEEEESE_PS5_SF_jNS0_19identity_decomposerENS1_16block_id_wrapperIjLb1EEEEE10hipError_tT1_PNSt15iterator_traitsISK_E10value_typeET2_T3_PNSL_ISQ_E10value_typeET4_T5_PSV_SW_PNS1_23onesweep_lookback_stateEbbT6_jjT7_P12ihipStream_tbENKUlT_T0_SK_SP_E_clISE_SE_SF_SF_EEDaS13_S14_SK_SP_EUlS13_E_NS1_11comp_targetILNS1_3genE0ELNS1_11target_archE4294967295ELNS1_3gpuE0ELNS1_3repE0EEENS1_47radix_sort_onesweep_sort_config_static_selectorELNS0_4arch9wavefront6targetE1EEEvSK_.has_dyn_sized_stack, 0
	.set _ZN7rocprim17ROCPRIM_400000_NS6detail17trampoline_kernelINS0_14default_configENS1_35radix_sort_onesweep_config_selectorIfNS0_10empty_typeEEEZZNS1_29radix_sort_onesweep_iterationIS3_Lb0EN6thrust23THRUST_200600_302600_NS6detail15normal_iteratorINS9_10device_ptrIfEEEESE_PS5_SF_jNS0_19identity_decomposerENS1_16block_id_wrapperIjLb1EEEEE10hipError_tT1_PNSt15iterator_traitsISK_E10value_typeET2_T3_PNSL_ISQ_E10value_typeET4_T5_PSV_SW_PNS1_23onesweep_lookback_stateEbbT6_jjT7_P12ihipStream_tbENKUlT_T0_SK_SP_E_clISE_SE_SF_SF_EEDaS13_S14_SK_SP_EUlS13_E_NS1_11comp_targetILNS1_3genE0ELNS1_11target_archE4294967295ELNS1_3gpuE0ELNS1_3repE0EEENS1_47radix_sort_onesweep_sort_config_static_selectorELNS0_4arch9wavefront6targetE1EEEvSK_.has_recursion, 0
	.set _ZN7rocprim17ROCPRIM_400000_NS6detail17trampoline_kernelINS0_14default_configENS1_35radix_sort_onesweep_config_selectorIfNS0_10empty_typeEEEZZNS1_29radix_sort_onesweep_iterationIS3_Lb0EN6thrust23THRUST_200600_302600_NS6detail15normal_iteratorINS9_10device_ptrIfEEEESE_PS5_SF_jNS0_19identity_decomposerENS1_16block_id_wrapperIjLb1EEEEE10hipError_tT1_PNSt15iterator_traitsISK_E10value_typeET2_T3_PNSL_ISQ_E10value_typeET4_T5_PSV_SW_PNS1_23onesweep_lookback_stateEbbT6_jjT7_P12ihipStream_tbENKUlT_T0_SK_SP_E_clISE_SE_SF_SF_EEDaS13_S14_SK_SP_EUlS13_E_NS1_11comp_targetILNS1_3genE0ELNS1_11target_archE4294967295ELNS1_3gpuE0ELNS1_3repE0EEENS1_47radix_sort_onesweep_sort_config_static_selectorELNS0_4arch9wavefront6targetE1EEEvSK_.has_indirect_call, 0
	.section	.AMDGPU.csdata,"",@progbits
; Kernel info:
; codeLenInByte = 0
; TotalNumSgprs: 6
; NumVgprs: 0
; NumAgprs: 0
; TotalNumVgprs: 0
; ScratchSize: 0
; MemoryBound: 0
; FloatMode: 240
; IeeeMode: 1
; LDSByteSize: 0 bytes/workgroup (compile time only)
; SGPRBlocks: 0
; VGPRBlocks: 0
; NumSGPRsForWavesPerEU: 6
; NumVGPRsForWavesPerEU: 1
; AccumOffset: 4
; Occupancy: 8
; WaveLimiterHint : 0
; COMPUTE_PGM_RSRC2:SCRATCH_EN: 0
; COMPUTE_PGM_RSRC2:USER_SGPR: 2
; COMPUTE_PGM_RSRC2:TRAP_HANDLER: 0
; COMPUTE_PGM_RSRC2:TGID_X_EN: 1
; COMPUTE_PGM_RSRC2:TGID_Y_EN: 0
; COMPUTE_PGM_RSRC2:TGID_Z_EN: 0
; COMPUTE_PGM_RSRC2:TIDIG_COMP_CNT: 0
; COMPUTE_PGM_RSRC3_GFX90A:ACCUM_OFFSET: 0
; COMPUTE_PGM_RSRC3_GFX90A:TG_SPLIT: 0
	.section	.text._ZN7rocprim17ROCPRIM_400000_NS6detail17trampoline_kernelINS0_14default_configENS1_35radix_sort_onesweep_config_selectorIfNS0_10empty_typeEEEZZNS1_29radix_sort_onesweep_iterationIS3_Lb0EN6thrust23THRUST_200600_302600_NS6detail15normal_iteratorINS9_10device_ptrIfEEEESE_PS5_SF_jNS0_19identity_decomposerENS1_16block_id_wrapperIjLb1EEEEE10hipError_tT1_PNSt15iterator_traitsISK_E10value_typeET2_T3_PNSL_ISQ_E10value_typeET4_T5_PSV_SW_PNS1_23onesweep_lookback_stateEbbT6_jjT7_P12ihipStream_tbENKUlT_T0_SK_SP_E_clISE_SE_SF_SF_EEDaS13_S14_SK_SP_EUlS13_E_NS1_11comp_targetILNS1_3genE6ELNS1_11target_archE950ELNS1_3gpuE13ELNS1_3repE0EEENS1_47radix_sort_onesweep_sort_config_static_selectorELNS0_4arch9wavefront6targetE1EEEvSK_,"axG",@progbits,_ZN7rocprim17ROCPRIM_400000_NS6detail17trampoline_kernelINS0_14default_configENS1_35radix_sort_onesweep_config_selectorIfNS0_10empty_typeEEEZZNS1_29radix_sort_onesweep_iterationIS3_Lb0EN6thrust23THRUST_200600_302600_NS6detail15normal_iteratorINS9_10device_ptrIfEEEESE_PS5_SF_jNS0_19identity_decomposerENS1_16block_id_wrapperIjLb1EEEEE10hipError_tT1_PNSt15iterator_traitsISK_E10value_typeET2_T3_PNSL_ISQ_E10value_typeET4_T5_PSV_SW_PNS1_23onesweep_lookback_stateEbbT6_jjT7_P12ihipStream_tbENKUlT_T0_SK_SP_E_clISE_SE_SF_SF_EEDaS13_S14_SK_SP_EUlS13_E_NS1_11comp_targetILNS1_3genE6ELNS1_11target_archE950ELNS1_3gpuE13ELNS1_3repE0EEENS1_47radix_sort_onesweep_sort_config_static_selectorELNS0_4arch9wavefront6targetE1EEEvSK_,comdat
	.protected	_ZN7rocprim17ROCPRIM_400000_NS6detail17trampoline_kernelINS0_14default_configENS1_35radix_sort_onesweep_config_selectorIfNS0_10empty_typeEEEZZNS1_29radix_sort_onesweep_iterationIS3_Lb0EN6thrust23THRUST_200600_302600_NS6detail15normal_iteratorINS9_10device_ptrIfEEEESE_PS5_SF_jNS0_19identity_decomposerENS1_16block_id_wrapperIjLb1EEEEE10hipError_tT1_PNSt15iterator_traitsISK_E10value_typeET2_T3_PNSL_ISQ_E10value_typeET4_T5_PSV_SW_PNS1_23onesweep_lookback_stateEbbT6_jjT7_P12ihipStream_tbENKUlT_T0_SK_SP_E_clISE_SE_SF_SF_EEDaS13_S14_SK_SP_EUlS13_E_NS1_11comp_targetILNS1_3genE6ELNS1_11target_archE950ELNS1_3gpuE13ELNS1_3repE0EEENS1_47radix_sort_onesweep_sort_config_static_selectorELNS0_4arch9wavefront6targetE1EEEvSK_ ; -- Begin function _ZN7rocprim17ROCPRIM_400000_NS6detail17trampoline_kernelINS0_14default_configENS1_35radix_sort_onesweep_config_selectorIfNS0_10empty_typeEEEZZNS1_29radix_sort_onesweep_iterationIS3_Lb0EN6thrust23THRUST_200600_302600_NS6detail15normal_iteratorINS9_10device_ptrIfEEEESE_PS5_SF_jNS0_19identity_decomposerENS1_16block_id_wrapperIjLb1EEEEE10hipError_tT1_PNSt15iterator_traitsISK_E10value_typeET2_T3_PNSL_ISQ_E10value_typeET4_T5_PSV_SW_PNS1_23onesweep_lookback_stateEbbT6_jjT7_P12ihipStream_tbENKUlT_T0_SK_SP_E_clISE_SE_SF_SF_EEDaS13_S14_SK_SP_EUlS13_E_NS1_11comp_targetILNS1_3genE6ELNS1_11target_archE950ELNS1_3gpuE13ELNS1_3repE0EEENS1_47radix_sort_onesweep_sort_config_static_selectorELNS0_4arch9wavefront6targetE1EEEvSK_
	.globl	_ZN7rocprim17ROCPRIM_400000_NS6detail17trampoline_kernelINS0_14default_configENS1_35radix_sort_onesweep_config_selectorIfNS0_10empty_typeEEEZZNS1_29radix_sort_onesweep_iterationIS3_Lb0EN6thrust23THRUST_200600_302600_NS6detail15normal_iteratorINS9_10device_ptrIfEEEESE_PS5_SF_jNS0_19identity_decomposerENS1_16block_id_wrapperIjLb1EEEEE10hipError_tT1_PNSt15iterator_traitsISK_E10value_typeET2_T3_PNSL_ISQ_E10value_typeET4_T5_PSV_SW_PNS1_23onesweep_lookback_stateEbbT6_jjT7_P12ihipStream_tbENKUlT_T0_SK_SP_E_clISE_SE_SF_SF_EEDaS13_S14_SK_SP_EUlS13_E_NS1_11comp_targetILNS1_3genE6ELNS1_11target_archE950ELNS1_3gpuE13ELNS1_3repE0EEENS1_47radix_sort_onesweep_sort_config_static_selectorELNS0_4arch9wavefront6targetE1EEEvSK_
	.p2align	8
	.type	_ZN7rocprim17ROCPRIM_400000_NS6detail17trampoline_kernelINS0_14default_configENS1_35radix_sort_onesweep_config_selectorIfNS0_10empty_typeEEEZZNS1_29radix_sort_onesweep_iterationIS3_Lb0EN6thrust23THRUST_200600_302600_NS6detail15normal_iteratorINS9_10device_ptrIfEEEESE_PS5_SF_jNS0_19identity_decomposerENS1_16block_id_wrapperIjLb1EEEEE10hipError_tT1_PNSt15iterator_traitsISK_E10value_typeET2_T3_PNSL_ISQ_E10value_typeET4_T5_PSV_SW_PNS1_23onesweep_lookback_stateEbbT6_jjT7_P12ihipStream_tbENKUlT_T0_SK_SP_E_clISE_SE_SF_SF_EEDaS13_S14_SK_SP_EUlS13_E_NS1_11comp_targetILNS1_3genE6ELNS1_11target_archE950ELNS1_3gpuE13ELNS1_3repE0EEENS1_47radix_sort_onesweep_sort_config_static_selectorELNS0_4arch9wavefront6targetE1EEEvSK_,@function
_ZN7rocprim17ROCPRIM_400000_NS6detail17trampoline_kernelINS0_14default_configENS1_35radix_sort_onesweep_config_selectorIfNS0_10empty_typeEEEZZNS1_29radix_sort_onesweep_iterationIS3_Lb0EN6thrust23THRUST_200600_302600_NS6detail15normal_iteratorINS9_10device_ptrIfEEEESE_PS5_SF_jNS0_19identity_decomposerENS1_16block_id_wrapperIjLb1EEEEE10hipError_tT1_PNSt15iterator_traitsISK_E10value_typeET2_T3_PNSL_ISQ_E10value_typeET4_T5_PSV_SW_PNS1_23onesweep_lookback_stateEbbT6_jjT7_P12ihipStream_tbENKUlT_T0_SK_SP_E_clISE_SE_SF_SF_EEDaS13_S14_SK_SP_EUlS13_E_NS1_11comp_targetILNS1_3genE6ELNS1_11target_archE950ELNS1_3gpuE13ELNS1_3repE0EEENS1_47radix_sort_onesweep_sort_config_static_selectorELNS0_4arch9wavefront6targetE1EEEvSK_: ; @_ZN7rocprim17ROCPRIM_400000_NS6detail17trampoline_kernelINS0_14default_configENS1_35radix_sort_onesweep_config_selectorIfNS0_10empty_typeEEEZZNS1_29radix_sort_onesweep_iterationIS3_Lb0EN6thrust23THRUST_200600_302600_NS6detail15normal_iteratorINS9_10device_ptrIfEEEESE_PS5_SF_jNS0_19identity_decomposerENS1_16block_id_wrapperIjLb1EEEEE10hipError_tT1_PNSt15iterator_traitsISK_E10value_typeET2_T3_PNSL_ISQ_E10value_typeET4_T5_PSV_SW_PNS1_23onesweep_lookback_stateEbbT6_jjT7_P12ihipStream_tbENKUlT_T0_SK_SP_E_clISE_SE_SF_SF_EEDaS13_S14_SK_SP_EUlS13_E_NS1_11comp_targetILNS1_3genE6ELNS1_11target_archE950ELNS1_3gpuE13ELNS1_3repE0EEENS1_47radix_sort_onesweep_sort_config_static_selectorELNS0_4arch9wavefront6targetE1EEEvSK_
; %bb.0:
	s_load_dwordx4 s[20:23], s[0:1], 0x28
	s_load_dwordx2 s[18:19], s[0:1], 0x38
	s_load_dwordx4 s[24:27], s[0:1], 0x44
	v_and_b32_e32 v10, 0x3ff, v0
	v_cmp_eq_u32_e64 s[10:11], 0, v10
	s_and_saveexec_b64 s[4:5], s[10:11]
	s_cbranch_execz .LBB560_4
; %bb.1:
	s_mov_b64 s[8:9], exec
	v_mbcnt_lo_u32_b32 v1, s8, 0
	v_mbcnt_hi_u32_b32 v1, s9, v1
	v_cmp_eq_u32_e32 vcc, 0, v1
                                        ; implicit-def: $vgpr2
	s_and_saveexec_b64 s[6:7], vcc
	s_cbranch_execz .LBB560_3
; %bb.2:
	s_load_dwordx2 s[12:13], s[0:1], 0x50
	s_bcnt1_i32_b64 s3, s[8:9]
	v_mov_b32_e32 v2, 0
	v_mov_b32_e32 v3, s3
	s_waitcnt lgkmcnt(0)
	global_atomic_add v2, v2, v3, s[12:13] sc0
.LBB560_3:
	s_or_b64 exec, exec, s[6:7]
	s_waitcnt vmcnt(0)
	v_readfirstlane_b32 s3, v2
	v_mov_b32_e32 v2, 0
	s_nop 0
	v_add_u32_e32 v1, s3, v1
	ds_write_b32 v2, v1 offset:20544
.LBB560_4:
	s_or_b64 exec, exec, s[4:5]
	v_mov_b32_e32 v3, 0
	s_load_dwordx4 s[28:31], s[0:1], 0x0
	s_load_dword s3, s[0:1], 0x20
	s_waitcnt lgkmcnt(0)
	s_barrier
	ds_read_b32 v1, v3 offset:20544
	s_mov_b64 s[4:5], -1
	s_waitcnt lgkmcnt(0)
	s_barrier
	v_cmp_le_u32_e32 vcc, s26, v1
	v_readfirstlane_b32 s27, v1
	v_mbcnt_lo_u32_b32 v1, -1, 0
	s_cbranch_vccz .LBB560_86
; %bb.5:
	s_lshl_b32 s4, s26, 13
	s_sub_i32 s3, s3, s4
	s_lshl_b32 s4, s27, 13
	s_mov_b32 s5, 0
	s_lshl_b64 s[4:5], s[4:5], 2
	v_mbcnt_hi_u32_b32 v16, -1, v1
	s_add_u32 s4, s28, s4
	v_and_b32_e32 v6, 63, v16
	v_lshlrev_b32_e32 v2, 3, v10
	s_addc_u32 s5, s29, s5
	v_and_b32_e32 v7, 0x1e00, v2
	v_lshlrev_b32_e32 v2, 2, v6
	v_lshl_add_u64 v[4:5], s[4:5], 0, v[2:3]
	v_lshlrev_b32_e32 v2, 2, v7
	v_lshl_add_u64 v[12:13], v[4:5], 0, v[2:3]
	v_or_b32_e32 v11, v6, v7
	v_bfrev_b32_e32 v2, -2
	v_cmp_gt_u32_e32 vcc, s3, v11
	v_mov_b32_e32 v3, v2
	v_mov_b32_e32 v4, v2
	;; [unrolled: 1-line block ×7, first 2 shown]
	s_and_saveexec_b64 s[4:5], vcc
	s_cbranch_execz .LBB560_7
; %bb.6:
	global_load_dword v18, v[12:13], off
	v_mov_b32_e32 v19, v2
	v_mov_b32_e32 v20, v2
	;; [unrolled: 1-line block ×7, first 2 shown]
	s_waitcnt vmcnt(0)
	v_mov_b64_e32 v[2:3], v[18:19]
	v_mov_b64_e32 v[4:5], v[20:21]
	;; [unrolled: 1-line block ×4, first 2 shown]
.LBB560_7:
	s_or_b64 exec, exec, s[4:5]
	v_or_b32_e32 v14, 64, v11
	v_cmp_gt_u32_e32 vcc, s3, v14
	s_and_saveexec_b64 s[4:5], vcc
	s_cbranch_execz .LBB560_9
; %bb.8:
	global_load_dword v3, v[12:13], off offset:256
.LBB560_9:
	s_or_b64 exec, exec, s[4:5]
	v_or_b32_e32 v14, 0x80, v11
	v_cmp_gt_u32_e32 vcc, s3, v14
	s_and_saveexec_b64 s[4:5], vcc
	s_cbranch_execz .LBB560_11
; %bb.10:
	global_load_dword v4, v[12:13], off offset:512
.LBB560_11:
	;; [unrolled: 8-line block ×7, first 2 shown]
	s_or_b64 exec, exec, s[4:5]
	s_load_dword s4, s[0:1], 0x64
	s_load_dword s26, s[0:1], 0x58
	s_add_u32 s5, s0, 0x58
	s_addc_u32 s6, s1, 0
	v_mov_b32_e32 v13, 0
	s_waitcnt lgkmcnt(0)
	s_lshr_b32 s7, s4, 16
	s_cmp_lt_u32 s2, s26
	s_cselect_b32 s4, 12, 18
	s_add_u32 s4, s5, s4
	s_addc_u32 s5, s6, 0
	global_load_ushort v18, v13, s[4:5]
	v_bfrev_b32_e32 v19, 1
	v_cmp_lt_i32_e32 vcc, -1, v2
	s_brev_b32 s34, -2
	s_lshl_b32 s4, -1, s25
	v_cndmask_b32_e32 v11, -1, v19, vcc
	v_xor_b32_e32 v11, v11, v2
	v_cmp_ne_u32_e32 vcc, s34, v11
	v_bfe_u32 v12, v0, 10, 10
	v_bfe_u32 v15, v0, 20, 10
	v_cndmask_b32_e32 v2, v19, v11, vcc
	v_lshrrev_b32_e32 v2, s24, v2
	v_bitop3_b32 v2, v2, s4, v2 bitop3:0x30
	v_mad_u32_u24 v32, v15, s7, v12
	v_and_b32_e32 v12, 1, v2
	v_lshlrev_b32_e32 v15, 30, v2
	v_mov_b32_e32 v14, v13
	v_mov_b32_e32 v22, v13
	v_lshlrev_b32_e32 v21, 29, v2
	v_lshlrev_b32_e32 v23, 28, v2
	v_lshl_add_u64 v[28:29], v[12:13], 0, -1
	v_cmp_ne_u32_e32 vcc, 0, v12
	v_not_b32_e32 v12, v15
	v_mov_b32_e32 v20, v13
	v_mov_b32_e32 v24, v13
	s_not_b32 s33, s4
	v_lshlrev_b32_e32 v25, 27, v2
	v_cmp_gt_i64_e64 s[4:5], 0, v[14:15]
	v_not_b32_e32 v14, v21
	v_cmp_gt_i64_e64 s[8:9], 0, v[22:23]
	v_xor_b32_e32 v22, vcc_hi, v29
	v_ashrrev_i32_e32 v12, 31, v12
	v_cmp_gt_i64_e64 s[6:7], 0, v[20:21]
	v_not_b32_e32 v15, v23
	v_cmp_gt_i64_e64 s[12:13], 0, v[24:25]
	v_xor_b32_e32 v23, vcc_lo, v28
	v_ashrrev_i32_e32 v14, 31, v14
	v_and_b32_e32 v22, exec_hi, v22
	v_xor_b32_e32 v24, s5, v12
	v_mov_b32_e32 v26, v13
	v_lshlrev_b32_e32 v27, 26, v2
	v_not_b32_e32 v20, v25
	v_ashrrev_i32_e32 v15, 31, v15
	v_and_b32_e32 v23, exec_lo, v23
	v_xor_b32_e32 v12, s4, v12
	v_xor_b32_e32 v25, s7, v14
	v_and_b32_e32 v22, v22, v24
	v_cmp_gt_i64_e64 s[14:15], 0, v[26:27]
	v_not_b32_e32 v21, v27
	v_ashrrev_i32_e32 v20, 31, v20
	v_xor_b32_e32 v14, s6, v14
	v_xor_b32_e32 v26, s9, v15
	v_and_b32_e32 v12, v23, v12
	v_and_b32_e32 v22, v22, v25
	v_ashrrev_i32_e32 v21, 31, v21
	v_xor_b32_e32 v15, s8, v15
	v_xor_b32_e32 v27, s13, v20
	v_and_b32_e32 v12, v12, v14
	v_and_b32_e32 v14, v22, v26
	v_xor_b32_e32 v20, s12, v20
	v_xor_b32_e32 v28, s15, v21
	v_and_b32_e32 v12, v12, v15
	v_and_b32_e32 v14, v14, v27
	v_and_b32_e32 v12, v12, v20
	v_and_b32_e32 v20, v14, v28
	v_lshlrev_b32_e32 v31, 25, v2
	v_mov_b32_e32 v30, v13
	v_cmp_gt_i64_e64 s[16:17], 0, v[30:31]
	v_xor_b32_e32 v21, s14, v21
	s_movk_i32 s35, 0x44
	v_and_b32_e32 v12, v12, v21
	v_mul_lo_u32 v33, v2, s35
	v_mul_u32_u24_e32 v17, 20, v10
	ds_write2_b32 v17, v13, v13 offset0:16 offset1:17
	ds_write2_b32 v17, v13, v13 offset0:18 offset1:19
	ds_write_b32 v17, v13 offset:80
	s_waitcnt lgkmcnt(0)
	s_barrier
	s_waitcnt vmcnt(0)
	; wave barrier
	v_mad_u64_u32 v[14:15], s[4:5], v32, v18, v[10:11]
	v_lshrrev_b32_e32 v14, 4, v14
	v_and_b32_e32 v29, 0xffffffc, v14
	v_not_b32_e32 v14, v31
	v_ashrrev_i32_e32 v14, 31, v14
	v_xor_b32_e32 v15, s17, v14
	v_xor_b32_e32 v14, s16, v14
	v_and_b32_e32 v18, v20, v15
	v_lshlrev_b32_e32 v15, 24, v2
	v_and_b32_e32 v12, v12, v14
	v_mov_b32_e32 v14, v13
	v_not_b32_e32 v2, v15
	v_cmp_gt_i64_e32 vcc, 0, v[14:15]
	v_ashrrev_i32_e32 v2, 31, v2
	v_add_u32_e32 v22, v29, v33
	v_xor_b32_e32 v14, vcc_hi, v2
	v_xor_b32_e32 v2, vcc_lo, v2
	v_and_b32_e32 v15, v18, v14
	v_and_b32_e32 v14, v12, v2
	v_mbcnt_lo_u32_b32 v2, v14, 0
	v_mbcnt_hi_u32_b32 v18, v15, v2
	v_cmp_eq_u32_e32 vcc, 0, v18
	v_cmp_ne_u64_e64 s[4:5], 0, v[14:15]
	s_and_b64 s[6:7], s[4:5], vcc
	s_and_saveexec_b64 s[4:5], s[6:7]
; %bb.22:
	v_bcnt_u32_b32 v2, v14, 0
	v_bcnt_u32_b32 v2, v15, v2
	ds_write_b32 v22, v2 offset:64
; %bb.23:
	s_or_b64 exec, exec, s[4:5]
	v_cmp_lt_i32_e32 vcc, -1, v3
	; wave barrier
	s_nop 1
	v_cndmask_b32_e32 v2, -1, v19, vcc
	v_xor_b32_e32 v14, v2, v3
	v_cmp_ne_u32_e32 vcc, s34, v14
	s_nop 1
	v_cndmask_b32_e32 v2, v19, v14, vcc
	v_lshrrev_b32_e32 v2, s24, v2
	v_and_b32_e32 v15, s33, v2
	v_mul_lo_u32 v2, v15, s35
	v_and_b32_e32 v12, 1, v15
	v_add_u32_e32 v23, v29, v2
	v_lshl_add_u64 v[2:3], v[12:13], 0, -1
	v_cmp_ne_u32_e32 vcc, 0, v12
	ds_read_b32 v19, v23 offset:64
	s_nop 0
	v_xor_b32_e32 v3, vcc_hi, v3
	v_xor_b32_e32 v2, vcc_lo, v2
	v_and_b32_e32 v12, exec_hi, v3
	v_and_b32_e32 v20, exec_lo, v2
	v_lshlrev_b32_e32 v3, 30, v15
	v_mov_b32_e32 v2, v13
	v_cmp_gt_i64_e32 vcc, 0, v[2:3]
	v_not_b32_e32 v2, v3
	v_ashrrev_i32_e32 v2, 31, v2
	v_xor_b32_e32 v3, vcc_hi, v2
	v_xor_b32_e32 v2, vcc_lo, v2
	v_and_b32_e32 v12, v12, v3
	v_and_b32_e32 v20, v20, v2
	v_lshlrev_b32_e32 v3, 29, v15
	v_mov_b32_e32 v2, v13
	v_cmp_gt_i64_e32 vcc, 0, v[2:3]
	v_not_b32_e32 v2, v3
	v_ashrrev_i32_e32 v2, 31, v2
	v_xor_b32_e32 v3, vcc_hi, v2
	v_xor_b32_e32 v2, vcc_lo, v2
	v_and_b32_e32 v12, v12, v3
	v_and_b32_e32 v20, v20, v2
	;; [unrolled: 9-line block ×7, first 2 shown]
	v_mbcnt_lo_u32_b32 v12, v2, 0
	v_mbcnt_hi_u32_b32 v20, v3, v12
	v_cmp_eq_u32_e32 vcc, 0, v20
	v_cmp_ne_u64_e64 s[4:5], 0, v[2:3]
	s_and_b64 s[6:7], s[4:5], vcc
	; wave barrier
	s_and_saveexec_b64 s[4:5], s[6:7]
	s_cbranch_execz .LBB560_25
; %bb.24:
	v_bcnt_u32_b32 v2, v2, 0
	v_bcnt_u32_b32 v2, v3, v2
	s_waitcnt lgkmcnt(0)
	v_add_u32_e32 v2, v19, v2
	ds_write_b32 v23, v2 offset:64
.LBB560_25:
	s_or_b64 exec, exec, s[4:5]
	v_bfrev_b32_e32 v24, 1
	v_cmp_lt_i32_e32 vcc, -1, v4
	s_brev_b32 s6, -2
	s_movk_i32 s7, 0x44
	v_cndmask_b32_e32 v2, -1, v24, vcc
	v_xor_b32_e32 v15, v2, v4
	v_cmp_ne_u32_e32 vcc, s6, v15
	v_mov_b32_e32 v3, 0
	s_nop 0
	v_cndmask_b32_e32 v2, v24, v15, vcc
	v_lshrrev_b32_e32 v2, s24, v2
	v_and_b32_e32 v4, s33, v2
	v_mul_lo_u32 v2, v4, s7
	v_add_u32_e32 v27, v29, v2
	v_and_b32_e32 v2, 1, v4
	v_lshl_add_u64 v[12:13], v[2:3], 0, -1
	v_cmp_ne_u32_e32 vcc, 0, v2
	; wave barrier
	ds_read_b32 v21, v27 offset:64
	s_nop 0
	v_xor_b32_e32 v12, vcc_lo, v12
	v_xor_b32_e32 v2, vcc_hi, v13
	v_and_b32_e32 v25, exec_lo, v12
	v_lshlrev_b32_e32 v13, 30, v4
	v_mov_b32_e32 v12, v3
	v_cmp_gt_i64_e32 vcc, 0, v[12:13]
	v_not_b32_e32 v12, v13
	v_ashrrev_i32_e32 v12, 31, v12
	v_and_b32_e32 v2, exec_hi, v2
	v_xor_b32_e32 v13, vcc_hi, v12
	v_xor_b32_e32 v12, vcc_lo, v12
	v_and_b32_e32 v2, v2, v13
	v_and_b32_e32 v25, v25, v12
	v_lshlrev_b32_e32 v13, 29, v4
	v_mov_b32_e32 v12, v3
	v_cmp_gt_i64_e32 vcc, 0, v[12:13]
	v_not_b32_e32 v12, v13
	v_ashrrev_i32_e32 v12, 31, v12
	v_xor_b32_e32 v13, vcc_hi, v12
	v_xor_b32_e32 v12, vcc_lo, v12
	v_and_b32_e32 v2, v2, v13
	v_and_b32_e32 v25, v25, v12
	v_lshlrev_b32_e32 v13, 28, v4
	v_mov_b32_e32 v12, v3
	v_cmp_gt_i64_e32 vcc, 0, v[12:13]
	v_not_b32_e32 v12, v13
	v_ashrrev_i32_e32 v12, 31, v12
	v_xor_b32_e32 v13, vcc_hi, v12
	v_xor_b32_e32 v12, vcc_lo, v12
	v_and_b32_e32 v2, v2, v13
	v_and_b32_e32 v25, v25, v12
	v_lshlrev_b32_e32 v13, 27, v4
	v_mov_b32_e32 v12, v3
	v_cmp_gt_i64_e32 vcc, 0, v[12:13]
	v_not_b32_e32 v12, v13
	v_ashrrev_i32_e32 v12, 31, v12
	v_xor_b32_e32 v13, vcc_hi, v12
	v_xor_b32_e32 v12, vcc_lo, v12
	v_and_b32_e32 v2, v2, v13
	v_and_b32_e32 v25, v25, v12
	v_lshlrev_b32_e32 v13, 26, v4
	v_mov_b32_e32 v12, v3
	v_cmp_gt_i64_e32 vcc, 0, v[12:13]
	v_not_b32_e32 v12, v13
	v_ashrrev_i32_e32 v12, 31, v12
	v_xor_b32_e32 v13, vcc_hi, v12
	v_xor_b32_e32 v12, vcc_lo, v12
	v_and_b32_e32 v2, v2, v13
	v_and_b32_e32 v25, v25, v12
	v_lshlrev_b32_e32 v13, 25, v4
	v_mov_b32_e32 v12, v3
	v_cmp_gt_i64_e32 vcc, 0, v[12:13]
	v_not_b32_e32 v12, v13
	v_ashrrev_i32_e32 v12, 31, v12
	v_xor_b32_e32 v13, vcc_hi, v12
	v_xor_b32_e32 v12, vcc_lo, v12
	v_and_b32_e32 v2, v2, v13
	v_lshlrev_b32_e32 v13, 24, v4
	v_and_b32_e32 v25, v25, v12
	v_mov_b32_e32 v12, v3
	v_not_b32_e32 v4, v13
	v_cmp_gt_i64_e32 vcc, 0, v[12:13]
	v_ashrrev_i32_e32 v4, 31, v4
	s_nop 0
	v_xor_b32_e32 v12, vcc_hi, v4
	v_xor_b32_e32 v4, vcc_lo, v4
	v_and_b32_e32 v13, v2, v12
	v_and_b32_e32 v12, v25, v4
	v_mbcnt_lo_u32_b32 v2, v12, 0
	v_mbcnt_hi_u32_b32 v25, v13, v2
	v_cmp_eq_u32_e32 vcc, 0, v25
	v_cmp_ne_u64_e64 s[4:5], 0, v[12:13]
	s_and_b64 s[8:9], s[4:5], vcc
	; wave barrier
	s_and_saveexec_b64 s[4:5], s[8:9]
	s_cbranch_execz .LBB560_27
; %bb.26:
	v_bcnt_u32_b32 v2, v12, 0
	v_bcnt_u32_b32 v2, v13, v2
	s_waitcnt lgkmcnt(0)
	v_add_u32_e32 v2, v21, v2
	ds_write_b32 v27, v2 offset:64
.LBB560_27:
	s_or_b64 exec, exec, s[4:5]
	v_cmp_lt_i32_e32 vcc, -1, v5
	; wave barrier
	s_nop 1
	v_cndmask_b32_e32 v2, -1, v24, vcc
	v_xor_b32_e32 v12, v2, v5
	v_cmp_ne_u32_e32 vcc, s6, v12
	s_nop 1
	v_cndmask_b32_e32 v2, v24, v12, vcc
	v_lshrrev_b32_e32 v2, s24, v2
	v_and_b32_e32 v13, s33, v2
	v_mul_lo_u32 v2, v13, s7
	v_add_u32_e32 v31, v29, v2
	v_and_b32_e32 v2, 1, v13
	v_lshl_add_u64 v[4:5], v[2:3], 0, -1
	v_cmp_ne_u32_e32 vcc, 0, v2
	ds_read_b32 v26, v31 offset:64
	s_nop 0
	v_xor_b32_e32 v4, vcc_lo, v4
	v_xor_b32_e32 v2, vcc_hi, v5
	v_and_b32_e32 v24, exec_lo, v4
	v_lshlrev_b32_e32 v5, 30, v13
	v_mov_b32_e32 v4, v3
	v_cmp_gt_i64_e32 vcc, 0, v[4:5]
	v_not_b32_e32 v4, v5
	v_ashrrev_i32_e32 v4, 31, v4
	v_and_b32_e32 v2, exec_hi, v2
	v_xor_b32_e32 v5, vcc_hi, v4
	v_xor_b32_e32 v4, vcc_lo, v4
	v_and_b32_e32 v2, v2, v5
	v_and_b32_e32 v24, v24, v4
	v_lshlrev_b32_e32 v5, 29, v13
	v_mov_b32_e32 v4, v3
	v_cmp_gt_i64_e32 vcc, 0, v[4:5]
	v_not_b32_e32 v4, v5
	v_ashrrev_i32_e32 v4, 31, v4
	v_xor_b32_e32 v5, vcc_hi, v4
	v_xor_b32_e32 v4, vcc_lo, v4
	v_and_b32_e32 v2, v2, v5
	v_and_b32_e32 v24, v24, v4
	v_lshlrev_b32_e32 v5, 28, v13
	v_mov_b32_e32 v4, v3
	v_cmp_gt_i64_e32 vcc, 0, v[4:5]
	v_not_b32_e32 v4, v5
	v_ashrrev_i32_e32 v4, 31, v4
	;; [unrolled: 9-line block ×5, first 2 shown]
	v_xor_b32_e32 v5, vcc_hi, v4
	v_xor_b32_e32 v4, vcc_lo, v4
	v_and_b32_e32 v2, v2, v5
	v_lshlrev_b32_e32 v5, 24, v13
	v_and_b32_e32 v24, v24, v4
	v_mov_b32_e32 v4, v3
	v_not_b32_e32 v3, v5
	v_cmp_gt_i64_e32 vcc, 0, v[4:5]
	v_ashrrev_i32_e32 v3, 31, v3
	; wave barrier
	s_nop 0
	v_xor_b32_e32 v4, vcc_hi, v3
	v_xor_b32_e32 v5, vcc_lo, v3
	v_and_b32_e32 v3, v2, v4
	v_and_b32_e32 v2, v24, v5
	v_mbcnt_lo_u32_b32 v4, v2, 0
	v_mbcnt_hi_u32_b32 v28, v3, v4
	v_cmp_eq_u32_e32 vcc, 0, v28
	v_cmp_ne_u64_e64 s[4:5], 0, v[2:3]
	s_and_b64 s[6:7], s[4:5], vcc
	s_and_saveexec_b64 s[4:5], s[6:7]
	s_cbranch_execz .LBB560_29
; %bb.28:
	v_bcnt_u32_b32 v2, v2, 0
	v_bcnt_u32_b32 v2, v3, v2
	s_waitcnt lgkmcnt(0)
	v_add_u32_e32 v2, v26, v2
	ds_write_b32 v31, v2 offset:64
.LBB560_29:
	s_or_b64 exec, exec, s[4:5]
	v_bfrev_b32_e32 v33, 1
	v_cmp_lt_i32_e32 vcc, -1, v6
	s_brev_b32 s6, -2
	s_movk_i32 s7, 0x44
	v_cndmask_b32_e32 v2, -1, v33, vcc
	v_xor_b32_e32 v13, v2, v6
	v_cmp_ne_u32_e32 vcc, s6, v13
	v_mov_b32_e32 v3, 0
	s_nop 0
	v_cndmask_b32_e32 v2, v33, v13, vcc
	v_lshrrev_b32_e32 v2, s24, v2
	v_and_b32_e32 v24, s33, v2
	v_mul_lo_u32 v2, v24, s7
	v_add_u32_e32 v6, v29, v2
	v_and_b32_e32 v2, 1, v24
	v_lshl_add_u64 v[4:5], v[2:3], 0, -1
	v_cmp_ne_u32_e32 vcc, 0, v2
	; wave barrier
	ds_read_b32 v30, v6 offset:64
	s_nop 0
	v_xor_b32_e32 v4, vcc_lo, v4
	v_xor_b32_e32 v2, vcc_hi, v5
	v_and_b32_e32 v32, exec_lo, v4
	v_lshlrev_b32_e32 v5, 30, v24
	v_mov_b32_e32 v4, v3
	v_cmp_gt_i64_e32 vcc, 0, v[4:5]
	v_not_b32_e32 v4, v5
	v_ashrrev_i32_e32 v4, 31, v4
	v_and_b32_e32 v2, exec_hi, v2
	v_xor_b32_e32 v5, vcc_hi, v4
	v_xor_b32_e32 v4, vcc_lo, v4
	v_and_b32_e32 v2, v2, v5
	v_and_b32_e32 v32, v32, v4
	v_lshlrev_b32_e32 v5, 29, v24
	v_mov_b32_e32 v4, v3
	v_cmp_gt_i64_e32 vcc, 0, v[4:5]
	v_not_b32_e32 v4, v5
	v_ashrrev_i32_e32 v4, 31, v4
	v_xor_b32_e32 v5, vcc_hi, v4
	v_xor_b32_e32 v4, vcc_lo, v4
	v_and_b32_e32 v2, v2, v5
	v_and_b32_e32 v32, v32, v4
	v_lshlrev_b32_e32 v5, 28, v24
	v_mov_b32_e32 v4, v3
	v_cmp_gt_i64_e32 vcc, 0, v[4:5]
	v_not_b32_e32 v4, v5
	v_ashrrev_i32_e32 v4, 31, v4
	v_xor_b32_e32 v5, vcc_hi, v4
	v_xor_b32_e32 v4, vcc_lo, v4
	v_and_b32_e32 v2, v2, v5
	v_and_b32_e32 v32, v32, v4
	v_lshlrev_b32_e32 v5, 27, v24
	v_mov_b32_e32 v4, v3
	v_cmp_gt_i64_e32 vcc, 0, v[4:5]
	v_not_b32_e32 v4, v5
	v_ashrrev_i32_e32 v4, 31, v4
	v_xor_b32_e32 v5, vcc_hi, v4
	v_xor_b32_e32 v4, vcc_lo, v4
	v_and_b32_e32 v2, v2, v5
	v_and_b32_e32 v32, v32, v4
	v_lshlrev_b32_e32 v5, 26, v24
	v_mov_b32_e32 v4, v3
	v_cmp_gt_i64_e32 vcc, 0, v[4:5]
	v_not_b32_e32 v4, v5
	v_ashrrev_i32_e32 v4, 31, v4
	v_xor_b32_e32 v5, vcc_hi, v4
	v_xor_b32_e32 v4, vcc_lo, v4
	v_and_b32_e32 v2, v2, v5
	v_and_b32_e32 v32, v32, v4
	v_lshlrev_b32_e32 v5, 25, v24
	v_mov_b32_e32 v4, v3
	v_cmp_gt_i64_e32 vcc, 0, v[4:5]
	v_not_b32_e32 v4, v5
	v_ashrrev_i32_e32 v4, 31, v4
	v_xor_b32_e32 v5, vcc_hi, v4
	v_xor_b32_e32 v4, vcc_lo, v4
	v_and_b32_e32 v2, v2, v5
	v_and_b32_e32 v32, v32, v4
	v_lshlrev_b32_e32 v5, 24, v24
	v_mov_b32_e32 v4, v3
	v_cmp_gt_i64_e32 vcc, 0, v[4:5]
	v_not_b32_e32 v4, v5
	v_ashrrev_i32_e32 v4, 31, v4
	v_xor_b32_e32 v5, vcc_hi, v4
	v_xor_b32_e32 v4, vcc_lo, v4
	v_and_b32_e32 v4, v32, v4
	v_and_b32_e32 v5, v2, v5
	v_mbcnt_lo_u32_b32 v2, v4, 0
	v_mbcnt_hi_u32_b32 v32, v5, v2
	v_cmp_eq_u32_e32 vcc, 0, v32
	v_cmp_ne_u64_e64 s[4:5], 0, v[4:5]
	s_and_b64 s[8:9], s[4:5], vcc
	; wave barrier
	s_and_saveexec_b64 s[4:5], s[8:9]
	s_cbranch_execz .LBB560_31
; %bb.30:
	v_bcnt_u32_b32 v2, v4, 0
	v_bcnt_u32_b32 v2, v5, v2
	s_waitcnt lgkmcnt(0)
	v_add_u32_e32 v2, v30, v2
	ds_write_b32 v6, v2 offset:64
.LBB560_31:
	s_or_b64 exec, exec, s[4:5]
	v_cmp_lt_i32_e32 vcc, -1, v7
	; wave barrier
	s_nop 1
	v_cndmask_b32_e32 v2, -1, v33, vcc
	v_xor_b32_e32 v24, v2, v7
	v_cmp_ne_u32_e32 vcc, s6, v24
	s_nop 1
	v_cndmask_b32_e32 v2, v33, v24, vcc
	v_lshrrev_b32_e32 v2, s24, v2
	v_and_b32_e32 v34, s33, v2
	v_mul_lo_u32 v2, v34, s7
	v_add_u32_e32 v7, v29, v2
	v_and_b32_e32 v2, 1, v34
	v_lshl_add_u64 v[4:5], v[2:3], 0, -1
	v_cmp_ne_u32_e32 vcc, 0, v2
	ds_read_b32 v33, v7 offset:64
	s_nop 0
	v_xor_b32_e32 v4, vcc_lo, v4
	v_xor_b32_e32 v2, vcc_hi, v5
	v_and_b32_e32 v35, exec_lo, v4
	v_lshlrev_b32_e32 v5, 30, v34
	v_mov_b32_e32 v4, v3
	v_cmp_gt_i64_e32 vcc, 0, v[4:5]
	v_not_b32_e32 v4, v5
	v_ashrrev_i32_e32 v4, 31, v4
	v_and_b32_e32 v2, exec_hi, v2
	v_xor_b32_e32 v5, vcc_hi, v4
	v_xor_b32_e32 v4, vcc_lo, v4
	v_and_b32_e32 v2, v2, v5
	v_and_b32_e32 v35, v35, v4
	v_lshlrev_b32_e32 v5, 29, v34
	v_mov_b32_e32 v4, v3
	v_cmp_gt_i64_e32 vcc, 0, v[4:5]
	v_not_b32_e32 v4, v5
	v_ashrrev_i32_e32 v4, 31, v4
	v_xor_b32_e32 v5, vcc_hi, v4
	v_xor_b32_e32 v4, vcc_lo, v4
	v_and_b32_e32 v2, v2, v5
	v_and_b32_e32 v35, v35, v4
	v_lshlrev_b32_e32 v5, 28, v34
	v_mov_b32_e32 v4, v3
	v_cmp_gt_i64_e32 vcc, 0, v[4:5]
	v_not_b32_e32 v4, v5
	v_ashrrev_i32_e32 v4, 31, v4
	;; [unrolled: 9-line block ×5, first 2 shown]
	v_xor_b32_e32 v5, vcc_hi, v4
	v_xor_b32_e32 v4, vcc_lo, v4
	v_and_b32_e32 v2, v2, v5
	v_lshlrev_b32_e32 v5, 24, v34
	v_and_b32_e32 v35, v35, v4
	v_mov_b32_e32 v4, v3
	v_not_b32_e32 v3, v5
	v_cmp_gt_i64_e32 vcc, 0, v[4:5]
	v_ashrrev_i32_e32 v3, 31, v3
	; wave barrier
	s_nop 0
	v_xor_b32_e32 v4, vcc_hi, v3
	v_xor_b32_e32 v5, vcc_lo, v3
	v_and_b32_e32 v3, v2, v4
	v_and_b32_e32 v2, v35, v5
	v_mbcnt_lo_u32_b32 v4, v2, 0
	v_mbcnt_hi_u32_b32 v34, v3, v4
	v_cmp_eq_u32_e32 vcc, 0, v34
	v_cmp_ne_u64_e64 s[4:5], 0, v[2:3]
	s_and_b64 s[6:7], s[4:5], vcc
	s_and_saveexec_b64 s[4:5], s[6:7]
	s_cbranch_execz .LBB560_33
; %bb.32:
	v_bcnt_u32_b32 v2, v2, 0
	v_bcnt_u32_b32 v2, v3, v2
	s_waitcnt lgkmcnt(0)
	v_add_u32_e32 v2, v33, v2
	ds_write_b32 v7, v2 offset:64
.LBB560_33:
	s_or_b64 exec, exec, s[4:5]
	v_bfrev_b32_e32 v38, 1
	v_cmp_lt_i32_e32 vcc, -1, v8
	s_brev_b32 s6, -2
	s_movk_i32 s7, 0x44
	v_cndmask_b32_e32 v2, -1, v38, vcc
	v_xor_b32_e32 v8, v2, v8
	v_cmp_ne_u32_e32 vcc, s6, v8
	v_mov_b32_e32 v3, 0
	s_nop 0
	v_cndmask_b32_e32 v2, v38, v8, vcc
	v_lshrrev_b32_e32 v2, s24, v2
	v_and_b32_e32 v36, s33, v2
	v_mul_lo_u32 v2, v36, s7
	v_add_u32_e32 v37, v29, v2
	v_and_b32_e32 v2, 1, v36
	v_lshl_add_u64 v[4:5], v[2:3], 0, -1
	v_cmp_ne_u32_e32 vcc, 0, v2
	; wave barrier
	ds_read_b32 v35, v37 offset:64
	s_nop 0
	v_xor_b32_e32 v4, vcc_lo, v4
	v_xor_b32_e32 v2, vcc_hi, v5
	v_and_b32_e32 v39, exec_lo, v4
	v_lshlrev_b32_e32 v5, 30, v36
	v_mov_b32_e32 v4, v3
	v_cmp_gt_i64_e32 vcc, 0, v[4:5]
	v_not_b32_e32 v4, v5
	v_ashrrev_i32_e32 v4, 31, v4
	v_and_b32_e32 v2, exec_hi, v2
	v_xor_b32_e32 v5, vcc_hi, v4
	v_xor_b32_e32 v4, vcc_lo, v4
	v_and_b32_e32 v2, v2, v5
	v_and_b32_e32 v39, v39, v4
	v_lshlrev_b32_e32 v5, 29, v36
	v_mov_b32_e32 v4, v3
	v_cmp_gt_i64_e32 vcc, 0, v[4:5]
	v_not_b32_e32 v4, v5
	v_ashrrev_i32_e32 v4, 31, v4
	v_xor_b32_e32 v5, vcc_hi, v4
	v_xor_b32_e32 v4, vcc_lo, v4
	v_and_b32_e32 v2, v2, v5
	v_and_b32_e32 v39, v39, v4
	v_lshlrev_b32_e32 v5, 28, v36
	v_mov_b32_e32 v4, v3
	v_cmp_gt_i64_e32 vcc, 0, v[4:5]
	v_not_b32_e32 v4, v5
	v_ashrrev_i32_e32 v4, 31, v4
	;; [unrolled: 9-line block ×6, first 2 shown]
	v_xor_b32_e32 v5, vcc_hi, v4
	v_xor_b32_e32 v4, vcc_lo, v4
	v_and_b32_e32 v4, v39, v4
	v_and_b32_e32 v5, v2, v5
	v_mbcnt_lo_u32_b32 v2, v4, 0
	v_mbcnt_hi_u32_b32 v36, v5, v2
	v_cmp_eq_u32_e32 vcc, 0, v36
	v_cmp_ne_u64_e64 s[4:5], 0, v[4:5]
	s_and_b64 s[8:9], s[4:5], vcc
	; wave barrier
	s_and_saveexec_b64 s[4:5], s[8:9]
	s_cbranch_execz .LBB560_35
; %bb.34:
	v_bcnt_u32_b32 v2, v4, 0
	v_bcnt_u32_b32 v2, v5, v2
	s_waitcnt lgkmcnt(0)
	v_add_u32_e32 v2, v35, v2
	ds_write_b32 v37, v2 offset:64
.LBB560_35:
	s_or_b64 exec, exec, s[4:5]
	v_cmp_lt_i32_e32 vcc, -1, v9
	; wave barrier
	s_nop 1
	v_cndmask_b32_e32 v2, -1, v38, vcc
	v_xor_b32_e32 v9, v2, v9
	v_cmp_ne_u32_e32 vcc, s6, v9
	s_nop 1
	v_cndmask_b32_e32 v2, v38, v9, vcc
	v_lshrrev_b32_e32 v2, s24, v2
	v_and_b32_e32 v38, s33, v2
	v_mul_lo_u32 v2, v38, s7
	v_add_u32_e32 v39, v29, v2
	v_and_b32_e32 v2, 1, v38
	v_lshl_add_u64 v[4:5], v[2:3], 0, -1
	v_cmp_ne_u32_e32 vcc, 0, v2
	ds_read_b32 v29, v39 offset:64
	s_nop 0
	v_xor_b32_e32 v4, vcc_lo, v4
	v_xor_b32_e32 v2, vcc_hi, v5
	v_and_b32_e32 v40, exec_lo, v4
	v_lshlrev_b32_e32 v5, 30, v38
	v_mov_b32_e32 v4, v3
	v_cmp_gt_i64_e32 vcc, 0, v[4:5]
	v_not_b32_e32 v4, v5
	v_ashrrev_i32_e32 v4, 31, v4
	v_and_b32_e32 v2, exec_hi, v2
	v_xor_b32_e32 v5, vcc_hi, v4
	v_xor_b32_e32 v4, vcc_lo, v4
	v_and_b32_e32 v2, v2, v5
	v_and_b32_e32 v40, v40, v4
	v_lshlrev_b32_e32 v5, 29, v38
	v_mov_b32_e32 v4, v3
	v_cmp_gt_i64_e32 vcc, 0, v[4:5]
	v_not_b32_e32 v4, v5
	v_ashrrev_i32_e32 v4, 31, v4
	v_xor_b32_e32 v5, vcc_hi, v4
	v_xor_b32_e32 v4, vcc_lo, v4
	v_and_b32_e32 v2, v2, v5
	v_and_b32_e32 v40, v40, v4
	v_lshlrev_b32_e32 v5, 28, v38
	v_mov_b32_e32 v4, v3
	v_cmp_gt_i64_e32 vcc, 0, v[4:5]
	v_not_b32_e32 v4, v5
	v_ashrrev_i32_e32 v4, 31, v4
	;; [unrolled: 9-line block ×5, first 2 shown]
	v_xor_b32_e32 v5, vcc_hi, v4
	v_xor_b32_e32 v4, vcc_lo, v4
	v_and_b32_e32 v2, v2, v5
	v_lshlrev_b32_e32 v5, 24, v38
	v_and_b32_e32 v40, v40, v4
	v_mov_b32_e32 v4, v3
	v_not_b32_e32 v3, v5
	v_cmp_gt_i64_e32 vcc, 0, v[4:5]
	v_ashrrev_i32_e32 v3, 31, v3
	; wave barrier
	s_nop 0
	v_xor_b32_e32 v4, vcc_hi, v3
	v_xor_b32_e32 v5, vcc_lo, v3
	v_and_b32_e32 v3, v2, v4
	v_and_b32_e32 v2, v40, v5
	v_mbcnt_lo_u32_b32 v4, v2, 0
	v_mbcnt_hi_u32_b32 v38, v3, v4
	v_cmp_eq_u32_e32 vcc, 0, v38
	v_cmp_ne_u64_e64 s[4:5], 0, v[2:3]
	s_and_b64 s[6:7], s[4:5], vcc
	s_and_saveexec_b64 s[4:5], s[6:7]
	s_cbranch_execz .LBB560_37
; %bb.36:
	v_bcnt_u32_b32 v2, v2, 0
	v_bcnt_u32_b32 v2, v3, v2
	s_waitcnt lgkmcnt(0)
	v_add_u32_e32 v2, v29, v2
	ds_write_b32 v39, v2 offset:64
.LBB560_37:
	s_or_b64 exec, exec, s[4:5]
	; wave barrier
	s_waitcnt lgkmcnt(0)
	s_barrier
	ds_read2_b32 v[4:5], v17 offset0:16 offset1:17
	ds_read2_b32 v[2:3], v17 offset0:18 offset1:19
	ds_read_b32 v40, v17 offset:80
	v_cmp_lt_u32_e64 s[12:13], 31, v16
	s_waitcnt lgkmcnt(1)
	v_add3_u32 v41, v5, v4, v2
	s_waitcnt lgkmcnt(0)
	v_add3_u32 v40, v41, v3, v40
	v_and_b32_e32 v41, 15, v16
	v_cmp_eq_u32_e32 vcc, 0, v41
	v_mov_b32_dpp v42, v40 row_shr:1 row_mask:0xf bank_mask:0xf
	v_cmp_lt_u32_e64 s[4:5], 1, v41
	v_cndmask_b32_e64 v42, v42, 0, vcc
	v_add_u32_e32 v40, v42, v40
	v_cmp_lt_u32_e64 s[6:7], 3, v41
	v_cmp_lt_u32_e64 s[8:9], 7, v41
	v_mov_b32_dpp v42, v40 row_shr:2 row_mask:0xf bank_mask:0xf
	v_cndmask_b32_e64 v42, 0, v42, s[4:5]
	v_add_u32_e32 v40, v40, v42
	s_nop 1
	v_mov_b32_dpp v42, v40 row_shr:4 row_mask:0xf bank_mask:0xf
	v_cndmask_b32_e64 v42, 0, v42, s[6:7]
	v_add_u32_e32 v40, v40, v42
	s_nop 1
	v_mov_b32_dpp v42, v40 row_shr:8 row_mask:0xf bank_mask:0xf
	v_cndmask_b32_e64 v41, 0, v42, s[8:9]
	v_add_u32_e32 v40, v40, v41
	v_bfe_i32 v42, v16, 4, 1
	s_nop 0
	v_mov_b32_dpp v41, v40 row_bcast:15 row_mask:0xf bank_mask:0xf
	v_and_b32_e32 v41, v42, v41
	v_add_u32_e32 v40, v40, v41
	v_and_b32_e32 v42, 63, v10
	s_nop 0
	v_mov_b32_dpp v41, v40 row_bcast:31 row_mask:0xf bank_mask:0xf
	v_cndmask_b32_e64 v41, 0, v41, s[12:13]
	v_add_u32_e32 v40, v40, v41
	v_lshrrev_b32_e32 v41, 6, v10
	v_cmp_eq_u32_e64 s[12:13], 63, v42
	s_and_saveexec_b64 s[14:15], s[12:13]
; %bb.38:
	v_lshlrev_b32_e32 v42, 2, v41
	ds_write_b32 v42, v40
; %bb.39:
	s_or_b64 exec, exec, s[14:15]
	v_cmp_gt_u32_e64 s[12:13], 16, v10
	s_waitcnt lgkmcnt(0)
	s_barrier
	s_and_saveexec_b64 s[14:15], s[12:13]
	s_cbranch_execz .LBB560_41
; %bb.40:
	v_lshlrev_b32_e32 v42, 2, v10
	ds_read_b32 v43, v42
	s_waitcnt lgkmcnt(0)
	s_nop 0
	v_mov_b32_dpp v44, v43 row_shr:1 row_mask:0xf bank_mask:0xf
	v_cndmask_b32_e64 v44, v44, 0, vcc
	v_add_u32_e32 v43, v44, v43
	s_nop 1
	v_mov_b32_dpp v44, v43 row_shr:2 row_mask:0xf bank_mask:0xf
	v_cndmask_b32_e64 v44, 0, v44, s[4:5]
	v_add_u32_e32 v43, v43, v44
	s_nop 1
	v_mov_b32_dpp v44, v43 row_shr:4 row_mask:0xf bank_mask:0xf
	v_cndmask_b32_e64 v44, 0, v44, s[6:7]
	;; [unrolled: 4-line block ×3, first 2 shown]
	v_add_u32_e32 v43, v43, v44
	ds_write_b32 v42, v43
.LBB560_41:
	s_or_b64 exec, exec, s[14:15]
	v_cmp_lt_u32_e32 vcc, 63, v10
	v_mov_b32_e32 v42, 0
	s_waitcnt lgkmcnt(0)
	s_barrier
	s_and_saveexec_b64 s[4:5], vcc
; %bb.42:
	v_lshl_add_u32 v41, v41, 2, -4
	ds_read_b32 v42, v41
; %bb.43:
	s_or_b64 exec, exec, s[4:5]
	v_subrev_co_u32_e32 v41, vcc, 1, v16
	v_and_b32_e32 v43, 64, v16
	v_cmp_lt_i32_e64 s[4:5], v41, v43
	s_waitcnt lgkmcnt(0)
	v_add_u32_e32 v40, v42, v40
	s_movk_i32 s6, 0x100
	v_cndmask_b32_e64 v16, v41, v16, s[4:5]
	v_lshlrev_b32_e32 v16, 2, v16
	ds_bpermute_b32 v16, v16, v40
	s_movk_i32 s4, 0xff
	v_cmp_lt_u32_e64 s[4:5], s4, v10
	s_waitcnt lgkmcnt(0)
	v_cndmask_b32_e32 v16, v16, v42, vcc
	v_cndmask_b32_e64 v16, v16, 0, s[10:11]
	v_add_u32_e32 v4, v16, v4
	v_add_u32_e32 v5, v4, v5
	;; [unrolled: 1-line block ×4, first 2 shown]
	ds_write2_b32 v17, v16, v4 offset0:16 offset1:17
	ds_write2_b32 v17, v5, v2 offset0:18 offset1:19
	ds_write_b32 v17, v3 offset:80
	s_waitcnt lgkmcnt(0)
	s_barrier
	ds_read_b32 v40, v22 offset:64
	ds_read_b32 v23, v23 offset:64
	;; [unrolled: 1-line block ×8, first 2 shown]
	v_cmp_gt_u32_e32 vcc, s6, v10
                                        ; implicit-def: $vgpr16
                                        ; implicit-def: $vgpr17
	s_and_saveexec_b64 s[8:9], vcc
	s_cbranch_execz .LBB560_47
; %bb.44:
	v_mul_u32_u24_e32 v2, 0x44, v10
	ds_read_b32 v16, v2 offset:64
	v_add_u32_e32 v3, 1, v10
	v_cmp_ne_u32_e64 s[6:7], s6, v3
	v_mov_b32_e32 v2, 0x2000
	s_and_saveexec_b64 s[12:13], s[6:7]
; %bb.45:
	v_mul_u32_u24_e32 v2, 0x44, v3
	ds_read_b32 v2, v2 offset:64
; %bb.46:
	s_or_b64 exec, exec, s[12:13]
	s_waitcnt lgkmcnt(0)
	v_sub_u32_e32 v17, v2, v16
.LBB560_47:
	s_or_b64 exec, exec, s[8:9]
	v_mov_b32_e32 v3, 0
	v_lshlrev_b32_e32 v22, 2, v10
	s_waitcnt lgkmcnt(0)
	s_barrier
	s_and_saveexec_b64 s[6:7], vcc
	s_cbranch_execz .LBB560_57
; %bb.48:
	v_lshl_add_u32 v2, s27, 8, v10
	v_lshl_add_u64 v[4:5], v[2:3], 2, s[18:19]
	v_or_b32_e32 v2, 2.0, v17
	s_mov_b64 s[8:9], 0
	s_brev_b32 s16, -4
	s_mov_b32 s17, s27
	v_mov_b32_e32 v43, 0
	global_store_dword v[4:5], v2, off sc1
                                        ; implicit-def: $sgpr12_sgpr13
	s_branch .LBB560_51
.LBB560_49:                             ;   in Loop: Header=BB560_51 Depth=1
	s_or_b64 exec, exec, s[14:15]
.LBB560_50:                             ;   in Loop: Header=BB560_51 Depth=1
	s_or_b64 exec, exec, s[12:13]
	v_and_b32_e32 v6, 0x3fffffff, v2
	v_add_u32_e32 v43, v6, v43
	v_cmp_gt_i32_e64 s[12:13], -2.0, v2
	s_and_b64 s[14:15], exec, s[12:13]
	s_or_b64 s[8:9], s[14:15], s[8:9]
	s_andn2_b64 exec, exec, s[8:9]
	s_cbranch_execz .LBB560_56
.LBB560_51:                             ; =>This Loop Header: Depth=1
                                        ;     Child Loop BB560_54 Depth 2
	s_or_b64 s[12:13], s[12:13], exec
	s_cmp_eq_u32 s17, 0
	s_cbranch_scc1 .LBB560_55
; %bb.52:                               ;   in Loop: Header=BB560_51 Depth=1
	s_add_i32 s17, s17, -1
	v_lshl_or_b32 v2, s17, 8, v10
	v_lshl_add_u64 v[6:7], v[2:3], 2, s[18:19]
	global_load_dword v2, v[6:7], off sc1
	s_waitcnt vmcnt(0)
	v_cmp_gt_u32_e32 vcc, 2.0, v2
	s_and_saveexec_b64 s[12:13], vcc
	s_cbranch_execz .LBB560_50
; %bb.53:                               ;   in Loop: Header=BB560_51 Depth=1
	s_mov_b64 s[14:15], 0
.LBB560_54:                             ;   Parent Loop BB560_51 Depth=1
                                        ; =>  This Inner Loop Header: Depth=2
	global_load_dword v2, v[6:7], off sc1
	s_waitcnt vmcnt(0)
	v_cmp_lt_u32_e32 vcc, s16, v2
	s_or_b64 s[14:15], vcc, s[14:15]
	s_andn2_b64 exec, exec, s[14:15]
	s_cbranch_execnz .LBB560_54
	s_branch .LBB560_49
.LBB560_55:                             ;   in Loop: Header=BB560_51 Depth=1
                                        ; implicit-def: $sgpr17
	s_and_b64 s[14:15], exec, s[12:13]
	s_or_b64 s[8:9], s[14:15], s[8:9]
	s_andn2_b64 exec, exec, s[8:9]
	s_cbranch_execnz .LBB560_51
.LBB560_56:
	s_or_b64 exec, exec, s[8:9]
	v_add_u32_e32 v2, v43, v17
	v_or_b32_e32 v2, 0x80000000, v2
	global_store_dword v[4:5], v2, off sc1
	global_load_dword v2, v22, s[20:21]
	v_sub_u32_e32 v3, v43, v16
	s_waitcnt vmcnt(0)
	v_add_u32_e32 v2, v3, v2
	ds_write_b32 v22, v2
.LBB560_57:
	s_or_b64 exec, exec, s[6:7]
	v_add_u32_e32 v4, v40, v18
	v_add3_u32 v5, v20, v19, v23
	v_add3_u32 v6, v25, v21, v27
	;; [unrolled: 1-line block ×7, first 2 shown]
	v_lshlrev_b32_e32 v23, 2, v21
	v_lshlrev_b32_e32 v25, 2, v20
	;; [unrolled: 1-line block ×8, first 2 shown]
	s_mov_b64 s[6:7], -1
	s_mov_b32 s12, 0
	s_brev_b32 s13, -2
	v_mov_b32_e32 v3, 0
	s_movk_i32 s14, 0x400
	s_movk_i32 s15, 0x800
	;; [unrolled: 1-line block ×3, first 2 shown]
	v_bfrev_b32_e32 v32, 1
	v_mov_b32_e32 v33, v10
	s_branch .LBB560_59
.LBB560_58:                             ;   in Loop: Header=BB560_59 Depth=1
	s_or_b64 exec, exec, s[8:9]
	s_xor_b64 s[8:9], s[6:7], -1
	s_addk_i32 s12, 0xc000
	v_add_u32_e32 v33, 0x1000, v33
	s_mov_b64 s[6:7], 0
	s_and_b64 vcc, exec, s[8:9]
	s_barrier
	s_cbranch_vccnz .LBB560_83
.LBB560_59:                             ; =>This Inner Loop Header: Depth=1
	v_subrev_co_u32_e32 v4, vcc, 0x1000, v4
	s_and_saveexec_b64 s[8:9], vcc
	s_cbranch_execz .LBB560_67
; %bb.60:                               ;   in Loop: Header=BB560_59 Depth=1
	v_add_u32_e32 v2, s12, v31
	ds_write_b32 v2, v11 offset:1024
	s_or_b64 exec, exec, s[8:9]
	v_subrev_co_u32_e32 v5, vcc, 0x1000, v5
	s_and_saveexec_b64 s[8:9], vcc
	s_cbranch_execnz .LBB560_68
.LBB560_61:                             ;   in Loop: Header=BB560_59 Depth=1
	s_or_b64 exec, exec, s[8:9]
	v_subrev_co_u32_e32 v6, vcc, 0x1000, v6
	s_and_saveexec_b64 s[8:9], vcc
	s_cbranch_execz .LBB560_69
.LBB560_62:                             ;   in Loop: Header=BB560_59 Depth=1
	v_add_u32_e32 v2, s12, v29
	ds_write_b32 v2, v15 offset:1024
	s_or_b64 exec, exec, s[8:9]
	v_subrev_co_u32_e32 v7, vcc, 0x1000, v7
	s_and_saveexec_b64 s[8:9], vcc
	s_cbranch_execnz .LBB560_70
.LBB560_63:                             ;   in Loop: Header=BB560_59 Depth=1
	s_or_b64 exec, exec, s[8:9]
	v_subrev_co_u32_e32 v18, vcc, 0x1000, v18
	s_and_saveexec_b64 s[8:9], vcc
	s_cbranch_execz .LBB560_71
.LBB560_64:                             ;   in Loop: Header=BB560_59 Depth=1
	v_add_u32_e32 v2, s12, v27
	ds_write_b32 v2, v13 offset:1024
	s_or_b64 exec, exec, s[8:9]
	v_subrev_co_u32_e32 v19, vcc, 0x1000, v19
	s_and_saveexec_b64 s[8:9], vcc
	s_cbranch_execnz .LBB560_72
.LBB560_65:                             ;   in Loop: Header=BB560_59 Depth=1
	s_or_b64 exec, exec, s[8:9]
	v_subrev_co_u32_e32 v20, vcc, 0x1000, v20
	s_and_saveexec_b64 s[8:9], vcc
	s_cbranch_execz .LBB560_73
.LBB560_66:                             ;   in Loop: Header=BB560_59 Depth=1
	v_add_u32_e32 v2, s12, v25
	ds_write_b32 v2, v8 offset:1024
	s_or_b64 exec, exec, s[8:9]
	v_subrev_co_u32_e32 v21, vcc, 0x1000, v21
	s_and_saveexec_b64 s[8:9], vcc
	s_cbranch_execnz .LBB560_74
	s_branch .LBB560_75
.LBB560_67:                             ;   in Loop: Header=BB560_59 Depth=1
	s_or_b64 exec, exec, s[8:9]
	v_subrev_co_u32_e32 v5, vcc, 0x1000, v5
	s_and_saveexec_b64 s[8:9], vcc
	s_cbranch_execz .LBB560_61
.LBB560_68:                             ;   in Loop: Header=BB560_59 Depth=1
	v_add_u32_e32 v2, s12, v30
	ds_write_b32 v2, v14 offset:1024
	s_or_b64 exec, exec, s[8:9]
	v_subrev_co_u32_e32 v6, vcc, 0x1000, v6
	s_and_saveexec_b64 s[8:9], vcc
	s_cbranch_execnz .LBB560_62
.LBB560_69:                             ;   in Loop: Header=BB560_59 Depth=1
	s_or_b64 exec, exec, s[8:9]
	v_subrev_co_u32_e32 v7, vcc, 0x1000, v7
	s_and_saveexec_b64 s[8:9], vcc
	s_cbranch_execz .LBB560_63
.LBB560_70:                             ;   in Loop: Header=BB560_59 Depth=1
	v_add_u32_e32 v2, s12, v28
	ds_write_b32 v2, v12 offset:1024
	s_or_b64 exec, exec, s[8:9]
	v_subrev_co_u32_e32 v18, vcc, 0x1000, v18
	s_and_saveexec_b64 s[8:9], vcc
	s_cbranch_execnz .LBB560_64
.LBB560_71:                             ;   in Loop: Header=BB560_59 Depth=1
	s_or_b64 exec, exec, s[8:9]
	v_subrev_co_u32_e32 v19, vcc, 0x1000, v19
	s_and_saveexec_b64 s[8:9], vcc
	s_cbranch_execz .LBB560_65
.LBB560_72:                             ;   in Loop: Header=BB560_59 Depth=1
	v_add_u32_e32 v2, s12, v26
	ds_write_b32 v2, v24 offset:1024
	s_or_b64 exec, exec, s[8:9]
	v_subrev_co_u32_e32 v20, vcc, 0x1000, v20
	s_and_saveexec_b64 s[8:9], vcc
	s_cbranch_execnz .LBB560_66
.LBB560_73:                             ;   in Loop: Header=BB560_59 Depth=1
	s_or_b64 exec, exec, s[8:9]
	v_subrev_co_u32_e32 v21, vcc, 0x1000, v21
	s_and_saveexec_b64 s[8:9], vcc
.LBB560_74:                             ;   in Loop: Header=BB560_59 Depth=1
	v_add_u32_e32 v2, s12, v23
	ds_write_b32 v2, v9 offset:1024
.LBB560_75:                             ;   in Loop: Header=BB560_59 Depth=1
	s_or_b64 exec, exec, s[8:9]
	v_cmp_gt_u32_e32 vcc, s3, v33
	s_waitcnt lgkmcnt(0)
	s_barrier
	s_and_saveexec_b64 s[8:9], vcc
	s_cbranch_execz .LBB560_77
; %bb.76:                               ;   in Loop: Header=BB560_59 Depth=1
	ds_read_b32 v2, v22 offset:1024
	s_waitcnt lgkmcnt(0)
	v_cmp_ne_u32_e32 vcc, s13, v2
	s_nop 1
	v_cndmask_b32_e32 v34, v32, v2, vcc
	v_lshrrev_b32_e32 v34, s24, v34
	v_and_b32_e32 v34, s33, v34
	v_lshlrev_b32_e32 v34, 2, v34
	ds_read_b32 v34, v34
	v_cmp_lt_i32_e32 vcc, -1, v2
	s_nop 1
	v_cndmask_b32_e64 v35, v32, -1, vcc
	v_xor_b32_e32 v36, v35, v2
	s_waitcnt lgkmcnt(0)
	v_add_u32_e32 v2, v33, v34
	v_lshl_add_u64 v[34:35], v[2:3], 2, s[30:31]
	global_store_dword v[34:35], v36, off
.LBB560_77:                             ;   in Loop: Header=BB560_59 Depth=1
	s_or_b64 exec, exec, s[8:9]
	v_add_u32_e32 v2, 0x400, v33
	v_cmp_gt_u32_e32 vcc, s3, v2
	s_and_saveexec_b64 s[8:9], vcc
	s_cbranch_execz .LBB560_79
; %bb.78:                               ;   in Loop: Header=BB560_59 Depth=1
	ds_read_b32 v2, v22 offset:5120
	s_waitcnt lgkmcnt(0)
	v_cmp_ne_u32_e32 vcc, s13, v2
	s_nop 1
	v_cndmask_b32_e32 v34, v32, v2, vcc
	v_lshrrev_b32_e32 v34, s24, v34
	v_and_b32_e32 v34, s33, v34
	v_lshlrev_b32_e32 v34, 2, v34
	ds_read_b32 v34, v34
	v_cmp_lt_i32_e32 vcc, -1, v2
	s_nop 1
	v_cndmask_b32_e64 v35, v32, -1, vcc
	v_xor_b32_e32 v36, v35, v2
	s_waitcnt lgkmcnt(0)
	v_add3_u32 v2, v33, v34, s14
	v_lshl_add_u64 v[34:35], v[2:3], 2, s[30:31]
	global_store_dword v[34:35], v36, off
.LBB560_79:                             ;   in Loop: Header=BB560_59 Depth=1
	s_or_b64 exec, exec, s[8:9]
	v_add_u32_e32 v2, 0x800, v33
	v_cmp_gt_u32_e32 vcc, s3, v2
	s_and_saveexec_b64 s[8:9], vcc
	s_cbranch_execz .LBB560_81
; %bb.80:                               ;   in Loop: Header=BB560_59 Depth=1
	ds_read_b32 v2, v22 offset:9216
	s_waitcnt lgkmcnt(0)
	v_cmp_ne_u32_e32 vcc, s13, v2
	s_nop 1
	v_cndmask_b32_e32 v34, v32, v2, vcc
	v_lshrrev_b32_e32 v34, s24, v34
	v_and_b32_e32 v34, s33, v34
	v_lshlrev_b32_e32 v34, 2, v34
	ds_read_b32 v34, v34
	v_cmp_lt_i32_e32 vcc, -1, v2
	s_nop 1
	v_cndmask_b32_e64 v35, v32, -1, vcc
	v_xor_b32_e32 v36, v35, v2
	s_waitcnt lgkmcnt(0)
	v_add3_u32 v2, v33, v34, s15
	v_lshl_add_u64 v[34:35], v[2:3], 2, s[30:31]
	global_store_dword v[34:35], v36, off
.LBB560_81:                             ;   in Loop: Header=BB560_59 Depth=1
	s_or_b64 exec, exec, s[8:9]
	v_add_u32_e32 v2, 0xc00, v33
	v_cmp_gt_u32_e32 vcc, s3, v2
	s_and_saveexec_b64 s[8:9], vcc
	s_cbranch_execz .LBB560_58
; %bb.82:                               ;   in Loop: Header=BB560_59 Depth=1
	ds_read_b32 v2, v22 offset:13312
	s_waitcnt lgkmcnt(0)
	v_cmp_ne_u32_e32 vcc, s13, v2
	s_nop 1
	v_cndmask_b32_e32 v34, v32, v2, vcc
	v_lshrrev_b32_e32 v34, s24, v34
	v_and_b32_e32 v34, s33, v34
	v_lshlrev_b32_e32 v34, 2, v34
	ds_read_b32 v34, v34
	v_cmp_lt_i32_e32 vcc, -1, v2
	s_nop 1
	v_cndmask_b32_e64 v35, v32, -1, vcc
	v_xor_b32_e32 v36, v35, v2
	s_waitcnt lgkmcnt(0)
	v_add3_u32 v2, v33, v34, s16
	v_lshl_add_u64 v[34:35], v[2:3], 2, s[30:31]
	global_store_dword v[34:35], v36, off
	s_branch .LBB560_58
.LBB560_83:
	s_add_i32 s26, s26, -1
	s_cmp_eq_u32 s27, s26
	s_cselect_b64 s[6:7], -1, 0
	s_xor_b64 s[4:5], s[4:5], -1
	s_and_b64 s[6:7], s[4:5], s[6:7]
	s_and_saveexec_b64 s[4:5], s[6:7]
	s_cbranch_execz .LBB560_85
; %bb.84:
	ds_read_b32 v2, v22
	s_waitcnt lgkmcnt(0)
	v_add3_u32 v2, v16, v17, v2
	global_store_dword v22, v2, s[22:23]
.LBB560_85:
	s_or_b64 exec, exec, s[4:5]
	s_mov_b64 s[4:5], 0
.LBB560_86:
	s_and_b64 vcc, exec, s[4:5]
	s_cbranch_vccz .LBB560_143
; %bb.87:
	s_lshl_b32 s4, s27, 13
	s_mov_b32 s5, 0
	s_lshl_b64 s[4:5], s[4:5], 2
	v_mbcnt_hi_u32_b32 v4, -1, v1
	s_add_u32 s4, s28, s4
	v_and_b32_e32 v1, 63, v4
	s_load_dword s12, s[0:1], 0x58
	s_load_dword s3, s[0:1], 0x64
	s_addc_u32 s5, s29, s5
	v_lshlrev_b32_e32 v2, 2, v1
	v_mov_b32_e32 v3, 0
	v_lshlrev_b32_e32 v1, 5, v10
	v_lshl_add_u64 v[6:7], s[4:5], 0, v[2:3]
	v_and_b32_e32 v2, 0x7800, v1
	v_lshl_add_u64 v[16:17], v[6:7], 0, v[2:3]
	global_load_dword v1, v[16:17], off
	s_add_u32 s0, s0, 0x58
	s_addc_u32 s1, s1, 0
	s_waitcnt lgkmcnt(0)
	s_lshr_b32 s3, s3, 16
	s_cmp_lt_u32 s2, s12
	s_cselect_b32 s2, 12, 18
	s_add_u32 s0, s0, s2
	s_addc_u32 s1, s1, 0
	global_load_ushort v2, v3, s[0:1]
	v_mul_u32_u24_e32 v5, 20, v10
	ds_write2_b32 v5, v3, v3 offset0:16 offset1:17
	ds_write2_b32 v5, v3, v3 offset0:18 offset1:19
	ds_write_b32 v5, v3 offset:80
	global_load_dword v7, v[16:17], off offset:256
	global_load_dword v8, v[16:17], off offset:512
	;; [unrolled: 1-line block ×7, first 2 shown]
	v_bfrev_b32_e32 v11, 1
	v_bfe_u32 v6, v0, 10, 10
	v_bfe_u32 v9, v0, 20, 10
	v_mad_u32_u24 v9, v9, s3, v6
	s_brev_b32 s8, -2
	s_lshl_b32 s2, -1, s25
	v_mov_b32_e32 v0, v3
	v_mov_b32_e32 v18, v3
	v_mov_b32_e32 v26, v3
	s_not_b32 s13, s2
	v_mov_b32_e32 v28, v3
	s_movk_i32 s9, 0x44
	s_waitcnt lgkmcnt(0)
	s_barrier
	s_waitcnt vmcnt(8)
	; wave barrier
	v_cmp_lt_i32_e32 vcc, -1, v1
	s_nop 1
	v_cndmask_b32_e32 v6, -1, v11, vcc
	v_xor_b32_e32 v6, v6, v1
	v_cmp_ne_u32_e32 vcc, s8, v6
	s_waitcnt vmcnt(7)
	v_mad_u64_u32 v[16:17], s[0:1], v9, v2, v[10:11]
	v_cndmask_b32_e32 v1, v11, v6, vcc
	v_lshrrev_b32_e32 v1, s24, v1
	v_bitop3_b32 v9, v1, s2, v1 bitop3:0x30
	v_and_b32_e32 v2, 1, v9
	v_lshlrev_b32_e32 v1, 30, v9
	v_lshrrev_b32_e32 v13, 4, v16
	v_lshlrev_b32_e32 v19, 29, v9
	v_lshl_add_u64 v[16:17], v[2:3], 0, -1
	v_cmp_ne_u32_e32 vcc, 0, v2
	v_cmp_gt_i64_e64 s[0:1], 0, v[0:1]
	v_not_b32_e32 v0, v1
	v_lshlrev_b32_e32 v27, 28, v9
	v_not_b32_e32 v1, v19
	v_xor_b32_e32 v17, vcc_hi, v17
	v_xor_b32_e32 v16, vcc_lo, v16
	v_ashrrev_i32_e32 v0, 31, v0
	v_lshlrev_b32_e32 v29, 27, v9
	v_cmp_gt_i64_e64 s[2:3], 0, v[18:19]
	v_not_b32_e32 v2, v27
	v_ashrrev_i32_e32 v1, 31, v1
	v_and_b32_e32 v17, exec_hi, v17
	v_and_b32_e32 v16, exec_lo, v16
	v_xor_b32_e32 v18, s1, v0
	v_xor_b32_e32 v0, s0, v0
	v_and_b32_e32 v22, 0xffffffc, v13
	v_cmp_gt_i64_e64 s[4:5], 0, v[26:27]
	v_not_b32_e32 v13, v29
	v_ashrrev_i32_e32 v2, 31, v2
	v_xor_b32_e32 v19, s3, v1
	v_xor_b32_e32 v1, s2, v1
	v_and_b32_e32 v17, v17, v18
	v_and_b32_e32 v0, v16, v0
	v_cmp_gt_i64_e64 s[6:7], 0, v[28:29]
	v_ashrrev_i32_e32 v13, 31, v13
	v_xor_b32_e32 v23, s5, v2
	v_xor_b32_e32 v2, s4, v2
	v_and_b32_e32 v16, v17, v19
	v_and_b32_e32 v0, v0, v1
	v_xor_b32_e32 v24, s7, v13
	v_and_b32_e32 v1, v16, v23
	v_and_b32_e32 v0, v0, v2
	v_xor_b32_e32 v2, s6, v13
	v_and_b32_e32 v13, v1, v24
	v_and_b32_e32 v2, v0, v2
	v_lshlrev_b32_e32 v1, 26, v9
	v_mov_b32_e32 v0, v3
	v_cmp_gt_i64_e32 vcc, 0, v[0:1]
	v_not_b32_e32 v0, v1
	v_ashrrev_i32_e32 v0, 31, v0
	v_xor_b32_e32 v1, vcc_hi, v0
	v_xor_b32_e32 v0, vcc_lo, v0
	v_and_b32_e32 v13, v13, v1
	v_and_b32_e32 v2, v2, v0
	v_lshlrev_b32_e32 v1, 25, v9
	v_mov_b32_e32 v0, v3
	v_cmp_gt_i64_e32 vcc, 0, v[0:1]
	v_not_b32_e32 v0, v1
	v_ashrrev_i32_e32 v0, 31, v0
	v_xor_b32_e32 v1, vcc_hi, v0
	v_xor_b32_e32 v0, vcc_lo, v0
	v_and_b32_e32 v13, v13, v1
	v_and_b32_e32 v2, v2, v0
	;; [unrolled: 9-line block ×3, first 2 shown]
	v_mbcnt_lo_u32_b32 v2, v0, 0
	v_mul_lo_u32 v14, v9, s9
	v_mbcnt_hi_u32_b32 v9, v1, v2
	v_cmp_eq_u32_e32 vcc, 0, v9
	v_cmp_ne_u64_e64 s[0:1], 0, v[0:1]
	s_and_b64 s[2:3], s[0:1], vcc
	v_add_u32_e32 v16, v22, v14
	s_and_saveexec_b64 s[0:1], s[2:3]
; %bb.88:
	v_bcnt_u32_b32 v0, v0, 0
	v_bcnt_u32_b32 v0, v1, v0
	ds_write_b32 v16, v0 offset:64
; %bb.89:
	s_or_b64 exec, exec, s[0:1]
	s_waitcnt vmcnt(6)
	v_cmp_lt_i32_e32 vcc, -1, v7
	; wave barrier
	s_nop 1
	v_cndmask_b32_e32 v0, -1, v11, vcc
	v_xor_b32_e32 v7, v0, v7
	v_cmp_ne_u32_e32 vcc, s8, v7
	s_nop 1
	v_cndmask_b32_e32 v0, v11, v7, vcc
	v_lshrrev_b32_e32 v0, s24, v0
	v_and_b32_e32 v13, s13, v0
	v_mul_lo_u32 v0, v13, s9
	v_and_b32_e32 v2, 1, v13
	v_add_u32_e32 v17, v22, v0
	v_lshl_add_u64 v[0:1], v[2:3], 0, -1
	v_cmp_ne_u32_e32 vcc, 0, v2
	ds_read_b32 v11, v17 offset:64
	s_nop 0
	v_xor_b32_e32 v1, vcc_hi, v1
	v_xor_b32_e32 v0, vcc_lo, v0
	v_and_b32_e32 v2, exec_hi, v1
	v_and_b32_e32 v14, exec_lo, v0
	v_lshlrev_b32_e32 v1, 30, v13
	v_mov_b32_e32 v0, v3
	v_cmp_gt_i64_e32 vcc, 0, v[0:1]
	v_not_b32_e32 v0, v1
	v_ashrrev_i32_e32 v0, 31, v0
	v_xor_b32_e32 v1, vcc_hi, v0
	v_xor_b32_e32 v0, vcc_lo, v0
	v_and_b32_e32 v2, v2, v1
	v_and_b32_e32 v14, v14, v0
	v_lshlrev_b32_e32 v1, 29, v13
	v_mov_b32_e32 v0, v3
	v_cmp_gt_i64_e32 vcc, 0, v[0:1]
	v_not_b32_e32 v0, v1
	v_ashrrev_i32_e32 v0, 31, v0
	v_xor_b32_e32 v1, vcc_hi, v0
	v_xor_b32_e32 v0, vcc_lo, v0
	v_and_b32_e32 v2, v2, v1
	v_and_b32_e32 v14, v14, v0
	;; [unrolled: 9-line block ×7, first 2 shown]
	v_mbcnt_lo_u32_b32 v2, v0, 0
	v_mbcnt_hi_u32_b32 v13, v1, v2
	v_cmp_eq_u32_e32 vcc, 0, v13
	v_cmp_ne_u64_e64 s[0:1], 0, v[0:1]
	s_and_b64 s[2:3], s[0:1], vcc
	; wave barrier
	s_and_saveexec_b64 s[0:1], s[2:3]
	s_cbranch_execz .LBB560_91
; %bb.90:
	v_bcnt_u32_b32 v0, v0, 0
	v_bcnt_u32_b32 v0, v1, v0
	s_waitcnt lgkmcnt(0)
	v_add_u32_e32 v0, v11, v0
	ds_write_b32 v17, v0 offset:64
.LBB560_91:
	s_or_b64 exec, exec, s[0:1]
	v_bfrev_b32_e32 v19, 1
	s_waitcnt vmcnt(5)
	v_cmp_lt_i32_e32 vcc, -1, v8
	s_brev_b32 s2, -2
	s_movk_i32 s3, 0x44
	v_cndmask_b32_e32 v0, -1, v19, vcc
	v_xor_b32_e32 v8, v0, v8
	v_cmp_ne_u32_e32 vcc, s2, v8
	v_mov_b32_e32 v1, 0
	s_nop 0
	v_cndmask_b32_e32 v0, v19, v8, vcc
	v_lshrrev_b32_e32 v0, s24, v0
	v_and_b32_e32 v18, s13, v0
	v_mul_lo_u32 v0, v18, s3
	v_add_u32_e32 v23, v22, v0
	v_and_b32_e32 v0, 1, v18
	v_lshl_add_u64 v[2:3], v[0:1], 0, -1
	v_cmp_ne_u32_e32 vcc, 0, v0
	; wave barrier
	ds_read_b32 v14, v23 offset:64
	s_nop 0
	v_xor_b32_e32 v2, vcc_lo, v2
	v_xor_b32_e32 v0, vcc_hi, v3
	v_and_b32_e32 v24, exec_lo, v2
	v_lshlrev_b32_e32 v3, 30, v18
	v_mov_b32_e32 v2, v1
	v_cmp_gt_i64_e32 vcc, 0, v[2:3]
	v_not_b32_e32 v2, v3
	v_ashrrev_i32_e32 v2, 31, v2
	v_and_b32_e32 v0, exec_hi, v0
	v_xor_b32_e32 v3, vcc_hi, v2
	v_xor_b32_e32 v2, vcc_lo, v2
	v_and_b32_e32 v0, v0, v3
	v_and_b32_e32 v24, v24, v2
	v_lshlrev_b32_e32 v3, 29, v18
	v_mov_b32_e32 v2, v1
	v_cmp_gt_i64_e32 vcc, 0, v[2:3]
	v_not_b32_e32 v2, v3
	v_ashrrev_i32_e32 v2, 31, v2
	v_xor_b32_e32 v3, vcc_hi, v2
	v_xor_b32_e32 v2, vcc_lo, v2
	v_and_b32_e32 v0, v0, v3
	v_and_b32_e32 v24, v24, v2
	v_lshlrev_b32_e32 v3, 28, v18
	v_mov_b32_e32 v2, v1
	v_cmp_gt_i64_e32 vcc, 0, v[2:3]
	v_not_b32_e32 v2, v3
	v_ashrrev_i32_e32 v2, 31, v2
	;; [unrolled: 9-line block ×6, first 2 shown]
	v_xor_b32_e32 v3, vcc_hi, v2
	v_xor_b32_e32 v2, vcc_lo, v2
	v_and_b32_e32 v2, v24, v2
	v_and_b32_e32 v3, v0, v3
	v_mbcnt_lo_u32_b32 v0, v2, 0
	v_mbcnt_hi_u32_b32 v18, v3, v0
	v_cmp_eq_u32_e32 vcc, 0, v18
	v_cmp_ne_u64_e64 s[0:1], 0, v[2:3]
	s_and_b64 s[4:5], s[0:1], vcc
	; wave barrier
	s_and_saveexec_b64 s[0:1], s[4:5]
	s_cbranch_execz .LBB560_93
; %bb.92:
	v_bcnt_u32_b32 v0, v2, 0
	v_bcnt_u32_b32 v0, v3, v0
	s_waitcnt lgkmcnt(0)
	v_add_u32_e32 v0, v14, v0
	ds_write_b32 v23, v0 offset:64
.LBB560_93:
	s_or_b64 exec, exec, s[0:1]
	s_waitcnt vmcnt(4)
	v_cmp_lt_i32_e32 vcc, -1, v12
	; wave barrier
	s_nop 1
	v_cndmask_b32_e32 v0, -1, v19, vcc
	v_xor_b32_e32 v12, v0, v12
	v_cmp_ne_u32_e32 vcc, s2, v12
	s_nop 1
	v_cndmask_b32_e32 v0, v19, v12, vcc
	v_lshrrev_b32_e32 v0, s24, v0
	v_and_b32_e32 v24, s13, v0
	v_mul_lo_u32 v0, v24, s3
	v_add_u32_e32 v27, v22, v0
	v_and_b32_e32 v0, 1, v24
	v_lshl_add_u64 v[2:3], v[0:1], 0, -1
	v_cmp_ne_u32_e32 vcc, 0, v0
	ds_read_b32 v19, v27 offset:64
	s_nop 0
	v_xor_b32_e32 v2, vcc_lo, v2
	v_xor_b32_e32 v0, vcc_hi, v3
	v_and_b32_e32 v26, exec_lo, v2
	v_lshlrev_b32_e32 v3, 30, v24
	v_mov_b32_e32 v2, v1
	v_cmp_gt_i64_e32 vcc, 0, v[2:3]
	v_not_b32_e32 v2, v3
	v_ashrrev_i32_e32 v2, 31, v2
	v_and_b32_e32 v0, exec_hi, v0
	v_xor_b32_e32 v3, vcc_hi, v2
	v_xor_b32_e32 v2, vcc_lo, v2
	v_and_b32_e32 v0, v0, v3
	v_and_b32_e32 v26, v26, v2
	v_lshlrev_b32_e32 v3, 29, v24
	v_mov_b32_e32 v2, v1
	v_cmp_gt_i64_e32 vcc, 0, v[2:3]
	v_not_b32_e32 v2, v3
	v_ashrrev_i32_e32 v2, 31, v2
	v_xor_b32_e32 v3, vcc_hi, v2
	v_xor_b32_e32 v2, vcc_lo, v2
	v_and_b32_e32 v0, v0, v3
	v_and_b32_e32 v26, v26, v2
	v_lshlrev_b32_e32 v3, 28, v24
	v_mov_b32_e32 v2, v1
	v_cmp_gt_i64_e32 vcc, 0, v[2:3]
	v_not_b32_e32 v2, v3
	v_ashrrev_i32_e32 v2, 31, v2
	;; [unrolled: 9-line block ×5, first 2 shown]
	v_xor_b32_e32 v3, vcc_hi, v2
	v_xor_b32_e32 v2, vcc_lo, v2
	v_and_b32_e32 v0, v0, v3
	v_lshlrev_b32_e32 v3, 24, v24
	v_and_b32_e32 v26, v26, v2
	v_mov_b32_e32 v2, v1
	v_not_b32_e32 v1, v3
	v_cmp_gt_i64_e32 vcc, 0, v[2:3]
	v_ashrrev_i32_e32 v1, 31, v1
	; wave barrier
	s_nop 0
	v_xor_b32_e32 v2, vcc_hi, v1
	v_xor_b32_e32 v3, vcc_lo, v1
	v_and_b32_e32 v1, v0, v2
	v_and_b32_e32 v0, v26, v3
	v_mbcnt_lo_u32_b32 v2, v0, 0
	v_mbcnt_hi_u32_b32 v24, v1, v2
	v_cmp_eq_u32_e32 vcc, 0, v24
	v_cmp_ne_u64_e64 s[0:1], 0, v[0:1]
	s_and_b64 s[2:3], s[0:1], vcc
	s_and_saveexec_b64 s[0:1], s[2:3]
	s_cbranch_execz .LBB560_95
; %bb.94:
	v_bcnt_u32_b32 v0, v0, 0
	v_bcnt_u32_b32 v0, v1, v0
	s_waitcnt lgkmcnt(0)
	v_add_u32_e32 v0, v19, v0
	ds_write_b32 v27, v0 offset:64
.LBB560_95:
	s_or_b64 exec, exec, s[0:1]
	v_bfrev_b32_e32 v29, 1
	s_waitcnt vmcnt(3)
	v_cmp_lt_i32_e32 vcc, -1, v15
	s_brev_b32 s2, -2
	s_movk_i32 s3, 0x44
	v_cndmask_b32_e32 v0, -1, v29, vcc
	v_xor_b32_e32 v15, v0, v15
	v_cmp_ne_u32_e32 vcc, s2, v15
	v_mov_b32_e32 v1, 0
	s_nop 0
	v_cndmask_b32_e32 v0, v29, v15, vcc
	v_lshrrev_b32_e32 v0, s24, v0
	v_and_b32_e32 v28, s13, v0
	v_mul_lo_u32 v0, v28, s3
	v_add_u32_e32 v30, v22, v0
	v_and_b32_e32 v0, 1, v28
	v_lshl_add_u64 v[2:3], v[0:1], 0, -1
	v_cmp_ne_u32_e32 vcc, 0, v0
	; wave barrier
	ds_read_b32 v26, v30 offset:64
	s_nop 0
	v_xor_b32_e32 v2, vcc_lo, v2
	v_xor_b32_e32 v0, vcc_hi, v3
	v_and_b32_e32 v31, exec_lo, v2
	v_lshlrev_b32_e32 v3, 30, v28
	v_mov_b32_e32 v2, v1
	v_cmp_gt_i64_e32 vcc, 0, v[2:3]
	v_not_b32_e32 v2, v3
	v_ashrrev_i32_e32 v2, 31, v2
	v_and_b32_e32 v0, exec_hi, v0
	v_xor_b32_e32 v3, vcc_hi, v2
	v_xor_b32_e32 v2, vcc_lo, v2
	v_and_b32_e32 v0, v0, v3
	v_and_b32_e32 v31, v31, v2
	v_lshlrev_b32_e32 v3, 29, v28
	v_mov_b32_e32 v2, v1
	v_cmp_gt_i64_e32 vcc, 0, v[2:3]
	v_not_b32_e32 v2, v3
	v_ashrrev_i32_e32 v2, 31, v2
	v_xor_b32_e32 v3, vcc_hi, v2
	v_xor_b32_e32 v2, vcc_lo, v2
	v_and_b32_e32 v0, v0, v3
	v_and_b32_e32 v31, v31, v2
	v_lshlrev_b32_e32 v3, 28, v28
	v_mov_b32_e32 v2, v1
	v_cmp_gt_i64_e32 vcc, 0, v[2:3]
	v_not_b32_e32 v2, v3
	v_ashrrev_i32_e32 v2, 31, v2
	;; [unrolled: 9-line block ×6, first 2 shown]
	v_xor_b32_e32 v3, vcc_hi, v2
	v_xor_b32_e32 v2, vcc_lo, v2
	v_and_b32_e32 v2, v31, v2
	v_and_b32_e32 v3, v0, v3
	v_mbcnt_lo_u32_b32 v0, v2, 0
	v_mbcnt_hi_u32_b32 v28, v3, v0
	v_cmp_eq_u32_e32 vcc, 0, v28
	v_cmp_ne_u64_e64 s[0:1], 0, v[2:3]
	s_and_b64 s[4:5], s[0:1], vcc
	; wave barrier
	s_and_saveexec_b64 s[0:1], s[4:5]
	s_cbranch_execz .LBB560_97
; %bb.96:
	v_bcnt_u32_b32 v0, v2, 0
	v_bcnt_u32_b32 v0, v3, v0
	s_waitcnt lgkmcnt(0)
	v_add_u32_e32 v0, v26, v0
	ds_write_b32 v30, v0 offset:64
.LBB560_97:
	s_or_b64 exec, exec, s[0:1]
	s_waitcnt vmcnt(2)
	v_cmp_lt_i32_e32 vcc, -1, v20
	; wave barrier
	s_nop 1
	v_cndmask_b32_e32 v0, -1, v29, vcc
	v_xor_b32_e32 v20, v0, v20
	v_cmp_ne_u32_e32 vcc, s2, v20
	s_nop 1
	v_cndmask_b32_e32 v0, v29, v20, vcc
	v_lshrrev_b32_e32 v0, s24, v0
	v_and_b32_e32 v31, s13, v0
	v_mul_lo_u32 v0, v31, s3
	v_add_u32_e32 v33, v22, v0
	v_and_b32_e32 v0, 1, v31
	v_lshl_add_u64 v[2:3], v[0:1], 0, -1
	v_cmp_ne_u32_e32 vcc, 0, v0
	ds_read_b32 v29, v33 offset:64
	s_nop 0
	v_xor_b32_e32 v2, vcc_lo, v2
	v_xor_b32_e32 v0, vcc_hi, v3
	v_and_b32_e32 v32, exec_lo, v2
	v_lshlrev_b32_e32 v3, 30, v31
	v_mov_b32_e32 v2, v1
	v_cmp_gt_i64_e32 vcc, 0, v[2:3]
	v_not_b32_e32 v2, v3
	v_ashrrev_i32_e32 v2, 31, v2
	v_and_b32_e32 v0, exec_hi, v0
	v_xor_b32_e32 v3, vcc_hi, v2
	v_xor_b32_e32 v2, vcc_lo, v2
	v_and_b32_e32 v0, v0, v3
	v_and_b32_e32 v32, v32, v2
	v_lshlrev_b32_e32 v3, 29, v31
	v_mov_b32_e32 v2, v1
	v_cmp_gt_i64_e32 vcc, 0, v[2:3]
	v_not_b32_e32 v2, v3
	v_ashrrev_i32_e32 v2, 31, v2
	v_xor_b32_e32 v3, vcc_hi, v2
	v_xor_b32_e32 v2, vcc_lo, v2
	v_and_b32_e32 v0, v0, v3
	v_and_b32_e32 v32, v32, v2
	v_lshlrev_b32_e32 v3, 28, v31
	v_mov_b32_e32 v2, v1
	v_cmp_gt_i64_e32 vcc, 0, v[2:3]
	v_not_b32_e32 v2, v3
	v_ashrrev_i32_e32 v2, 31, v2
	;; [unrolled: 9-line block ×5, first 2 shown]
	v_xor_b32_e32 v3, vcc_hi, v2
	v_xor_b32_e32 v2, vcc_lo, v2
	v_and_b32_e32 v0, v0, v3
	v_lshlrev_b32_e32 v3, 24, v31
	v_and_b32_e32 v32, v32, v2
	v_mov_b32_e32 v2, v1
	v_not_b32_e32 v1, v3
	v_cmp_gt_i64_e32 vcc, 0, v[2:3]
	v_ashrrev_i32_e32 v1, 31, v1
	; wave barrier
	s_nop 0
	v_xor_b32_e32 v2, vcc_hi, v1
	v_xor_b32_e32 v3, vcc_lo, v1
	v_and_b32_e32 v1, v0, v2
	v_and_b32_e32 v0, v32, v3
	v_mbcnt_lo_u32_b32 v2, v0, 0
	v_mbcnt_hi_u32_b32 v31, v1, v2
	v_cmp_eq_u32_e32 vcc, 0, v31
	v_cmp_ne_u64_e64 s[0:1], 0, v[0:1]
	s_and_b64 s[2:3], s[0:1], vcc
	s_and_saveexec_b64 s[0:1], s[2:3]
	s_cbranch_execz .LBB560_99
; %bb.98:
	v_bcnt_u32_b32 v0, v0, 0
	v_bcnt_u32_b32 v0, v1, v0
	s_waitcnt lgkmcnt(0)
	v_add_u32_e32 v0, v29, v0
	ds_write_b32 v33, v0 offset:64
.LBB560_99:
	s_or_b64 exec, exec, s[0:1]
	v_bfrev_b32_e32 v35, 1
	s_waitcnt vmcnt(1)
	v_cmp_lt_i32_e32 vcc, -1, v25
	s_brev_b32 s2, -2
	s_movk_i32 s3, 0x44
	v_cndmask_b32_e32 v0, -1, v35, vcc
	v_xor_b32_e32 v25, v0, v25
	v_cmp_ne_u32_e32 vcc, s2, v25
	v_mov_b32_e32 v1, 0
	s_nop 0
	v_cndmask_b32_e32 v0, v35, v25, vcc
	v_lshrrev_b32_e32 v0, s24, v0
	v_and_b32_e32 v34, s13, v0
	v_mul_lo_u32 v0, v34, s3
	v_add_u32_e32 v36, v22, v0
	v_and_b32_e32 v0, 1, v34
	v_lshl_add_u64 v[2:3], v[0:1], 0, -1
	v_cmp_ne_u32_e32 vcc, 0, v0
	; wave barrier
	ds_read_b32 v32, v36 offset:64
	s_nop 0
	v_xor_b32_e32 v2, vcc_lo, v2
	v_xor_b32_e32 v0, vcc_hi, v3
	v_and_b32_e32 v37, exec_lo, v2
	v_lshlrev_b32_e32 v3, 30, v34
	v_mov_b32_e32 v2, v1
	v_cmp_gt_i64_e32 vcc, 0, v[2:3]
	v_not_b32_e32 v2, v3
	v_ashrrev_i32_e32 v2, 31, v2
	v_and_b32_e32 v0, exec_hi, v0
	v_xor_b32_e32 v3, vcc_hi, v2
	v_xor_b32_e32 v2, vcc_lo, v2
	v_and_b32_e32 v0, v0, v3
	v_and_b32_e32 v37, v37, v2
	v_lshlrev_b32_e32 v3, 29, v34
	v_mov_b32_e32 v2, v1
	v_cmp_gt_i64_e32 vcc, 0, v[2:3]
	v_not_b32_e32 v2, v3
	v_ashrrev_i32_e32 v2, 31, v2
	v_xor_b32_e32 v3, vcc_hi, v2
	v_xor_b32_e32 v2, vcc_lo, v2
	v_and_b32_e32 v0, v0, v3
	v_and_b32_e32 v37, v37, v2
	v_lshlrev_b32_e32 v3, 28, v34
	v_mov_b32_e32 v2, v1
	v_cmp_gt_i64_e32 vcc, 0, v[2:3]
	v_not_b32_e32 v2, v3
	v_ashrrev_i32_e32 v2, 31, v2
	;; [unrolled: 9-line block ×6, first 2 shown]
	v_xor_b32_e32 v3, vcc_hi, v2
	v_xor_b32_e32 v2, vcc_lo, v2
	v_and_b32_e32 v2, v37, v2
	v_and_b32_e32 v3, v0, v3
	v_mbcnt_lo_u32_b32 v0, v2, 0
	v_mbcnt_hi_u32_b32 v34, v3, v0
	v_cmp_eq_u32_e32 vcc, 0, v34
	v_cmp_ne_u64_e64 s[0:1], 0, v[2:3]
	s_and_b64 s[4:5], s[0:1], vcc
	; wave barrier
	s_and_saveexec_b64 s[0:1], s[4:5]
	s_cbranch_execz .LBB560_101
; %bb.100:
	v_bcnt_u32_b32 v0, v2, 0
	v_bcnt_u32_b32 v0, v3, v0
	s_waitcnt lgkmcnt(0)
	v_add_u32_e32 v0, v32, v0
	ds_write_b32 v36, v0 offset:64
.LBB560_101:
	s_or_b64 exec, exec, s[0:1]
	s_waitcnt vmcnt(0)
	v_cmp_lt_i32_e32 vcc, -1, v21
	; wave barrier
	s_nop 1
	v_cndmask_b32_e32 v0, -1, v35, vcc
	v_xor_b32_e32 v21, v0, v21
	v_cmp_ne_u32_e32 vcc, s2, v21
	s_nop 1
	v_cndmask_b32_e32 v0, v35, v21, vcc
	v_lshrrev_b32_e32 v0, s24, v0
	v_and_b32_e32 v37, s13, v0
	v_mul_lo_u32 v0, v37, s3
	v_add_u32_e32 v38, v22, v0
	v_and_b32_e32 v0, 1, v37
	v_lshl_add_u64 v[2:3], v[0:1], 0, -1
	v_cmp_ne_u32_e32 vcc, 0, v0
	ds_read_b32 v35, v38 offset:64
	s_nop 0
	v_xor_b32_e32 v2, vcc_lo, v2
	v_xor_b32_e32 v0, vcc_hi, v3
	v_and_b32_e32 v22, exec_lo, v2
	v_lshlrev_b32_e32 v3, 30, v37
	v_mov_b32_e32 v2, v1
	v_cmp_gt_i64_e32 vcc, 0, v[2:3]
	v_not_b32_e32 v2, v3
	v_ashrrev_i32_e32 v2, 31, v2
	v_and_b32_e32 v0, exec_hi, v0
	v_xor_b32_e32 v3, vcc_hi, v2
	v_xor_b32_e32 v2, vcc_lo, v2
	v_and_b32_e32 v0, v0, v3
	v_and_b32_e32 v22, v22, v2
	v_lshlrev_b32_e32 v3, 29, v37
	v_mov_b32_e32 v2, v1
	v_cmp_gt_i64_e32 vcc, 0, v[2:3]
	v_not_b32_e32 v2, v3
	v_ashrrev_i32_e32 v2, 31, v2
	v_xor_b32_e32 v3, vcc_hi, v2
	v_xor_b32_e32 v2, vcc_lo, v2
	v_and_b32_e32 v0, v0, v3
	v_and_b32_e32 v22, v22, v2
	v_lshlrev_b32_e32 v3, 28, v37
	v_mov_b32_e32 v2, v1
	v_cmp_gt_i64_e32 vcc, 0, v[2:3]
	v_not_b32_e32 v2, v3
	v_ashrrev_i32_e32 v2, 31, v2
	;; [unrolled: 9-line block ×5, first 2 shown]
	v_xor_b32_e32 v3, vcc_hi, v2
	v_xor_b32_e32 v2, vcc_lo, v2
	v_and_b32_e32 v0, v0, v3
	v_lshlrev_b32_e32 v3, 24, v37
	v_and_b32_e32 v22, v22, v2
	v_mov_b32_e32 v2, v1
	v_not_b32_e32 v1, v3
	v_cmp_gt_i64_e32 vcc, 0, v[2:3]
	v_ashrrev_i32_e32 v1, 31, v1
	; wave barrier
	s_nop 0
	v_xor_b32_e32 v2, vcc_hi, v1
	v_xor_b32_e32 v3, vcc_lo, v1
	v_and_b32_e32 v1, v0, v2
	v_and_b32_e32 v0, v22, v3
	v_mbcnt_lo_u32_b32 v2, v0, 0
	v_mbcnt_hi_u32_b32 v37, v1, v2
	v_cmp_eq_u32_e32 vcc, 0, v37
	v_cmp_ne_u64_e64 s[0:1], 0, v[0:1]
	s_and_b64 s[2:3], s[0:1], vcc
	s_and_saveexec_b64 s[0:1], s[2:3]
	s_cbranch_execz .LBB560_103
; %bb.102:
	v_bcnt_u32_b32 v0, v0, 0
	v_bcnt_u32_b32 v0, v1, v0
	s_waitcnt lgkmcnt(0)
	v_add_u32_e32 v0, v35, v0
	ds_write_b32 v38, v0 offset:64
.LBB560_103:
	s_or_b64 exec, exec, s[0:1]
	; wave barrier
	s_waitcnt lgkmcnt(0)
	s_barrier
	ds_read2_b32 v[2:3], v5 offset0:16 offset1:17
	ds_read2_b32 v[0:1], v5 offset0:18 offset1:19
	ds_read_b32 v22, v5 offset:80
	v_cmp_lt_u32_e64 s[2:3], 31, v4
	s_waitcnt lgkmcnt(1)
	v_add3_u32 v39, v3, v2, v0
	s_waitcnt lgkmcnt(0)
	v_add3_u32 v22, v39, v1, v22
	v_and_b32_e32 v39, 15, v4
	v_cmp_eq_u32_e32 vcc, 0, v39
	v_mov_b32_dpp v40, v22 row_shr:1 row_mask:0xf bank_mask:0xf
	v_cmp_lt_u32_e64 s[0:1], 1, v39
	v_cndmask_b32_e64 v40, v40, 0, vcc
	v_add_u32_e32 v22, v40, v22
	v_cmp_lt_u32_e64 s[4:5], 3, v39
	v_cmp_lt_u32_e64 s[6:7], 7, v39
	v_mov_b32_dpp v40, v22 row_shr:2 row_mask:0xf bank_mask:0xf
	v_cndmask_b32_e64 v40, 0, v40, s[0:1]
	v_add_u32_e32 v22, v22, v40
	s_nop 1
	v_mov_b32_dpp v40, v22 row_shr:4 row_mask:0xf bank_mask:0xf
	v_cndmask_b32_e64 v40, 0, v40, s[4:5]
	v_add_u32_e32 v22, v22, v40
	s_nop 1
	v_mov_b32_dpp v40, v22 row_shr:8 row_mask:0xf bank_mask:0xf
	v_cndmask_b32_e64 v39, 0, v40, s[6:7]
	v_add_u32_e32 v22, v22, v39
	v_bfe_i32 v40, v4, 4, 1
	s_nop 0
	v_mov_b32_dpp v39, v22 row_bcast:15 row_mask:0xf bank_mask:0xf
	v_and_b32_e32 v39, v40, v39
	v_add_u32_e32 v22, v22, v39
	v_lshrrev_b32_e32 v40, 6, v10
	s_nop 0
	v_mov_b32_dpp v39, v22 row_bcast:31 row_mask:0xf bank_mask:0xf
	v_cndmask_b32_e64 v39, 0, v39, s[2:3]
	v_add_u32_e32 v39, v22, v39
	v_and_b32_e32 v22, 63, v10
	v_cmp_eq_u32_e64 s[2:3], 63, v22
	s_and_saveexec_b64 s[8:9], s[2:3]
; %bb.104:
	v_lshlrev_b32_e32 v22, 2, v40
	ds_write_b32 v22, v39
; %bb.105:
	s_or_b64 exec, exec, s[8:9]
	v_cmp_gt_u32_e64 s[2:3], 16, v10
	v_lshlrev_b32_e32 v22, 2, v10
	s_waitcnt lgkmcnt(0)
	s_barrier
	s_and_saveexec_b64 s[8:9], s[2:3]
	s_cbranch_execz .LBB560_107
; %bb.106:
	ds_read_b32 v41, v22
	s_waitcnt lgkmcnt(0)
	s_nop 0
	v_mov_b32_dpp v42, v41 row_shr:1 row_mask:0xf bank_mask:0xf
	v_cndmask_b32_e64 v42, v42, 0, vcc
	v_add_u32_e32 v41, v42, v41
	s_nop 1
	v_mov_b32_dpp v42, v41 row_shr:2 row_mask:0xf bank_mask:0xf
	v_cndmask_b32_e64 v42, 0, v42, s[0:1]
	v_add_u32_e32 v41, v41, v42
	s_nop 1
	v_mov_b32_dpp v42, v41 row_shr:4 row_mask:0xf bank_mask:0xf
	v_cndmask_b32_e64 v42, 0, v42, s[4:5]
	;; [unrolled: 4-line block ×3, first 2 shown]
	v_add_u32_e32 v41, v41, v42
	ds_write_b32 v22, v41
.LBB560_107:
	s_or_b64 exec, exec, s[8:9]
	v_cmp_lt_u32_e32 vcc, 63, v10
	v_mov_b32_e32 v41, 0
	s_waitcnt lgkmcnt(0)
	s_barrier
	s_and_saveexec_b64 s[0:1], vcc
; %bb.108:
	v_lshl_add_u32 v40, v40, 2, -4
	ds_read_b32 v41, v40
; %bb.109:
	s_or_b64 exec, exec, s[0:1]
	v_subrev_co_u32_e32 v40, vcc, 1, v4
	v_and_b32_e32 v42, 64, v4
	v_cmp_lt_i32_e64 s[0:1], v40, v42
	s_waitcnt lgkmcnt(0)
	v_add_u32_e32 v39, v41, v39
	s_movk_i32 s2, 0x100
	v_cndmask_b32_e64 v4, v40, v4, s[0:1]
	v_lshlrev_b32_e32 v4, 2, v4
	ds_bpermute_b32 v4, v4, v39
	s_movk_i32 s0, 0xff
	v_cmp_lt_u32_e64 s[0:1], s0, v10
	s_waitcnt lgkmcnt(0)
	v_cndmask_b32_e32 v4, v4, v41, vcc
	v_cndmask_b32_e64 v4, v4, 0, s[10:11]
	v_add_u32_e32 v2, v4, v2
	v_add_u32_e32 v3, v2, v3
	;; [unrolled: 1-line block ×4, first 2 shown]
	ds_write2_b32 v5, v4, v2 offset0:16 offset1:17
	ds_write2_b32 v5, v3, v0 offset0:18 offset1:19
	ds_write_b32 v5, v1 offset:80
	s_waitcnt lgkmcnt(0)
	s_barrier
	ds_read_b32 v42, v16 offset:64
	ds_read_b32 v39, v17 offset:64
	;; [unrolled: 1-line block ×8, first 2 shown]
	v_cmp_gt_u32_e32 vcc, s2, v10
                                        ; implicit-def: $vgpr16
                                        ; implicit-def: $vgpr17
	s_and_saveexec_b64 s[4:5], vcc
	s_cbranch_execz .LBB560_113
; %bb.110:
	v_mul_u32_u24_e32 v0, 0x44, v10
	ds_read_b32 v16, v0 offset:64
	v_add_u32_e32 v1, 1, v10
	v_cmp_ne_u32_e64 s[2:3], s2, v1
	v_mov_b32_e32 v0, 0x2000
	s_and_saveexec_b64 s[6:7], s[2:3]
; %bb.111:
	v_mul_u32_u24_e32 v0, 0x44, v1
	ds_read_b32 v0, v0 offset:64
; %bb.112:
	s_or_b64 exec, exec, s[6:7]
	s_waitcnt lgkmcnt(0)
	v_sub_u32_e32 v17, v0, v16
.LBB560_113:
	s_or_b64 exec, exec, s[4:5]
	v_mov_b32_e32 v1, 0
	s_waitcnt lgkmcnt(0)
	s_barrier
	s_and_saveexec_b64 s[2:3], vcc
	s_cbranch_execz .LBB560_123
; %bb.114:
	v_lshl_add_u32 v0, s27, 8, v10
	v_lshl_add_u64 v[2:3], v[0:1], 2, s[18:19]
	v_or_b32_e32 v0, 2.0, v17
	s_mov_b64 s[4:5], 0
	s_brev_b32 s10, -4
	s_mov_b32 s11, s27
	v_mov_b32_e32 v36, 0
	global_store_dword v[2:3], v0, off sc1
                                        ; implicit-def: $sgpr6_sgpr7
	s_branch .LBB560_117
.LBB560_115:                            ;   in Loop: Header=BB560_117 Depth=1
	s_or_b64 exec, exec, s[8:9]
.LBB560_116:                            ;   in Loop: Header=BB560_117 Depth=1
	s_or_b64 exec, exec, s[6:7]
	v_and_b32_e32 v4, 0x3fffffff, v0
	v_add_u32_e32 v36, v4, v36
	v_cmp_gt_i32_e64 s[6:7], -2.0, v0
	s_and_b64 s[8:9], exec, s[6:7]
	s_or_b64 s[4:5], s[8:9], s[4:5]
	s_andn2_b64 exec, exec, s[4:5]
	s_cbranch_execz .LBB560_122
.LBB560_117:                            ; =>This Loop Header: Depth=1
                                        ;     Child Loop BB560_120 Depth 2
	s_or_b64 s[6:7], s[6:7], exec
	s_cmp_eq_u32 s11, 0
	s_cbranch_scc1 .LBB560_121
; %bb.118:                              ;   in Loop: Header=BB560_117 Depth=1
	s_add_i32 s11, s11, -1
	v_lshl_or_b32 v0, s11, 8, v10
	v_lshl_add_u64 v[4:5], v[0:1], 2, s[18:19]
	global_load_dword v0, v[4:5], off sc1
	s_waitcnt vmcnt(0)
	v_cmp_gt_u32_e32 vcc, 2.0, v0
	s_and_saveexec_b64 s[6:7], vcc
	s_cbranch_execz .LBB560_116
; %bb.119:                              ;   in Loop: Header=BB560_117 Depth=1
	s_mov_b64 s[8:9], 0
.LBB560_120:                            ;   Parent Loop BB560_117 Depth=1
                                        ; =>  This Inner Loop Header: Depth=2
	global_load_dword v0, v[4:5], off sc1
	s_waitcnt vmcnt(0)
	v_cmp_lt_u32_e32 vcc, s10, v0
	s_or_b64 s[8:9], vcc, s[8:9]
	s_andn2_b64 exec, exec, s[8:9]
	s_cbranch_execnz .LBB560_120
	s_branch .LBB560_115
.LBB560_121:                            ;   in Loop: Header=BB560_117 Depth=1
                                        ; implicit-def: $sgpr11
	s_and_b64 s[8:9], exec, s[6:7]
	s_or_b64 s[4:5], s[8:9], s[4:5]
	s_andn2_b64 exec, exec, s[4:5]
	s_cbranch_execnz .LBB560_117
.LBB560_122:
	s_or_b64 exec, exec, s[4:5]
	v_add_u32_e32 v0, v36, v17
	v_or_b32_e32 v0, 0x80000000, v0
	global_store_dword v[2:3], v0, off sc1
	global_load_dword v0, v22, s[20:21]
	v_sub_u32_e32 v1, v36, v16
	s_waitcnt vmcnt(0)
	v_add_u32_e32 v0, v1, v0
	ds_write_b32 v22, v0
.LBB560_123:
	s_or_b64 exec, exec, s[2:3]
	v_add_u32_e32 v0, v37, v35
	v_add_u32_e32 v1, v34, v32
	;; [unrolled: 1-line block ×8, first 2 shown]
	v_add_lshl_u32 v3, v0, v33, 2
	v_add3_u32 v4, v37, v33, v35
	v_add_lshl_u32 v5, v1, v23, 2
	v_add3_u32 v9, v34, v23, v32
	;; [unrolled: 2-line block ×7, first 2 shown]
	v_lshlrev_b32_e32 v13, 2, v2
	s_mov_b64 s[2:3], -1
	s_mov_b32 s6, 0
	s_movk_i32 s7, 0x1000
	s_brev_b32 s8, -2
	v_bfrev_b32_e32 v30, 1
	v_mov_b32_e32 v1, 0
	s_movk_i32 s9, 0x400
	s_movk_i32 s10, 0x800
	;; [unrolled: 1-line block ×3, first 2 shown]
	s_mov_b32 s14, 0
	s_branch .LBB560_125
.LBB560_124:                            ;   in Loop: Header=BB560_125 Depth=1
	s_or_b64 exec, exec, s[4:5]
	s_waitcnt lgkmcnt(0)
	s_barrier
	ds_read2st64_b32 v[32:33], v22 offset0:4 offset1:20
	s_xor_b64 s[4:5], s[2:3], -1
	s_addk_i32 s14, 0xc000
	s_addk_i32 s6, 0xf000
	s_mov_b64 s[2:3], 0
	s_waitcnt lgkmcnt(0)
	v_cmp_ne_u32_e32 vcc, s8, v32
	s_nop 1
	v_cndmask_b32_e32 v0, v30, v32, vcc
	v_lshrrev_b32_e32 v0, s24, v0
	v_and_b32_e32 v0, s13, v0
	v_lshlrev_b32_e32 v0, 2, v0
	ds_read_b32 v0, v0
	ds_read2st64_b32 v[34:35], v22 offset0:36 offset1:52
	v_cmp_lt_i32_e32 vcc, -1, v32
	s_waitcnt lgkmcnt(1)
	v_add_u32_e32 v0, v10, v0
	v_cndmask_b32_e64 v31, v30, -1, vcc
	v_cmp_ne_u32_e32 vcc, s8, v33
	v_xor_b32_e32 v31, v31, v32
	s_nop 0
	v_cndmask_b32_e32 v32, v30, v33, vcc
	s_waitcnt lgkmcnt(0)
	v_cmp_ne_u32_e32 vcc, s8, v34
	v_lshrrev_b32_e32 v32, s24, v32
	v_and_b32_e32 v32, s13, v32
	v_cndmask_b32_e32 v36, v30, v34, vcc
	v_cmp_ne_u32_e32 vcc, s8, v35
	v_lshrrev_b32_e32 v36, s24, v36
	v_lshlrev_b32_e32 v32, 2, v32
	v_cndmask_b32_e32 v37, v30, v35, vcc
	v_lshrrev_b32_e32 v37, s24, v37
	v_and_b32_e32 v36, s13, v36
	v_and_b32_e32 v37, s13, v37
	v_lshlrev_b32_e32 v36, 2, v36
	v_lshlrev_b32_e32 v37, 2, v37
	ds_read_b32 v32, v32
	ds_read_b32 v38, v36
	;; [unrolled: 1-line block ×3, first 2 shown]
	v_cmp_lt_i32_e32 vcc, -1, v33
	v_lshl_add_u64 v[36:37], v[0:1], 2, s[30:31]
	global_store_dword v[36:37], v31, off
	v_cndmask_b32_e64 v0, v30, -1, vcc
	v_xor_b32_e32 v31, v0, v33
	s_waitcnt lgkmcnt(2)
	v_add3_u32 v0, v10, v32, s9
	v_cmp_lt_i32_e32 vcc, -1, v34
	v_lshl_add_u64 v[32:33], v[0:1], 2, s[30:31]
	global_store_dword v[32:33], v31, off
	v_cndmask_b32_e64 v0, v30, -1, vcc
	v_xor_b32_e32 v31, v0, v34
	s_waitcnt lgkmcnt(1)
	v_add3_u32 v0, v10, v38, s10
	;; [unrolled: 7-line block ×3, first 2 shown]
	v_lshl_add_u64 v[32:33], v[0:1], 2, s[30:31]
	v_add_u32_e32 v10, 0x1000, v10
	s_and_b64 vcc, exec, s[4:5]
	global_store_dword v[32:33], v31, off
	s_barrier
	s_cbranch_vccnz .LBB560_141
.LBB560_125:                            ; =>This Inner Loop Header: Depth=1
	v_add_u32_e32 v0, s6, v2
	v_cmp_gt_u32_e32 vcc, s7, v0
	s_and_saveexec_b64 s[4:5], vcc
; %bb.126:                              ;   in Loop: Header=BB560_125 Depth=1
	v_add_u32_e32 v0, s14, v13
	ds_write_b32 v0, v6 offset:1024
; %bb.127:                              ;   in Loop: Header=BB560_125 Depth=1
	s_or_b64 exec, exec, s[4:5]
	v_add_u32_e32 v0, s6, v11
	v_cmp_gt_u32_e32 vcc, s7, v0
	s_and_saveexec_b64 s[4:5], vcc
; %bb.128:                              ;   in Loop: Header=BB560_125 Depth=1
	v_add_u32_e32 v0, s14, v18
	ds_write_b32 v0, v7 offset:1024
; %bb.129:                              ;   in Loop: Header=BB560_125 Depth=1
	s_or_b64 exec, exec, s[4:5]
	;; [unrolled: 8-line block ×7, first 2 shown]
	v_add_u32_e32 v0, s6, v4
	v_cmp_gt_u32_e32 vcc, s7, v0
	s_and_saveexec_b64 s[4:5], vcc
	s_cbranch_execz .LBB560_124
; %bb.140:                              ;   in Loop: Header=BB560_125 Depth=1
	v_add_u32_e32 v0, s14, v3
	ds_write_b32 v0, v21 offset:1024
	s_branch .LBB560_124
.LBB560_141:
	s_add_i32 s12, s12, -1
	s_cmp_eq_u32 s27, s12
	s_cselect_b64 s[2:3], -1, 0
	s_xor_b64 s[0:1], s[0:1], -1
	s_and_b64 s[0:1], s[0:1], s[2:3]
	s_and_saveexec_b64 s[2:3], s[0:1]
	s_cbranch_execz .LBB560_143
; %bb.142:
	ds_read_b32 v0, v22
	s_waitcnt lgkmcnt(0)
	v_add3_u32 v0, v16, v17, v0
	global_store_dword v22, v0, s[22:23]
.LBB560_143:
	s_endpgm
	.section	.rodata,"a",@progbits
	.p2align	6, 0x0
	.amdhsa_kernel _ZN7rocprim17ROCPRIM_400000_NS6detail17trampoline_kernelINS0_14default_configENS1_35radix_sort_onesweep_config_selectorIfNS0_10empty_typeEEEZZNS1_29radix_sort_onesweep_iterationIS3_Lb0EN6thrust23THRUST_200600_302600_NS6detail15normal_iteratorINS9_10device_ptrIfEEEESE_PS5_SF_jNS0_19identity_decomposerENS1_16block_id_wrapperIjLb1EEEEE10hipError_tT1_PNSt15iterator_traitsISK_E10value_typeET2_T3_PNSL_ISQ_E10value_typeET4_T5_PSV_SW_PNS1_23onesweep_lookback_stateEbbT6_jjT7_P12ihipStream_tbENKUlT_T0_SK_SP_E_clISE_SE_SF_SF_EEDaS13_S14_SK_SP_EUlS13_E_NS1_11comp_targetILNS1_3genE6ELNS1_11target_archE950ELNS1_3gpuE13ELNS1_3repE0EEENS1_47radix_sort_onesweep_sort_config_static_selectorELNS0_4arch9wavefront6targetE1EEEvSK_
		.amdhsa_group_segment_fixed_size 20552
		.amdhsa_private_segment_fixed_size 0
		.amdhsa_kernarg_size 344
		.amdhsa_user_sgpr_count 2
		.amdhsa_user_sgpr_dispatch_ptr 0
		.amdhsa_user_sgpr_queue_ptr 0
		.amdhsa_user_sgpr_kernarg_segment_ptr 1
		.amdhsa_user_sgpr_dispatch_id 0
		.amdhsa_user_sgpr_kernarg_preload_length 0
		.amdhsa_user_sgpr_kernarg_preload_offset 0
		.amdhsa_user_sgpr_private_segment_size 0
		.amdhsa_uses_dynamic_stack 0
		.amdhsa_enable_private_segment 0
		.amdhsa_system_sgpr_workgroup_id_x 1
		.amdhsa_system_sgpr_workgroup_id_y 0
		.amdhsa_system_sgpr_workgroup_id_z 0
		.amdhsa_system_sgpr_workgroup_info 0
		.amdhsa_system_vgpr_workitem_id 2
		.amdhsa_next_free_vgpr 46
		.amdhsa_next_free_sgpr 36
		.amdhsa_accum_offset 48
		.amdhsa_reserve_vcc 1
		.amdhsa_float_round_mode_32 0
		.amdhsa_float_round_mode_16_64 0
		.amdhsa_float_denorm_mode_32 3
		.amdhsa_float_denorm_mode_16_64 3
		.amdhsa_dx10_clamp 1
		.amdhsa_ieee_mode 1
		.amdhsa_fp16_overflow 0
		.amdhsa_tg_split 0
		.amdhsa_exception_fp_ieee_invalid_op 0
		.amdhsa_exception_fp_denorm_src 0
		.amdhsa_exception_fp_ieee_div_zero 0
		.amdhsa_exception_fp_ieee_overflow 0
		.amdhsa_exception_fp_ieee_underflow 0
		.amdhsa_exception_fp_ieee_inexact 0
		.amdhsa_exception_int_div_zero 0
	.end_amdhsa_kernel
	.section	.text._ZN7rocprim17ROCPRIM_400000_NS6detail17trampoline_kernelINS0_14default_configENS1_35radix_sort_onesweep_config_selectorIfNS0_10empty_typeEEEZZNS1_29radix_sort_onesweep_iterationIS3_Lb0EN6thrust23THRUST_200600_302600_NS6detail15normal_iteratorINS9_10device_ptrIfEEEESE_PS5_SF_jNS0_19identity_decomposerENS1_16block_id_wrapperIjLb1EEEEE10hipError_tT1_PNSt15iterator_traitsISK_E10value_typeET2_T3_PNSL_ISQ_E10value_typeET4_T5_PSV_SW_PNS1_23onesweep_lookback_stateEbbT6_jjT7_P12ihipStream_tbENKUlT_T0_SK_SP_E_clISE_SE_SF_SF_EEDaS13_S14_SK_SP_EUlS13_E_NS1_11comp_targetILNS1_3genE6ELNS1_11target_archE950ELNS1_3gpuE13ELNS1_3repE0EEENS1_47radix_sort_onesweep_sort_config_static_selectorELNS0_4arch9wavefront6targetE1EEEvSK_,"axG",@progbits,_ZN7rocprim17ROCPRIM_400000_NS6detail17trampoline_kernelINS0_14default_configENS1_35radix_sort_onesweep_config_selectorIfNS0_10empty_typeEEEZZNS1_29radix_sort_onesweep_iterationIS3_Lb0EN6thrust23THRUST_200600_302600_NS6detail15normal_iteratorINS9_10device_ptrIfEEEESE_PS5_SF_jNS0_19identity_decomposerENS1_16block_id_wrapperIjLb1EEEEE10hipError_tT1_PNSt15iterator_traitsISK_E10value_typeET2_T3_PNSL_ISQ_E10value_typeET4_T5_PSV_SW_PNS1_23onesweep_lookback_stateEbbT6_jjT7_P12ihipStream_tbENKUlT_T0_SK_SP_E_clISE_SE_SF_SF_EEDaS13_S14_SK_SP_EUlS13_E_NS1_11comp_targetILNS1_3genE6ELNS1_11target_archE950ELNS1_3gpuE13ELNS1_3repE0EEENS1_47radix_sort_onesweep_sort_config_static_selectorELNS0_4arch9wavefront6targetE1EEEvSK_,comdat
.Lfunc_end560:
	.size	_ZN7rocprim17ROCPRIM_400000_NS6detail17trampoline_kernelINS0_14default_configENS1_35radix_sort_onesweep_config_selectorIfNS0_10empty_typeEEEZZNS1_29radix_sort_onesweep_iterationIS3_Lb0EN6thrust23THRUST_200600_302600_NS6detail15normal_iteratorINS9_10device_ptrIfEEEESE_PS5_SF_jNS0_19identity_decomposerENS1_16block_id_wrapperIjLb1EEEEE10hipError_tT1_PNSt15iterator_traitsISK_E10value_typeET2_T3_PNSL_ISQ_E10value_typeET4_T5_PSV_SW_PNS1_23onesweep_lookback_stateEbbT6_jjT7_P12ihipStream_tbENKUlT_T0_SK_SP_E_clISE_SE_SF_SF_EEDaS13_S14_SK_SP_EUlS13_E_NS1_11comp_targetILNS1_3genE6ELNS1_11target_archE950ELNS1_3gpuE13ELNS1_3repE0EEENS1_47radix_sort_onesweep_sort_config_static_selectorELNS0_4arch9wavefront6targetE1EEEvSK_, .Lfunc_end560-_ZN7rocprim17ROCPRIM_400000_NS6detail17trampoline_kernelINS0_14default_configENS1_35radix_sort_onesweep_config_selectorIfNS0_10empty_typeEEEZZNS1_29radix_sort_onesweep_iterationIS3_Lb0EN6thrust23THRUST_200600_302600_NS6detail15normal_iteratorINS9_10device_ptrIfEEEESE_PS5_SF_jNS0_19identity_decomposerENS1_16block_id_wrapperIjLb1EEEEE10hipError_tT1_PNSt15iterator_traitsISK_E10value_typeET2_T3_PNSL_ISQ_E10value_typeET4_T5_PSV_SW_PNS1_23onesweep_lookback_stateEbbT6_jjT7_P12ihipStream_tbENKUlT_T0_SK_SP_E_clISE_SE_SF_SF_EEDaS13_S14_SK_SP_EUlS13_E_NS1_11comp_targetILNS1_3genE6ELNS1_11target_archE950ELNS1_3gpuE13ELNS1_3repE0EEENS1_47radix_sort_onesweep_sort_config_static_selectorELNS0_4arch9wavefront6targetE1EEEvSK_
                                        ; -- End function
	.set _ZN7rocprim17ROCPRIM_400000_NS6detail17trampoline_kernelINS0_14default_configENS1_35radix_sort_onesweep_config_selectorIfNS0_10empty_typeEEEZZNS1_29radix_sort_onesweep_iterationIS3_Lb0EN6thrust23THRUST_200600_302600_NS6detail15normal_iteratorINS9_10device_ptrIfEEEESE_PS5_SF_jNS0_19identity_decomposerENS1_16block_id_wrapperIjLb1EEEEE10hipError_tT1_PNSt15iterator_traitsISK_E10value_typeET2_T3_PNSL_ISQ_E10value_typeET4_T5_PSV_SW_PNS1_23onesweep_lookback_stateEbbT6_jjT7_P12ihipStream_tbENKUlT_T0_SK_SP_E_clISE_SE_SF_SF_EEDaS13_S14_SK_SP_EUlS13_E_NS1_11comp_targetILNS1_3genE6ELNS1_11target_archE950ELNS1_3gpuE13ELNS1_3repE0EEENS1_47radix_sort_onesweep_sort_config_static_selectorELNS0_4arch9wavefront6targetE1EEEvSK_.num_vgpr, 46
	.set _ZN7rocprim17ROCPRIM_400000_NS6detail17trampoline_kernelINS0_14default_configENS1_35radix_sort_onesweep_config_selectorIfNS0_10empty_typeEEEZZNS1_29radix_sort_onesweep_iterationIS3_Lb0EN6thrust23THRUST_200600_302600_NS6detail15normal_iteratorINS9_10device_ptrIfEEEESE_PS5_SF_jNS0_19identity_decomposerENS1_16block_id_wrapperIjLb1EEEEE10hipError_tT1_PNSt15iterator_traitsISK_E10value_typeET2_T3_PNSL_ISQ_E10value_typeET4_T5_PSV_SW_PNS1_23onesweep_lookback_stateEbbT6_jjT7_P12ihipStream_tbENKUlT_T0_SK_SP_E_clISE_SE_SF_SF_EEDaS13_S14_SK_SP_EUlS13_E_NS1_11comp_targetILNS1_3genE6ELNS1_11target_archE950ELNS1_3gpuE13ELNS1_3repE0EEENS1_47radix_sort_onesweep_sort_config_static_selectorELNS0_4arch9wavefront6targetE1EEEvSK_.num_agpr, 0
	.set _ZN7rocprim17ROCPRIM_400000_NS6detail17trampoline_kernelINS0_14default_configENS1_35radix_sort_onesweep_config_selectorIfNS0_10empty_typeEEEZZNS1_29radix_sort_onesweep_iterationIS3_Lb0EN6thrust23THRUST_200600_302600_NS6detail15normal_iteratorINS9_10device_ptrIfEEEESE_PS5_SF_jNS0_19identity_decomposerENS1_16block_id_wrapperIjLb1EEEEE10hipError_tT1_PNSt15iterator_traitsISK_E10value_typeET2_T3_PNSL_ISQ_E10value_typeET4_T5_PSV_SW_PNS1_23onesweep_lookback_stateEbbT6_jjT7_P12ihipStream_tbENKUlT_T0_SK_SP_E_clISE_SE_SF_SF_EEDaS13_S14_SK_SP_EUlS13_E_NS1_11comp_targetILNS1_3genE6ELNS1_11target_archE950ELNS1_3gpuE13ELNS1_3repE0EEENS1_47radix_sort_onesweep_sort_config_static_selectorELNS0_4arch9wavefront6targetE1EEEvSK_.numbered_sgpr, 36
	.set _ZN7rocprim17ROCPRIM_400000_NS6detail17trampoline_kernelINS0_14default_configENS1_35radix_sort_onesweep_config_selectorIfNS0_10empty_typeEEEZZNS1_29radix_sort_onesweep_iterationIS3_Lb0EN6thrust23THRUST_200600_302600_NS6detail15normal_iteratorINS9_10device_ptrIfEEEESE_PS5_SF_jNS0_19identity_decomposerENS1_16block_id_wrapperIjLb1EEEEE10hipError_tT1_PNSt15iterator_traitsISK_E10value_typeET2_T3_PNSL_ISQ_E10value_typeET4_T5_PSV_SW_PNS1_23onesweep_lookback_stateEbbT6_jjT7_P12ihipStream_tbENKUlT_T0_SK_SP_E_clISE_SE_SF_SF_EEDaS13_S14_SK_SP_EUlS13_E_NS1_11comp_targetILNS1_3genE6ELNS1_11target_archE950ELNS1_3gpuE13ELNS1_3repE0EEENS1_47radix_sort_onesweep_sort_config_static_selectorELNS0_4arch9wavefront6targetE1EEEvSK_.num_named_barrier, 0
	.set _ZN7rocprim17ROCPRIM_400000_NS6detail17trampoline_kernelINS0_14default_configENS1_35radix_sort_onesweep_config_selectorIfNS0_10empty_typeEEEZZNS1_29radix_sort_onesweep_iterationIS3_Lb0EN6thrust23THRUST_200600_302600_NS6detail15normal_iteratorINS9_10device_ptrIfEEEESE_PS5_SF_jNS0_19identity_decomposerENS1_16block_id_wrapperIjLb1EEEEE10hipError_tT1_PNSt15iterator_traitsISK_E10value_typeET2_T3_PNSL_ISQ_E10value_typeET4_T5_PSV_SW_PNS1_23onesweep_lookback_stateEbbT6_jjT7_P12ihipStream_tbENKUlT_T0_SK_SP_E_clISE_SE_SF_SF_EEDaS13_S14_SK_SP_EUlS13_E_NS1_11comp_targetILNS1_3genE6ELNS1_11target_archE950ELNS1_3gpuE13ELNS1_3repE0EEENS1_47radix_sort_onesweep_sort_config_static_selectorELNS0_4arch9wavefront6targetE1EEEvSK_.private_seg_size, 0
	.set _ZN7rocprim17ROCPRIM_400000_NS6detail17trampoline_kernelINS0_14default_configENS1_35radix_sort_onesweep_config_selectorIfNS0_10empty_typeEEEZZNS1_29radix_sort_onesweep_iterationIS3_Lb0EN6thrust23THRUST_200600_302600_NS6detail15normal_iteratorINS9_10device_ptrIfEEEESE_PS5_SF_jNS0_19identity_decomposerENS1_16block_id_wrapperIjLb1EEEEE10hipError_tT1_PNSt15iterator_traitsISK_E10value_typeET2_T3_PNSL_ISQ_E10value_typeET4_T5_PSV_SW_PNS1_23onesweep_lookback_stateEbbT6_jjT7_P12ihipStream_tbENKUlT_T0_SK_SP_E_clISE_SE_SF_SF_EEDaS13_S14_SK_SP_EUlS13_E_NS1_11comp_targetILNS1_3genE6ELNS1_11target_archE950ELNS1_3gpuE13ELNS1_3repE0EEENS1_47radix_sort_onesweep_sort_config_static_selectorELNS0_4arch9wavefront6targetE1EEEvSK_.uses_vcc, 1
	.set _ZN7rocprim17ROCPRIM_400000_NS6detail17trampoline_kernelINS0_14default_configENS1_35radix_sort_onesweep_config_selectorIfNS0_10empty_typeEEEZZNS1_29radix_sort_onesweep_iterationIS3_Lb0EN6thrust23THRUST_200600_302600_NS6detail15normal_iteratorINS9_10device_ptrIfEEEESE_PS5_SF_jNS0_19identity_decomposerENS1_16block_id_wrapperIjLb1EEEEE10hipError_tT1_PNSt15iterator_traitsISK_E10value_typeET2_T3_PNSL_ISQ_E10value_typeET4_T5_PSV_SW_PNS1_23onesweep_lookback_stateEbbT6_jjT7_P12ihipStream_tbENKUlT_T0_SK_SP_E_clISE_SE_SF_SF_EEDaS13_S14_SK_SP_EUlS13_E_NS1_11comp_targetILNS1_3genE6ELNS1_11target_archE950ELNS1_3gpuE13ELNS1_3repE0EEENS1_47radix_sort_onesweep_sort_config_static_selectorELNS0_4arch9wavefront6targetE1EEEvSK_.uses_flat_scratch, 0
	.set _ZN7rocprim17ROCPRIM_400000_NS6detail17trampoline_kernelINS0_14default_configENS1_35radix_sort_onesweep_config_selectorIfNS0_10empty_typeEEEZZNS1_29radix_sort_onesweep_iterationIS3_Lb0EN6thrust23THRUST_200600_302600_NS6detail15normal_iteratorINS9_10device_ptrIfEEEESE_PS5_SF_jNS0_19identity_decomposerENS1_16block_id_wrapperIjLb1EEEEE10hipError_tT1_PNSt15iterator_traitsISK_E10value_typeET2_T3_PNSL_ISQ_E10value_typeET4_T5_PSV_SW_PNS1_23onesweep_lookback_stateEbbT6_jjT7_P12ihipStream_tbENKUlT_T0_SK_SP_E_clISE_SE_SF_SF_EEDaS13_S14_SK_SP_EUlS13_E_NS1_11comp_targetILNS1_3genE6ELNS1_11target_archE950ELNS1_3gpuE13ELNS1_3repE0EEENS1_47radix_sort_onesweep_sort_config_static_selectorELNS0_4arch9wavefront6targetE1EEEvSK_.has_dyn_sized_stack, 0
	.set _ZN7rocprim17ROCPRIM_400000_NS6detail17trampoline_kernelINS0_14default_configENS1_35radix_sort_onesweep_config_selectorIfNS0_10empty_typeEEEZZNS1_29radix_sort_onesweep_iterationIS3_Lb0EN6thrust23THRUST_200600_302600_NS6detail15normal_iteratorINS9_10device_ptrIfEEEESE_PS5_SF_jNS0_19identity_decomposerENS1_16block_id_wrapperIjLb1EEEEE10hipError_tT1_PNSt15iterator_traitsISK_E10value_typeET2_T3_PNSL_ISQ_E10value_typeET4_T5_PSV_SW_PNS1_23onesweep_lookback_stateEbbT6_jjT7_P12ihipStream_tbENKUlT_T0_SK_SP_E_clISE_SE_SF_SF_EEDaS13_S14_SK_SP_EUlS13_E_NS1_11comp_targetILNS1_3genE6ELNS1_11target_archE950ELNS1_3gpuE13ELNS1_3repE0EEENS1_47radix_sort_onesweep_sort_config_static_selectorELNS0_4arch9wavefront6targetE1EEEvSK_.has_recursion, 0
	.set _ZN7rocprim17ROCPRIM_400000_NS6detail17trampoline_kernelINS0_14default_configENS1_35radix_sort_onesweep_config_selectorIfNS0_10empty_typeEEEZZNS1_29radix_sort_onesweep_iterationIS3_Lb0EN6thrust23THRUST_200600_302600_NS6detail15normal_iteratorINS9_10device_ptrIfEEEESE_PS5_SF_jNS0_19identity_decomposerENS1_16block_id_wrapperIjLb1EEEEE10hipError_tT1_PNSt15iterator_traitsISK_E10value_typeET2_T3_PNSL_ISQ_E10value_typeET4_T5_PSV_SW_PNS1_23onesweep_lookback_stateEbbT6_jjT7_P12ihipStream_tbENKUlT_T0_SK_SP_E_clISE_SE_SF_SF_EEDaS13_S14_SK_SP_EUlS13_E_NS1_11comp_targetILNS1_3genE6ELNS1_11target_archE950ELNS1_3gpuE13ELNS1_3repE0EEENS1_47radix_sort_onesweep_sort_config_static_selectorELNS0_4arch9wavefront6targetE1EEEvSK_.has_indirect_call, 0
	.section	.AMDGPU.csdata,"",@progbits
; Kernel info:
; codeLenInByte = 11884
; TotalNumSgprs: 42
; NumVgprs: 46
; NumAgprs: 0
; TotalNumVgprs: 46
; ScratchSize: 0
; MemoryBound: 0
; FloatMode: 240
; IeeeMode: 1
; LDSByteSize: 20552 bytes/workgroup (compile time only)
; SGPRBlocks: 5
; VGPRBlocks: 5
; NumSGPRsForWavesPerEU: 42
; NumVGPRsForWavesPerEU: 46
; AccumOffset: 48
; Occupancy: 8
; WaveLimiterHint : 1
; COMPUTE_PGM_RSRC2:SCRATCH_EN: 0
; COMPUTE_PGM_RSRC2:USER_SGPR: 2
; COMPUTE_PGM_RSRC2:TRAP_HANDLER: 0
; COMPUTE_PGM_RSRC2:TGID_X_EN: 1
; COMPUTE_PGM_RSRC2:TGID_Y_EN: 0
; COMPUTE_PGM_RSRC2:TGID_Z_EN: 0
; COMPUTE_PGM_RSRC2:TIDIG_COMP_CNT: 2
; COMPUTE_PGM_RSRC3_GFX90A:ACCUM_OFFSET: 11
; COMPUTE_PGM_RSRC3_GFX90A:TG_SPLIT: 0
	.section	.text._ZN7rocprim17ROCPRIM_400000_NS6detail17trampoline_kernelINS0_14default_configENS1_35radix_sort_onesweep_config_selectorIfNS0_10empty_typeEEEZZNS1_29radix_sort_onesweep_iterationIS3_Lb0EN6thrust23THRUST_200600_302600_NS6detail15normal_iteratorINS9_10device_ptrIfEEEESE_PS5_SF_jNS0_19identity_decomposerENS1_16block_id_wrapperIjLb1EEEEE10hipError_tT1_PNSt15iterator_traitsISK_E10value_typeET2_T3_PNSL_ISQ_E10value_typeET4_T5_PSV_SW_PNS1_23onesweep_lookback_stateEbbT6_jjT7_P12ihipStream_tbENKUlT_T0_SK_SP_E_clISE_SE_SF_SF_EEDaS13_S14_SK_SP_EUlS13_E_NS1_11comp_targetILNS1_3genE5ELNS1_11target_archE942ELNS1_3gpuE9ELNS1_3repE0EEENS1_47radix_sort_onesweep_sort_config_static_selectorELNS0_4arch9wavefront6targetE1EEEvSK_,"axG",@progbits,_ZN7rocprim17ROCPRIM_400000_NS6detail17trampoline_kernelINS0_14default_configENS1_35radix_sort_onesweep_config_selectorIfNS0_10empty_typeEEEZZNS1_29radix_sort_onesweep_iterationIS3_Lb0EN6thrust23THRUST_200600_302600_NS6detail15normal_iteratorINS9_10device_ptrIfEEEESE_PS5_SF_jNS0_19identity_decomposerENS1_16block_id_wrapperIjLb1EEEEE10hipError_tT1_PNSt15iterator_traitsISK_E10value_typeET2_T3_PNSL_ISQ_E10value_typeET4_T5_PSV_SW_PNS1_23onesweep_lookback_stateEbbT6_jjT7_P12ihipStream_tbENKUlT_T0_SK_SP_E_clISE_SE_SF_SF_EEDaS13_S14_SK_SP_EUlS13_E_NS1_11comp_targetILNS1_3genE5ELNS1_11target_archE942ELNS1_3gpuE9ELNS1_3repE0EEENS1_47radix_sort_onesweep_sort_config_static_selectorELNS0_4arch9wavefront6targetE1EEEvSK_,comdat
	.protected	_ZN7rocprim17ROCPRIM_400000_NS6detail17trampoline_kernelINS0_14default_configENS1_35radix_sort_onesweep_config_selectorIfNS0_10empty_typeEEEZZNS1_29radix_sort_onesweep_iterationIS3_Lb0EN6thrust23THRUST_200600_302600_NS6detail15normal_iteratorINS9_10device_ptrIfEEEESE_PS5_SF_jNS0_19identity_decomposerENS1_16block_id_wrapperIjLb1EEEEE10hipError_tT1_PNSt15iterator_traitsISK_E10value_typeET2_T3_PNSL_ISQ_E10value_typeET4_T5_PSV_SW_PNS1_23onesweep_lookback_stateEbbT6_jjT7_P12ihipStream_tbENKUlT_T0_SK_SP_E_clISE_SE_SF_SF_EEDaS13_S14_SK_SP_EUlS13_E_NS1_11comp_targetILNS1_3genE5ELNS1_11target_archE942ELNS1_3gpuE9ELNS1_3repE0EEENS1_47radix_sort_onesweep_sort_config_static_selectorELNS0_4arch9wavefront6targetE1EEEvSK_ ; -- Begin function _ZN7rocprim17ROCPRIM_400000_NS6detail17trampoline_kernelINS0_14default_configENS1_35radix_sort_onesweep_config_selectorIfNS0_10empty_typeEEEZZNS1_29radix_sort_onesweep_iterationIS3_Lb0EN6thrust23THRUST_200600_302600_NS6detail15normal_iteratorINS9_10device_ptrIfEEEESE_PS5_SF_jNS0_19identity_decomposerENS1_16block_id_wrapperIjLb1EEEEE10hipError_tT1_PNSt15iterator_traitsISK_E10value_typeET2_T3_PNSL_ISQ_E10value_typeET4_T5_PSV_SW_PNS1_23onesweep_lookback_stateEbbT6_jjT7_P12ihipStream_tbENKUlT_T0_SK_SP_E_clISE_SE_SF_SF_EEDaS13_S14_SK_SP_EUlS13_E_NS1_11comp_targetILNS1_3genE5ELNS1_11target_archE942ELNS1_3gpuE9ELNS1_3repE0EEENS1_47radix_sort_onesweep_sort_config_static_selectorELNS0_4arch9wavefront6targetE1EEEvSK_
	.globl	_ZN7rocprim17ROCPRIM_400000_NS6detail17trampoline_kernelINS0_14default_configENS1_35radix_sort_onesweep_config_selectorIfNS0_10empty_typeEEEZZNS1_29radix_sort_onesweep_iterationIS3_Lb0EN6thrust23THRUST_200600_302600_NS6detail15normal_iteratorINS9_10device_ptrIfEEEESE_PS5_SF_jNS0_19identity_decomposerENS1_16block_id_wrapperIjLb1EEEEE10hipError_tT1_PNSt15iterator_traitsISK_E10value_typeET2_T3_PNSL_ISQ_E10value_typeET4_T5_PSV_SW_PNS1_23onesweep_lookback_stateEbbT6_jjT7_P12ihipStream_tbENKUlT_T0_SK_SP_E_clISE_SE_SF_SF_EEDaS13_S14_SK_SP_EUlS13_E_NS1_11comp_targetILNS1_3genE5ELNS1_11target_archE942ELNS1_3gpuE9ELNS1_3repE0EEENS1_47radix_sort_onesweep_sort_config_static_selectorELNS0_4arch9wavefront6targetE1EEEvSK_
	.p2align	8
	.type	_ZN7rocprim17ROCPRIM_400000_NS6detail17trampoline_kernelINS0_14default_configENS1_35radix_sort_onesweep_config_selectorIfNS0_10empty_typeEEEZZNS1_29radix_sort_onesweep_iterationIS3_Lb0EN6thrust23THRUST_200600_302600_NS6detail15normal_iteratorINS9_10device_ptrIfEEEESE_PS5_SF_jNS0_19identity_decomposerENS1_16block_id_wrapperIjLb1EEEEE10hipError_tT1_PNSt15iterator_traitsISK_E10value_typeET2_T3_PNSL_ISQ_E10value_typeET4_T5_PSV_SW_PNS1_23onesweep_lookback_stateEbbT6_jjT7_P12ihipStream_tbENKUlT_T0_SK_SP_E_clISE_SE_SF_SF_EEDaS13_S14_SK_SP_EUlS13_E_NS1_11comp_targetILNS1_3genE5ELNS1_11target_archE942ELNS1_3gpuE9ELNS1_3repE0EEENS1_47radix_sort_onesweep_sort_config_static_selectorELNS0_4arch9wavefront6targetE1EEEvSK_,@function
_ZN7rocprim17ROCPRIM_400000_NS6detail17trampoline_kernelINS0_14default_configENS1_35radix_sort_onesweep_config_selectorIfNS0_10empty_typeEEEZZNS1_29radix_sort_onesweep_iterationIS3_Lb0EN6thrust23THRUST_200600_302600_NS6detail15normal_iteratorINS9_10device_ptrIfEEEESE_PS5_SF_jNS0_19identity_decomposerENS1_16block_id_wrapperIjLb1EEEEE10hipError_tT1_PNSt15iterator_traitsISK_E10value_typeET2_T3_PNSL_ISQ_E10value_typeET4_T5_PSV_SW_PNS1_23onesweep_lookback_stateEbbT6_jjT7_P12ihipStream_tbENKUlT_T0_SK_SP_E_clISE_SE_SF_SF_EEDaS13_S14_SK_SP_EUlS13_E_NS1_11comp_targetILNS1_3genE5ELNS1_11target_archE942ELNS1_3gpuE9ELNS1_3repE0EEENS1_47radix_sort_onesweep_sort_config_static_selectorELNS0_4arch9wavefront6targetE1EEEvSK_: ; @_ZN7rocprim17ROCPRIM_400000_NS6detail17trampoline_kernelINS0_14default_configENS1_35radix_sort_onesweep_config_selectorIfNS0_10empty_typeEEEZZNS1_29radix_sort_onesweep_iterationIS3_Lb0EN6thrust23THRUST_200600_302600_NS6detail15normal_iteratorINS9_10device_ptrIfEEEESE_PS5_SF_jNS0_19identity_decomposerENS1_16block_id_wrapperIjLb1EEEEE10hipError_tT1_PNSt15iterator_traitsISK_E10value_typeET2_T3_PNSL_ISQ_E10value_typeET4_T5_PSV_SW_PNS1_23onesweep_lookback_stateEbbT6_jjT7_P12ihipStream_tbENKUlT_T0_SK_SP_E_clISE_SE_SF_SF_EEDaS13_S14_SK_SP_EUlS13_E_NS1_11comp_targetILNS1_3genE5ELNS1_11target_archE942ELNS1_3gpuE9ELNS1_3repE0EEENS1_47radix_sort_onesweep_sort_config_static_selectorELNS0_4arch9wavefront6targetE1EEEvSK_
; %bb.0:
	.section	.rodata,"a",@progbits
	.p2align	6, 0x0
	.amdhsa_kernel _ZN7rocprim17ROCPRIM_400000_NS6detail17trampoline_kernelINS0_14default_configENS1_35radix_sort_onesweep_config_selectorIfNS0_10empty_typeEEEZZNS1_29radix_sort_onesweep_iterationIS3_Lb0EN6thrust23THRUST_200600_302600_NS6detail15normal_iteratorINS9_10device_ptrIfEEEESE_PS5_SF_jNS0_19identity_decomposerENS1_16block_id_wrapperIjLb1EEEEE10hipError_tT1_PNSt15iterator_traitsISK_E10value_typeET2_T3_PNSL_ISQ_E10value_typeET4_T5_PSV_SW_PNS1_23onesweep_lookback_stateEbbT6_jjT7_P12ihipStream_tbENKUlT_T0_SK_SP_E_clISE_SE_SF_SF_EEDaS13_S14_SK_SP_EUlS13_E_NS1_11comp_targetILNS1_3genE5ELNS1_11target_archE942ELNS1_3gpuE9ELNS1_3repE0EEENS1_47radix_sort_onesweep_sort_config_static_selectorELNS0_4arch9wavefront6targetE1EEEvSK_
		.amdhsa_group_segment_fixed_size 0
		.amdhsa_private_segment_fixed_size 0
		.amdhsa_kernarg_size 88
		.amdhsa_user_sgpr_count 2
		.amdhsa_user_sgpr_dispatch_ptr 0
		.amdhsa_user_sgpr_queue_ptr 0
		.amdhsa_user_sgpr_kernarg_segment_ptr 1
		.amdhsa_user_sgpr_dispatch_id 0
		.amdhsa_user_sgpr_kernarg_preload_length 0
		.amdhsa_user_sgpr_kernarg_preload_offset 0
		.amdhsa_user_sgpr_private_segment_size 0
		.amdhsa_uses_dynamic_stack 0
		.amdhsa_enable_private_segment 0
		.amdhsa_system_sgpr_workgroup_id_x 1
		.amdhsa_system_sgpr_workgroup_id_y 0
		.amdhsa_system_sgpr_workgroup_id_z 0
		.amdhsa_system_sgpr_workgroup_info 0
		.amdhsa_system_vgpr_workitem_id 0
		.amdhsa_next_free_vgpr 1
		.amdhsa_next_free_sgpr 0
		.amdhsa_accum_offset 4
		.amdhsa_reserve_vcc 0
		.amdhsa_float_round_mode_32 0
		.amdhsa_float_round_mode_16_64 0
		.amdhsa_float_denorm_mode_32 3
		.amdhsa_float_denorm_mode_16_64 3
		.amdhsa_dx10_clamp 1
		.amdhsa_ieee_mode 1
		.amdhsa_fp16_overflow 0
		.amdhsa_tg_split 0
		.amdhsa_exception_fp_ieee_invalid_op 0
		.amdhsa_exception_fp_denorm_src 0
		.amdhsa_exception_fp_ieee_div_zero 0
		.amdhsa_exception_fp_ieee_overflow 0
		.amdhsa_exception_fp_ieee_underflow 0
		.amdhsa_exception_fp_ieee_inexact 0
		.amdhsa_exception_int_div_zero 0
	.end_amdhsa_kernel
	.section	.text._ZN7rocprim17ROCPRIM_400000_NS6detail17trampoline_kernelINS0_14default_configENS1_35radix_sort_onesweep_config_selectorIfNS0_10empty_typeEEEZZNS1_29radix_sort_onesweep_iterationIS3_Lb0EN6thrust23THRUST_200600_302600_NS6detail15normal_iteratorINS9_10device_ptrIfEEEESE_PS5_SF_jNS0_19identity_decomposerENS1_16block_id_wrapperIjLb1EEEEE10hipError_tT1_PNSt15iterator_traitsISK_E10value_typeET2_T3_PNSL_ISQ_E10value_typeET4_T5_PSV_SW_PNS1_23onesweep_lookback_stateEbbT6_jjT7_P12ihipStream_tbENKUlT_T0_SK_SP_E_clISE_SE_SF_SF_EEDaS13_S14_SK_SP_EUlS13_E_NS1_11comp_targetILNS1_3genE5ELNS1_11target_archE942ELNS1_3gpuE9ELNS1_3repE0EEENS1_47radix_sort_onesweep_sort_config_static_selectorELNS0_4arch9wavefront6targetE1EEEvSK_,"axG",@progbits,_ZN7rocprim17ROCPRIM_400000_NS6detail17trampoline_kernelINS0_14default_configENS1_35radix_sort_onesweep_config_selectorIfNS0_10empty_typeEEEZZNS1_29radix_sort_onesweep_iterationIS3_Lb0EN6thrust23THRUST_200600_302600_NS6detail15normal_iteratorINS9_10device_ptrIfEEEESE_PS5_SF_jNS0_19identity_decomposerENS1_16block_id_wrapperIjLb1EEEEE10hipError_tT1_PNSt15iterator_traitsISK_E10value_typeET2_T3_PNSL_ISQ_E10value_typeET4_T5_PSV_SW_PNS1_23onesweep_lookback_stateEbbT6_jjT7_P12ihipStream_tbENKUlT_T0_SK_SP_E_clISE_SE_SF_SF_EEDaS13_S14_SK_SP_EUlS13_E_NS1_11comp_targetILNS1_3genE5ELNS1_11target_archE942ELNS1_3gpuE9ELNS1_3repE0EEENS1_47radix_sort_onesweep_sort_config_static_selectorELNS0_4arch9wavefront6targetE1EEEvSK_,comdat
.Lfunc_end561:
	.size	_ZN7rocprim17ROCPRIM_400000_NS6detail17trampoline_kernelINS0_14default_configENS1_35radix_sort_onesweep_config_selectorIfNS0_10empty_typeEEEZZNS1_29radix_sort_onesweep_iterationIS3_Lb0EN6thrust23THRUST_200600_302600_NS6detail15normal_iteratorINS9_10device_ptrIfEEEESE_PS5_SF_jNS0_19identity_decomposerENS1_16block_id_wrapperIjLb1EEEEE10hipError_tT1_PNSt15iterator_traitsISK_E10value_typeET2_T3_PNSL_ISQ_E10value_typeET4_T5_PSV_SW_PNS1_23onesweep_lookback_stateEbbT6_jjT7_P12ihipStream_tbENKUlT_T0_SK_SP_E_clISE_SE_SF_SF_EEDaS13_S14_SK_SP_EUlS13_E_NS1_11comp_targetILNS1_3genE5ELNS1_11target_archE942ELNS1_3gpuE9ELNS1_3repE0EEENS1_47radix_sort_onesweep_sort_config_static_selectorELNS0_4arch9wavefront6targetE1EEEvSK_, .Lfunc_end561-_ZN7rocprim17ROCPRIM_400000_NS6detail17trampoline_kernelINS0_14default_configENS1_35radix_sort_onesweep_config_selectorIfNS0_10empty_typeEEEZZNS1_29radix_sort_onesweep_iterationIS3_Lb0EN6thrust23THRUST_200600_302600_NS6detail15normal_iteratorINS9_10device_ptrIfEEEESE_PS5_SF_jNS0_19identity_decomposerENS1_16block_id_wrapperIjLb1EEEEE10hipError_tT1_PNSt15iterator_traitsISK_E10value_typeET2_T3_PNSL_ISQ_E10value_typeET4_T5_PSV_SW_PNS1_23onesweep_lookback_stateEbbT6_jjT7_P12ihipStream_tbENKUlT_T0_SK_SP_E_clISE_SE_SF_SF_EEDaS13_S14_SK_SP_EUlS13_E_NS1_11comp_targetILNS1_3genE5ELNS1_11target_archE942ELNS1_3gpuE9ELNS1_3repE0EEENS1_47radix_sort_onesweep_sort_config_static_selectorELNS0_4arch9wavefront6targetE1EEEvSK_
                                        ; -- End function
	.set _ZN7rocprim17ROCPRIM_400000_NS6detail17trampoline_kernelINS0_14default_configENS1_35radix_sort_onesweep_config_selectorIfNS0_10empty_typeEEEZZNS1_29radix_sort_onesweep_iterationIS3_Lb0EN6thrust23THRUST_200600_302600_NS6detail15normal_iteratorINS9_10device_ptrIfEEEESE_PS5_SF_jNS0_19identity_decomposerENS1_16block_id_wrapperIjLb1EEEEE10hipError_tT1_PNSt15iterator_traitsISK_E10value_typeET2_T3_PNSL_ISQ_E10value_typeET4_T5_PSV_SW_PNS1_23onesweep_lookback_stateEbbT6_jjT7_P12ihipStream_tbENKUlT_T0_SK_SP_E_clISE_SE_SF_SF_EEDaS13_S14_SK_SP_EUlS13_E_NS1_11comp_targetILNS1_3genE5ELNS1_11target_archE942ELNS1_3gpuE9ELNS1_3repE0EEENS1_47radix_sort_onesweep_sort_config_static_selectorELNS0_4arch9wavefront6targetE1EEEvSK_.num_vgpr, 0
	.set _ZN7rocprim17ROCPRIM_400000_NS6detail17trampoline_kernelINS0_14default_configENS1_35radix_sort_onesweep_config_selectorIfNS0_10empty_typeEEEZZNS1_29radix_sort_onesweep_iterationIS3_Lb0EN6thrust23THRUST_200600_302600_NS6detail15normal_iteratorINS9_10device_ptrIfEEEESE_PS5_SF_jNS0_19identity_decomposerENS1_16block_id_wrapperIjLb1EEEEE10hipError_tT1_PNSt15iterator_traitsISK_E10value_typeET2_T3_PNSL_ISQ_E10value_typeET4_T5_PSV_SW_PNS1_23onesweep_lookback_stateEbbT6_jjT7_P12ihipStream_tbENKUlT_T0_SK_SP_E_clISE_SE_SF_SF_EEDaS13_S14_SK_SP_EUlS13_E_NS1_11comp_targetILNS1_3genE5ELNS1_11target_archE942ELNS1_3gpuE9ELNS1_3repE0EEENS1_47radix_sort_onesweep_sort_config_static_selectorELNS0_4arch9wavefront6targetE1EEEvSK_.num_agpr, 0
	.set _ZN7rocprim17ROCPRIM_400000_NS6detail17trampoline_kernelINS0_14default_configENS1_35radix_sort_onesweep_config_selectorIfNS0_10empty_typeEEEZZNS1_29radix_sort_onesweep_iterationIS3_Lb0EN6thrust23THRUST_200600_302600_NS6detail15normal_iteratorINS9_10device_ptrIfEEEESE_PS5_SF_jNS0_19identity_decomposerENS1_16block_id_wrapperIjLb1EEEEE10hipError_tT1_PNSt15iterator_traitsISK_E10value_typeET2_T3_PNSL_ISQ_E10value_typeET4_T5_PSV_SW_PNS1_23onesweep_lookback_stateEbbT6_jjT7_P12ihipStream_tbENKUlT_T0_SK_SP_E_clISE_SE_SF_SF_EEDaS13_S14_SK_SP_EUlS13_E_NS1_11comp_targetILNS1_3genE5ELNS1_11target_archE942ELNS1_3gpuE9ELNS1_3repE0EEENS1_47radix_sort_onesweep_sort_config_static_selectorELNS0_4arch9wavefront6targetE1EEEvSK_.numbered_sgpr, 0
	.set _ZN7rocprim17ROCPRIM_400000_NS6detail17trampoline_kernelINS0_14default_configENS1_35radix_sort_onesweep_config_selectorIfNS0_10empty_typeEEEZZNS1_29radix_sort_onesweep_iterationIS3_Lb0EN6thrust23THRUST_200600_302600_NS6detail15normal_iteratorINS9_10device_ptrIfEEEESE_PS5_SF_jNS0_19identity_decomposerENS1_16block_id_wrapperIjLb1EEEEE10hipError_tT1_PNSt15iterator_traitsISK_E10value_typeET2_T3_PNSL_ISQ_E10value_typeET4_T5_PSV_SW_PNS1_23onesweep_lookback_stateEbbT6_jjT7_P12ihipStream_tbENKUlT_T0_SK_SP_E_clISE_SE_SF_SF_EEDaS13_S14_SK_SP_EUlS13_E_NS1_11comp_targetILNS1_3genE5ELNS1_11target_archE942ELNS1_3gpuE9ELNS1_3repE0EEENS1_47radix_sort_onesweep_sort_config_static_selectorELNS0_4arch9wavefront6targetE1EEEvSK_.num_named_barrier, 0
	.set _ZN7rocprim17ROCPRIM_400000_NS6detail17trampoline_kernelINS0_14default_configENS1_35radix_sort_onesweep_config_selectorIfNS0_10empty_typeEEEZZNS1_29radix_sort_onesweep_iterationIS3_Lb0EN6thrust23THRUST_200600_302600_NS6detail15normal_iteratorINS9_10device_ptrIfEEEESE_PS5_SF_jNS0_19identity_decomposerENS1_16block_id_wrapperIjLb1EEEEE10hipError_tT1_PNSt15iterator_traitsISK_E10value_typeET2_T3_PNSL_ISQ_E10value_typeET4_T5_PSV_SW_PNS1_23onesweep_lookback_stateEbbT6_jjT7_P12ihipStream_tbENKUlT_T0_SK_SP_E_clISE_SE_SF_SF_EEDaS13_S14_SK_SP_EUlS13_E_NS1_11comp_targetILNS1_3genE5ELNS1_11target_archE942ELNS1_3gpuE9ELNS1_3repE0EEENS1_47radix_sort_onesweep_sort_config_static_selectorELNS0_4arch9wavefront6targetE1EEEvSK_.private_seg_size, 0
	.set _ZN7rocprim17ROCPRIM_400000_NS6detail17trampoline_kernelINS0_14default_configENS1_35radix_sort_onesweep_config_selectorIfNS0_10empty_typeEEEZZNS1_29radix_sort_onesweep_iterationIS3_Lb0EN6thrust23THRUST_200600_302600_NS6detail15normal_iteratorINS9_10device_ptrIfEEEESE_PS5_SF_jNS0_19identity_decomposerENS1_16block_id_wrapperIjLb1EEEEE10hipError_tT1_PNSt15iterator_traitsISK_E10value_typeET2_T3_PNSL_ISQ_E10value_typeET4_T5_PSV_SW_PNS1_23onesweep_lookback_stateEbbT6_jjT7_P12ihipStream_tbENKUlT_T0_SK_SP_E_clISE_SE_SF_SF_EEDaS13_S14_SK_SP_EUlS13_E_NS1_11comp_targetILNS1_3genE5ELNS1_11target_archE942ELNS1_3gpuE9ELNS1_3repE0EEENS1_47radix_sort_onesweep_sort_config_static_selectorELNS0_4arch9wavefront6targetE1EEEvSK_.uses_vcc, 0
	.set _ZN7rocprim17ROCPRIM_400000_NS6detail17trampoline_kernelINS0_14default_configENS1_35radix_sort_onesweep_config_selectorIfNS0_10empty_typeEEEZZNS1_29radix_sort_onesweep_iterationIS3_Lb0EN6thrust23THRUST_200600_302600_NS6detail15normal_iteratorINS9_10device_ptrIfEEEESE_PS5_SF_jNS0_19identity_decomposerENS1_16block_id_wrapperIjLb1EEEEE10hipError_tT1_PNSt15iterator_traitsISK_E10value_typeET2_T3_PNSL_ISQ_E10value_typeET4_T5_PSV_SW_PNS1_23onesweep_lookback_stateEbbT6_jjT7_P12ihipStream_tbENKUlT_T0_SK_SP_E_clISE_SE_SF_SF_EEDaS13_S14_SK_SP_EUlS13_E_NS1_11comp_targetILNS1_3genE5ELNS1_11target_archE942ELNS1_3gpuE9ELNS1_3repE0EEENS1_47radix_sort_onesweep_sort_config_static_selectorELNS0_4arch9wavefront6targetE1EEEvSK_.uses_flat_scratch, 0
	.set _ZN7rocprim17ROCPRIM_400000_NS6detail17trampoline_kernelINS0_14default_configENS1_35radix_sort_onesweep_config_selectorIfNS0_10empty_typeEEEZZNS1_29radix_sort_onesweep_iterationIS3_Lb0EN6thrust23THRUST_200600_302600_NS6detail15normal_iteratorINS9_10device_ptrIfEEEESE_PS5_SF_jNS0_19identity_decomposerENS1_16block_id_wrapperIjLb1EEEEE10hipError_tT1_PNSt15iterator_traitsISK_E10value_typeET2_T3_PNSL_ISQ_E10value_typeET4_T5_PSV_SW_PNS1_23onesweep_lookback_stateEbbT6_jjT7_P12ihipStream_tbENKUlT_T0_SK_SP_E_clISE_SE_SF_SF_EEDaS13_S14_SK_SP_EUlS13_E_NS1_11comp_targetILNS1_3genE5ELNS1_11target_archE942ELNS1_3gpuE9ELNS1_3repE0EEENS1_47radix_sort_onesweep_sort_config_static_selectorELNS0_4arch9wavefront6targetE1EEEvSK_.has_dyn_sized_stack, 0
	.set _ZN7rocprim17ROCPRIM_400000_NS6detail17trampoline_kernelINS0_14default_configENS1_35radix_sort_onesweep_config_selectorIfNS0_10empty_typeEEEZZNS1_29radix_sort_onesweep_iterationIS3_Lb0EN6thrust23THRUST_200600_302600_NS6detail15normal_iteratorINS9_10device_ptrIfEEEESE_PS5_SF_jNS0_19identity_decomposerENS1_16block_id_wrapperIjLb1EEEEE10hipError_tT1_PNSt15iterator_traitsISK_E10value_typeET2_T3_PNSL_ISQ_E10value_typeET4_T5_PSV_SW_PNS1_23onesweep_lookback_stateEbbT6_jjT7_P12ihipStream_tbENKUlT_T0_SK_SP_E_clISE_SE_SF_SF_EEDaS13_S14_SK_SP_EUlS13_E_NS1_11comp_targetILNS1_3genE5ELNS1_11target_archE942ELNS1_3gpuE9ELNS1_3repE0EEENS1_47radix_sort_onesweep_sort_config_static_selectorELNS0_4arch9wavefront6targetE1EEEvSK_.has_recursion, 0
	.set _ZN7rocprim17ROCPRIM_400000_NS6detail17trampoline_kernelINS0_14default_configENS1_35radix_sort_onesweep_config_selectorIfNS0_10empty_typeEEEZZNS1_29radix_sort_onesweep_iterationIS3_Lb0EN6thrust23THRUST_200600_302600_NS6detail15normal_iteratorINS9_10device_ptrIfEEEESE_PS5_SF_jNS0_19identity_decomposerENS1_16block_id_wrapperIjLb1EEEEE10hipError_tT1_PNSt15iterator_traitsISK_E10value_typeET2_T3_PNSL_ISQ_E10value_typeET4_T5_PSV_SW_PNS1_23onesweep_lookback_stateEbbT6_jjT7_P12ihipStream_tbENKUlT_T0_SK_SP_E_clISE_SE_SF_SF_EEDaS13_S14_SK_SP_EUlS13_E_NS1_11comp_targetILNS1_3genE5ELNS1_11target_archE942ELNS1_3gpuE9ELNS1_3repE0EEENS1_47radix_sort_onesweep_sort_config_static_selectorELNS0_4arch9wavefront6targetE1EEEvSK_.has_indirect_call, 0
	.section	.AMDGPU.csdata,"",@progbits
; Kernel info:
; codeLenInByte = 0
; TotalNumSgprs: 6
; NumVgprs: 0
; NumAgprs: 0
; TotalNumVgprs: 0
; ScratchSize: 0
; MemoryBound: 0
; FloatMode: 240
; IeeeMode: 1
; LDSByteSize: 0 bytes/workgroup (compile time only)
; SGPRBlocks: 0
; VGPRBlocks: 0
; NumSGPRsForWavesPerEU: 6
; NumVGPRsForWavesPerEU: 1
; AccumOffset: 4
; Occupancy: 8
; WaveLimiterHint : 0
; COMPUTE_PGM_RSRC2:SCRATCH_EN: 0
; COMPUTE_PGM_RSRC2:USER_SGPR: 2
; COMPUTE_PGM_RSRC2:TRAP_HANDLER: 0
; COMPUTE_PGM_RSRC2:TGID_X_EN: 1
; COMPUTE_PGM_RSRC2:TGID_Y_EN: 0
; COMPUTE_PGM_RSRC2:TGID_Z_EN: 0
; COMPUTE_PGM_RSRC2:TIDIG_COMP_CNT: 0
; COMPUTE_PGM_RSRC3_GFX90A:ACCUM_OFFSET: 0
; COMPUTE_PGM_RSRC3_GFX90A:TG_SPLIT: 0
	.section	.text._ZN7rocprim17ROCPRIM_400000_NS6detail17trampoline_kernelINS0_14default_configENS1_35radix_sort_onesweep_config_selectorIfNS0_10empty_typeEEEZZNS1_29radix_sort_onesweep_iterationIS3_Lb0EN6thrust23THRUST_200600_302600_NS6detail15normal_iteratorINS9_10device_ptrIfEEEESE_PS5_SF_jNS0_19identity_decomposerENS1_16block_id_wrapperIjLb1EEEEE10hipError_tT1_PNSt15iterator_traitsISK_E10value_typeET2_T3_PNSL_ISQ_E10value_typeET4_T5_PSV_SW_PNS1_23onesweep_lookback_stateEbbT6_jjT7_P12ihipStream_tbENKUlT_T0_SK_SP_E_clISE_SE_SF_SF_EEDaS13_S14_SK_SP_EUlS13_E_NS1_11comp_targetILNS1_3genE2ELNS1_11target_archE906ELNS1_3gpuE6ELNS1_3repE0EEENS1_47radix_sort_onesweep_sort_config_static_selectorELNS0_4arch9wavefront6targetE1EEEvSK_,"axG",@progbits,_ZN7rocprim17ROCPRIM_400000_NS6detail17trampoline_kernelINS0_14default_configENS1_35radix_sort_onesweep_config_selectorIfNS0_10empty_typeEEEZZNS1_29radix_sort_onesweep_iterationIS3_Lb0EN6thrust23THRUST_200600_302600_NS6detail15normal_iteratorINS9_10device_ptrIfEEEESE_PS5_SF_jNS0_19identity_decomposerENS1_16block_id_wrapperIjLb1EEEEE10hipError_tT1_PNSt15iterator_traitsISK_E10value_typeET2_T3_PNSL_ISQ_E10value_typeET4_T5_PSV_SW_PNS1_23onesweep_lookback_stateEbbT6_jjT7_P12ihipStream_tbENKUlT_T0_SK_SP_E_clISE_SE_SF_SF_EEDaS13_S14_SK_SP_EUlS13_E_NS1_11comp_targetILNS1_3genE2ELNS1_11target_archE906ELNS1_3gpuE6ELNS1_3repE0EEENS1_47radix_sort_onesweep_sort_config_static_selectorELNS0_4arch9wavefront6targetE1EEEvSK_,comdat
	.protected	_ZN7rocprim17ROCPRIM_400000_NS6detail17trampoline_kernelINS0_14default_configENS1_35radix_sort_onesweep_config_selectorIfNS0_10empty_typeEEEZZNS1_29radix_sort_onesweep_iterationIS3_Lb0EN6thrust23THRUST_200600_302600_NS6detail15normal_iteratorINS9_10device_ptrIfEEEESE_PS5_SF_jNS0_19identity_decomposerENS1_16block_id_wrapperIjLb1EEEEE10hipError_tT1_PNSt15iterator_traitsISK_E10value_typeET2_T3_PNSL_ISQ_E10value_typeET4_T5_PSV_SW_PNS1_23onesweep_lookback_stateEbbT6_jjT7_P12ihipStream_tbENKUlT_T0_SK_SP_E_clISE_SE_SF_SF_EEDaS13_S14_SK_SP_EUlS13_E_NS1_11comp_targetILNS1_3genE2ELNS1_11target_archE906ELNS1_3gpuE6ELNS1_3repE0EEENS1_47radix_sort_onesweep_sort_config_static_selectorELNS0_4arch9wavefront6targetE1EEEvSK_ ; -- Begin function _ZN7rocprim17ROCPRIM_400000_NS6detail17trampoline_kernelINS0_14default_configENS1_35radix_sort_onesweep_config_selectorIfNS0_10empty_typeEEEZZNS1_29radix_sort_onesweep_iterationIS3_Lb0EN6thrust23THRUST_200600_302600_NS6detail15normal_iteratorINS9_10device_ptrIfEEEESE_PS5_SF_jNS0_19identity_decomposerENS1_16block_id_wrapperIjLb1EEEEE10hipError_tT1_PNSt15iterator_traitsISK_E10value_typeET2_T3_PNSL_ISQ_E10value_typeET4_T5_PSV_SW_PNS1_23onesweep_lookback_stateEbbT6_jjT7_P12ihipStream_tbENKUlT_T0_SK_SP_E_clISE_SE_SF_SF_EEDaS13_S14_SK_SP_EUlS13_E_NS1_11comp_targetILNS1_3genE2ELNS1_11target_archE906ELNS1_3gpuE6ELNS1_3repE0EEENS1_47radix_sort_onesweep_sort_config_static_selectorELNS0_4arch9wavefront6targetE1EEEvSK_
	.globl	_ZN7rocprim17ROCPRIM_400000_NS6detail17trampoline_kernelINS0_14default_configENS1_35radix_sort_onesweep_config_selectorIfNS0_10empty_typeEEEZZNS1_29radix_sort_onesweep_iterationIS3_Lb0EN6thrust23THRUST_200600_302600_NS6detail15normal_iteratorINS9_10device_ptrIfEEEESE_PS5_SF_jNS0_19identity_decomposerENS1_16block_id_wrapperIjLb1EEEEE10hipError_tT1_PNSt15iterator_traitsISK_E10value_typeET2_T3_PNSL_ISQ_E10value_typeET4_T5_PSV_SW_PNS1_23onesweep_lookback_stateEbbT6_jjT7_P12ihipStream_tbENKUlT_T0_SK_SP_E_clISE_SE_SF_SF_EEDaS13_S14_SK_SP_EUlS13_E_NS1_11comp_targetILNS1_3genE2ELNS1_11target_archE906ELNS1_3gpuE6ELNS1_3repE0EEENS1_47radix_sort_onesweep_sort_config_static_selectorELNS0_4arch9wavefront6targetE1EEEvSK_
	.p2align	8
	.type	_ZN7rocprim17ROCPRIM_400000_NS6detail17trampoline_kernelINS0_14default_configENS1_35radix_sort_onesweep_config_selectorIfNS0_10empty_typeEEEZZNS1_29radix_sort_onesweep_iterationIS3_Lb0EN6thrust23THRUST_200600_302600_NS6detail15normal_iteratorINS9_10device_ptrIfEEEESE_PS5_SF_jNS0_19identity_decomposerENS1_16block_id_wrapperIjLb1EEEEE10hipError_tT1_PNSt15iterator_traitsISK_E10value_typeET2_T3_PNSL_ISQ_E10value_typeET4_T5_PSV_SW_PNS1_23onesweep_lookback_stateEbbT6_jjT7_P12ihipStream_tbENKUlT_T0_SK_SP_E_clISE_SE_SF_SF_EEDaS13_S14_SK_SP_EUlS13_E_NS1_11comp_targetILNS1_3genE2ELNS1_11target_archE906ELNS1_3gpuE6ELNS1_3repE0EEENS1_47radix_sort_onesweep_sort_config_static_selectorELNS0_4arch9wavefront6targetE1EEEvSK_,@function
_ZN7rocprim17ROCPRIM_400000_NS6detail17trampoline_kernelINS0_14default_configENS1_35radix_sort_onesweep_config_selectorIfNS0_10empty_typeEEEZZNS1_29radix_sort_onesweep_iterationIS3_Lb0EN6thrust23THRUST_200600_302600_NS6detail15normal_iteratorINS9_10device_ptrIfEEEESE_PS5_SF_jNS0_19identity_decomposerENS1_16block_id_wrapperIjLb1EEEEE10hipError_tT1_PNSt15iterator_traitsISK_E10value_typeET2_T3_PNSL_ISQ_E10value_typeET4_T5_PSV_SW_PNS1_23onesweep_lookback_stateEbbT6_jjT7_P12ihipStream_tbENKUlT_T0_SK_SP_E_clISE_SE_SF_SF_EEDaS13_S14_SK_SP_EUlS13_E_NS1_11comp_targetILNS1_3genE2ELNS1_11target_archE906ELNS1_3gpuE6ELNS1_3repE0EEENS1_47radix_sort_onesweep_sort_config_static_selectorELNS0_4arch9wavefront6targetE1EEEvSK_: ; @_ZN7rocprim17ROCPRIM_400000_NS6detail17trampoline_kernelINS0_14default_configENS1_35radix_sort_onesweep_config_selectorIfNS0_10empty_typeEEEZZNS1_29radix_sort_onesweep_iterationIS3_Lb0EN6thrust23THRUST_200600_302600_NS6detail15normal_iteratorINS9_10device_ptrIfEEEESE_PS5_SF_jNS0_19identity_decomposerENS1_16block_id_wrapperIjLb1EEEEE10hipError_tT1_PNSt15iterator_traitsISK_E10value_typeET2_T3_PNSL_ISQ_E10value_typeET4_T5_PSV_SW_PNS1_23onesweep_lookback_stateEbbT6_jjT7_P12ihipStream_tbENKUlT_T0_SK_SP_E_clISE_SE_SF_SF_EEDaS13_S14_SK_SP_EUlS13_E_NS1_11comp_targetILNS1_3genE2ELNS1_11target_archE906ELNS1_3gpuE6ELNS1_3repE0EEENS1_47radix_sort_onesweep_sort_config_static_selectorELNS0_4arch9wavefront6targetE1EEEvSK_
; %bb.0:
	.section	.rodata,"a",@progbits
	.p2align	6, 0x0
	.amdhsa_kernel _ZN7rocprim17ROCPRIM_400000_NS6detail17trampoline_kernelINS0_14default_configENS1_35radix_sort_onesweep_config_selectorIfNS0_10empty_typeEEEZZNS1_29radix_sort_onesweep_iterationIS3_Lb0EN6thrust23THRUST_200600_302600_NS6detail15normal_iteratorINS9_10device_ptrIfEEEESE_PS5_SF_jNS0_19identity_decomposerENS1_16block_id_wrapperIjLb1EEEEE10hipError_tT1_PNSt15iterator_traitsISK_E10value_typeET2_T3_PNSL_ISQ_E10value_typeET4_T5_PSV_SW_PNS1_23onesweep_lookback_stateEbbT6_jjT7_P12ihipStream_tbENKUlT_T0_SK_SP_E_clISE_SE_SF_SF_EEDaS13_S14_SK_SP_EUlS13_E_NS1_11comp_targetILNS1_3genE2ELNS1_11target_archE906ELNS1_3gpuE6ELNS1_3repE0EEENS1_47radix_sort_onesweep_sort_config_static_selectorELNS0_4arch9wavefront6targetE1EEEvSK_
		.amdhsa_group_segment_fixed_size 0
		.amdhsa_private_segment_fixed_size 0
		.amdhsa_kernarg_size 88
		.amdhsa_user_sgpr_count 2
		.amdhsa_user_sgpr_dispatch_ptr 0
		.amdhsa_user_sgpr_queue_ptr 0
		.amdhsa_user_sgpr_kernarg_segment_ptr 1
		.amdhsa_user_sgpr_dispatch_id 0
		.amdhsa_user_sgpr_kernarg_preload_length 0
		.amdhsa_user_sgpr_kernarg_preload_offset 0
		.amdhsa_user_sgpr_private_segment_size 0
		.amdhsa_uses_dynamic_stack 0
		.amdhsa_enable_private_segment 0
		.amdhsa_system_sgpr_workgroup_id_x 1
		.amdhsa_system_sgpr_workgroup_id_y 0
		.amdhsa_system_sgpr_workgroup_id_z 0
		.amdhsa_system_sgpr_workgroup_info 0
		.amdhsa_system_vgpr_workitem_id 0
		.amdhsa_next_free_vgpr 1
		.amdhsa_next_free_sgpr 0
		.amdhsa_accum_offset 4
		.amdhsa_reserve_vcc 0
		.amdhsa_float_round_mode_32 0
		.amdhsa_float_round_mode_16_64 0
		.amdhsa_float_denorm_mode_32 3
		.amdhsa_float_denorm_mode_16_64 3
		.amdhsa_dx10_clamp 1
		.amdhsa_ieee_mode 1
		.amdhsa_fp16_overflow 0
		.amdhsa_tg_split 0
		.amdhsa_exception_fp_ieee_invalid_op 0
		.amdhsa_exception_fp_denorm_src 0
		.amdhsa_exception_fp_ieee_div_zero 0
		.amdhsa_exception_fp_ieee_overflow 0
		.amdhsa_exception_fp_ieee_underflow 0
		.amdhsa_exception_fp_ieee_inexact 0
		.amdhsa_exception_int_div_zero 0
	.end_amdhsa_kernel
	.section	.text._ZN7rocprim17ROCPRIM_400000_NS6detail17trampoline_kernelINS0_14default_configENS1_35radix_sort_onesweep_config_selectorIfNS0_10empty_typeEEEZZNS1_29radix_sort_onesweep_iterationIS3_Lb0EN6thrust23THRUST_200600_302600_NS6detail15normal_iteratorINS9_10device_ptrIfEEEESE_PS5_SF_jNS0_19identity_decomposerENS1_16block_id_wrapperIjLb1EEEEE10hipError_tT1_PNSt15iterator_traitsISK_E10value_typeET2_T3_PNSL_ISQ_E10value_typeET4_T5_PSV_SW_PNS1_23onesweep_lookback_stateEbbT6_jjT7_P12ihipStream_tbENKUlT_T0_SK_SP_E_clISE_SE_SF_SF_EEDaS13_S14_SK_SP_EUlS13_E_NS1_11comp_targetILNS1_3genE2ELNS1_11target_archE906ELNS1_3gpuE6ELNS1_3repE0EEENS1_47radix_sort_onesweep_sort_config_static_selectorELNS0_4arch9wavefront6targetE1EEEvSK_,"axG",@progbits,_ZN7rocprim17ROCPRIM_400000_NS6detail17trampoline_kernelINS0_14default_configENS1_35radix_sort_onesweep_config_selectorIfNS0_10empty_typeEEEZZNS1_29radix_sort_onesweep_iterationIS3_Lb0EN6thrust23THRUST_200600_302600_NS6detail15normal_iteratorINS9_10device_ptrIfEEEESE_PS5_SF_jNS0_19identity_decomposerENS1_16block_id_wrapperIjLb1EEEEE10hipError_tT1_PNSt15iterator_traitsISK_E10value_typeET2_T3_PNSL_ISQ_E10value_typeET4_T5_PSV_SW_PNS1_23onesweep_lookback_stateEbbT6_jjT7_P12ihipStream_tbENKUlT_T0_SK_SP_E_clISE_SE_SF_SF_EEDaS13_S14_SK_SP_EUlS13_E_NS1_11comp_targetILNS1_3genE2ELNS1_11target_archE906ELNS1_3gpuE6ELNS1_3repE0EEENS1_47radix_sort_onesweep_sort_config_static_selectorELNS0_4arch9wavefront6targetE1EEEvSK_,comdat
.Lfunc_end562:
	.size	_ZN7rocprim17ROCPRIM_400000_NS6detail17trampoline_kernelINS0_14default_configENS1_35radix_sort_onesweep_config_selectorIfNS0_10empty_typeEEEZZNS1_29radix_sort_onesweep_iterationIS3_Lb0EN6thrust23THRUST_200600_302600_NS6detail15normal_iteratorINS9_10device_ptrIfEEEESE_PS5_SF_jNS0_19identity_decomposerENS1_16block_id_wrapperIjLb1EEEEE10hipError_tT1_PNSt15iterator_traitsISK_E10value_typeET2_T3_PNSL_ISQ_E10value_typeET4_T5_PSV_SW_PNS1_23onesweep_lookback_stateEbbT6_jjT7_P12ihipStream_tbENKUlT_T0_SK_SP_E_clISE_SE_SF_SF_EEDaS13_S14_SK_SP_EUlS13_E_NS1_11comp_targetILNS1_3genE2ELNS1_11target_archE906ELNS1_3gpuE6ELNS1_3repE0EEENS1_47radix_sort_onesweep_sort_config_static_selectorELNS0_4arch9wavefront6targetE1EEEvSK_, .Lfunc_end562-_ZN7rocprim17ROCPRIM_400000_NS6detail17trampoline_kernelINS0_14default_configENS1_35radix_sort_onesweep_config_selectorIfNS0_10empty_typeEEEZZNS1_29radix_sort_onesweep_iterationIS3_Lb0EN6thrust23THRUST_200600_302600_NS6detail15normal_iteratorINS9_10device_ptrIfEEEESE_PS5_SF_jNS0_19identity_decomposerENS1_16block_id_wrapperIjLb1EEEEE10hipError_tT1_PNSt15iterator_traitsISK_E10value_typeET2_T3_PNSL_ISQ_E10value_typeET4_T5_PSV_SW_PNS1_23onesweep_lookback_stateEbbT6_jjT7_P12ihipStream_tbENKUlT_T0_SK_SP_E_clISE_SE_SF_SF_EEDaS13_S14_SK_SP_EUlS13_E_NS1_11comp_targetILNS1_3genE2ELNS1_11target_archE906ELNS1_3gpuE6ELNS1_3repE0EEENS1_47radix_sort_onesweep_sort_config_static_selectorELNS0_4arch9wavefront6targetE1EEEvSK_
                                        ; -- End function
	.set _ZN7rocprim17ROCPRIM_400000_NS6detail17trampoline_kernelINS0_14default_configENS1_35radix_sort_onesweep_config_selectorIfNS0_10empty_typeEEEZZNS1_29radix_sort_onesweep_iterationIS3_Lb0EN6thrust23THRUST_200600_302600_NS6detail15normal_iteratorINS9_10device_ptrIfEEEESE_PS5_SF_jNS0_19identity_decomposerENS1_16block_id_wrapperIjLb1EEEEE10hipError_tT1_PNSt15iterator_traitsISK_E10value_typeET2_T3_PNSL_ISQ_E10value_typeET4_T5_PSV_SW_PNS1_23onesweep_lookback_stateEbbT6_jjT7_P12ihipStream_tbENKUlT_T0_SK_SP_E_clISE_SE_SF_SF_EEDaS13_S14_SK_SP_EUlS13_E_NS1_11comp_targetILNS1_3genE2ELNS1_11target_archE906ELNS1_3gpuE6ELNS1_3repE0EEENS1_47radix_sort_onesweep_sort_config_static_selectorELNS0_4arch9wavefront6targetE1EEEvSK_.num_vgpr, 0
	.set _ZN7rocprim17ROCPRIM_400000_NS6detail17trampoline_kernelINS0_14default_configENS1_35radix_sort_onesweep_config_selectorIfNS0_10empty_typeEEEZZNS1_29radix_sort_onesweep_iterationIS3_Lb0EN6thrust23THRUST_200600_302600_NS6detail15normal_iteratorINS9_10device_ptrIfEEEESE_PS5_SF_jNS0_19identity_decomposerENS1_16block_id_wrapperIjLb1EEEEE10hipError_tT1_PNSt15iterator_traitsISK_E10value_typeET2_T3_PNSL_ISQ_E10value_typeET4_T5_PSV_SW_PNS1_23onesweep_lookback_stateEbbT6_jjT7_P12ihipStream_tbENKUlT_T0_SK_SP_E_clISE_SE_SF_SF_EEDaS13_S14_SK_SP_EUlS13_E_NS1_11comp_targetILNS1_3genE2ELNS1_11target_archE906ELNS1_3gpuE6ELNS1_3repE0EEENS1_47radix_sort_onesweep_sort_config_static_selectorELNS0_4arch9wavefront6targetE1EEEvSK_.num_agpr, 0
	.set _ZN7rocprim17ROCPRIM_400000_NS6detail17trampoline_kernelINS0_14default_configENS1_35radix_sort_onesweep_config_selectorIfNS0_10empty_typeEEEZZNS1_29radix_sort_onesweep_iterationIS3_Lb0EN6thrust23THRUST_200600_302600_NS6detail15normal_iteratorINS9_10device_ptrIfEEEESE_PS5_SF_jNS0_19identity_decomposerENS1_16block_id_wrapperIjLb1EEEEE10hipError_tT1_PNSt15iterator_traitsISK_E10value_typeET2_T3_PNSL_ISQ_E10value_typeET4_T5_PSV_SW_PNS1_23onesweep_lookback_stateEbbT6_jjT7_P12ihipStream_tbENKUlT_T0_SK_SP_E_clISE_SE_SF_SF_EEDaS13_S14_SK_SP_EUlS13_E_NS1_11comp_targetILNS1_3genE2ELNS1_11target_archE906ELNS1_3gpuE6ELNS1_3repE0EEENS1_47radix_sort_onesweep_sort_config_static_selectorELNS0_4arch9wavefront6targetE1EEEvSK_.numbered_sgpr, 0
	.set _ZN7rocprim17ROCPRIM_400000_NS6detail17trampoline_kernelINS0_14default_configENS1_35radix_sort_onesweep_config_selectorIfNS0_10empty_typeEEEZZNS1_29radix_sort_onesweep_iterationIS3_Lb0EN6thrust23THRUST_200600_302600_NS6detail15normal_iteratorINS9_10device_ptrIfEEEESE_PS5_SF_jNS0_19identity_decomposerENS1_16block_id_wrapperIjLb1EEEEE10hipError_tT1_PNSt15iterator_traitsISK_E10value_typeET2_T3_PNSL_ISQ_E10value_typeET4_T5_PSV_SW_PNS1_23onesweep_lookback_stateEbbT6_jjT7_P12ihipStream_tbENKUlT_T0_SK_SP_E_clISE_SE_SF_SF_EEDaS13_S14_SK_SP_EUlS13_E_NS1_11comp_targetILNS1_3genE2ELNS1_11target_archE906ELNS1_3gpuE6ELNS1_3repE0EEENS1_47radix_sort_onesweep_sort_config_static_selectorELNS0_4arch9wavefront6targetE1EEEvSK_.num_named_barrier, 0
	.set _ZN7rocprim17ROCPRIM_400000_NS6detail17trampoline_kernelINS0_14default_configENS1_35radix_sort_onesweep_config_selectorIfNS0_10empty_typeEEEZZNS1_29radix_sort_onesweep_iterationIS3_Lb0EN6thrust23THRUST_200600_302600_NS6detail15normal_iteratorINS9_10device_ptrIfEEEESE_PS5_SF_jNS0_19identity_decomposerENS1_16block_id_wrapperIjLb1EEEEE10hipError_tT1_PNSt15iterator_traitsISK_E10value_typeET2_T3_PNSL_ISQ_E10value_typeET4_T5_PSV_SW_PNS1_23onesweep_lookback_stateEbbT6_jjT7_P12ihipStream_tbENKUlT_T0_SK_SP_E_clISE_SE_SF_SF_EEDaS13_S14_SK_SP_EUlS13_E_NS1_11comp_targetILNS1_3genE2ELNS1_11target_archE906ELNS1_3gpuE6ELNS1_3repE0EEENS1_47radix_sort_onesweep_sort_config_static_selectorELNS0_4arch9wavefront6targetE1EEEvSK_.private_seg_size, 0
	.set _ZN7rocprim17ROCPRIM_400000_NS6detail17trampoline_kernelINS0_14default_configENS1_35radix_sort_onesweep_config_selectorIfNS0_10empty_typeEEEZZNS1_29radix_sort_onesweep_iterationIS3_Lb0EN6thrust23THRUST_200600_302600_NS6detail15normal_iteratorINS9_10device_ptrIfEEEESE_PS5_SF_jNS0_19identity_decomposerENS1_16block_id_wrapperIjLb1EEEEE10hipError_tT1_PNSt15iterator_traitsISK_E10value_typeET2_T3_PNSL_ISQ_E10value_typeET4_T5_PSV_SW_PNS1_23onesweep_lookback_stateEbbT6_jjT7_P12ihipStream_tbENKUlT_T0_SK_SP_E_clISE_SE_SF_SF_EEDaS13_S14_SK_SP_EUlS13_E_NS1_11comp_targetILNS1_3genE2ELNS1_11target_archE906ELNS1_3gpuE6ELNS1_3repE0EEENS1_47radix_sort_onesweep_sort_config_static_selectorELNS0_4arch9wavefront6targetE1EEEvSK_.uses_vcc, 0
	.set _ZN7rocprim17ROCPRIM_400000_NS6detail17trampoline_kernelINS0_14default_configENS1_35radix_sort_onesweep_config_selectorIfNS0_10empty_typeEEEZZNS1_29radix_sort_onesweep_iterationIS3_Lb0EN6thrust23THRUST_200600_302600_NS6detail15normal_iteratorINS9_10device_ptrIfEEEESE_PS5_SF_jNS0_19identity_decomposerENS1_16block_id_wrapperIjLb1EEEEE10hipError_tT1_PNSt15iterator_traitsISK_E10value_typeET2_T3_PNSL_ISQ_E10value_typeET4_T5_PSV_SW_PNS1_23onesweep_lookback_stateEbbT6_jjT7_P12ihipStream_tbENKUlT_T0_SK_SP_E_clISE_SE_SF_SF_EEDaS13_S14_SK_SP_EUlS13_E_NS1_11comp_targetILNS1_3genE2ELNS1_11target_archE906ELNS1_3gpuE6ELNS1_3repE0EEENS1_47radix_sort_onesweep_sort_config_static_selectorELNS0_4arch9wavefront6targetE1EEEvSK_.uses_flat_scratch, 0
	.set _ZN7rocprim17ROCPRIM_400000_NS6detail17trampoline_kernelINS0_14default_configENS1_35radix_sort_onesweep_config_selectorIfNS0_10empty_typeEEEZZNS1_29radix_sort_onesweep_iterationIS3_Lb0EN6thrust23THRUST_200600_302600_NS6detail15normal_iteratorINS9_10device_ptrIfEEEESE_PS5_SF_jNS0_19identity_decomposerENS1_16block_id_wrapperIjLb1EEEEE10hipError_tT1_PNSt15iterator_traitsISK_E10value_typeET2_T3_PNSL_ISQ_E10value_typeET4_T5_PSV_SW_PNS1_23onesweep_lookback_stateEbbT6_jjT7_P12ihipStream_tbENKUlT_T0_SK_SP_E_clISE_SE_SF_SF_EEDaS13_S14_SK_SP_EUlS13_E_NS1_11comp_targetILNS1_3genE2ELNS1_11target_archE906ELNS1_3gpuE6ELNS1_3repE0EEENS1_47radix_sort_onesweep_sort_config_static_selectorELNS0_4arch9wavefront6targetE1EEEvSK_.has_dyn_sized_stack, 0
	.set _ZN7rocprim17ROCPRIM_400000_NS6detail17trampoline_kernelINS0_14default_configENS1_35radix_sort_onesweep_config_selectorIfNS0_10empty_typeEEEZZNS1_29radix_sort_onesweep_iterationIS3_Lb0EN6thrust23THRUST_200600_302600_NS6detail15normal_iteratorINS9_10device_ptrIfEEEESE_PS5_SF_jNS0_19identity_decomposerENS1_16block_id_wrapperIjLb1EEEEE10hipError_tT1_PNSt15iterator_traitsISK_E10value_typeET2_T3_PNSL_ISQ_E10value_typeET4_T5_PSV_SW_PNS1_23onesweep_lookback_stateEbbT6_jjT7_P12ihipStream_tbENKUlT_T0_SK_SP_E_clISE_SE_SF_SF_EEDaS13_S14_SK_SP_EUlS13_E_NS1_11comp_targetILNS1_3genE2ELNS1_11target_archE906ELNS1_3gpuE6ELNS1_3repE0EEENS1_47radix_sort_onesweep_sort_config_static_selectorELNS0_4arch9wavefront6targetE1EEEvSK_.has_recursion, 0
	.set _ZN7rocprim17ROCPRIM_400000_NS6detail17trampoline_kernelINS0_14default_configENS1_35radix_sort_onesweep_config_selectorIfNS0_10empty_typeEEEZZNS1_29radix_sort_onesweep_iterationIS3_Lb0EN6thrust23THRUST_200600_302600_NS6detail15normal_iteratorINS9_10device_ptrIfEEEESE_PS5_SF_jNS0_19identity_decomposerENS1_16block_id_wrapperIjLb1EEEEE10hipError_tT1_PNSt15iterator_traitsISK_E10value_typeET2_T3_PNSL_ISQ_E10value_typeET4_T5_PSV_SW_PNS1_23onesweep_lookback_stateEbbT6_jjT7_P12ihipStream_tbENKUlT_T0_SK_SP_E_clISE_SE_SF_SF_EEDaS13_S14_SK_SP_EUlS13_E_NS1_11comp_targetILNS1_3genE2ELNS1_11target_archE906ELNS1_3gpuE6ELNS1_3repE0EEENS1_47radix_sort_onesweep_sort_config_static_selectorELNS0_4arch9wavefront6targetE1EEEvSK_.has_indirect_call, 0
	.section	.AMDGPU.csdata,"",@progbits
; Kernel info:
; codeLenInByte = 0
; TotalNumSgprs: 6
; NumVgprs: 0
; NumAgprs: 0
; TotalNumVgprs: 0
; ScratchSize: 0
; MemoryBound: 0
; FloatMode: 240
; IeeeMode: 1
; LDSByteSize: 0 bytes/workgroup (compile time only)
; SGPRBlocks: 0
; VGPRBlocks: 0
; NumSGPRsForWavesPerEU: 6
; NumVGPRsForWavesPerEU: 1
; AccumOffset: 4
; Occupancy: 8
; WaveLimiterHint : 0
; COMPUTE_PGM_RSRC2:SCRATCH_EN: 0
; COMPUTE_PGM_RSRC2:USER_SGPR: 2
; COMPUTE_PGM_RSRC2:TRAP_HANDLER: 0
; COMPUTE_PGM_RSRC2:TGID_X_EN: 1
; COMPUTE_PGM_RSRC2:TGID_Y_EN: 0
; COMPUTE_PGM_RSRC2:TGID_Z_EN: 0
; COMPUTE_PGM_RSRC2:TIDIG_COMP_CNT: 0
; COMPUTE_PGM_RSRC3_GFX90A:ACCUM_OFFSET: 0
; COMPUTE_PGM_RSRC3_GFX90A:TG_SPLIT: 0
	.section	.text._ZN7rocprim17ROCPRIM_400000_NS6detail17trampoline_kernelINS0_14default_configENS1_35radix_sort_onesweep_config_selectorIfNS0_10empty_typeEEEZZNS1_29radix_sort_onesweep_iterationIS3_Lb0EN6thrust23THRUST_200600_302600_NS6detail15normal_iteratorINS9_10device_ptrIfEEEESE_PS5_SF_jNS0_19identity_decomposerENS1_16block_id_wrapperIjLb1EEEEE10hipError_tT1_PNSt15iterator_traitsISK_E10value_typeET2_T3_PNSL_ISQ_E10value_typeET4_T5_PSV_SW_PNS1_23onesweep_lookback_stateEbbT6_jjT7_P12ihipStream_tbENKUlT_T0_SK_SP_E_clISE_SE_SF_SF_EEDaS13_S14_SK_SP_EUlS13_E_NS1_11comp_targetILNS1_3genE4ELNS1_11target_archE910ELNS1_3gpuE8ELNS1_3repE0EEENS1_47radix_sort_onesweep_sort_config_static_selectorELNS0_4arch9wavefront6targetE1EEEvSK_,"axG",@progbits,_ZN7rocprim17ROCPRIM_400000_NS6detail17trampoline_kernelINS0_14default_configENS1_35radix_sort_onesweep_config_selectorIfNS0_10empty_typeEEEZZNS1_29radix_sort_onesweep_iterationIS3_Lb0EN6thrust23THRUST_200600_302600_NS6detail15normal_iteratorINS9_10device_ptrIfEEEESE_PS5_SF_jNS0_19identity_decomposerENS1_16block_id_wrapperIjLb1EEEEE10hipError_tT1_PNSt15iterator_traitsISK_E10value_typeET2_T3_PNSL_ISQ_E10value_typeET4_T5_PSV_SW_PNS1_23onesweep_lookback_stateEbbT6_jjT7_P12ihipStream_tbENKUlT_T0_SK_SP_E_clISE_SE_SF_SF_EEDaS13_S14_SK_SP_EUlS13_E_NS1_11comp_targetILNS1_3genE4ELNS1_11target_archE910ELNS1_3gpuE8ELNS1_3repE0EEENS1_47radix_sort_onesweep_sort_config_static_selectorELNS0_4arch9wavefront6targetE1EEEvSK_,comdat
	.protected	_ZN7rocprim17ROCPRIM_400000_NS6detail17trampoline_kernelINS0_14default_configENS1_35radix_sort_onesweep_config_selectorIfNS0_10empty_typeEEEZZNS1_29radix_sort_onesweep_iterationIS3_Lb0EN6thrust23THRUST_200600_302600_NS6detail15normal_iteratorINS9_10device_ptrIfEEEESE_PS5_SF_jNS0_19identity_decomposerENS1_16block_id_wrapperIjLb1EEEEE10hipError_tT1_PNSt15iterator_traitsISK_E10value_typeET2_T3_PNSL_ISQ_E10value_typeET4_T5_PSV_SW_PNS1_23onesweep_lookback_stateEbbT6_jjT7_P12ihipStream_tbENKUlT_T0_SK_SP_E_clISE_SE_SF_SF_EEDaS13_S14_SK_SP_EUlS13_E_NS1_11comp_targetILNS1_3genE4ELNS1_11target_archE910ELNS1_3gpuE8ELNS1_3repE0EEENS1_47radix_sort_onesweep_sort_config_static_selectorELNS0_4arch9wavefront6targetE1EEEvSK_ ; -- Begin function _ZN7rocprim17ROCPRIM_400000_NS6detail17trampoline_kernelINS0_14default_configENS1_35radix_sort_onesweep_config_selectorIfNS0_10empty_typeEEEZZNS1_29radix_sort_onesweep_iterationIS3_Lb0EN6thrust23THRUST_200600_302600_NS6detail15normal_iteratorINS9_10device_ptrIfEEEESE_PS5_SF_jNS0_19identity_decomposerENS1_16block_id_wrapperIjLb1EEEEE10hipError_tT1_PNSt15iterator_traitsISK_E10value_typeET2_T3_PNSL_ISQ_E10value_typeET4_T5_PSV_SW_PNS1_23onesweep_lookback_stateEbbT6_jjT7_P12ihipStream_tbENKUlT_T0_SK_SP_E_clISE_SE_SF_SF_EEDaS13_S14_SK_SP_EUlS13_E_NS1_11comp_targetILNS1_3genE4ELNS1_11target_archE910ELNS1_3gpuE8ELNS1_3repE0EEENS1_47radix_sort_onesweep_sort_config_static_selectorELNS0_4arch9wavefront6targetE1EEEvSK_
	.globl	_ZN7rocprim17ROCPRIM_400000_NS6detail17trampoline_kernelINS0_14default_configENS1_35radix_sort_onesweep_config_selectorIfNS0_10empty_typeEEEZZNS1_29radix_sort_onesweep_iterationIS3_Lb0EN6thrust23THRUST_200600_302600_NS6detail15normal_iteratorINS9_10device_ptrIfEEEESE_PS5_SF_jNS0_19identity_decomposerENS1_16block_id_wrapperIjLb1EEEEE10hipError_tT1_PNSt15iterator_traitsISK_E10value_typeET2_T3_PNSL_ISQ_E10value_typeET4_T5_PSV_SW_PNS1_23onesweep_lookback_stateEbbT6_jjT7_P12ihipStream_tbENKUlT_T0_SK_SP_E_clISE_SE_SF_SF_EEDaS13_S14_SK_SP_EUlS13_E_NS1_11comp_targetILNS1_3genE4ELNS1_11target_archE910ELNS1_3gpuE8ELNS1_3repE0EEENS1_47radix_sort_onesweep_sort_config_static_selectorELNS0_4arch9wavefront6targetE1EEEvSK_
	.p2align	8
	.type	_ZN7rocprim17ROCPRIM_400000_NS6detail17trampoline_kernelINS0_14default_configENS1_35radix_sort_onesweep_config_selectorIfNS0_10empty_typeEEEZZNS1_29radix_sort_onesweep_iterationIS3_Lb0EN6thrust23THRUST_200600_302600_NS6detail15normal_iteratorINS9_10device_ptrIfEEEESE_PS5_SF_jNS0_19identity_decomposerENS1_16block_id_wrapperIjLb1EEEEE10hipError_tT1_PNSt15iterator_traitsISK_E10value_typeET2_T3_PNSL_ISQ_E10value_typeET4_T5_PSV_SW_PNS1_23onesweep_lookback_stateEbbT6_jjT7_P12ihipStream_tbENKUlT_T0_SK_SP_E_clISE_SE_SF_SF_EEDaS13_S14_SK_SP_EUlS13_E_NS1_11comp_targetILNS1_3genE4ELNS1_11target_archE910ELNS1_3gpuE8ELNS1_3repE0EEENS1_47radix_sort_onesweep_sort_config_static_selectorELNS0_4arch9wavefront6targetE1EEEvSK_,@function
_ZN7rocprim17ROCPRIM_400000_NS6detail17trampoline_kernelINS0_14default_configENS1_35radix_sort_onesweep_config_selectorIfNS0_10empty_typeEEEZZNS1_29radix_sort_onesweep_iterationIS3_Lb0EN6thrust23THRUST_200600_302600_NS6detail15normal_iteratorINS9_10device_ptrIfEEEESE_PS5_SF_jNS0_19identity_decomposerENS1_16block_id_wrapperIjLb1EEEEE10hipError_tT1_PNSt15iterator_traitsISK_E10value_typeET2_T3_PNSL_ISQ_E10value_typeET4_T5_PSV_SW_PNS1_23onesweep_lookback_stateEbbT6_jjT7_P12ihipStream_tbENKUlT_T0_SK_SP_E_clISE_SE_SF_SF_EEDaS13_S14_SK_SP_EUlS13_E_NS1_11comp_targetILNS1_3genE4ELNS1_11target_archE910ELNS1_3gpuE8ELNS1_3repE0EEENS1_47radix_sort_onesweep_sort_config_static_selectorELNS0_4arch9wavefront6targetE1EEEvSK_: ; @_ZN7rocprim17ROCPRIM_400000_NS6detail17trampoline_kernelINS0_14default_configENS1_35radix_sort_onesweep_config_selectorIfNS0_10empty_typeEEEZZNS1_29radix_sort_onesweep_iterationIS3_Lb0EN6thrust23THRUST_200600_302600_NS6detail15normal_iteratorINS9_10device_ptrIfEEEESE_PS5_SF_jNS0_19identity_decomposerENS1_16block_id_wrapperIjLb1EEEEE10hipError_tT1_PNSt15iterator_traitsISK_E10value_typeET2_T3_PNSL_ISQ_E10value_typeET4_T5_PSV_SW_PNS1_23onesweep_lookback_stateEbbT6_jjT7_P12ihipStream_tbENKUlT_T0_SK_SP_E_clISE_SE_SF_SF_EEDaS13_S14_SK_SP_EUlS13_E_NS1_11comp_targetILNS1_3genE4ELNS1_11target_archE910ELNS1_3gpuE8ELNS1_3repE0EEENS1_47radix_sort_onesweep_sort_config_static_selectorELNS0_4arch9wavefront6targetE1EEEvSK_
; %bb.0:
	.section	.rodata,"a",@progbits
	.p2align	6, 0x0
	.amdhsa_kernel _ZN7rocprim17ROCPRIM_400000_NS6detail17trampoline_kernelINS0_14default_configENS1_35radix_sort_onesweep_config_selectorIfNS0_10empty_typeEEEZZNS1_29radix_sort_onesweep_iterationIS3_Lb0EN6thrust23THRUST_200600_302600_NS6detail15normal_iteratorINS9_10device_ptrIfEEEESE_PS5_SF_jNS0_19identity_decomposerENS1_16block_id_wrapperIjLb1EEEEE10hipError_tT1_PNSt15iterator_traitsISK_E10value_typeET2_T3_PNSL_ISQ_E10value_typeET4_T5_PSV_SW_PNS1_23onesweep_lookback_stateEbbT6_jjT7_P12ihipStream_tbENKUlT_T0_SK_SP_E_clISE_SE_SF_SF_EEDaS13_S14_SK_SP_EUlS13_E_NS1_11comp_targetILNS1_3genE4ELNS1_11target_archE910ELNS1_3gpuE8ELNS1_3repE0EEENS1_47radix_sort_onesweep_sort_config_static_selectorELNS0_4arch9wavefront6targetE1EEEvSK_
		.amdhsa_group_segment_fixed_size 0
		.amdhsa_private_segment_fixed_size 0
		.amdhsa_kernarg_size 88
		.amdhsa_user_sgpr_count 2
		.amdhsa_user_sgpr_dispatch_ptr 0
		.amdhsa_user_sgpr_queue_ptr 0
		.amdhsa_user_sgpr_kernarg_segment_ptr 1
		.amdhsa_user_sgpr_dispatch_id 0
		.amdhsa_user_sgpr_kernarg_preload_length 0
		.amdhsa_user_sgpr_kernarg_preload_offset 0
		.amdhsa_user_sgpr_private_segment_size 0
		.amdhsa_uses_dynamic_stack 0
		.amdhsa_enable_private_segment 0
		.amdhsa_system_sgpr_workgroup_id_x 1
		.amdhsa_system_sgpr_workgroup_id_y 0
		.amdhsa_system_sgpr_workgroup_id_z 0
		.amdhsa_system_sgpr_workgroup_info 0
		.amdhsa_system_vgpr_workitem_id 0
		.amdhsa_next_free_vgpr 1
		.amdhsa_next_free_sgpr 0
		.amdhsa_accum_offset 4
		.amdhsa_reserve_vcc 0
		.amdhsa_float_round_mode_32 0
		.amdhsa_float_round_mode_16_64 0
		.amdhsa_float_denorm_mode_32 3
		.amdhsa_float_denorm_mode_16_64 3
		.amdhsa_dx10_clamp 1
		.amdhsa_ieee_mode 1
		.amdhsa_fp16_overflow 0
		.amdhsa_tg_split 0
		.amdhsa_exception_fp_ieee_invalid_op 0
		.amdhsa_exception_fp_denorm_src 0
		.amdhsa_exception_fp_ieee_div_zero 0
		.amdhsa_exception_fp_ieee_overflow 0
		.amdhsa_exception_fp_ieee_underflow 0
		.amdhsa_exception_fp_ieee_inexact 0
		.amdhsa_exception_int_div_zero 0
	.end_amdhsa_kernel
	.section	.text._ZN7rocprim17ROCPRIM_400000_NS6detail17trampoline_kernelINS0_14default_configENS1_35radix_sort_onesweep_config_selectorIfNS0_10empty_typeEEEZZNS1_29radix_sort_onesweep_iterationIS3_Lb0EN6thrust23THRUST_200600_302600_NS6detail15normal_iteratorINS9_10device_ptrIfEEEESE_PS5_SF_jNS0_19identity_decomposerENS1_16block_id_wrapperIjLb1EEEEE10hipError_tT1_PNSt15iterator_traitsISK_E10value_typeET2_T3_PNSL_ISQ_E10value_typeET4_T5_PSV_SW_PNS1_23onesweep_lookback_stateEbbT6_jjT7_P12ihipStream_tbENKUlT_T0_SK_SP_E_clISE_SE_SF_SF_EEDaS13_S14_SK_SP_EUlS13_E_NS1_11comp_targetILNS1_3genE4ELNS1_11target_archE910ELNS1_3gpuE8ELNS1_3repE0EEENS1_47radix_sort_onesweep_sort_config_static_selectorELNS0_4arch9wavefront6targetE1EEEvSK_,"axG",@progbits,_ZN7rocprim17ROCPRIM_400000_NS6detail17trampoline_kernelINS0_14default_configENS1_35radix_sort_onesweep_config_selectorIfNS0_10empty_typeEEEZZNS1_29radix_sort_onesweep_iterationIS3_Lb0EN6thrust23THRUST_200600_302600_NS6detail15normal_iteratorINS9_10device_ptrIfEEEESE_PS5_SF_jNS0_19identity_decomposerENS1_16block_id_wrapperIjLb1EEEEE10hipError_tT1_PNSt15iterator_traitsISK_E10value_typeET2_T3_PNSL_ISQ_E10value_typeET4_T5_PSV_SW_PNS1_23onesweep_lookback_stateEbbT6_jjT7_P12ihipStream_tbENKUlT_T0_SK_SP_E_clISE_SE_SF_SF_EEDaS13_S14_SK_SP_EUlS13_E_NS1_11comp_targetILNS1_3genE4ELNS1_11target_archE910ELNS1_3gpuE8ELNS1_3repE0EEENS1_47radix_sort_onesweep_sort_config_static_selectorELNS0_4arch9wavefront6targetE1EEEvSK_,comdat
.Lfunc_end563:
	.size	_ZN7rocprim17ROCPRIM_400000_NS6detail17trampoline_kernelINS0_14default_configENS1_35radix_sort_onesweep_config_selectorIfNS0_10empty_typeEEEZZNS1_29radix_sort_onesweep_iterationIS3_Lb0EN6thrust23THRUST_200600_302600_NS6detail15normal_iteratorINS9_10device_ptrIfEEEESE_PS5_SF_jNS0_19identity_decomposerENS1_16block_id_wrapperIjLb1EEEEE10hipError_tT1_PNSt15iterator_traitsISK_E10value_typeET2_T3_PNSL_ISQ_E10value_typeET4_T5_PSV_SW_PNS1_23onesweep_lookback_stateEbbT6_jjT7_P12ihipStream_tbENKUlT_T0_SK_SP_E_clISE_SE_SF_SF_EEDaS13_S14_SK_SP_EUlS13_E_NS1_11comp_targetILNS1_3genE4ELNS1_11target_archE910ELNS1_3gpuE8ELNS1_3repE0EEENS1_47radix_sort_onesweep_sort_config_static_selectorELNS0_4arch9wavefront6targetE1EEEvSK_, .Lfunc_end563-_ZN7rocprim17ROCPRIM_400000_NS6detail17trampoline_kernelINS0_14default_configENS1_35radix_sort_onesweep_config_selectorIfNS0_10empty_typeEEEZZNS1_29radix_sort_onesweep_iterationIS3_Lb0EN6thrust23THRUST_200600_302600_NS6detail15normal_iteratorINS9_10device_ptrIfEEEESE_PS5_SF_jNS0_19identity_decomposerENS1_16block_id_wrapperIjLb1EEEEE10hipError_tT1_PNSt15iterator_traitsISK_E10value_typeET2_T3_PNSL_ISQ_E10value_typeET4_T5_PSV_SW_PNS1_23onesweep_lookback_stateEbbT6_jjT7_P12ihipStream_tbENKUlT_T0_SK_SP_E_clISE_SE_SF_SF_EEDaS13_S14_SK_SP_EUlS13_E_NS1_11comp_targetILNS1_3genE4ELNS1_11target_archE910ELNS1_3gpuE8ELNS1_3repE0EEENS1_47radix_sort_onesweep_sort_config_static_selectorELNS0_4arch9wavefront6targetE1EEEvSK_
                                        ; -- End function
	.set _ZN7rocprim17ROCPRIM_400000_NS6detail17trampoline_kernelINS0_14default_configENS1_35radix_sort_onesweep_config_selectorIfNS0_10empty_typeEEEZZNS1_29radix_sort_onesweep_iterationIS3_Lb0EN6thrust23THRUST_200600_302600_NS6detail15normal_iteratorINS9_10device_ptrIfEEEESE_PS5_SF_jNS0_19identity_decomposerENS1_16block_id_wrapperIjLb1EEEEE10hipError_tT1_PNSt15iterator_traitsISK_E10value_typeET2_T3_PNSL_ISQ_E10value_typeET4_T5_PSV_SW_PNS1_23onesweep_lookback_stateEbbT6_jjT7_P12ihipStream_tbENKUlT_T0_SK_SP_E_clISE_SE_SF_SF_EEDaS13_S14_SK_SP_EUlS13_E_NS1_11comp_targetILNS1_3genE4ELNS1_11target_archE910ELNS1_3gpuE8ELNS1_3repE0EEENS1_47radix_sort_onesweep_sort_config_static_selectorELNS0_4arch9wavefront6targetE1EEEvSK_.num_vgpr, 0
	.set _ZN7rocprim17ROCPRIM_400000_NS6detail17trampoline_kernelINS0_14default_configENS1_35radix_sort_onesweep_config_selectorIfNS0_10empty_typeEEEZZNS1_29radix_sort_onesweep_iterationIS3_Lb0EN6thrust23THRUST_200600_302600_NS6detail15normal_iteratorINS9_10device_ptrIfEEEESE_PS5_SF_jNS0_19identity_decomposerENS1_16block_id_wrapperIjLb1EEEEE10hipError_tT1_PNSt15iterator_traitsISK_E10value_typeET2_T3_PNSL_ISQ_E10value_typeET4_T5_PSV_SW_PNS1_23onesweep_lookback_stateEbbT6_jjT7_P12ihipStream_tbENKUlT_T0_SK_SP_E_clISE_SE_SF_SF_EEDaS13_S14_SK_SP_EUlS13_E_NS1_11comp_targetILNS1_3genE4ELNS1_11target_archE910ELNS1_3gpuE8ELNS1_3repE0EEENS1_47radix_sort_onesweep_sort_config_static_selectorELNS0_4arch9wavefront6targetE1EEEvSK_.num_agpr, 0
	.set _ZN7rocprim17ROCPRIM_400000_NS6detail17trampoline_kernelINS0_14default_configENS1_35radix_sort_onesweep_config_selectorIfNS0_10empty_typeEEEZZNS1_29radix_sort_onesweep_iterationIS3_Lb0EN6thrust23THRUST_200600_302600_NS6detail15normal_iteratorINS9_10device_ptrIfEEEESE_PS5_SF_jNS0_19identity_decomposerENS1_16block_id_wrapperIjLb1EEEEE10hipError_tT1_PNSt15iterator_traitsISK_E10value_typeET2_T3_PNSL_ISQ_E10value_typeET4_T5_PSV_SW_PNS1_23onesweep_lookback_stateEbbT6_jjT7_P12ihipStream_tbENKUlT_T0_SK_SP_E_clISE_SE_SF_SF_EEDaS13_S14_SK_SP_EUlS13_E_NS1_11comp_targetILNS1_3genE4ELNS1_11target_archE910ELNS1_3gpuE8ELNS1_3repE0EEENS1_47radix_sort_onesweep_sort_config_static_selectorELNS0_4arch9wavefront6targetE1EEEvSK_.numbered_sgpr, 0
	.set _ZN7rocprim17ROCPRIM_400000_NS6detail17trampoline_kernelINS0_14default_configENS1_35radix_sort_onesweep_config_selectorIfNS0_10empty_typeEEEZZNS1_29radix_sort_onesweep_iterationIS3_Lb0EN6thrust23THRUST_200600_302600_NS6detail15normal_iteratorINS9_10device_ptrIfEEEESE_PS5_SF_jNS0_19identity_decomposerENS1_16block_id_wrapperIjLb1EEEEE10hipError_tT1_PNSt15iterator_traitsISK_E10value_typeET2_T3_PNSL_ISQ_E10value_typeET4_T5_PSV_SW_PNS1_23onesweep_lookback_stateEbbT6_jjT7_P12ihipStream_tbENKUlT_T0_SK_SP_E_clISE_SE_SF_SF_EEDaS13_S14_SK_SP_EUlS13_E_NS1_11comp_targetILNS1_3genE4ELNS1_11target_archE910ELNS1_3gpuE8ELNS1_3repE0EEENS1_47radix_sort_onesweep_sort_config_static_selectorELNS0_4arch9wavefront6targetE1EEEvSK_.num_named_barrier, 0
	.set _ZN7rocprim17ROCPRIM_400000_NS6detail17trampoline_kernelINS0_14default_configENS1_35radix_sort_onesweep_config_selectorIfNS0_10empty_typeEEEZZNS1_29radix_sort_onesweep_iterationIS3_Lb0EN6thrust23THRUST_200600_302600_NS6detail15normal_iteratorINS9_10device_ptrIfEEEESE_PS5_SF_jNS0_19identity_decomposerENS1_16block_id_wrapperIjLb1EEEEE10hipError_tT1_PNSt15iterator_traitsISK_E10value_typeET2_T3_PNSL_ISQ_E10value_typeET4_T5_PSV_SW_PNS1_23onesweep_lookback_stateEbbT6_jjT7_P12ihipStream_tbENKUlT_T0_SK_SP_E_clISE_SE_SF_SF_EEDaS13_S14_SK_SP_EUlS13_E_NS1_11comp_targetILNS1_3genE4ELNS1_11target_archE910ELNS1_3gpuE8ELNS1_3repE0EEENS1_47radix_sort_onesweep_sort_config_static_selectorELNS0_4arch9wavefront6targetE1EEEvSK_.private_seg_size, 0
	.set _ZN7rocprim17ROCPRIM_400000_NS6detail17trampoline_kernelINS0_14default_configENS1_35radix_sort_onesweep_config_selectorIfNS0_10empty_typeEEEZZNS1_29radix_sort_onesweep_iterationIS3_Lb0EN6thrust23THRUST_200600_302600_NS6detail15normal_iteratorINS9_10device_ptrIfEEEESE_PS5_SF_jNS0_19identity_decomposerENS1_16block_id_wrapperIjLb1EEEEE10hipError_tT1_PNSt15iterator_traitsISK_E10value_typeET2_T3_PNSL_ISQ_E10value_typeET4_T5_PSV_SW_PNS1_23onesweep_lookback_stateEbbT6_jjT7_P12ihipStream_tbENKUlT_T0_SK_SP_E_clISE_SE_SF_SF_EEDaS13_S14_SK_SP_EUlS13_E_NS1_11comp_targetILNS1_3genE4ELNS1_11target_archE910ELNS1_3gpuE8ELNS1_3repE0EEENS1_47radix_sort_onesweep_sort_config_static_selectorELNS0_4arch9wavefront6targetE1EEEvSK_.uses_vcc, 0
	.set _ZN7rocprim17ROCPRIM_400000_NS6detail17trampoline_kernelINS0_14default_configENS1_35radix_sort_onesweep_config_selectorIfNS0_10empty_typeEEEZZNS1_29radix_sort_onesweep_iterationIS3_Lb0EN6thrust23THRUST_200600_302600_NS6detail15normal_iteratorINS9_10device_ptrIfEEEESE_PS5_SF_jNS0_19identity_decomposerENS1_16block_id_wrapperIjLb1EEEEE10hipError_tT1_PNSt15iterator_traitsISK_E10value_typeET2_T3_PNSL_ISQ_E10value_typeET4_T5_PSV_SW_PNS1_23onesweep_lookback_stateEbbT6_jjT7_P12ihipStream_tbENKUlT_T0_SK_SP_E_clISE_SE_SF_SF_EEDaS13_S14_SK_SP_EUlS13_E_NS1_11comp_targetILNS1_3genE4ELNS1_11target_archE910ELNS1_3gpuE8ELNS1_3repE0EEENS1_47radix_sort_onesweep_sort_config_static_selectorELNS0_4arch9wavefront6targetE1EEEvSK_.uses_flat_scratch, 0
	.set _ZN7rocprim17ROCPRIM_400000_NS6detail17trampoline_kernelINS0_14default_configENS1_35radix_sort_onesweep_config_selectorIfNS0_10empty_typeEEEZZNS1_29radix_sort_onesweep_iterationIS3_Lb0EN6thrust23THRUST_200600_302600_NS6detail15normal_iteratorINS9_10device_ptrIfEEEESE_PS5_SF_jNS0_19identity_decomposerENS1_16block_id_wrapperIjLb1EEEEE10hipError_tT1_PNSt15iterator_traitsISK_E10value_typeET2_T3_PNSL_ISQ_E10value_typeET4_T5_PSV_SW_PNS1_23onesweep_lookback_stateEbbT6_jjT7_P12ihipStream_tbENKUlT_T0_SK_SP_E_clISE_SE_SF_SF_EEDaS13_S14_SK_SP_EUlS13_E_NS1_11comp_targetILNS1_3genE4ELNS1_11target_archE910ELNS1_3gpuE8ELNS1_3repE0EEENS1_47radix_sort_onesweep_sort_config_static_selectorELNS0_4arch9wavefront6targetE1EEEvSK_.has_dyn_sized_stack, 0
	.set _ZN7rocprim17ROCPRIM_400000_NS6detail17trampoline_kernelINS0_14default_configENS1_35radix_sort_onesweep_config_selectorIfNS0_10empty_typeEEEZZNS1_29radix_sort_onesweep_iterationIS3_Lb0EN6thrust23THRUST_200600_302600_NS6detail15normal_iteratorINS9_10device_ptrIfEEEESE_PS5_SF_jNS0_19identity_decomposerENS1_16block_id_wrapperIjLb1EEEEE10hipError_tT1_PNSt15iterator_traitsISK_E10value_typeET2_T3_PNSL_ISQ_E10value_typeET4_T5_PSV_SW_PNS1_23onesweep_lookback_stateEbbT6_jjT7_P12ihipStream_tbENKUlT_T0_SK_SP_E_clISE_SE_SF_SF_EEDaS13_S14_SK_SP_EUlS13_E_NS1_11comp_targetILNS1_3genE4ELNS1_11target_archE910ELNS1_3gpuE8ELNS1_3repE0EEENS1_47radix_sort_onesweep_sort_config_static_selectorELNS0_4arch9wavefront6targetE1EEEvSK_.has_recursion, 0
	.set _ZN7rocprim17ROCPRIM_400000_NS6detail17trampoline_kernelINS0_14default_configENS1_35radix_sort_onesweep_config_selectorIfNS0_10empty_typeEEEZZNS1_29radix_sort_onesweep_iterationIS3_Lb0EN6thrust23THRUST_200600_302600_NS6detail15normal_iteratorINS9_10device_ptrIfEEEESE_PS5_SF_jNS0_19identity_decomposerENS1_16block_id_wrapperIjLb1EEEEE10hipError_tT1_PNSt15iterator_traitsISK_E10value_typeET2_T3_PNSL_ISQ_E10value_typeET4_T5_PSV_SW_PNS1_23onesweep_lookback_stateEbbT6_jjT7_P12ihipStream_tbENKUlT_T0_SK_SP_E_clISE_SE_SF_SF_EEDaS13_S14_SK_SP_EUlS13_E_NS1_11comp_targetILNS1_3genE4ELNS1_11target_archE910ELNS1_3gpuE8ELNS1_3repE0EEENS1_47radix_sort_onesweep_sort_config_static_selectorELNS0_4arch9wavefront6targetE1EEEvSK_.has_indirect_call, 0
	.section	.AMDGPU.csdata,"",@progbits
; Kernel info:
; codeLenInByte = 0
; TotalNumSgprs: 6
; NumVgprs: 0
; NumAgprs: 0
; TotalNumVgprs: 0
; ScratchSize: 0
; MemoryBound: 0
; FloatMode: 240
; IeeeMode: 1
; LDSByteSize: 0 bytes/workgroup (compile time only)
; SGPRBlocks: 0
; VGPRBlocks: 0
; NumSGPRsForWavesPerEU: 6
; NumVGPRsForWavesPerEU: 1
; AccumOffset: 4
; Occupancy: 8
; WaveLimiterHint : 0
; COMPUTE_PGM_RSRC2:SCRATCH_EN: 0
; COMPUTE_PGM_RSRC2:USER_SGPR: 2
; COMPUTE_PGM_RSRC2:TRAP_HANDLER: 0
; COMPUTE_PGM_RSRC2:TGID_X_EN: 1
; COMPUTE_PGM_RSRC2:TGID_Y_EN: 0
; COMPUTE_PGM_RSRC2:TGID_Z_EN: 0
; COMPUTE_PGM_RSRC2:TIDIG_COMP_CNT: 0
; COMPUTE_PGM_RSRC3_GFX90A:ACCUM_OFFSET: 0
; COMPUTE_PGM_RSRC3_GFX90A:TG_SPLIT: 0
	.section	.text._ZN7rocprim17ROCPRIM_400000_NS6detail17trampoline_kernelINS0_14default_configENS1_35radix_sort_onesweep_config_selectorIfNS0_10empty_typeEEEZZNS1_29radix_sort_onesweep_iterationIS3_Lb0EN6thrust23THRUST_200600_302600_NS6detail15normal_iteratorINS9_10device_ptrIfEEEESE_PS5_SF_jNS0_19identity_decomposerENS1_16block_id_wrapperIjLb1EEEEE10hipError_tT1_PNSt15iterator_traitsISK_E10value_typeET2_T3_PNSL_ISQ_E10value_typeET4_T5_PSV_SW_PNS1_23onesweep_lookback_stateEbbT6_jjT7_P12ihipStream_tbENKUlT_T0_SK_SP_E_clISE_SE_SF_SF_EEDaS13_S14_SK_SP_EUlS13_E_NS1_11comp_targetILNS1_3genE3ELNS1_11target_archE908ELNS1_3gpuE7ELNS1_3repE0EEENS1_47radix_sort_onesweep_sort_config_static_selectorELNS0_4arch9wavefront6targetE1EEEvSK_,"axG",@progbits,_ZN7rocprim17ROCPRIM_400000_NS6detail17trampoline_kernelINS0_14default_configENS1_35radix_sort_onesweep_config_selectorIfNS0_10empty_typeEEEZZNS1_29radix_sort_onesweep_iterationIS3_Lb0EN6thrust23THRUST_200600_302600_NS6detail15normal_iteratorINS9_10device_ptrIfEEEESE_PS5_SF_jNS0_19identity_decomposerENS1_16block_id_wrapperIjLb1EEEEE10hipError_tT1_PNSt15iterator_traitsISK_E10value_typeET2_T3_PNSL_ISQ_E10value_typeET4_T5_PSV_SW_PNS1_23onesweep_lookback_stateEbbT6_jjT7_P12ihipStream_tbENKUlT_T0_SK_SP_E_clISE_SE_SF_SF_EEDaS13_S14_SK_SP_EUlS13_E_NS1_11comp_targetILNS1_3genE3ELNS1_11target_archE908ELNS1_3gpuE7ELNS1_3repE0EEENS1_47radix_sort_onesweep_sort_config_static_selectorELNS0_4arch9wavefront6targetE1EEEvSK_,comdat
	.protected	_ZN7rocprim17ROCPRIM_400000_NS6detail17trampoline_kernelINS0_14default_configENS1_35radix_sort_onesweep_config_selectorIfNS0_10empty_typeEEEZZNS1_29radix_sort_onesweep_iterationIS3_Lb0EN6thrust23THRUST_200600_302600_NS6detail15normal_iteratorINS9_10device_ptrIfEEEESE_PS5_SF_jNS0_19identity_decomposerENS1_16block_id_wrapperIjLb1EEEEE10hipError_tT1_PNSt15iterator_traitsISK_E10value_typeET2_T3_PNSL_ISQ_E10value_typeET4_T5_PSV_SW_PNS1_23onesweep_lookback_stateEbbT6_jjT7_P12ihipStream_tbENKUlT_T0_SK_SP_E_clISE_SE_SF_SF_EEDaS13_S14_SK_SP_EUlS13_E_NS1_11comp_targetILNS1_3genE3ELNS1_11target_archE908ELNS1_3gpuE7ELNS1_3repE0EEENS1_47radix_sort_onesweep_sort_config_static_selectorELNS0_4arch9wavefront6targetE1EEEvSK_ ; -- Begin function _ZN7rocprim17ROCPRIM_400000_NS6detail17trampoline_kernelINS0_14default_configENS1_35radix_sort_onesweep_config_selectorIfNS0_10empty_typeEEEZZNS1_29radix_sort_onesweep_iterationIS3_Lb0EN6thrust23THRUST_200600_302600_NS6detail15normal_iteratorINS9_10device_ptrIfEEEESE_PS5_SF_jNS0_19identity_decomposerENS1_16block_id_wrapperIjLb1EEEEE10hipError_tT1_PNSt15iterator_traitsISK_E10value_typeET2_T3_PNSL_ISQ_E10value_typeET4_T5_PSV_SW_PNS1_23onesweep_lookback_stateEbbT6_jjT7_P12ihipStream_tbENKUlT_T0_SK_SP_E_clISE_SE_SF_SF_EEDaS13_S14_SK_SP_EUlS13_E_NS1_11comp_targetILNS1_3genE3ELNS1_11target_archE908ELNS1_3gpuE7ELNS1_3repE0EEENS1_47radix_sort_onesweep_sort_config_static_selectorELNS0_4arch9wavefront6targetE1EEEvSK_
	.globl	_ZN7rocprim17ROCPRIM_400000_NS6detail17trampoline_kernelINS0_14default_configENS1_35radix_sort_onesweep_config_selectorIfNS0_10empty_typeEEEZZNS1_29radix_sort_onesweep_iterationIS3_Lb0EN6thrust23THRUST_200600_302600_NS6detail15normal_iteratorINS9_10device_ptrIfEEEESE_PS5_SF_jNS0_19identity_decomposerENS1_16block_id_wrapperIjLb1EEEEE10hipError_tT1_PNSt15iterator_traitsISK_E10value_typeET2_T3_PNSL_ISQ_E10value_typeET4_T5_PSV_SW_PNS1_23onesweep_lookback_stateEbbT6_jjT7_P12ihipStream_tbENKUlT_T0_SK_SP_E_clISE_SE_SF_SF_EEDaS13_S14_SK_SP_EUlS13_E_NS1_11comp_targetILNS1_3genE3ELNS1_11target_archE908ELNS1_3gpuE7ELNS1_3repE0EEENS1_47radix_sort_onesweep_sort_config_static_selectorELNS0_4arch9wavefront6targetE1EEEvSK_
	.p2align	8
	.type	_ZN7rocprim17ROCPRIM_400000_NS6detail17trampoline_kernelINS0_14default_configENS1_35radix_sort_onesweep_config_selectorIfNS0_10empty_typeEEEZZNS1_29radix_sort_onesweep_iterationIS3_Lb0EN6thrust23THRUST_200600_302600_NS6detail15normal_iteratorINS9_10device_ptrIfEEEESE_PS5_SF_jNS0_19identity_decomposerENS1_16block_id_wrapperIjLb1EEEEE10hipError_tT1_PNSt15iterator_traitsISK_E10value_typeET2_T3_PNSL_ISQ_E10value_typeET4_T5_PSV_SW_PNS1_23onesweep_lookback_stateEbbT6_jjT7_P12ihipStream_tbENKUlT_T0_SK_SP_E_clISE_SE_SF_SF_EEDaS13_S14_SK_SP_EUlS13_E_NS1_11comp_targetILNS1_3genE3ELNS1_11target_archE908ELNS1_3gpuE7ELNS1_3repE0EEENS1_47radix_sort_onesweep_sort_config_static_selectorELNS0_4arch9wavefront6targetE1EEEvSK_,@function
_ZN7rocprim17ROCPRIM_400000_NS6detail17trampoline_kernelINS0_14default_configENS1_35radix_sort_onesweep_config_selectorIfNS0_10empty_typeEEEZZNS1_29radix_sort_onesweep_iterationIS3_Lb0EN6thrust23THRUST_200600_302600_NS6detail15normal_iteratorINS9_10device_ptrIfEEEESE_PS5_SF_jNS0_19identity_decomposerENS1_16block_id_wrapperIjLb1EEEEE10hipError_tT1_PNSt15iterator_traitsISK_E10value_typeET2_T3_PNSL_ISQ_E10value_typeET4_T5_PSV_SW_PNS1_23onesweep_lookback_stateEbbT6_jjT7_P12ihipStream_tbENKUlT_T0_SK_SP_E_clISE_SE_SF_SF_EEDaS13_S14_SK_SP_EUlS13_E_NS1_11comp_targetILNS1_3genE3ELNS1_11target_archE908ELNS1_3gpuE7ELNS1_3repE0EEENS1_47radix_sort_onesweep_sort_config_static_selectorELNS0_4arch9wavefront6targetE1EEEvSK_: ; @_ZN7rocprim17ROCPRIM_400000_NS6detail17trampoline_kernelINS0_14default_configENS1_35radix_sort_onesweep_config_selectorIfNS0_10empty_typeEEEZZNS1_29radix_sort_onesweep_iterationIS3_Lb0EN6thrust23THRUST_200600_302600_NS6detail15normal_iteratorINS9_10device_ptrIfEEEESE_PS5_SF_jNS0_19identity_decomposerENS1_16block_id_wrapperIjLb1EEEEE10hipError_tT1_PNSt15iterator_traitsISK_E10value_typeET2_T3_PNSL_ISQ_E10value_typeET4_T5_PSV_SW_PNS1_23onesweep_lookback_stateEbbT6_jjT7_P12ihipStream_tbENKUlT_T0_SK_SP_E_clISE_SE_SF_SF_EEDaS13_S14_SK_SP_EUlS13_E_NS1_11comp_targetILNS1_3genE3ELNS1_11target_archE908ELNS1_3gpuE7ELNS1_3repE0EEENS1_47radix_sort_onesweep_sort_config_static_selectorELNS0_4arch9wavefront6targetE1EEEvSK_
; %bb.0:
	.section	.rodata,"a",@progbits
	.p2align	6, 0x0
	.amdhsa_kernel _ZN7rocprim17ROCPRIM_400000_NS6detail17trampoline_kernelINS0_14default_configENS1_35radix_sort_onesweep_config_selectorIfNS0_10empty_typeEEEZZNS1_29radix_sort_onesweep_iterationIS3_Lb0EN6thrust23THRUST_200600_302600_NS6detail15normal_iteratorINS9_10device_ptrIfEEEESE_PS5_SF_jNS0_19identity_decomposerENS1_16block_id_wrapperIjLb1EEEEE10hipError_tT1_PNSt15iterator_traitsISK_E10value_typeET2_T3_PNSL_ISQ_E10value_typeET4_T5_PSV_SW_PNS1_23onesweep_lookback_stateEbbT6_jjT7_P12ihipStream_tbENKUlT_T0_SK_SP_E_clISE_SE_SF_SF_EEDaS13_S14_SK_SP_EUlS13_E_NS1_11comp_targetILNS1_3genE3ELNS1_11target_archE908ELNS1_3gpuE7ELNS1_3repE0EEENS1_47radix_sort_onesweep_sort_config_static_selectorELNS0_4arch9wavefront6targetE1EEEvSK_
		.amdhsa_group_segment_fixed_size 0
		.amdhsa_private_segment_fixed_size 0
		.amdhsa_kernarg_size 88
		.amdhsa_user_sgpr_count 2
		.amdhsa_user_sgpr_dispatch_ptr 0
		.amdhsa_user_sgpr_queue_ptr 0
		.amdhsa_user_sgpr_kernarg_segment_ptr 1
		.amdhsa_user_sgpr_dispatch_id 0
		.amdhsa_user_sgpr_kernarg_preload_length 0
		.amdhsa_user_sgpr_kernarg_preload_offset 0
		.amdhsa_user_sgpr_private_segment_size 0
		.amdhsa_uses_dynamic_stack 0
		.amdhsa_enable_private_segment 0
		.amdhsa_system_sgpr_workgroup_id_x 1
		.amdhsa_system_sgpr_workgroup_id_y 0
		.amdhsa_system_sgpr_workgroup_id_z 0
		.amdhsa_system_sgpr_workgroup_info 0
		.amdhsa_system_vgpr_workitem_id 0
		.amdhsa_next_free_vgpr 1
		.amdhsa_next_free_sgpr 0
		.amdhsa_accum_offset 4
		.amdhsa_reserve_vcc 0
		.amdhsa_float_round_mode_32 0
		.amdhsa_float_round_mode_16_64 0
		.amdhsa_float_denorm_mode_32 3
		.amdhsa_float_denorm_mode_16_64 3
		.amdhsa_dx10_clamp 1
		.amdhsa_ieee_mode 1
		.amdhsa_fp16_overflow 0
		.amdhsa_tg_split 0
		.amdhsa_exception_fp_ieee_invalid_op 0
		.amdhsa_exception_fp_denorm_src 0
		.amdhsa_exception_fp_ieee_div_zero 0
		.amdhsa_exception_fp_ieee_overflow 0
		.amdhsa_exception_fp_ieee_underflow 0
		.amdhsa_exception_fp_ieee_inexact 0
		.amdhsa_exception_int_div_zero 0
	.end_amdhsa_kernel
	.section	.text._ZN7rocprim17ROCPRIM_400000_NS6detail17trampoline_kernelINS0_14default_configENS1_35radix_sort_onesweep_config_selectorIfNS0_10empty_typeEEEZZNS1_29radix_sort_onesweep_iterationIS3_Lb0EN6thrust23THRUST_200600_302600_NS6detail15normal_iteratorINS9_10device_ptrIfEEEESE_PS5_SF_jNS0_19identity_decomposerENS1_16block_id_wrapperIjLb1EEEEE10hipError_tT1_PNSt15iterator_traitsISK_E10value_typeET2_T3_PNSL_ISQ_E10value_typeET4_T5_PSV_SW_PNS1_23onesweep_lookback_stateEbbT6_jjT7_P12ihipStream_tbENKUlT_T0_SK_SP_E_clISE_SE_SF_SF_EEDaS13_S14_SK_SP_EUlS13_E_NS1_11comp_targetILNS1_3genE3ELNS1_11target_archE908ELNS1_3gpuE7ELNS1_3repE0EEENS1_47radix_sort_onesweep_sort_config_static_selectorELNS0_4arch9wavefront6targetE1EEEvSK_,"axG",@progbits,_ZN7rocprim17ROCPRIM_400000_NS6detail17trampoline_kernelINS0_14default_configENS1_35radix_sort_onesweep_config_selectorIfNS0_10empty_typeEEEZZNS1_29radix_sort_onesweep_iterationIS3_Lb0EN6thrust23THRUST_200600_302600_NS6detail15normal_iteratorINS9_10device_ptrIfEEEESE_PS5_SF_jNS0_19identity_decomposerENS1_16block_id_wrapperIjLb1EEEEE10hipError_tT1_PNSt15iterator_traitsISK_E10value_typeET2_T3_PNSL_ISQ_E10value_typeET4_T5_PSV_SW_PNS1_23onesweep_lookback_stateEbbT6_jjT7_P12ihipStream_tbENKUlT_T0_SK_SP_E_clISE_SE_SF_SF_EEDaS13_S14_SK_SP_EUlS13_E_NS1_11comp_targetILNS1_3genE3ELNS1_11target_archE908ELNS1_3gpuE7ELNS1_3repE0EEENS1_47radix_sort_onesweep_sort_config_static_selectorELNS0_4arch9wavefront6targetE1EEEvSK_,comdat
.Lfunc_end564:
	.size	_ZN7rocprim17ROCPRIM_400000_NS6detail17trampoline_kernelINS0_14default_configENS1_35radix_sort_onesweep_config_selectorIfNS0_10empty_typeEEEZZNS1_29radix_sort_onesweep_iterationIS3_Lb0EN6thrust23THRUST_200600_302600_NS6detail15normal_iteratorINS9_10device_ptrIfEEEESE_PS5_SF_jNS0_19identity_decomposerENS1_16block_id_wrapperIjLb1EEEEE10hipError_tT1_PNSt15iterator_traitsISK_E10value_typeET2_T3_PNSL_ISQ_E10value_typeET4_T5_PSV_SW_PNS1_23onesweep_lookback_stateEbbT6_jjT7_P12ihipStream_tbENKUlT_T0_SK_SP_E_clISE_SE_SF_SF_EEDaS13_S14_SK_SP_EUlS13_E_NS1_11comp_targetILNS1_3genE3ELNS1_11target_archE908ELNS1_3gpuE7ELNS1_3repE0EEENS1_47radix_sort_onesweep_sort_config_static_selectorELNS0_4arch9wavefront6targetE1EEEvSK_, .Lfunc_end564-_ZN7rocprim17ROCPRIM_400000_NS6detail17trampoline_kernelINS0_14default_configENS1_35radix_sort_onesweep_config_selectorIfNS0_10empty_typeEEEZZNS1_29radix_sort_onesweep_iterationIS3_Lb0EN6thrust23THRUST_200600_302600_NS6detail15normal_iteratorINS9_10device_ptrIfEEEESE_PS5_SF_jNS0_19identity_decomposerENS1_16block_id_wrapperIjLb1EEEEE10hipError_tT1_PNSt15iterator_traitsISK_E10value_typeET2_T3_PNSL_ISQ_E10value_typeET4_T5_PSV_SW_PNS1_23onesweep_lookback_stateEbbT6_jjT7_P12ihipStream_tbENKUlT_T0_SK_SP_E_clISE_SE_SF_SF_EEDaS13_S14_SK_SP_EUlS13_E_NS1_11comp_targetILNS1_3genE3ELNS1_11target_archE908ELNS1_3gpuE7ELNS1_3repE0EEENS1_47radix_sort_onesweep_sort_config_static_selectorELNS0_4arch9wavefront6targetE1EEEvSK_
                                        ; -- End function
	.set _ZN7rocprim17ROCPRIM_400000_NS6detail17trampoline_kernelINS0_14default_configENS1_35radix_sort_onesweep_config_selectorIfNS0_10empty_typeEEEZZNS1_29radix_sort_onesweep_iterationIS3_Lb0EN6thrust23THRUST_200600_302600_NS6detail15normal_iteratorINS9_10device_ptrIfEEEESE_PS5_SF_jNS0_19identity_decomposerENS1_16block_id_wrapperIjLb1EEEEE10hipError_tT1_PNSt15iterator_traitsISK_E10value_typeET2_T3_PNSL_ISQ_E10value_typeET4_T5_PSV_SW_PNS1_23onesweep_lookback_stateEbbT6_jjT7_P12ihipStream_tbENKUlT_T0_SK_SP_E_clISE_SE_SF_SF_EEDaS13_S14_SK_SP_EUlS13_E_NS1_11comp_targetILNS1_3genE3ELNS1_11target_archE908ELNS1_3gpuE7ELNS1_3repE0EEENS1_47radix_sort_onesweep_sort_config_static_selectorELNS0_4arch9wavefront6targetE1EEEvSK_.num_vgpr, 0
	.set _ZN7rocprim17ROCPRIM_400000_NS6detail17trampoline_kernelINS0_14default_configENS1_35radix_sort_onesweep_config_selectorIfNS0_10empty_typeEEEZZNS1_29radix_sort_onesweep_iterationIS3_Lb0EN6thrust23THRUST_200600_302600_NS6detail15normal_iteratorINS9_10device_ptrIfEEEESE_PS5_SF_jNS0_19identity_decomposerENS1_16block_id_wrapperIjLb1EEEEE10hipError_tT1_PNSt15iterator_traitsISK_E10value_typeET2_T3_PNSL_ISQ_E10value_typeET4_T5_PSV_SW_PNS1_23onesweep_lookback_stateEbbT6_jjT7_P12ihipStream_tbENKUlT_T0_SK_SP_E_clISE_SE_SF_SF_EEDaS13_S14_SK_SP_EUlS13_E_NS1_11comp_targetILNS1_3genE3ELNS1_11target_archE908ELNS1_3gpuE7ELNS1_3repE0EEENS1_47radix_sort_onesweep_sort_config_static_selectorELNS0_4arch9wavefront6targetE1EEEvSK_.num_agpr, 0
	.set _ZN7rocprim17ROCPRIM_400000_NS6detail17trampoline_kernelINS0_14default_configENS1_35radix_sort_onesweep_config_selectorIfNS0_10empty_typeEEEZZNS1_29radix_sort_onesweep_iterationIS3_Lb0EN6thrust23THRUST_200600_302600_NS6detail15normal_iteratorINS9_10device_ptrIfEEEESE_PS5_SF_jNS0_19identity_decomposerENS1_16block_id_wrapperIjLb1EEEEE10hipError_tT1_PNSt15iterator_traitsISK_E10value_typeET2_T3_PNSL_ISQ_E10value_typeET4_T5_PSV_SW_PNS1_23onesweep_lookback_stateEbbT6_jjT7_P12ihipStream_tbENKUlT_T0_SK_SP_E_clISE_SE_SF_SF_EEDaS13_S14_SK_SP_EUlS13_E_NS1_11comp_targetILNS1_3genE3ELNS1_11target_archE908ELNS1_3gpuE7ELNS1_3repE0EEENS1_47radix_sort_onesweep_sort_config_static_selectorELNS0_4arch9wavefront6targetE1EEEvSK_.numbered_sgpr, 0
	.set _ZN7rocprim17ROCPRIM_400000_NS6detail17trampoline_kernelINS0_14default_configENS1_35radix_sort_onesweep_config_selectorIfNS0_10empty_typeEEEZZNS1_29radix_sort_onesweep_iterationIS3_Lb0EN6thrust23THRUST_200600_302600_NS6detail15normal_iteratorINS9_10device_ptrIfEEEESE_PS5_SF_jNS0_19identity_decomposerENS1_16block_id_wrapperIjLb1EEEEE10hipError_tT1_PNSt15iterator_traitsISK_E10value_typeET2_T3_PNSL_ISQ_E10value_typeET4_T5_PSV_SW_PNS1_23onesweep_lookback_stateEbbT6_jjT7_P12ihipStream_tbENKUlT_T0_SK_SP_E_clISE_SE_SF_SF_EEDaS13_S14_SK_SP_EUlS13_E_NS1_11comp_targetILNS1_3genE3ELNS1_11target_archE908ELNS1_3gpuE7ELNS1_3repE0EEENS1_47radix_sort_onesweep_sort_config_static_selectorELNS0_4arch9wavefront6targetE1EEEvSK_.num_named_barrier, 0
	.set _ZN7rocprim17ROCPRIM_400000_NS6detail17trampoline_kernelINS0_14default_configENS1_35radix_sort_onesweep_config_selectorIfNS0_10empty_typeEEEZZNS1_29radix_sort_onesweep_iterationIS3_Lb0EN6thrust23THRUST_200600_302600_NS6detail15normal_iteratorINS9_10device_ptrIfEEEESE_PS5_SF_jNS0_19identity_decomposerENS1_16block_id_wrapperIjLb1EEEEE10hipError_tT1_PNSt15iterator_traitsISK_E10value_typeET2_T3_PNSL_ISQ_E10value_typeET4_T5_PSV_SW_PNS1_23onesweep_lookback_stateEbbT6_jjT7_P12ihipStream_tbENKUlT_T0_SK_SP_E_clISE_SE_SF_SF_EEDaS13_S14_SK_SP_EUlS13_E_NS1_11comp_targetILNS1_3genE3ELNS1_11target_archE908ELNS1_3gpuE7ELNS1_3repE0EEENS1_47radix_sort_onesweep_sort_config_static_selectorELNS0_4arch9wavefront6targetE1EEEvSK_.private_seg_size, 0
	.set _ZN7rocprim17ROCPRIM_400000_NS6detail17trampoline_kernelINS0_14default_configENS1_35radix_sort_onesweep_config_selectorIfNS0_10empty_typeEEEZZNS1_29radix_sort_onesweep_iterationIS3_Lb0EN6thrust23THRUST_200600_302600_NS6detail15normal_iteratorINS9_10device_ptrIfEEEESE_PS5_SF_jNS0_19identity_decomposerENS1_16block_id_wrapperIjLb1EEEEE10hipError_tT1_PNSt15iterator_traitsISK_E10value_typeET2_T3_PNSL_ISQ_E10value_typeET4_T5_PSV_SW_PNS1_23onesweep_lookback_stateEbbT6_jjT7_P12ihipStream_tbENKUlT_T0_SK_SP_E_clISE_SE_SF_SF_EEDaS13_S14_SK_SP_EUlS13_E_NS1_11comp_targetILNS1_3genE3ELNS1_11target_archE908ELNS1_3gpuE7ELNS1_3repE0EEENS1_47radix_sort_onesweep_sort_config_static_selectorELNS0_4arch9wavefront6targetE1EEEvSK_.uses_vcc, 0
	.set _ZN7rocprim17ROCPRIM_400000_NS6detail17trampoline_kernelINS0_14default_configENS1_35radix_sort_onesweep_config_selectorIfNS0_10empty_typeEEEZZNS1_29radix_sort_onesweep_iterationIS3_Lb0EN6thrust23THRUST_200600_302600_NS6detail15normal_iteratorINS9_10device_ptrIfEEEESE_PS5_SF_jNS0_19identity_decomposerENS1_16block_id_wrapperIjLb1EEEEE10hipError_tT1_PNSt15iterator_traitsISK_E10value_typeET2_T3_PNSL_ISQ_E10value_typeET4_T5_PSV_SW_PNS1_23onesweep_lookback_stateEbbT6_jjT7_P12ihipStream_tbENKUlT_T0_SK_SP_E_clISE_SE_SF_SF_EEDaS13_S14_SK_SP_EUlS13_E_NS1_11comp_targetILNS1_3genE3ELNS1_11target_archE908ELNS1_3gpuE7ELNS1_3repE0EEENS1_47radix_sort_onesweep_sort_config_static_selectorELNS0_4arch9wavefront6targetE1EEEvSK_.uses_flat_scratch, 0
	.set _ZN7rocprim17ROCPRIM_400000_NS6detail17trampoline_kernelINS0_14default_configENS1_35radix_sort_onesweep_config_selectorIfNS0_10empty_typeEEEZZNS1_29radix_sort_onesweep_iterationIS3_Lb0EN6thrust23THRUST_200600_302600_NS6detail15normal_iteratorINS9_10device_ptrIfEEEESE_PS5_SF_jNS0_19identity_decomposerENS1_16block_id_wrapperIjLb1EEEEE10hipError_tT1_PNSt15iterator_traitsISK_E10value_typeET2_T3_PNSL_ISQ_E10value_typeET4_T5_PSV_SW_PNS1_23onesweep_lookback_stateEbbT6_jjT7_P12ihipStream_tbENKUlT_T0_SK_SP_E_clISE_SE_SF_SF_EEDaS13_S14_SK_SP_EUlS13_E_NS1_11comp_targetILNS1_3genE3ELNS1_11target_archE908ELNS1_3gpuE7ELNS1_3repE0EEENS1_47radix_sort_onesweep_sort_config_static_selectorELNS0_4arch9wavefront6targetE1EEEvSK_.has_dyn_sized_stack, 0
	.set _ZN7rocprim17ROCPRIM_400000_NS6detail17trampoline_kernelINS0_14default_configENS1_35radix_sort_onesweep_config_selectorIfNS0_10empty_typeEEEZZNS1_29radix_sort_onesweep_iterationIS3_Lb0EN6thrust23THRUST_200600_302600_NS6detail15normal_iteratorINS9_10device_ptrIfEEEESE_PS5_SF_jNS0_19identity_decomposerENS1_16block_id_wrapperIjLb1EEEEE10hipError_tT1_PNSt15iterator_traitsISK_E10value_typeET2_T3_PNSL_ISQ_E10value_typeET4_T5_PSV_SW_PNS1_23onesweep_lookback_stateEbbT6_jjT7_P12ihipStream_tbENKUlT_T0_SK_SP_E_clISE_SE_SF_SF_EEDaS13_S14_SK_SP_EUlS13_E_NS1_11comp_targetILNS1_3genE3ELNS1_11target_archE908ELNS1_3gpuE7ELNS1_3repE0EEENS1_47radix_sort_onesweep_sort_config_static_selectorELNS0_4arch9wavefront6targetE1EEEvSK_.has_recursion, 0
	.set _ZN7rocprim17ROCPRIM_400000_NS6detail17trampoline_kernelINS0_14default_configENS1_35radix_sort_onesweep_config_selectorIfNS0_10empty_typeEEEZZNS1_29radix_sort_onesweep_iterationIS3_Lb0EN6thrust23THRUST_200600_302600_NS6detail15normal_iteratorINS9_10device_ptrIfEEEESE_PS5_SF_jNS0_19identity_decomposerENS1_16block_id_wrapperIjLb1EEEEE10hipError_tT1_PNSt15iterator_traitsISK_E10value_typeET2_T3_PNSL_ISQ_E10value_typeET4_T5_PSV_SW_PNS1_23onesweep_lookback_stateEbbT6_jjT7_P12ihipStream_tbENKUlT_T0_SK_SP_E_clISE_SE_SF_SF_EEDaS13_S14_SK_SP_EUlS13_E_NS1_11comp_targetILNS1_3genE3ELNS1_11target_archE908ELNS1_3gpuE7ELNS1_3repE0EEENS1_47radix_sort_onesweep_sort_config_static_selectorELNS0_4arch9wavefront6targetE1EEEvSK_.has_indirect_call, 0
	.section	.AMDGPU.csdata,"",@progbits
; Kernel info:
; codeLenInByte = 0
; TotalNumSgprs: 6
; NumVgprs: 0
; NumAgprs: 0
; TotalNumVgprs: 0
; ScratchSize: 0
; MemoryBound: 0
; FloatMode: 240
; IeeeMode: 1
; LDSByteSize: 0 bytes/workgroup (compile time only)
; SGPRBlocks: 0
; VGPRBlocks: 0
; NumSGPRsForWavesPerEU: 6
; NumVGPRsForWavesPerEU: 1
; AccumOffset: 4
; Occupancy: 8
; WaveLimiterHint : 0
; COMPUTE_PGM_RSRC2:SCRATCH_EN: 0
; COMPUTE_PGM_RSRC2:USER_SGPR: 2
; COMPUTE_PGM_RSRC2:TRAP_HANDLER: 0
; COMPUTE_PGM_RSRC2:TGID_X_EN: 1
; COMPUTE_PGM_RSRC2:TGID_Y_EN: 0
; COMPUTE_PGM_RSRC2:TGID_Z_EN: 0
; COMPUTE_PGM_RSRC2:TIDIG_COMP_CNT: 0
; COMPUTE_PGM_RSRC3_GFX90A:ACCUM_OFFSET: 0
; COMPUTE_PGM_RSRC3_GFX90A:TG_SPLIT: 0
	.section	.text._ZN7rocprim17ROCPRIM_400000_NS6detail17trampoline_kernelINS0_14default_configENS1_35radix_sort_onesweep_config_selectorIfNS0_10empty_typeEEEZZNS1_29radix_sort_onesweep_iterationIS3_Lb0EN6thrust23THRUST_200600_302600_NS6detail15normal_iteratorINS9_10device_ptrIfEEEESE_PS5_SF_jNS0_19identity_decomposerENS1_16block_id_wrapperIjLb1EEEEE10hipError_tT1_PNSt15iterator_traitsISK_E10value_typeET2_T3_PNSL_ISQ_E10value_typeET4_T5_PSV_SW_PNS1_23onesweep_lookback_stateEbbT6_jjT7_P12ihipStream_tbENKUlT_T0_SK_SP_E_clISE_SE_SF_SF_EEDaS13_S14_SK_SP_EUlS13_E_NS1_11comp_targetILNS1_3genE10ELNS1_11target_archE1201ELNS1_3gpuE5ELNS1_3repE0EEENS1_47radix_sort_onesweep_sort_config_static_selectorELNS0_4arch9wavefront6targetE1EEEvSK_,"axG",@progbits,_ZN7rocprim17ROCPRIM_400000_NS6detail17trampoline_kernelINS0_14default_configENS1_35radix_sort_onesweep_config_selectorIfNS0_10empty_typeEEEZZNS1_29radix_sort_onesweep_iterationIS3_Lb0EN6thrust23THRUST_200600_302600_NS6detail15normal_iteratorINS9_10device_ptrIfEEEESE_PS5_SF_jNS0_19identity_decomposerENS1_16block_id_wrapperIjLb1EEEEE10hipError_tT1_PNSt15iterator_traitsISK_E10value_typeET2_T3_PNSL_ISQ_E10value_typeET4_T5_PSV_SW_PNS1_23onesweep_lookback_stateEbbT6_jjT7_P12ihipStream_tbENKUlT_T0_SK_SP_E_clISE_SE_SF_SF_EEDaS13_S14_SK_SP_EUlS13_E_NS1_11comp_targetILNS1_3genE10ELNS1_11target_archE1201ELNS1_3gpuE5ELNS1_3repE0EEENS1_47radix_sort_onesweep_sort_config_static_selectorELNS0_4arch9wavefront6targetE1EEEvSK_,comdat
	.protected	_ZN7rocprim17ROCPRIM_400000_NS6detail17trampoline_kernelINS0_14default_configENS1_35radix_sort_onesweep_config_selectorIfNS0_10empty_typeEEEZZNS1_29radix_sort_onesweep_iterationIS3_Lb0EN6thrust23THRUST_200600_302600_NS6detail15normal_iteratorINS9_10device_ptrIfEEEESE_PS5_SF_jNS0_19identity_decomposerENS1_16block_id_wrapperIjLb1EEEEE10hipError_tT1_PNSt15iterator_traitsISK_E10value_typeET2_T3_PNSL_ISQ_E10value_typeET4_T5_PSV_SW_PNS1_23onesweep_lookback_stateEbbT6_jjT7_P12ihipStream_tbENKUlT_T0_SK_SP_E_clISE_SE_SF_SF_EEDaS13_S14_SK_SP_EUlS13_E_NS1_11comp_targetILNS1_3genE10ELNS1_11target_archE1201ELNS1_3gpuE5ELNS1_3repE0EEENS1_47radix_sort_onesweep_sort_config_static_selectorELNS0_4arch9wavefront6targetE1EEEvSK_ ; -- Begin function _ZN7rocprim17ROCPRIM_400000_NS6detail17trampoline_kernelINS0_14default_configENS1_35radix_sort_onesweep_config_selectorIfNS0_10empty_typeEEEZZNS1_29radix_sort_onesweep_iterationIS3_Lb0EN6thrust23THRUST_200600_302600_NS6detail15normal_iteratorINS9_10device_ptrIfEEEESE_PS5_SF_jNS0_19identity_decomposerENS1_16block_id_wrapperIjLb1EEEEE10hipError_tT1_PNSt15iterator_traitsISK_E10value_typeET2_T3_PNSL_ISQ_E10value_typeET4_T5_PSV_SW_PNS1_23onesweep_lookback_stateEbbT6_jjT7_P12ihipStream_tbENKUlT_T0_SK_SP_E_clISE_SE_SF_SF_EEDaS13_S14_SK_SP_EUlS13_E_NS1_11comp_targetILNS1_3genE10ELNS1_11target_archE1201ELNS1_3gpuE5ELNS1_3repE0EEENS1_47radix_sort_onesweep_sort_config_static_selectorELNS0_4arch9wavefront6targetE1EEEvSK_
	.globl	_ZN7rocprim17ROCPRIM_400000_NS6detail17trampoline_kernelINS0_14default_configENS1_35radix_sort_onesweep_config_selectorIfNS0_10empty_typeEEEZZNS1_29radix_sort_onesweep_iterationIS3_Lb0EN6thrust23THRUST_200600_302600_NS6detail15normal_iteratorINS9_10device_ptrIfEEEESE_PS5_SF_jNS0_19identity_decomposerENS1_16block_id_wrapperIjLb1EEEEE10hipError_tT1_PNSt15iterator_traitsISK_E10value_typeET2_T3_PNSL_ISQ_E10value_typeET4_T5_PSV_SW_PNS1_23onesweep_lookback_stateEbbT6_jjT7_P12ihipStream_tbENKUlT_T0_SK_SP_E_clISE_SE_SF_SF_EEDaS13_S14_SK_SP_EUlS13_E_NS1_11comp_targetILNS1_3genE10ELNS1_11target_archE1201ELNS1_3gpuE5ELNS1_3repE0EEENS1_47radix_sort_onesweep_sort_config_static_selectorELNS0_4arch9wavefront6targetE1EEEvSK_
	.p2align	8
	.type	_ZN7rocprim17ROCPRIM_400000_NS6detail17trampoline_kernelINS0_14default_configENS1_35radix_sort_onesweep_config_selectorIfNS0_10empty_typeEEEZZNS1_29radix_sort_onesweep_iterationIS3_Lb0EN6thrust23THRUST_200600_302600_NS6detail15normal_iteratorINS9_10device_ptrIfEEEESE_PS5_SF_jNS0_19identity_decomposerENS1_16block_id_wrapperIjLb1EEEEE10hipError_tT1_PNSt15iterator_traitsISK_E10value_typeET2_T3_PNSL_ISQ_E10value_typeET4_T5_PSV_SW_PNS1_23onesweep_lookback_stateEbbT6_jjT7_P12ihipStream_tbENKUlT_T0_SK_SP_E_clISE_SE_SF_SF_EEDaS13_S14_SK_SP_EUlS13_E_NS1_11comp_targetILNS1_3genE10ELNS1_11target_archE1201ELNS1_3gpuE5ELNS1_3repE0EEENS1_47radix_sort_onesweep_sort_config_static_selectorELNS0_4arch9wavefront6targetE1EEEvSK_,@function
_ZN7rocprim17ROCPRIM_400000_NS6detail17trampoline_kernelINS0_14default_configENS1_35radix_sort_onesweep_config_selectorIfNS0_10empty_typeEEEZZNS1_29radix_sort_onesweep_iterationIS3_Lb0EN6thrust23THRUST_200600_302600_NS6detail15normal_iteratorINS9_10device_ptrIfEEEESE_PS5_SF_jNS0_19identity_decomposerENS1_16block_id_wrapperIjLb1EEEEE10hipError_tT1_PNSt15iterator_traitsISK_E10value_typeET2_T3_PNSL_ISQ_E10value_typeET4_T5_PSV_SW_PNS1_23onesweep_lookback_stateEbbT6_jjT7_P12ihipStream_tbENKUlT_T0_SK_SP_E_clISE_SE_SF_SF_EEDaS13_S14_SK_SP_EUlS13_E_NS1_11comp_targetILNS1_3genE10ELNS1_11target_archE1201ELNS1_3gpuE5ELNS1_3repE0EEENS1_47radix_sort_onesweep_sort_config_static_selectorELNS0_4arch9wavefront6targetE1EEEvSK_: ; @_ZN7rocprim17ROCPRIM_400000_NS6detail17trampoline_kernelINS0_14default_configENS1_35radix_sort_onesweep_config_selectorIfNS0_10empty_typeEEEZZNS1_29radix_sort_onesweep_iterationIS3_Lb0EN6thrust23THRUST_200600_302600_NS6detail15normal_iteratorINS9_10device_ptrIfEEEESE_PS5_SF_jNS0_19identity_decomposerENS1_16block_id_wrapperIjLb1EEEEE10hipError_tT1_PNSt15iterator_traitsISK_E10value_typeET2_T3_PNSL_ISQ_E10value_typeET4_T5_PSV_SW_PNS1_23onesweep_lookback_stateEbbT6_jjT7_P12ihipStream_tbENKUlT_T0_SK_SP_E_clISE_SE_SF_SF_EEDaS13_S14_SK_SP_EUlS13_E_NS1_11comp_targetILNS1_3genE10ELNS1_11target_archE1201ELNS1_3gpuE5ELNS1_3repE0EEENS1_47radix_sort_onesweep_sort_config_static_selectorELNS0_4arch9wavefront6targetE1EEEvSK_
; %bb.0:
	.section	.rodata,"a",@progbits
	.p2align	6, 0x0
	.amdhsa_kernel _ZN7rocprim17ROCPRIM_400000_NS6detail17trampoline_kernelINS0_14default_configENS1_35radix_sort_onesweep_config_selectorIfNS0_10empty_typeEEEZZNS1_29radix_sort_onesweep_iterationIS3_Lb0EN6thrust23THRUST_200600_302600_NS6detail15normal_iteratorINS9_10device_ptrIfEEEESE_PS5_SF_jNS0_19identity_decomposerENS1_16block_id_wrapperIjLb1EEEEE10hipError_tT1_PNSt15iterator_traitsISK_E10value_typeET2_T3_PNSL_ISQ_E10value_typeET4_T5_PSV_SW_PNS1_23onesweep_lookback_stateEbbT6_jjT7_P12ihipStream_tbENKUlT_T0_SK_SP_E_clISE_SE_SF_SF_EEDaS13_S14_SK_SP_EUlS13_E_NS1_11comp_targetILNS1_3genE10ELNS1_11target_archE1201ELNS1_3gpuE5ELNS1_3repE0EEENS1_47radix_sort_onesweep_sort_config_static_selectorELNS0_4arch9wavefront6targetE1EEEvSK_
		.amdhsa_group_segment_fixed_size 0
		.amdhsa_private_segment_fixed_size 0
		.amdhsa_kernarg_size 88
		.amdhsa_user_sgpr_count 2
		.amdhsa_user_sgpr_dispatch_ptr 0
		.amdhsa_user_sgpr_queue_ptr 0
		.amdhsa_user_sgpr_kernarg_segment_ptr 1
		.amdhsa_user_sgpr_dispatch_id 0
		.amdhsa_user_sgpr_kernarg_preload_length 0
		.amdhsa_user_sgpr_kernarg_preload_offset 0
		.amdhsa_user_sgpr_private_segment_size 0
		.amdhsa_uses_dynamic_stack 0
		.amdhsa_enable_private_segment 0
		.amdhsa_system_sgpr_workgroup_id_x 1
		.amdhsa_system_sgpr_workgroup_id_y 0
		.amdhsa_system_sgpr_workgroup_id_z 0
		.amdhsa_system_sgpr_workgroup_info 0
		.amdhsa_system_vgpr_workitem_id 0
		.amdhsa_next_free_vgpr 1
		.amdhsa_next_free_sgpr 0
		.amdhsa_accum_offset 4
		.amdhsa_reserve_vcc 0
		.amdhsa_float_round_mode_32 0
		.amdhsa_float_round_mode_16_64 0
		.amdhsa_float_denorm_mode_32 3
		.amdhsa_float_denorm_mode_16_64 3
		.amdhsa_dx10_clamp 1
		.amdhsa_ieee_mode 1
		.amdhsa_fp16_overflow 0
		.amdhsa_tg_split 0
		.amdhsa_exception_fp_ieee_invalid_op 0
		.amdhsa_exception_fp_denorm_src 0
		.amdhsa_exception_fp_ieee_div_zero 0
		.amdhsa_exception_fp_ieee_overflow 0
		.amdhsa_exception_fp_ieee_underflow 0
		.amdhsa_exception_fp_ieee_inexact 0
		.amdhsa_exception_int_div_zero 0
	.end_amdhsa_kernel
	.section	.text._ZN7rocprim17ROCPRIM_400000_NS6detail17trampoline_kernelINS0_14default_configENS1_35radix_sort_onesweep_config_selectorIfNS0_10empty_typeEEEZZNS1_29radix_sort_onesweep_iterationIS3_Lb0EN6thrust23THRUST_200600_302600_NS6detail15normal_iteratorINS9_10device_ptrIfEEEESE_PS5_SF_jNS0_19identity_decomposerENS1_16block_id_wrapperIjLb1EEEEE10hipError_tT1_PNSt15iterator_traitsISK_E10value_typeET2_T3_PNSL_ISQ_E10value_typeET4_T5_PSV_SW_PNS1_23onesweep_lookback_stateEbbT6_jjT7_P12ihipStream_tbENKUlT_T0_SK_SP_E_clISE_SE_SF_SF_EEDaS13_S14_SK_SP_EUlS13_E_NS1_11comp_targetILNS1_3genE10ELNS1_11target_archE1201ELNS1_3gpuE5ELNS1_3repE0EEENS1_47radix_sort_onesweep_sort_config_static_selectorELNS0_4arch9wavefront6targetE1EEEvSK_,"axG",@progbits,_ZN7rocprim17ROCPRIM_400000_NS6detail17trampoline_kernelINS0_14default_configENS1_35radix_sort_onesweep_config_selectorIfNS0_10empty_typeEEEZZNS1_29radix_sort_onesweep_iterationIS3_Lb0EN6thrust23THRUST_200600_302600_NS6detail15normal_iteratorINS9_10device_ptrIfEEEESE_PS5_SF_jNS0_19identity_decomposerENS1_16block_id_wrapperIjLb1EEEEE10hipError_tT1_PNSt15iterator_traitsISK_E10value_typeET2_T3_PNSL_ISQ_E10value_typeET4_T5_PSV_SW_PNS1_23onesweep_lookback_stateEbbT6_jjT7_P12ihipStream_tbENKUlT_T0_SK_SP_E_clISE_SE_SF_SF_EEDaS13_S14_SK_SP_EUlS13_E_NS1_11comp_targetILNS1_3genE10ELNS1_11target_archE1201ELNS1_3gpuE5ELNS1_3repE0EEENS1_47radix_sort_onesweep_sort_config_static_selectorELNS0_4arch9wavefront6targetE1EEEvSK_,comdat
.Lfunc_end565:
	.size	_ZN7rocprim17ROCPRIM_400000_NS6detail17trampoline_kernelINS0_14default_configENS1_35radix_sort_onesweep_config_selectorIfNS0_10empty_typeEEEZZNS1_29radix_sort_onesweep_iterationIS3_Lb0EN6thrust23THRUST_200600_302600_NS6detail15normal_iteratorINS9_10device_ptrIfEEEESE_PS5_SF_jNS0_19identity_decomposerENS1_16block_id_wrapperIjLb1EEEEE10hipError_tT1_PNSt15iterator_traitsISK_E10value_typeET2_T3_PNSL_ISQ_E10value_typeET4_T5_PSV_SW_PNS1_23onesweep_lookback_stateEbbT6_jjT7_P12ihipStream_tbENKUlT_T0_SK_SP_E_clISE_SE_SF_SF_EEDaS13_S14_SK_SP_EUlS13_E_NS1_11comp_targetILNS1_3genE10ELNS1_11target_archE1201ELNS1_3gpuE5ELNS1_3repE0EEENS1_47radix_sort_onesweep_sort_config_static_selectorELNS0_4arch9wavefront6targetE1EEEvSK_, .Lfunc_end565-_ZN7rocprim17ROCPRIM_400000_NS6detail17trampoline_kernelINS0_14default_configENS1_35radix_sort_onesweep_config_selectorIfNS0_10empty_typeEEEZZNS1_29radix_sort_onesweep_iterationIS3_Lb0EN6thrust23THRUST_200600_302600_NS6detail15normal_iteratorINS9_10device_ptrIfEEEESE_PS5_SF_jNS0_19identity_decomposerENS1_16block_id_wrapperIjLb1EEEEE10hipError_tT1_PNSt15iterator_traitsISK_E10value_typeET2_T3_PNSL_ISQ_E10value_typeET4_T5_PSV_SW_PNS1_23onesweep_lookback_stateEbbT6_jjT7_P12ihipStream_tbENKUlT_T0_SK_SP_E_clISE_SE_SF_SF_EEDaS13_S14_SK_SP_EUlS13_E_NS1_11comp_targetILNS1_3genE10ELNS1_11target_archE1201ELNS1_3gpuE5ELNS1_3repE0EEENS1_47radix_sort_onesweep_sort_config_static_selectorELNS0_4arch9wavefront6targetE1EEEvSK_
                                        ; -- End function
	.set _ZN7rocprim17ROCPRIM_400000_NS6detail17trampoline_kernelINS0_14default_configENS1_35radix_sort_onesweep_config_selectorIfNS0_10empty_typeEEEZZNS1_29radix_sort_onesweep_iterationIS3_Lb0EN6thrust23THRUST_200600_302600_NS6detail15normal_iteratorINS9_10device_ptrIfEEEESE_PS5_SF_jNS0_19identity_decomposerENS1_16block_id_wrapperIjLb1EEEEE10hipError_tT1_PNSt15iterator_traitsISK_E10value_typeET2_T3_PNSL_ISQ_E10value_typeET4_T5_PSV_SW_PNS1_23onesweep_lookback_stateEbbT6_jjT7_P12ihipStream_tbENKUlT_T0_SK_SP_E_clISE_SE_SF_SF_EEDaS13_S14_SK_SP_EUlS13_E_NS1_11comp_targetILNS1_3genE10ELNS1_11target_archE1201ELNS1_3gpuE5ELNS1_3repE0EEENS1_47radix_sort_onesweep_sort_config_static_selectorELNS0_4arch9wavefront6targetE1EEEvSK_.num_vgpr, 0
	.set _ZN7rocprim17ROCPRIM_400000_NS6detail17trampoline_kernelINS0_14default_configENS1_35radix_sort_onesweep_config_selectorIfNS0_10empty_typeEEEZZNS1_29radix_sort_onesweep_iterationIS3_Lb0EN6thrust23THRUST_200600_302600_NS6detail15normal_iteratorINS9_10device_ptrIfEEEESE_PS5_SF_jNS0_19identity_decomposerENS1_16block_id_wrapperIjLb1EEEEE10hipError_tT1_PNSt15iterator_traitsISK_E10value_typeET2_T3_PNSL_ISQ_E10value_typeET4_T5_PSV_SW_PNS1_23onesweep_lookback_stateEbbT6_jjT7_P12ihipStream_tbENKUlT_T0_SK_SP_E_clISE_SE_SF_SF_EEDaS13_S14_SK_SP_EUlS13_E_NS1_11comp_targetILNS1_3genE10ELNS1_11target_archE1201ELNS1_3gpuE5ELNS1_3repE0EEENS1_47radix_sort_onesweep_sort_config_static_selectorELNS0_4arch9wavefront6targetE1EEEvSK_.num_agpr, 0
	.set _ZN7rocprim17ROCPRIM_400000_NS6detail17trampoline_kernelINS0_14default_configENS1_35radix_sort_onesweep_config_selectorIfNS0_10empty_typeEEEZZNS1_29radix_sort_onesweep_iterationIS3_Lb0EN6thrust23THRUST_200600_302600_NS6detail15normal_iteratorINS9_10device_ptrIfEEEESE_PS5_SF_jNS0_19identity_decomposerENS1_16block_id_wrapperIjLb1EEEEE10hipError_tT1_PNSt15iterator_traitsISK_E10value_typeET2_T3_PNSL_ISQ_E10value_typeET4_T5_PSV_SW_PNS1_23onesweep_lookback_stateEbbT6_jjT7_P12ihipStream_tbENKUlT_T0_SK_SP_E_clISE_SE_SF_SF_EEDaS13_S14_SK_SP_EUlS13_E_NS1_11comp_targetILNS1_3genE10ELNS1_11target_archE1201ELNS1_3gpuE5ELNS1_3repE0EEENS1_47radix_sort_onesweep_sort_config_static_selectorELNS0_4arch9wavefront6targetE1EEEvSK_.numbered_sgpr, 0
	.set _ZN7rocprim17ROCPRIM_400000_NS6detail17trampoline_kernelINS0_14default_configENS1_35radix_sort_onesweep_config_selectorIfNS0_10empty_typeEEEZZNS1_29radix_sort_onesweep_iterationIS3_Lb0EN6thrust23THRUST_200600_302600_NS6detail15normal_iteratorINS9_10device_ptrIfEEEESE_PS5_SF_jNS0_19identity_decomposerENS1_16block_id_wrapperIjLb1EEEEE10hipError_tT1_PNSt15iterator_traitsISK_E10value_typeET2_T3_PNSL_ISQ_E10value_typeET4_T5_PSV_SW_PNS1_23onesweep_lookback_stateEbbT6_jjT7_P12ihipStream_tbENKUlT_T0_SK_SP_E_clISE_SE_SF_SF_EEDaS13_S14_SK_SP_EUlS13_E_NS1_11comp_targetILNS1_3genE10ELNS1_11target_archE1201ELNS1_3gpuE5ELNS1_3repE0EEENS1_47radix_sort_onesweep_sort_config_static_selectorELNS0_4arch9wavefront6targetE1EEEvSK_.num_named_barrier, 0
	.set _ZN7rocprim17ROCPRIM_400000_NS6detail17trampoline_kernelINS0_14default_configENS1_35radix_sort_onesweep_config_selectorIfNS0_10empty_typeEEEZZNS1_29radix_sort_onesweep_iterationIS3_Lb0EN6thrust23THRUST_200600_302600_NS6detail15normal_iteratorINS9_10device_ptrIfEEEESE_PS5_SF_jNS0_19identity_decomposerENS1_16block_id_wrapperIjLb1EEEEE10hipError_tT1_PNSt15iterator_traitsISK_E10value_typeET2_T3_PNSL_ISQ_E10value_typeET4_T5_PSV_SW_PNS1_23onesweep_lookback_stateEbbT6_jjT7_P12ihipStream_tbENKUlT_T0_SK_SP_E_clISE_SE_SF_SF_EEDaS13_S14_SK_SP_EUlS13_E_NS1_11comp_targetILNS1_3genE10ELNS1_11target_archE1201ELNS1_3gpuE5ELNS1_3repE0EEENS1_47radix_sort_onesweep_sort_config_static_selectorELNS0_4arch9wavefront6targetE1EEEvSK_.private_seg_size, 0
	.set _ZN7rocprim17ROCPRIM_400000_NS6detail17trampoline_kernelINS0_14default_configENS1_35radix_sort_onesweep_config_selectorIfNS0_10empty_typeEEEZZNS1_29radix_sort_onesweep_iterationIS3_Lb0EN6thrust23THRUST_200600_302600_NS6detail15normal_iteratorINS9_10device_ptrIfEEEESE_PS5_SF_jNS0_19identity_decomposerENS1_16block_id_wrapperIjLb1EEEEE10hipError_tT1_PNSt15iterator_traitsISK_E10value_typeET2_T3_PNSL_ISQ_E10value_typeET4_T5_PSV_SW_PNS1_23onesweep_lookback_stateEbbT6_jjT7_P12ihipStream_tbENKUlT_T0_SK_SP_E_clISE_SE_SF_SF_EEDaS13_S14_SK_SP_EUlS13_E_NS1_11comp_targetILNS1_3genE10ELNS1_11target_archE1201ELNS1_3gpuE5ELNS1_3repE0EEENS1_47radix_sort_onesweep_sort_config_static_selectorELNS0_4arch9wavefront6targetE1EEEvSK_.uses_vcc, 0
	.set _ZN7rocprim17ROCPRIM_400000_NS6detail17trampoline_kernelINS0_14default_configENS1_35radix_sort_onesweep_config_selectorIfNS0_10empty_typeEEEZZNS1_29radix_sort_onesweep_iterationIS3_Lb0EN6thrust23THRUST_200600_302600_NS6detail15normal_iteratorINS9_10device_ptrIfEEEESE_PS5_SF_jNS0_19identity_decomposerENS1_16block_id_wrapperIjLb1EEEEE10hipError_tT1_PNSt15iterator_traitsISK_E10value_typeET2_T3_PNSL_ISQ_E10value_typeET4_T5_PSV_SW_PNS1_23onesweep_lookback_stateEbbT6_jjT7_P12ihipStream_tbENKUlT_T0_SK_SP_E_clISE_SE_SF_SF_EEDaS13_S14_SK_SP_EUlS13_E_NS1_11comp_targetILNS1_3genE10ELNS1_11target_archE1201ELNS1_3gpuE5ELNS1_3repE0EEENS1_47radix_sort_onesweep_sort_config_static_selectorELNS0_4arch9wavefront6targetE1EEEvSK_.uses_flat_scratch, 0
	.set _ZN7rocprim17ROCPRIM_400000_NS6detail17trampoline_kernelINS0_14default_configENS1_35radix_sort_onesweep_config_selectorIfNS0_10empty_typeEEEZZNS1_29radix_sort_onesweep_iterationIS3_Lb0EN6thrust23THRUST_200600_302600_NS6detail15normal_iteratorINS9_10device_ptrIfEEEESE_PS5_SF_jNS0_19identity_decomposerENS1_16block_id_wrapperIjLb1EEEEE10hipError_tT1_PNSt15iterator_traitsISK_E10value_typeET2_T3_PNSL_ISQ_E10value_typeET4_T5_PSV_SW_PNS1_23onesweep_lookback_stateEbbT6_jjT7_P12ihipStream_tbENKUlT_T0_SK_SP_E_clISE_SE_SF_SF_EEDaS13_S14_SK_SP_EUlS13_E_NS1_11comp_targetILNS1_3genE10ELNS1_11target_archE1201ELNS1_3gpuE5ELNS1_3repE0EEENS1_47radix_sort_onesweep_sort_config_static_selectorELNS0_4arch9wavefront6targetE1EEEvSK_.has_dyn_sized_stack, 0
	.set _ZN7rocprim17ROCPRIM_400000_NS6detail17trampoline_kernelINS0_14default_configENS1_35radix_sort_onesweep_config_selectorIfNS0_10empty_typeEEEZZNS1_29radix_sort_onesweep_iterationIS3_Lb0EN6thrust23THRUST_200600_302600_NS6detail15normal_iteratorINS9_10device_ptrIfEEEESE_PS5_SF_jNS0_19identity_decomposerENS1_16block_id_wrapperIjLb1EEEEE10hipError_tT1_PNSt15iterator_traitsISK_E10value_typeET2_T3_PNSL_ISQ_E10value_typeET4_T5_PSV_SW_PNS1_23onesweep_lookback_stateEbbT6_jjT7_P12ihipStream_tbENKUlT_T0_SK_SP_E_clISE_SE_SF_SF_EEDaS13_S14_SK_SP_EUlS13_E_NS1_11comp_targetILNS1_3genE10ELNS1_11target_archE1201ELNS1_3gpuE5ELNS1_3repE0EEENS1_47radix_sort_onesweep_sort_config_static_selectorELNS0_4arch9wavefront6targetE1EEEvSK_.has_recursion, 0
	.set _ZN7rocprim17ROCPRIM_400000_NS6detail17trampoline_kernelINS0_14default_configENS1_35radix_sort_onesweep_config_selectorIfNS0_10empty_typeEEEZZNS1_29radix_sort_onesweep_iterationIS3_Lb0EN6thrust23THRUST_200600_302600_NS6detail15normal_iteratorINS9_10device_ptrIfEEEESE_PS5_SF_jNS0_19identity_decomposerENS1_16block_id_wrapperIjLb1EEEEE10hipError_tT1_PNSt15iterator_traitsISK_E10value_typeET2_T3_PNSL_ISQ_E10value_typeET4_T5_PSV_SW_PNS1_23onesweep_lookback_stateEbbT6_jjT7_P12ihipStream_tbENKUlT_T0_SK_SP_E_clISE_SE_SF_SF_EEDaS13_S14_SK_SP_EUlS13_E_NS1_11comp_targetILNS1_3genE10ELNS1_11target_archE1201ELNS1_3gpuE5ELNS1_3repE0EEENS1_47radix_sort_onesweep_sort_config_static_selectorELNS0_4arch9wavefront6targetE1EEEvSK_.has_indirect_call, 0
	.section	.AMDGPU.csdata,"",@progbits
; Kernel info:
; codeLenInByte = 0
; TotalNumSgprs: 6
; NumVgprs: 0
; NumAgprs: 0
; TotalNumVgprs: 0
; ScratchSize: 0
; MemoryBound: 0
; FloatMode: 240
; IeeeMode: 1
; LDSByteSize: 0 bytes/workgroup (compile time only)
; SGPRBlocks: 0
; VGPRBlocks: 0
; NumSGPRsForWavesPerEU: 6
; NumVGPRsForWavesPerEU: 1
; AccumOffset: 4
; Occupancy: 8
; WaveLimiterHint : 0
; COMPUTE_PGM_RSRC2:SCRATCH_EN: 0
; COMPUTE_PGM_RSRC2:USER_SGPR: 2
; COMPUTE_PGM_RSRC2:TRAP_HANDLER: 0
; COMPUTE_PGM_RSRC2:TGID_X_EN: 1
; COMPUTE_PGM_RSRC2:TGID_Y_EN: 0
; COMPUTE_PGM_RSRC2:TGID_Z_EN: 0
; COMPUTE_PGM_RSRC2:TIDIG_COMP_CNT: 0
; COMPUTE_PGM_RSRC3_GFX90A:ACCUM_OFFSET: 0
; COMPUTE_PGM_RSRC3_GFX90A:TG_SPLIT: 0
	.section	.text._ZN7rocprim17ROCPRIM_400000_NS6detail17trampoline_kernelINS0_14default_configENS1_35radix_sort_onesweep_config_selectorIfNS0_10empty_typeEEEZZNS1_29radix_sort_onesweep_iterationIS3_Lb0EN6thrust23THRUST_200600_302600_NS6detail15normal_iteratorINS9_10device_ptrIfEEEESE_PS5_SF_jNS0_19identity_decomposerENS1_16block_id_wrapperIjLb1EEEEE10hipError_tT1_PNSt15iterator_traitsISK_E10value_typeET2_T3_PNSL_ISQ_E10value_typeET4_T5_PSV_SW_PNS1_23onesweep_lookback_stateEbbT6_jjT7_P12ihipStream_tbENKUlT_T0_SK_SP_E_clISE_SE_SF_SF_EEDaS13_S14_SK_SP_EUlS13_E_NS1_11comp_targetILNS1_3genE9ELNS1_11target_archE1100ELNS1_3gpuE3ELNS1_3repE0EEENS1_47radix_sort_onesweep_sort_config_static_selectorELNS0_4arch9wavefront6targetE1EEEvSK_,"axG",@progbits,_ZN7rocprim17ROCPRIM_400000_NS6detail17trampoline_kernelINS0_14default_configENS1_35radix_sort_onesweep_config_selectorIfNS0_10empty_typeEEEZZNS1_29radix_sort_onesweep_iterationIS3_Lb0EN6thrust23THRUST_200600_302600_NS6detail15normal_iteratorINS9_10device_ptrIfEEEESE_PS5_SF_jNS0_19identity_decomposerENS1_16block_id_wrapperIjLb1EEEEE10hipError_tT1_PNSt15iterator_traitsISK_E10value_typeET2_T3_PNSL_ISQ_E10value_typeET4_T5_PSV_SW_PNS1_23onesweep_lookback_stateEbbT6_jjT7_P12ihipStream_tbENKUlT_T0_SK_SP_E_clISE_SE_SF_SF_EEDaS13_S14_SK_SP_EUlS13_E_NS1_11comp_targetILNS1_3genE9ELNS1_11target_archE1100ELNS1_3gpuE3ELNS1_3repE0EEENS1_47radix_sort_onesweep_sort_config_static_selectorELNS0_4arch9wavefront6targetE1EEEvSK_,comdat
	.protected	_ZN7rocprim17ROCPRIM_400000_NS6detail17trampoline_kernelINS0_14default_configENS1_35radix_sort_onesweep_config_selectorIfNS0_10empty_typeEEEZZNS1_29radix_sort_onesweep_iterationIS3_Lb0EN6thrust23THRUST_200600_302600_NS6detail15normal_iteratorINS9_10device_ptrIfEEEESE_PS5_SF_jNS0_19identity_decomposerENS1_16block_id_wrapperIjLb1EEEEE10hipError_tT1_PNSt15iterator_traitsISK_E10value_typeET2_T3_PNSL_ISQ_E10value_typeET4_T5_PSV_SW_PNS1_23onesweep_lookback_stateEbbT6_jjT7_P12ihipStream_tbENKUlT_T0_SK_SP_E_clISE_SE_SF_SF_EEDaS13_S14_SK_SP_EUlS13_E_NS1_11comp_targetILNS1_3genE9ELNS1_11target_archE1100ELNS1_3gpuE3ELNS1_3repE0EEENS1_47radix_sort_onesweep_sort_config_static_selectorELNS0_4arch9wavefront6targetE1EEEvSK_ ; -- Begin function _ZN7rocprim17ROCPRIM_400000_NS6detail17trampoline_kernelINS0_14default_configENS1_35radix_sort_onesweep_config_selectorIfNS0_10empty_typeEEEZZNS1_29radix_sort_onesweep_iterationIS3_Lb0EN6thrust23THRUST_200600_302600_NS6detail15normal_iteratorINS9_10device_ptrIfEEEESE_PS5_SF_jNS0_19identity_decomposerENS1_16block_id_wrapperIjLb1EEEEE10hipError_tT1_PNSt15iterator_traitsISK_E10value_typeET2_T3_PNSL_ISQ_E10value_typeET4_T5_PSV_SW_PNS1_23onesweep_lookback_stateEbbT6_jjT7_P12ihipStream_tbENKUlT_T0_SK_SP_E_clISE_SE_SF_SF_EEDaS13_S14_SK_SP_EUlS13_E_NS1_11comp_targetILNS1_3genE9ELNS1_11target_archE1100ELNS1_3gpuE3ELNS1_3repE0EEENS1_47radix_sort_onesweep_sort_config_static_selectorELNS0_4arch9wavefront6targetE1EEEvSK_
	.globl	_ZN7rocprim17ROCPRIM_400000_NS6detail17trampoline_kernelINS0_14default_configENS1_35radix_sort_onesweep_config_selectorIfNS0_10empty_typeEEEZZNS1_29radix_sort_onesweep_iterationIS3_Lb0EN6thrust23THRUST_200600_302600_NS6detail15normal_iteratorINS9_10device_ptrIfEEEESE_PS5_SF_jNS0_19identity_decomposerENS1_16block_id_wrapperIjLb1EEEEE10hipError_tT1_PNSt15iterator_traitsISK_E10value_typeET2_T3_PNSL_ISQ_E10value_typeET4_T5_PSV_SW_PNS1_23onesweep_lookback_stateEbbT6_jjT7_P12ihipStream_tbENKUlT_T0_SK_SP_E_clISE_SE_SF_SF_EEDaS13_S14_SK_SP_EUlS13_E_NS1_11comp_targetILNS1_3genE9ELNS1_11target_archE1100ELNS1_3gpuE3ELNS1_3repE0EEENS1_47radix_sort_onesweep_sort_config_static_selectorELNS0_4arch9wavefront6targetE1EEEvSK_
	.p2align	8
	.type	_ZN7rocprim17ROCPRIM_400000_NS6detail17trampoline_kernelINS0_14default_configENS1_35radix_sort_onesweep_config_selectorIfNS0_10empty_typeEEEZZNS1_29radix_sort_onesweep_iterationIS3_Lb0EN6thrust23THRUST_200600_302600_NS6detail15normal_iteratorINS9_10device_ptrIfEEEESE_PS5_SF_jNS0_19identity_decomposerENS1_16block_id_wrapperIjLb1EEEEE10hipError_tT1_PNSt15iterator_traitsISK_E10value_typeET2_T3_PNSL_ISQ_E10value_typeET4_T5_PSV_SW_PNS1_23onesweep_lookback_stateEbbT6_jjT7_P12ihipStream_tbENKUlT_T0_SK_SP_E_clISE_SE_SF_SF_EEDaS13_S14_SK_SP_EUlS13_E_NS1_11comp_targetILNS1_3genE9ELNS1_11target_archE1100ELNS1_3gpuE3ELNS1_3repE0EEENS1_47radix_sort_onesweep_sort_config_static_selectorELNS0_4arch9wavefront6targetE1EEEvSK_,@function
_ZN7rocprim17ROCPRIM_400000_NS6detail17trampoline_kernelINS0_14default_configENS1_35radix_sort_onesweep_config_selectorIfNS0_10empty_typeEEEZZNS1_29radix_sort_onesweep_iterationIS3_Lb0EN6thrust23THRUST_200600_302600_NS6detail15normal_iteratorINS9_10device_ptrIfEEEESE_PS5_SF_jNS0_19identity_decomposerENS1_16block_id_wrapperIjLb1EEEEE10hipError_tT1_PNSt15iterator_traitsISK_E10value_typeET2_T3_PNSL_ISQ_E10value_typeET4_T5_PSV_SW_PNS1_23onesweep_lookback_stateEbbT6_jjT7_P12ihipStream_tbENKUlT_T0_SK_SP_E_clISE_SE_SF_SF_EEDaS13_S14_SK_SP_EUlS13_E_NS1_11comp_targetILNS1_3genE9ELNS1_11target_archE1100ELNS1_3gpuE3ELNS1_3repE0EEENS1_47radix_sort_onesweep_sort_config_static_selectorELNS0_4arch9wavefront6targetE1EEEvSK_: ; @_ZN7rocprim17ROCPRIM_400000_NS6detail17trampoline_kernelINS0_14default_configENS1_35radix_sort_onesweep_config_selectorIfNS0_10empty_typeEEEZZNS1_29radix_sort_onesweep_iterationIS3_Lb0EN6thrust23THRUST_200600_302600_NS6detail15normal_iteratorINS9_10device_ptrIfEEEESE_PS5_SF_jNS0_19identity_decomposerENS1_16block_id_wrapperIjLb1EEEEE10hipError_tT1_PNSt15iterator_traitsISK_E10value_typeET2_T3_PNSL_ISQ_E10value_typeET4_T5_PSV_SW_PNS1_23onesweep_lookback_stateEbbT6_jjT7_P12ihipStream_tbENKUlT_T0_SK_SP_E_clISE_SE_SF_SF_EEDaS13_S14_SK_SP_EUlS13_E_NS1_11comp_targetILNS1_3genE9ELNS1_11target_archE1100ELNS1_3gpuE3ELNS1_3repE0EEENS1_47radix_sort_onesweep_sort_config_static_selectorELNS0_4arch9wavefront6targetE1EEEvSK_
; %bb.0:
	.section	.rodata,"a",@progbits
	.p2align	6, 0x0
	.amdhsa_kernel _ZN7rocprim17ROCPRIM_400000_NS6detail17trampoline_kernelINS0_14default_configENS1_35radix_sort_onesweep_config_selectorIfNS0_10empty_typeEEEZZNS1_29radix_sort_onesweep_iterationIS3_Lb0EN6thrust23THRUST_200600_302600_NS6detail15normal_iteratorINS9_10device_ptrIfEEEESE_PS5_SF_jNS0_19identity_decomposerENS1_16block_id_wrapperIjLb1EEEEE10hipError_tT1_PNSt15iterator_traitsISK_E10value_typeET2_T3_PNSL_ISQ_E10value_typeET4_T5_PSV_SW_PNS1_23onesweep_lookback_stateEbbT6_jjT7_P12ihipStream_tbENKUlT_T0_SK_SP_E_clISE_SE_SF_SF_EEDaS13_S14_SK_SP_EUlS13_E_NS1_11comp_targetILNS1_3genE9ELNS1_11target_archE1100ELNS1_3gpuE3ELNS1_3repE0EEENS1_47radix_sort_onesweep_sort_config_static_selectorELNS0_4arch9wavefront6targetE1EEEvSK_
		.amdhsa_group_segment_fixed_size 0
		.amdhsa_private_segment_fixed_size 0
		.amdhsa_kernarg_size 88
		.amdhsa_user_sgpr_count 2
		.amdhsa_user_sgpr_dispatch_ptr 0
		.amdhsa_user_sgpr_queue_ptr 0
		.amdhsa_user_sgpr_kernarg_segment_ptr 1
		.amdhsa_user_sgpr_dispatch_id 0
		.amdhsa_user_sgpr_kernarg_preload_length 0
		.amdhsa_user_sgpr_kernarg_preload_offset 0
		.amdhsa_user_sgpr_private_segment_size 0
		.amdhsa_uses_dynamic_stack 0
		.amdhsa_enable_private_segment 0
		.amdhsa_system_sgpr_workgroup_id_x 1
		.amdhsa_system_sgpr_workgroup_id_y 0
		.amdhsa_system_sgpr_workgroup_id_z 0
		.amdhsa_system_sgpr_workgroup_info 0
		.amdhsa_system_vgpr_workitem_id 0
		.amdhsa_next_free_vgpr 1
		.amdhsa_next_free_sgpr 0
		.amdhsa_accum_offset 4
		.amdhsa_reserve_vcc 0
		.amdhsa_float_round_mode_32 0
		.amdhsa_float_round_mode_16_64 0
		.amdhsa_float_denorm_mode_32 3
		.amdhsa_float_denorm_mode_16_64 3
		.amdhsa_dx10_clamp 1
		.amdhsa_ieee_mode 1
		.amdhsa_fp16_overflow 0
		.amdhsa_tg_split 0
		.amdhsa_exception_fp_ieee_invalid_op 0
		.amdhsa_exception_fp_denorm_src 0
		.amdhsa_exception_fp_ieee_div_zero 0
		.amdhsa_exception_fp_ieee_overflow 0
		.amdhsa_exception_fp_ieee_underflow 0
		.amdhsa_exception_fp_ieee_inexact 0
		.amdhsa_exception_int_div_zero 0
	.end_amdhsa_kernel
	.section	.text._ZN7rocprim17ROCPRIM_400000_NS6detail17trampoline_kernelINS0_14default_configENS1_35radix_sort_onesweep_config_selectorIfNS0_10empty_typeEEEZZNS1_29radix_sort_onesweep_iterationIS3_Lb0EN6thrust23THRUST_200600_302600_NS6detail15normal_iteratorINS9_10device_ptrIfEEEESE_PS5_SF_jNS0_19identity_decomposerENS1_16block_id_wrapperIjLb1EEEEE10hipError_tT1_PNSt15iterator_traitsISK_E10value_typeET2_T3_PNSL_ISQ_E10value_typeET4_T5_PSV_SW_PNS1_23onesweep_lookback_stateEbbT6_jjT7_P12ihipStream_tbENKUlT_T0_SK_SP_E_clISE_SE_SF_SF_EEDaS13_S14_SK_SP_EUlS13_E_NS1_11comp_targetILNS1_3genE9ELNS1_11target_archE1100ELNS1_3gpuE3ELNS1_3repE0EEENS1_47radix_sort_onesweep_sort_config_static_selectorELNS0_4arch9wavefront6targetE1EEEvSK_,"axG",@progbits,_ZN7rocprim17ROCPRIM_400000_NS6detail17trampoline_kernelINS0_14default_configENS1_35radix_sort_onesweep_config_selectorIfNS0_10empty_typeEEEZZNS1_29radix_sort_onesweep_iterationIS3_Lb0EN6thrust23THRUST_200600_302600_NS6detail15normal_iteratorINS9_10device_ptrIfEEEESE_PS5_SF_jNS0_19identity_decomposerENS1_16block_id_wrapperIjLb1EEEEE10hipError_tT1_PNSt15iterator_traitsISK_E10value_typeET2_T3_PNSL_ISQ_E10value_typeET4_T5_PSV_SW_PNS1_23onesweep_lookback_stateEbbT6_jjT7_P12ihipStream_tbENKUlT_T0_SK_SP_E_clISE_SE_SF_SF_EEDaS13_S14_SK_SP_EUlS13_E_NS1_11comp_targetILNS1_3genE9ELNS1_11target_archE1100ELNS1_3gpuE3ELNS1_3repE0EEENS1_47radix_sort_onesweep_sort_config_static_selectorELNS0_4arch9wavefront6targetE1EEEvSK_,comdat
.Lfunc_end566:
	.size	_ZN7rocprim17ROCPRIM_400000_NS6detail17trampoline_kernelINS0_14default_configENS1_35radix_sort_onesweep_config_selectorIfNS0_10empty_typeEEEZZNS1_29radix_sort_onesweep_iterationIS3_Lb0EN6thrust23THRUST_200600_302600_NS6detail15normal_iteratorINS9_10device_ptrIfEEEESE_PS5_SF_jNS0_19identity_decomposerENS1_16block_id_wrapperIjLb1EEEEE10hipError_tT1_PNSt15iterator_traitsISK_E10value_typeET2_T3_PNSL_ISQ_E10value_typeET4_T5_PSV_SW_PNS1_23onesweep_lookback_stateEbbT6_jjT7_P12ihipStream_tbENKUlT_T0_SK_SP_E_clISE_SE_SF_SF_EEDaS13_S14_SK_SP_EUlS13_E_NS1_11comp_targetILNS1_3genE9ELNS1_11target_archE1100ELNS1_3gpuE3ELNS1_3repE0EEENS1_47radix_sort_onesweep_sort_config_static_selectorELNS0_4arch9wavefront6targetE1EEEvSK_, .Lfunc_end566-_ZN7rocprim17ROCPRIM_400000_NS6detail17trampoline_kernelINS0_14default_configENS1_35radix_sort_onesweep_config_selectorIfNS0_10empty_typeEEEZZNS1_29radix_sort_onesweep_iterationIS3_Lb0EN6thrust23THRUST_200600_302600_NS6detail15normal_iteratorINS9_10device_ptrIfEEEESE_PS5_SF_jNS0_19identity_decomposerENS1_16block_id_wrapperIjLb1EEEEE10hipError_tT1_PNSt15iterator_traitsISK_E10value_typeET2_T3_PNSL_ISQ_E10value_typeET4_T5_PSV_SW_PNS1_23onesweep_lookback_stateEbbT6_jjT7_P12ihipStream_tbENKUlT_T0_SK_SP_E_clISE_SE_SF_SF_EEDaS13_S14_SK_SP_EUlS13_E_NS1_11comp_targetILNS1_3genE9ELNS1_11target_archE1100ELNS1_3gpuE3ELNS1_3repE0EEENS1_47radix_sort_onesweep_sort_config_static_selectorELNS0_4arch9wavefront6targetE1EEEvSK_
                                        ; -- End function
	.set _ZN7rocprim17ROCPRIM_400000_NS6detail17trampoline_kernelINS0_14default_configENS1_35radix_sort_onesweep_config_selectorIfNS0_10empty_typeEEEZZNS1_29radix_sort_onesweep_iterationIS3_Lb0EN6thrust23THRUST_200600_302600_NS6detail15normal_iteratorINS9_10device_ptrIfEEEESE_PS5_SF_jNS0_19identity_decomposerENS1_16block_id_wrapperIjLb1EEEEE10hipError_tT1_PNSt15iterator_traitsISK_E10value_typeET2_T3_PNSL_ISQ_E10value_typeET4_T5_PSV_SW_PNS1_23onesweep_lookback_stateEbbT6_jjT7_P12ihipStream_tbENKUlT_T0_SK_SP_E_clISE_SE_SF_SF_EEDaS13_S14_SK_SP_EUlS13_E_NS1_11comp_targetILNS1_3genE9ELNS1_11target_archE1100ELNS1_3gpuE3ELNS1_3repE0EEENS1_47radix_sort_onesweep_sort_config_static_selectorELNS0_4arch9wavefront6targetE1EEEvSK_.num_vgpr, 0
	.set _ZN7rocprim17ROCPRIM_400000_NS6detail17trampoline_kernelINS0_14default_configENS1_35radix_sort_onesweep_config_selectorIfNS0_10empty_typeEEEZZNS1_29radix_sort_onesweep_iterationIS3_Lb0EN6thrust23THRUST_200600_302600_NS6detail15normal_iteratorINS9_10device_ptrIfEEEESE_PS5_SF_jNS0_19identity_decomposerENS1_16block_id_wrapperIjLb1EEEEE10hipError_tT1_PNSt15iterator_traitsISK_E10value_typeET2_T3_PNSL_ISQ_E10value_typeET4_T5_PSV_SW_PNS1_23onesweep_lookback_stateEbbT6_jjT7_P12ihipStream_tbENKUlT_T0_SK_SP_E_clISE_SE_SF_SF_EEDaS13_S14_SK_SP_EUlS13_E_NS1_11comp_targetILNS1_3genE9ELNS1_11target_archE1100ELNS1_3gpuE3ELNS1_3repE0EEENS1_47radix_sort_onesweep_sort_config_static_selectorELNS0_4arch9wavefront6targetE1EEEvSK_.num_agpr, 0
	.set _ZN7rocprim17ROCPRIM_400000_NS6detail17trampoline_kernelINS0_14default_configENS1_35radix_sort_onesweep_config_selectorIfNS0_10empty_typeEEEZZNS1_29radix_sort_onesweep_iterationIS3_Lb0EN6thrust23THRUST_200600_302600_NS6detail15normal_iteratorINS9_10device_ptrIfEEEESE_PS5_SF_jNS0_19identity_decomposerENS1_16block_id_wrapperIjLb1EEEEE10hipError_tT1_PNSt15iterator_traitsISK_E10value_typeET2_T3_PNSL_ISQ_E10value_typeET4_T5_PSV_SW_PNS1_23onesweep_lookback_stateEbbT6_jjT7_P12ihipStream_tbENKUlT_T0_SK_SP_E_clISE_SE_SF_SF_EEDaS13_S14_SK_SP_EUlS13_E_NS1_11comp_targetILNS1_3genE9ELNS1_11target_archE1100ELNS1_3gpuE3ELNS1_3repE0EEENS1_47radix_sort_onesweep_sort_config_static_selectorELNS0_4arch9wavefront6targetE1EEEvSK_.numbered_sgpr, 0
	.set _ZN7rocprim17ROCPRIM_400000_NS6detail17trampoline_kernelINS0_14default_configENS1_35radix_sort_onesweep_config_selectorIfNS0_10empty_typeEEEZZNS1_29radix_sort_onesweep_iterationIS3_Lb0EN6thrust23THRUST_200600_302600_NS6detail15normal_iteratorINS9_10device_ptrIfEEEESE_PS5_SF_jNS0_19identity_decomposerENS1_16block_id_wrapperIjLb1EEEEE10hipError_tT1_PNSt15iterator_traitsISK_E10value_typeET2_T3_PNSL_ISQ_E10value_typeET4_T5_PSV_SW_PNS1_23onesweep_lookback_stateEbbT6_jjT7_P12ihipStream_tbENKUlT_T0_SK_SP_E_clISE_SE_SF_SF_EEDaS13_S14_SK_SP_EUlS13_E_NS1_11comp_targetILNS1_3genE9ELNS1_11target_archE1100ELNS1_3gpuE3ELNS1_3repE0EEENS1_47radix_sort_onesweep_sort_config_static_selectorELNS0_4arch9wavefront6targetE1EEEvSK_.num_named_barrier, 0
	.set _ZN7rocprim17ROCPRIM_400000_NS6detail17trampoline_kernelINS0_14default_configENS1_35radix_sort_onesweep_config_selectorIfNS0_10empty_typeEEEZZNS1_29radix_sort_onesweep_iterationIS3_Lb0EN6thrust23THRUST_200600_302600_NS6detail15normal_iteratorINS9_10device_ptrIfEEEESE_PS5_SF_jNS0_19identity_decomposerENS1_16block_id_wrapperIjLb1EEEEE10hipError_tT1_PNSt15iterator_traitsISK_E10value_typeET2_T3_PNSL_ISQ_E10value_typeET4_T5_PSV_SW_PNS1_23onesweep_lookback_stateEbbT6_jjT7_P12ihipStream_tbENKUlT_T0_SK_SP_E_clISE_SE_SF_SF_EEDaS13_S14_SK_SP_EUlS13_E_NS1_11comp_targetILNS1_3genE9ELNS1_11target_archE1100ELNS1_3gpuE3ELNS1_3repE0EEENS1_47radix_sort_onesweep_sort_config_static_selectorELNS0_4arch9wavefront6targetE1EEEvSK_.private_seg_size, 0
	.set _ZN7rocprim17ROCPRIM_400000_NS6detail17trampoline_kernelINS0_14default_configENS1_35radix_sort_onesweep_config_selectorIfNS0_10empty_typeEEEZZNS1_29radix_sort_onesweep_iterationIS3_Lb0EN6thrust23THRUST_200600_302600_NS6detail15normal_iteratorINS9_10device_ptrIfEEEESE_PS5_SF_jNS0_19identity_decomposerENS1_16block_id_wrapperIjLb1EEEEE10hipError_tT1_PNSt15iterator_traitsISK_E10value_typeET2_T3_PNSL_ISQ_E10value_typeET4_T5_PSV_SW_PNS1_23onesweep_lookback_stateEbbT6_jjT7_P12ihipStream_tbENKUlT_T0_SK_SP_E_clISE_SE_SF_SF_EEDaS13_S14_SK_SP_EUlS13_E_NS1_11comp_targetILNS1_3genE9ELNS1_11target_archE1100ELNS1_3gpuE3ELNS1_3repE0EEENS1_47radix_sort_onesweep_sort_config_static_selectorELNS0_4arch9wavefront6targetE1EEEvSK_.uses_vcc, 0
	.set _ZN7rocprim17ROCPRIM_400000_NS6detail17trampoline_kernelINS0_14default_configENS1_35radix_sort_onesweep_config_selectorIfNS0_10empty_typeEEEZZNS1_29radix_sort_onesweep_iterationIS3_Lb0EN6thrust23THRUST_200600_302600_NS6detail15normal_iteratorINS9_10device_ptrIfEEEESE_PS5_SF_jNS0_19identity_decomposerENS1_16block_id_wrapperIjLb1EEEEE10hipError_tT1_PNSt15iterator_traitsISK_E10value_typeET2_T3_PNSL_ISQ_E10value_typeET4_T5_PSV_SW_PNS1_23onesweep_lookback_stateEbbT6_jjT7_P12ihipStream_tbENKUlT_T0_SK_SP_E_clISE_SE_SF_SF_EEDaS13_S14_SK_SP_EUlS13_E_NS1_11comp_targetILNS1_3genE9ELNS1_11target_archE1100ELNS1_3gpuE3ELNS1_3repE0EEENS1_47radix_sort_onesweep_sort_config_static_selectorELNS0_4arch9wavefront6targetE1EEEvSK_.uses_flat_scratch, 0
	.set _ZN7rocprim17ROCPRIM_400000_NS6detail17trampoline_kernelINS0_14default_configENS1_35radix_sort_onesweep_config_selectorIfNS0_10empty_typeEEEZZNS1_29radix_sort_onesweep_iterationIS3_Lb0EN6thrust23THRUST_200600_302600_NS6detail15normal_iteratorINS9_10device_ptrIfEEEESE_PS5_SF_jNS0_19identity_decomposerENS1_16block_id_wrapperIjLb1EEEEE10hipError_tT1_PNSt15iterator_traitsISK_E10value_typeET2_T3_PNSL_ISQ_E10value_typeET4_T5_PSV_SW_PNS1_23onesweep_lookback_stateEbbT6_jjT7_P12ihipStream_tbENKUlT_T0_SK_SP_E_clISE_SE_SF_SF_EEDaS13_S14_SK_SP_EUlS13_E_NS1_11comp_targetILNS1_3genE9ELNS1_11target_archE1100ELNS1_3gpuE3ELNS1_3repE0EEENS1_47radix_sort_onesweep_sort_config_static_selectorELNS0_4arch9wavefront6targetE1EEEvSK_.has_dyn_sized_stack, 0
	.set _ZN7rocprim17ROCPRIM_400000_NS6detail17trampoline_kernelINS0_14default_configENS1_35radix_sort_onesweep_config_selectorIfNS0_10empty_typeEEEZZNS1_29radix_sort_onesweep_iterationIS3_Lb0EN6thrust23THRUST_200600_302600_NS6detail15normal_iteratorINS9_10device_ptrIfEEEESE_PS5_SF_jNS0_19identity_decomposerENS1_16block_id_wrapperIjLb1EEEEE10hipError_tT1_PNSt15iterator_traitsISK_E10value_typeET2_T3_PNSL_ISQ_E10value_typeET4_T5_PSV_SW_PNS1_23onesweep_lookback_stateEbbT6_jjT7_P12ihipStream_tbENKUlT_T0_SK_SP_E_clISE_SE_SF_SF_EEDaS13_S14_SK_SP_EUlS13_E_NS1_11comp_targetILNS1_3genE9ELNS1_11target_archE1100ELNS1_3gpuE3ELNS1_3repE0EEENS1_47radix_sort_onesweep_sort_config_static_selectorELNS0_4arch9wavefront6targetE1EEEvSK_.has_recursion, 0
	.set _ZN7rocprim17ROCPRIM_400000_NS6detail17trampoline_kernelINS0_14default_configENS1_35radix_sort_onesweep_config_selectorIfNS0_10empty_typeEEEZZNS1_29radix_sort_onesweep_iterationIS3_Lb0EN6thrust23THRUST_200600_302600_NS6detail15normal_iteratorINS9_10device_ptrIfEEEESE_PS5_SF_jNS0_19identity_decomposerENS1_16block_id_wrapperIjLb1EEEEE10hipError_tT1_PNSt15iterator_traitsISK_E10value_typeET2_T3_PNSL_ISQ_E10value_typeET4_T5_PSV_SW_PNS1_23onesweep_lookback_stateEbbT6_jjT7_P12ihipStream_tbENKUlT_T0_SK_SP_E_clISE_SE_SF_SF_EEDaS13_S14_SK_SP_EUlS13_E_NS1_11comp_targetILNS1_3genE9ELNS1_11target_archE1100ELNS1_3gpuE3ELNS1_3repE0EEENS1_47radix_sort_onesweep_sort_config_static_selectorELNS0_4arch9wavefront6targetE1EEEvSK_.has_indirect_call, 0
	.section	.AMDGPU.csdata,"",@progbits
; Kernel info:
; codeLenInByte = 0
; TotalNumSgprs: 6
; NumVgprs: 0
; NumAgprs: 0
; TotalNumVgprs: 0
; ScratchSize: 0
; MemoryBound: 0
; FloatMode: 240
; IeeeMode: 1
; LDSByteSize: 0 bytes/workgroup (compile time only)
; SGPRBlocks: 0
; VGPRBlocks: 0
; NumSGPRsForWavesPerEU: 6
; NumVGPRsForWavesPerEU: 1
; AccumOffset: 4
; Occupancy: 8
; WaveLimiterHint : 0
; COMPUTE_PGM_RSRC2:SCRATCH_EN: 0
; COMPUTE_PGM_RSRC2:USER_SGPR: 2
; COMPUTE_PGM_RSRC2:TRAP_HANDLER: 0
; COMPUTE_PGM_RSRC2:TGID_X_EN: 1
; COMPUTE_PGM_RSRC2:TGID_Y_EN: 0
; COMPUTE_PGM_RSRC2:TGID_Z_EN: 0
; COMPUTE_PGM_RSRC2:TIDIG_COMP_CNT: 0
; COMPUTE_PGM_RSRC3_GFX90A:ACCUM_OFFSET: 0
; COMPUTE_PGM_RSRC3_GFX90A:TG_SPLIT: 0
	.section	.text._ZN7rocprim17ROCPRIM_400000_NS6detail17trampoline_kernelINS0_14default_configENS1_35radix_sort_onesweep_config_selectorIfNS0_10empty_typeEEEZZNS1_29radix_sort_onesweep_iterationIS3_Lb0EN6thrust23THRUST_200600_302600_NS6detail15normal_iteratorINS9_10device_ptrIfEEEESE_PS5_SF_jNS0_19identity_decomposerENS1_16block_id_wrapperIjLb1EEEEE10hipError_tT1_PNSt15iterator_traitsISK_E10value_typeET2_T3_PNSL_ISQ_E10value_typeET4_T5_PSV_SW_PNS1_23onesweep_lookback_stateEbbT6_jjT7_P12ihipStream_tbENKUlT_T0_SK_SP_E_clISE_SE_SF_SF_EEDaS13_S14_SK_SP_EUlS13_E_NS1_11comp_targetILNS1_3genE8ELNS1_11target_archE1030ELNS1_3gpuE2ELNS1_3repE0EEENS1_47radix_sort_onesweep_sort_config_static_selectorELNS0_4arch9wavefront6targetE1EEEvSK_,"axG",@progbits,_ZN7rocprim17ROCPRIM_400000_NS6detail17trampoline_kernelINS0_14default_configENS1_35radix_sort_onesweep_config_selectorIfNS0_10empty_typeEEEZZNS1_29radix_sort_onesweep_iterationIS3_Lb0EN6thrust23THRUST_200600_302600_NS6detail15normal_iteratorINS9_10device_ptrIfEEEESE_PS5_SF_jNS0_19identity_decomposerENS1_16block_id_wrapperIjLb1EEEEE10hipError_tT1_PNSt15iterator_traitsISK_E10value_typeET2_T3_PNSL_ISQ_E10value_typeET4_T5_PSV_SW_PNS1_23onesweep_lookback_stateEbbT6_jjT7_P12ihipStream_tbENKUlT_T0_SK_SP_E_clISE_SE_SF_SF_EEDaS13_S14_SK_SP_EUlS13_E_NS1_11comp_targetILNS1_3genE8ELNS1_11target_archE1030ELNS1_3gpuE2ELNS1_3repE0EEENS1_47radix_sort_onesweep_sort_config_static_selectorELNS0_4arch9wavefront6targetE1EEEvSK_,comdat
	.protected	_ZN7rocprim17ROCPRIM_400000_NS6detail17trampoline_kernelINS0_14default_configENS1_35radix_sort_onesweep_config_selectorIfNS0_10empty_typeEEEZZNS1_29radix_sort_onesweep_iterationIS3_Lb0EN6thrust23THRUST_200600_302600_NS6detail15normal_iteratorINS9_10device_ptrIfEEEESE_PS5_SF_jNS0_19identity_decomposerENS1_16block_id_wrapperIjLb1EEEEE10hipError_tT1_PNSt15iterator_traitsISK_E10value_typeET2_T3_PNSL_ISQ_E10value_typeET4_T5_PSV_SW_PNS1_23onesweep_lookback_stateEbbT6_jjT7_P12ihipStream_tbENKUlT_T0_SK_SP_E_clISE_SE_SF_SF_EEDaS13_S14_SK_SP_EUlS13_E_NS1_11comp_targetILNS1_3genE8ELNS1_11target_archE1030ELNS1_3gpuE2ELNS1_3repE0EEENS1_47radix_sort_onesweep_sort_config_static_selectorELNS0_4arch9wavefront6targetE1EEEvSK_ ; -- Begin function _ZN7rocprim17ROCPRIM_400000_NS6detail17trampoline_kernelINS0_14default_configENS1_35radix_sort_onesweep_config_selectorIfNS0_10empty_typeEEEZZNS1_29radix_sort_onesweep_iterationIS3_Lb0EN6thrust23THRUST_200600_302600_NS6detail15normal_iteratorINS9_10device_ptrIfEEEESE_PS5_SF_jNS0_19identity_decomposerENS1_16block_id_wrapperIjLb1EEEEE10hipError_tT1_PNSt15iterator_traitsISK_E10value_typeET2_T3_PNSL_ISQ_E10value_typeET4_T5_PSV_SW_PNS1_23onesweep_lookback_stateEbbT6_jjT7_P12ihipStream_tbENKUlT_T0_SK_SP_E_clISE_SE_SF_SF_EEDaS13_S14_SK_SP_EUlS13_E_NS1_11comp_targetILNS1_3genE8ELNS1_11target_archE1030ELNS1_3gpuE2ELNS1_3repE0EEENS1_47radix_sort_onesweep_sort_config_static_selectorELNS0_4arch9wavefront6targetE1EEEvSK_
	.globl	_ZN7rocprim17ROCPRIM_400000_NS6detail17trampoline_kernelINS0_14default_configENS1_35radix_sort_onesweep_config_selectorIfNS0_10empty_typeEEEZZNS1_29radix_sort_onesweep_iterationIS3_Lb0EN6thrust23THRUST_200600_302600_NS6detail15normal_iteratorINS9_10device_ptrIfEEEESE_PS5_SF_jNS0_19identity_decomposerENS1_16block_id_wrapperIjLb1EEEEE10hipError_tT1_PNSt15iterator_traitsISK_E10value_typeET2_T3_PNSL_ISQ_E10value_typeET4_T5_PSV_SW_PNS1_23onesweep_lookback_stateEbbT6_jjT7_P12ihipStream_tbENKUlT_T0_SK_SP_E_clISE_SE_SF_SF_EEDaS13_S14_SK_SP_EUlS13_E_NS1_11comp_targetILNS1_3genE8ELNS1_11target_archE1030ELNS1_3gpuE2ELNS1_3repE0EEENS1_47radix_sort_onesweep_sort_config_static_selectorELNS0_4arch9wavefront6targetE1EEEvSK_
	.p2align	8
	.type	_ZN7rocprim17ROCPRIM_400000_NS6detail17trampoline_kernelINS0_14default_configENS1_35radix_sort_onesweep_config_selectorIfNS0_10empty_typeEEEZZNS1_29radix_sort_onesweep_iterationIS3_Lb0EN6thrust23THRUST_200600_302600_NS6detail15normal_iteratorINS9_10device_ptrIfEEEESE_PS5_SF_jNS0_19identity_decomposerENS1_16block_id_wrapperIjLb1EEEEE10hipError_tT1_PNSt15iterator_traitsISK_E10value_typeET2_T3_PNSL_ISQ_E10value_typeET4_T5_PSV_SW_PNS1_23onesweep_lookback_stateEbbT6_jjT7_P12ihipStream_tbENKUlT_T0_SK_SP_E_clISE_SE_SF_SF_EEDaS13_S14_SK_SP_EUlS13_E_NS1_11comp_targetILNS1_3genE8ELNS1_11target_archE1030ELNS1_3gpuE2ELNS1_3repE0EEENS1_47radix_sort_onesweep_sort_config_static_selectorELNS0_4arch9wavefront6targetE1EEEvSK_,@function
_ZN7rocprim17ROCPRIM_400000_NS6detail17trampoline_kernelINS0_14default_configENS1_35radix_sort_onesweep_config_selectorIfNS0_10empty_typeEEEZZNS1_29radix_sort_onesweep_iterationIS3_Lb0EN6thrust23THRUST_200600_302600_NS6detail15normal_iteratorINS9_10device_ptrIfEEEESE_PS5_SF_jNS0_19identity_decomposerENS1_16block_id_wrapperIjLb1EEEEE10hipError_tT1_PNSt15iterator_traitsISK_E10value_typeET2_T3_PNSL_ISQ_E10value_typeET4_T5_PSV_SW_PNS1_23onesweep_lookback_stateEbbT6_jjT7_P12ihipStream_tbENKUlT_T0_SK_SP_E_clISE_SE_SF_SF_EEDaS13_S14_SK_SP_EUlS13_E_NS1_11comp_targetILNS1_3genE8ELNS1_11target_archE1030ELNS1_3gpuE2ELNS1_3repE0EEENS1_47radix_sort_onesweep_sort_config_static_selectorELNS0_4arch9wavefront6targetE1EEEvSK_: ; @_ZN7rocprim17ROCPRIM_400000_NS6detail17trampoline_kernelINS0_14default_configENS1_35radix_sort_onesweep_config_selectorIfNS0_10empty_typeEEEZZNS1_29radix_sort_onesweep_iterationIS3_Lb0EN6thrust23THRUST_200600_302600_NS6detail15normal_iteratorINS9_10device_ptrIfEEEESE_PS5_SF_jNS0_19identity_decomposerENS1_16block_id_wrapperIjLb1EEEEE10hipError_tT1_PNSt15iterator_traitsISK_E10value_typeET2_T3_PNSL_ISQ_E10value_typeET4_T5_PSV_SW_PNS1_23onesweep_lookback_stateEbbT6_jjT7_P12ihipStream_tbENKUlT_T0_SK_SP_E_clISE_SE_SF_SF_EEDaS13_S14_SK_SP_EUlS13_E_NS1_11comp_targetILNS1_3genE8ELNS1_11target_archE1030ELNS1_3gpuE2ELNS1_3repE0EEENS1_47radix_sort_onesweep_sort_config_static_selectorELNS0_4arch9wavefront6targetE1EEEvSK_
; %bb.0:
	.section	.rodata,"a",@progbits
	.p2align	6, 0x0
	.amdhsa_kernel _ZN7rocprim17ROCPRIM_400000_NS6detail17trampoline_kernelINS0_14default_configENS1_35radix_sort_onesweep_config_selectorIfNS0_10empty_typeEEEZZNS1_29radix_sort_onesweep_iterationIS3_Lb0EN6thrust23THRUST_200600_302600_NS6detail15normal_iteratorINS9_10device_ptrIfEEEESE_PS5_SF_jNS0_19identity_decomposerENS1_16block_id_wrapperIjLb1EEEEE10hipError_tT1_PNSt15iterator_traitsISK_E10value_typeET2_T3_PNSL_ISQ_E10value_typeET4_T5_PSV_SW_PNS1_23onesweep_lookback_stateEbbT6_jjT7_P12ihipStream_tbENKUlT_T0_SK_SP_E_clISE_SE_SF_SF_EEDaS13_S14_SK_SP_EUlS13_E_NS1_11comp_targetILNS1_3genE8ELNS1_11target_archE1030ELNS1_3gpuE2ELNS1_3repE0EEENS1_47radix_sort_onesweep_sort_config_static_selectorELNS0_4arch9wavefront6targetE1EEEvSK_
		.amdhsa_group_segment_fixed_size 0
		.amdhsa_private_segment_fixed_size 0
		.amdhsa_kernarg_size 88
		.amdhsa_user_sgpr_count 2
		.amdhsa_user_sgpr_dispatch_ptr 0
		.amdhsa_user_sgpr_queue_ptr 0
		.amdhsa_user_sgpr_kernarg_segment_ptr 1
		.amdhsa_user_sgpr_dispatch_id 0
		.amdhsa_user_sgpr_kernarg_preload_length 0
		.amdhsa_user_sgpr_kernarg_preload_offset 0
		.amdhsa_user_sgpr_private_segment_size 0
		.amdhsa_uses_dynamic_stack 0
		.amdhsa_enable_private_segment 0
		.amdhsa_system_sgpr_workgroup_id_x 1
		.amdhsa_system_sgpr_workgroup_id_y 0
		.amdhsa_system_sgpr_workgroup_id_z 0
		.amdhsa_system_sgpr_workgroup_info 0
		.amdhsa_system_vgpr_workitem_id 0
		.amdhsa_next_free_vgpr 1
		.amdhsa_next_free_sgpr 0
		.amdhsa_accum_offset 4
		.amdhsa_reserve_vcc 0
		.amdhsa_float_round_mode_32 0
		.amdhsa_float_round_mode_16_64 0
		.amdhsa_float_denorm_mode_32 3
		.amdhsa_float_denorm_mode_16_64 3
		.amdhsa_dx10_clamp 1
		.amdhsa_ieee_mode 1
		.amdhsa_fp16_overflow 0
		.amdhsa_tg_split 0
		.amdhsa_exception_fp_ieee_invalid_op 0
		.amdhsa_exception_fp_denorm_src 0
		.amdhsa_exception_fp_ieee_div_zero 0
		.amdhsa_exception_fp_ieee_overflow 0
		.amdhsa_exception_fp_ieee_underflow 0
		.amdhsa_exception_fp_ieee_inexact 0
		.amdhsa_exception_int_div_zero 0
	.end_amdhsa_kernel
	.section	.text._ZN7rocprim17ROCPRIM_400000_NS6detail17trampoline_kernelINS0_14default_configENS1_35radix_sort_onesweep_config_selectorIfNS0_10empty_typeEEEZZNS1_29radix_sort_onesweep_iterationIS3_Lb0EN6thrust23THRUST_200600_302600_NS6detail15normal_iteratorINS9_10device_ptrIfEEEESE_PS5_SF_jNS0_19identity_decomposerENS1_16block_id_wrapperIjLb1EEEEE10hipError_tT1_PNSt15iterator_traitsISK_E10value_typeET2_T3_PNSL_ISQ_E10value_typeET4_T5_PSV_SW_PNS1_23onesweep_lookback_stateEbbT6_jjT7_P12ihipStream_tbENKUlT_T0_SK_SP_E_clISE_SE_SF_SF_EEDaS13_S14_SK_SP_EUlS13_E_NS1_11comp_targetILNS1_3genE8ELNS1_11target_archE1030ELNS1_3gpuE2ELNS1_3repE0EEENS1_47radix_sort_onesweep_sort_config_static_selectorELNS0_4arch9wavefront6targetE1EEEvSK_,"axG",@progbits,_ZN7rocprim17ROCPRIM_400000_NS6detail17trampoline_kernelINS0_14default_configENS1_35radix_sort_onesweep_config_selectorIfNS0_10empty_typeEEEZZNS1_29radix_sort_onesweep_iterationIS3_Lb0EN6thrust23THRUST_200600_302600_NS6detail15normal_iteratorINS9_10device_ptrIfEEEESE_PS5_SF_jNS0_19identity_decomposerENS1_16block_id_wrapperIjLb1EEEEE10hipError_tT1_PNSt15iterator_traitsISK_E10value_typeET2_T3_PNSL_ISQ_E10value_typeET4_T5_PSV_SW_PNS1_23onesweep_lookback_stateEbbT6_jjT7_P12ihipStream_tbENKUlT_T0_SK_SP_E_clISE_SE_SF_SF_EEDaS13_S14_SK_SP_EUlS13_E_NS1_11comp_targetILNS1_3genE8ELNS1_11target_archE1030ELNS1_3gpuE2ELNS1_3repE0EEENS1_47radix_sort_onesweep_sort_config_static_selectorELNS0_4arch9wavefront6targetE1EEEvSK_,comdat
.Lfunc_end567:
	.size	_ZN7rocprim17ROCPRIM_400000_NS6detail17trampoline_kernelINS0_14default_configENS1_35radix_sort_onesweep_config_selectorIfNS0_10empty_typeEEEZZNS1_29radix_sort_onesweep_iterationIS3_Lb0EN6thrust23THRUST_200600_302600_NS6detail15normal_iteratorINS9_10device_ptrIfEEEESE_PS5_SF_jNS0_19identity_decomposerENS1_16block_id_wrapperIjLb1EEEEE10hipError_tT1_PNSt15iterator_traitsISK_E10value_typeET2_T3_PNSL_ISQ_E10value_typeET4_T5_PSV_SW_PNS1_23onesweep_lookback_stateEbbT6_jjT7_P12ihipStream_tbENKUlT_T0_SK_SP_E_clISE_SE_SF_SF_EEDaS13_S14_SK_SP_EUlS13_E_NS1_11comp_targetILNS1_3genE8ELNS1_11target_archE1030ELNS1_3gpuE2ELNS1_3repE0EEENS1_47radix_sort_onesweep_sort_config_static_selectorELNS0_4arch9wavefront6targetE1EEEvSK_, .Lfunc_end567-_ZN7rocprim17ROCPRIM_400000_NS6detail17trampoline_kernelINS0_14default_configENS1_35radix_sort_onesweep_config_selectorIfNS0_10empty_typeEEEZZNS1_29radix_sort_onesweep_iterationIS3_Lb0EN6thrust23THRUST_200600_302600_NS6detail15normal_iteratorINS9_10device_ptrIfEEEESE_PS5_SF_jNS0_19identity_decomposerENS1_16block_id_wrapperIjLb1EEEEE10hipError_tT1_PNSt15iterator_traitsISK_E10value_typeET2_T3_PNSL_ISQ_E10value_typeET4_T5_PSV_SW_PNS1_23onesweep_lookback_stateEbbT6_jjT7_P12ihipStream_tbENKUlT_T0_SK_SP_E_clISE_SE_SF_SF_EEDaS13_S14_SK_SP_EUlS13_E_NS1_11comp_targetILNS1_3genE8ELNS1_11target_archE1030ELNS1_3gpuE2ELNS1_3repE0EEENS1_47radix_sort_onesweep_sort_config_static_selectorELNS0_4arch9wavefront6targetE1EEEvSK_
                                        ; -- End function
	.set _ZN7rocprim17ROCPRIM_400000_NS6detail17trampoline_kernelINS0_14default_configENS1_35radix_sort_onesweep_config_selectorIfNS0_10empty_typeEEEZZNS1_29radix_sort_onesweep_iterationIS3_Lb0EN6thrust23THRUST_200600_302600_NS6detail15normal_iteratorINS9_10device_ptrIfEEEESE_PS5_SF_jNS0_19identity_decomposerENS1_16block_id_wrapperIjLb1EEEEE10hipError_tT1_PNSt15iterator_traitsISK_E10value_typeET2_T3_PNSL_ISQ_E10value_typeET4_T5_PSV_SW_PNS1_23onesweep_lookback_stateEbbT6_jjT7_P12ihipStream_tbENKUlT_T0_SK_SP_E_clISE_SE_SF_SF_EEDaS13_S14_SK_SP_EUlS13_E_NS1_11comp_targetILNS1_3genE8ELNS1_11target_archE1030ELNS1_3gpuE2ELNS1_3repE0EEENS1_47radix_sort_onesweep_sort_config_static_selectorELNS0_4arch9wavefront6targetE1EEEvSK_.num_vgpr, 0
	.set _ZN7rocprim17ROCPRIM_400000_NS6detail17trampoline_kernelINS0_14default_configENS1_35radix_sort_onesweep_config_selectorIfNS0_10empty_typeEEEZZNS1_29radix_sort_onesweep_iterationIS3_Lb0EN6thrust23THRUST_200600_302600_NS6detail15normal_iteratorINS9_10device_ptrIfEEEESE_PS5_SF_jNS0_19identity_decomposerENS1_16block_id_wrapperIjLb1EEEEE10hipError_tT1_PNSt15iterator_traitsISK_E10value_typeET2_T3_PNSL_ISQ_E10value_typeET4_T5_PSV_SW_PNS1_23onesweep_lookback_stateEbbT6_jjT7_P12ihipStream_tbENKUlT_T0_SK_SP_E_clISE_SE_SF_SF_EEDaS13_S14_SK_SP_EUlS13_E_NS1_11comp_targetILNS1_3genE8ELNS1_11target_archE1030ELNS1_3gpuE2ELNS1_3repE0EEENS1_47radix_sort_onesweep_sort_config_static_selectorELNS0_4arch9wavefront6targetE1EEEvSK_.num_agpr, 0
	.set _ZN7rocprim17ROCPRIM_400000_NS6detail17trampoline_kernelINS0_14default_configENS1_35radix_sort_onesweep_config_selectorIfNS0_10empty_typeEEEZZNS1_29radix_sort_onesweep_iterationIS3_Lb0EN6thrust23THRUST_200600_302600_NS6detail15normal_iteratorINS9_10device_ptrIfEEEESE_PS5_SF_jNS0_19identity_decomposerENS1_16block_id_wrapperIjLb1EEEEE10hipError_tT1_PNSt15iterator_traitsISK_E10value_typeET2_T3_PNSL_ISQ_E10value_typeET4_T5_PSV_SW_PNS1_23onesweep_lookback_stateEbbT6_jjT7_P12ihipStream_tbENKUlT_T0_SK_SP_E_clISE_SE_SF_SF_EEDaS13_S14_SK_SP_EUlS13_E_NS1_11comp_targetILNS1_3genE8ELNS1_11target_archE1030ELNS1_3gpuE2ELNS1_3repE0EEENS1_47radix_sort_onesweep_sort_config_static_selectorELNS0_4arch9wavefront6targetE1EEEvSK_.numbered_sgpr, 0
	.set _ZN7rocprim17ROCPRIM_400000_NS6detail17trampoline_kernelINS0_14default_configENS1_35radix_sort_onesweep_config_selectorIfNS0_10empty_typeEEEZZNS1_29radix_sort_onesweep_iterationIS3_Lb0EN6thrust23THRUST_200600_302600_NS6detail15normal_iteratorINS9_10device_ptrIfEEEESE_PS5_SF_jNS0_19identity_decomposerENS1_16block_id_wrapperIjLb1EEEEE10hipError_tT1_PNSt15iterator_traitsISK_E10value_typeET2_T3_PNSL_ISQ_E10value_typeET4_T5_PSV_SW_PNS1_23onesweep_lookback_stateEbbT6_jjT7_P12ihipStream_tbENKUlT_T0_SK_SP_E_clISE_SE_SF_SF_EEDaS13_S14_SK_SP_EUlS13_E_NS1_11comp_targetILNS1_3genE8ELNS1_11target_archE1030ELNS1_3gpuE2ELNS1_3repE0EEENS1_47radix_sort_onesweep_sort_config_static_selectorELNS0_4arch9wavefront6targetE1EEEvSK_.num_named_barrier, 0
	.set _ZN7rocprim17ROCPRIM_400000_NS6detail17trampoline_kernelINS0_14default_configENS1_35radix_sort_onesweep_config_selectorIfNS0_10empty_typeEEEZZNS1_29radix_sort_onesweep_iterationIS3_Lb0EN6thrust23THRUST_200600_302600_NS6detail15normal_iteratorINS9_10device_ptrIfEEEESE_PS5_SF_jNS0_19identity_decomposerENS1_16block_id_wrapperIjLb1EEEEE10hipError_tT1_PNSt15iterator_traitsISK_E10value_typeET2_T3_PNSL_ISQ_E10value_typeET4_T5_PSV_SW_PNS1_23onesweep_lookback_stateEbbT6_jjT7_P12ihipStream_tbENKUlT_T0_SK_SP_E_clISE_SE_SF_SF_EEDaS13_S14_SK_SP_EUlS13_E_NS1_11comp_targetILNS1_3genE8ELNS1_11target_archE1030ELNS1_3gpuE2ELNS1_3repE0EEENS1_47radix_sort_onesweep_sort_config_static_selectorELNS0_4arch9wavefront6targetE1EEEvSK_.private_seg_size, 0
	.set _ZN7rocprim17ROCPRIM_400000_NS6detail17trampoline_kernelINS0_14default_configENS1_35radix_sort_onesweep_config_selectorIfNS0_10empty_typeEEEZZNS1_29radix_sort_onesweep_iterationIS3_Lb0EN6thrust23THRUST_200600_302600_NS6detail15normal_iteratorINS9_10device_ptrIfEEEESE_PS5_SF_jNS0_19identity_decomposerENS1_16block_id_wrapperIjLb1EEEEE10hipError_tT1_PNSt15iterator_traitsISK_E10value_typeET2_T3_PNSL_ISQ_E10value_typeET4_T5_PSV_SW_PNS1_23onesweep_lookback_stateEbbT6_jjT7_P12ihipStream_tbENKUlT_T0_SK_SP_E_clISE_SE_SF_SF_EEDaS13_S14_SK_SP_EUlS13_E_NS1_11comp_targetILNS1_3genE8ELNS1_11target_archE1030ELNS1_3gpuE2ELNS1_3repE0EEENS1_47radix_sort_onesweep_sort_config_static_selectorELNS0_4arch9wavefront6targetE1EEEvSK_.uses_vcc, 0
	.set _ZN7rocprim17ROCPRIM_400000_NS6detail17trampoline_kernelINS0_14default_configENS1_35radix_sort_onesweep_config_selectorIfNS0_10empty_typeEEEZZNS1_29radix_sort_onesweep_iterationIS3_Lb0EN6thrust23THRUST_200600_302600_NS6detail15normal_iteratorINS9_10device_ptrIfEEEESE_PS5_SF_jNS0_19identity_decomposerENS1_16block_id_wrapperIjLb1EEEEE10hipError_tT1_PNSt15iterator_traitsISK_E10value_typeET2_T3_PNSL_ISQ_E10value_typeET4_T5_PSV_SW_PNS1_23onesweep_lookback_stateEbbT6_jjT7_P12ihipStream_tbENKUlT_T0_SK_SP_E_clISE_SE_SF_SF_EEDaS13_S14_SK_SP_EUlS13_E_NS1_11comp_targetILNS1_3genE8ELNS1_11target_archE1030ELNS1_3gpuE2ELNS1_3repE0EEENS1_47radix_sort_onesweep_sort_config_static_selectorELNS0_4arch9wavefront6targetE1EEEvSK_.uses_flat_scratch, 0
	.set _ZN7rocprim17ROCPRIM_400000_NS6detail17trampoline_kernelINS0_14default_configENS1_35radix_sort_onesweep_config_selectorIfNS0_10empty_typeEEEZZNS1_29radix_sort_onesweep_iterationIS3_Lb0EN6thrust23THRUST_200600_302600_NS6detail15normal_iteratorINS9_10device_ptrIfEEEESE_PS5_SF_jNS0_19identity_decomposerENS1_16block_id_wrapperIjLb1EEEEE10hipError_tT1_PNSt15iterator_traitsISK_E10value_typeET2_T3_PNSL_ISQ_E10value_typeET4_T5_PSV_SW_PNS1_23onesweep_lookback_stateEbbT6_jjT7_P12ihipStream_tbENKUlT_T0_SK_SP_E_clISE_SE_SF_SF_EEDaS13_S14_SK_SP_EUlS13_E_NS1_11comp_targetILNS1_3genE8ELNS1_11target_archE1030ELNS1_3gpuE2ELNS1_3repE0EEENS1_47radix_sort_onesweep_sort_config_static_selectorELNS0_4arch9wavefront6targetE1EEEvSK_.has_dyn_sized_stack, 0
	.set _ZN7rocprim17ROCPRIM_400000_NS6detail17trampoline_kernelINS0_14default_configENS1_35radix_sort_onesweep_config_selectorIfNS0_10empty_typeEEEZZNS1_29radix_sort_onesweep_iterationIS3_Lb0EN6thrust23THRUST_200600_302600_NS6detail15normal_iteratorINS9_10device_ptrIfEEEESE_PS5_SF_jNS0_19identity_decomposerENS1_16block_id_wrapperIjLb1EEEEE10hipError_tT1_PNSt15iterator_traitsISK_E10value_typeET2_T3_PNSL_ISQ_E10value_typeET4_T5_PSV_SW_PNS1_23onesweep_lookback_stateEbbT6_jjT7_P12ihipStream_tbENKUlT_T0_SK_SP_E_clISE_SE_SF_SF_EEDaS13_S14_SK_SP_EUlS13_E_NS1_11comp_targetILNS1_3genE8ELNS1_11target_archE1030ELNS1_3gpuE2ELNS1_3repE0EEENS1_47radix_sort_onesweep_sort_config_static_selectorELNS0_4arch9wavefront6targetE1EEEvSK_.has_recursion, 0
	.set _ZN7rocprim17ROCPRIM_400000_NS6detail17trampoline_kernelINS0_14default_configENS1_35radix_sort_onesweep_config_selectorIfNS0_10empty_typeEEEZZNS1_29radix_sort_onesweep_iterationIS3_Lb0EN6thrust23THRUST_200600_302600_NS6detail15normal_iteratorINS9_10device_ptrIfEEEESE_PS5_SF_jNS0_19identity_decomposerENS1_16block_id_wrapperIjLb1EEEEE10hipError_tT1_PNSt15iterator_traitsISK_E10value_typeET2_T3_PNSL_ISQ_E10value_typeET4_T5_PSV_SW_PNS1_23onesweep_lookback_stateEbbT6_jjT7_P12ihipStream_tbENKUlT_T0_SK_SP_E_clISE_SE_SF_SF_EEDaS13_S14_SK_SP_EUlS13_E_NS1_11comp_targetILNS1_3genE8ELNS1_11target_archE1030ELNS1_3gpuE2ELNS1_3repE0EEENS1_47radix_sort_onesweep_sort_config_static_selectorELNS0_4arch9wavefront6targetE1EEEvSK_.has_indirect_call, 0
	.section	.AMDGPU.csdata,"",@progbits
; Kernel info:
; codeLenInByte = 0
; TotalNumSgprs: 6
; NumVgprs: 0
; NumAgprs: 0
; TotalNumVgprs: 0
; ScratchSize: 0
; MemoryBound: 0
; FloatMode: 240
; IeeeMode: 1
; LDSByteSize: 0 bytes/workgroup (compile time only)
; SGPRBlocks: 0
; VGPRBlocks: 0
; NumSGPRsForWavesPerEU: 6
; NumVGPRsForWavesPerEU: 1
; AccumOffset: 4
; Occupancy: 8
; WaveLimiterHint : 0
; COMPUTE_PGM_RSRC2:SCRATCH_EN: 0
; COMPUTE_PGM_RSRC2:USER_SGPR: 2
; COMPUTE_PGM_RSRC2:TRAP_HANDLER: 0
; COMPUTE_PGM_RSRC2:TGID_X_EN: 1
; COMPUTE_PGM_RSRC2:TGID_Y_EN: 0
; COMPUTE_PGM_RSRC2:TGID_Z_EN: 0
; COMPUTE_PGM_RSRC2:TIDIG_COMP_CNT: 0
; COMPUTE_PGM_RSRC3_GFX90A:ACCUM_OFFSET: 0
; COMPUTE_PGM_RSRC3_GFX90A:TG_SPLIT: 0
	.section	.text._ZN7rocprim17ROCPRIM_400000_NS6detail17trampoline_kernelINS0_14default_configENS1_35radix_sort_onesweep_config_selectorIfNS0_10empty_typeEEEZZNS1_29radix_sort_onesweep_iterationIS3_Lb0EN6thrust23THRUST_200600_302600_NS6detail15normal_iteratorINS9_10device_ptrIfEEEESE_PS5_SF_jNS0_19identity_decomposerENS1_16block_id_wrapperIjLb1EEEEE10hipError_tT1_PNSt15iterator_traitsISK_E10value_typeET2_T3_PNSL_ISQ_E10value_typeET4_T5_PSV_SW_PNS1_23onesweep_lookback_stateEbbT6_jjT7_P12ihipStream_tbENKUlT_T0_SK_SP_E_clISE_PfSF_SF_EEDaS13_S14_SK_SP_EUlS13_E_NS1_11comp_targetILNS1_3genE0ELNS1_11target_archE4294967295ELNS1_3gpuE0ELNS1_3repE0EEENS1_47radix_sort_onesweep_sort_config_static_selectorELNS0_4arch9wavefront6targetE1EEEvSK_,"axG",@progbits,_ZN7rocprim17ROCPRIM_400000_NS6detail17trampoline_kernelINS0_14default_configENS1_35radix_sort_onesweep_config_selectorIfNS0_10empty_typeEEEZZNS1_29radix_sort_onesweep_iterationIS3_Lb0EN6thrust23THRUST_200600_302600_NS6detail15normal_iteratorINS9_10device_ptrIfEEEESE_PS5_SF_jNS0_19identity_decomposerENS1_16block_id_wrapperIjLb1EEEEE10hipError_tT1_PNSt15iterator_traitsISK_E10value_typeET2_T3_PNSL_ISQ_E10value_typeET4_T5_PSV_SW_PNS1_23onesweep_lookback_stateEbbT6_jjT7_P12ihipStream_tbENKUlT_T0_SK_SP_E_clISE_PfSF_SF_EEDaS13_S14_SK_SP_EUlS13_E_NS1_11comp_targetILNS1_3genE0ELNS1_11target_archE4294967295ELNS1_3gpuE0ELNS1_3repE0EEENS1_47radix_sort_onesweep_sort_config_static_selectorELNS0_4arch9wavefront6targetE1EEEvSK_,comdat
	.protected	_ZN7rocprim17ROCPRIM_400000_NS6detail17trampoline_kernelINS0_14default_configENS1_35radix_sort_onesweep_config_selectorIfNS0_10empty_typeEEEZZNS1_29radix_sort_onesweep_iterationIS3_Lb0EN6thrust23THRUST_200600_302600_NS6detail15normal_iteratorINS9_10device_ptrIfEEEESE_PS5_SF_jNS0_19identity_decomposerENS1_16block_id_wrapperIjLb1EEEEE10hipError_tT1_PNSt15iterator_traitsISK_E10value_typeET2_T3_PNSL_ISQ_E10value_typeET4_T5_PSV_SW_PNS1_23onesweep_lookback_stateEbbT6_jjT7_P12ihipStream_tbENKUlT_T0_SK_SP_E_clISE_PfSF_SF_EEDaS13_S14_SK_SP_EUlS13_E_NS1_11comp_targetILNS1_3genE0ELNS1_11target_archE4294967295ELNS1_3gpuE0ELNS1_3repE0EEENS1_47radix_sort_onesweep_sort_config_static_selectorELNS0_4arch9wavefront6targetE1EEEvSK_ ; -- Begin function _ZN7rocprim17ROCPRIM_400000_NS6detail17trampoline_kernelINS0_14default_configENS1_35radix_sort_onesweep_config_selectorIfNS0_10empty_typeEEEZZNS1_29radix_sort_onesweep_iterationIS3_Lb0EN6thrust23THRUST_200600_302600_NS6detail15normal_iteratorINS9_10device_ptrIfEEEESE_PS5_SF_jNS0_19identity_decomposerENS1_16block_id_wrapperIjLb1EEEEE10hipError_tT1_PNSt15iterator_traitsISK_E10value_typeET2_T3_PNSL_ISQ_E10value_typeET4_T5_PSV_SW_PNS1_23onesweep_lookback_stateEbbT6_jjT7_P12ihipStream_tbENKUlT_T0_SK_SP_E_clISE_PfSF_SF_EEDaS13_S14_SK_SP_EUlS13_E_NS1_11comp_targetILNS1_3genE0ELNS1_11target_archE4294967295ELNS1_3gpuE0ELNS1_3repE0EEENS1_47radix_sort_onesweep_sort_config_static_selectorELNS0_4arch9wavefront6targetE1EEEvSK_
	.globl	_ZN7rocprim17ROCPRIM_400000_NS6detail17trampoline_kernelINS0_14default_configENS1_35radix_sort_onesweep_config_selectorIfNS0_10empty_typeEEEZZNS1_29radix_sort_onesweep_iterationIS3_Lb0EN6thrust23THRUST_200600_302600_NS6detail15normal_iteratorINS9_10device_ptrIfEEEESE_PS5_SF_jNS0_19identity_decomposerENS1_16block_id_wrapperIjLb1EEEEE10hipError_tT1_PNSt15iterator_traitsISK_E10value_typeET2_T3_PNSL_ISQ_E10value_typeET4_T5_PSV_SW_PNS1_23onesweep_lookback_stateEbbT6_jjT7_P12ihipStream_tbENKUlT_T0_SK_SP_E_clISE_PfSF_SF_EEDaS13_S14_SK_SP_EUlS13_E_NS1_11comp_targetILNS1_3genE0ELNS1_11target_archE4294967295ELNS1_3gpuE0ELNS1_3repE0EEENS1_47radix_sort_onesweep_sort_config_static_selectorELNS0_4arch9wavefront6targetE1EEEvSK_
	.p2align	8
	.type	_ZN7rocprim17ROCPRIM_400000_NS6detail17trampoline_kernelINS0_14default_configENS1_35radix_sort_onesweep_config_selectorIfNS0_10empty_typeEEEZZNS1_29radix_sort_onesweep_iterationIS3_Lb0EN6thrust23THRUST_200600_302600_NS6detail15normal_iteratorINS9_10device_ptrIfEEEESE_PS5_SF_jNS0_19identity_decomposerENS1_16block_id_wrapperIjLb1EEEEE10hipError_tT1_PNSt15iterator_traitsISK_E10value_typeET2_T3_PNSL_ISQ_E10value_typeET4_T5_PSV_SW_PNS1_23onesweep_lookback_stateEbbT6_jjT7_P12ihipStream_tbENKUlT_T0_SK_SP_E_clISE_PfSF_SF_EEDaS13_S14_SK_SP_EUlS13_E_NS1_11comp_targetILNS1_3genE0ELNS1_11target_archE4294967295ELNS1_3gpuE0ELNS1_3repE0EEENS1_47radix_sort_onesweep_sort_config_static_selectorELNS0_4arch9wavefront6targetE1EEEvSK_,@function
_ZN7rocprim17ROCPRIM_400000_NS6detail17trampoline_kernelINS0_14default_configENS1_35radix_sort_onesweep_config_selectorIfNS0_10empty_typeEEEZZNS1_29radix_sort_onesweep_iterationIS3_Lb0EN6thrust23THRUST_200600_302600_NS6detail15normal_iteratorINS9_10device_ptrIfEEEESE_PS5_SF_jNS0_19identity_decomposerENS1_16block_id_wrapperIjLb1EEEEE10hipError_tT1_PNSt15iterator_traitsISK_E10value_typeET2_T3_PNSL_ISQ_E10value_typeET4_T5_PSV_SW_PNS1_23onesweep_lookback_stateEbbT6_jjT7_P12ihipStream_tbENKUlT_T0_SK_SP_E_clISE_PfSF_SF_EEDaS13_S14_SK_SP_EUlS13_E_NS1_11comp_targetILNS1_3genE0ELNS1_11target_archE4294967295ELNS1_3gpuE0ELNS1_3repE0EEENS1_47radix_sort_onesweep_sort_config_static_selectorELNS0_4arch9wavefront6targetE1EEEvSK_: ; @_ZN7rocprim17ROCPRIM_400000_NS6detail17trampoline_kernelINS0_14default_configENS1_35radix_sort_onesweep_config_selectorIfNS0_10empty_typeEEEZZNS1_29radix_sort_onesweep_iterationIS3_Lb0EN6thrust23THRUST_200600_302600_NS6detail15normal_iteratorINS9_10device_ptrIfEEEESE_PS5_SF_jNS0_19identity_decomposerENS1_16block_id_wrapperIjLb1EEEEE10hipError_tT1_PNSt15iterator_traitsISK_E10value_typeET2_T3_PNSL_ISQ_E10value_typeET4_T5_PSV_SW_PNS1_23onesweep_lookback_stateEbbT6_jjT7_P12ihipStream_tbENKUlT_T0_SK_SP_E_clISE_PfSF_SF_EEDaS13_S14_SK_SP_EUlS13_E_NS1_11comp_targetILNS1_3genE0ELNS1_11target_archE4294967295ELNS1_3gpuE0ELNS1_3repE0EEENS1_47radix_sort_onesweep_sort_config_static_selectorELNS0_4arch9wavefront6targetE1EEEvSK_
; %bb.0:
	.section	.rodata,"a",@progbits
	.p2align	6, 0x0
	.amdhsa_kernel _ZN7rocprim17ROCPRIM_400000_NS6detail17trampoline_kernelINS0_14default_configENS1_35radix_sort_onesweep_config_selectorIfNS0_10empty_typeEEEZZNS1_29radix_sort_onesweep_iterationIS3_Lb0EN6thrust23THRUST_200600_302600_NS6detail15normal_iteratorINS9_10device_ptrIfEEEESE_PS5_SF_jNS0_19identity_decomposerENS1_16block_id_wrapperIjLb1EEEEE10hipError_tT1_PNSt15iterator_traitsISK_E10value_typeET2_T3_PNSL_ISQ_E10value_typeET4_T5_PSV_SW_PNS1_23onesweep_lookback_stateEbbT6_jjT7_P12ihipStream_tbENKUlT_T0_SK_SP_E_clISE_PfSF_SF_EEDaS13_S14_SK_SP_EUlS13_E_NS1_11comp_targetILNS1_3genE0ELNS1_11target_archE4294967295ELNS1_3gpuE0ELNS1_3repE0EEENS1_47radix_sort_onesweep_sort_config_static_selectorELNS0_4arch9wavefront6targetE1EEEvSK_
		.amdhsa_group_segment_fixed_size 0
		.amdhsa_private_segment_fixed_size 0
		.amdhsa_kernarg_size 88
		.amdhsa_user_sgpr_count 2
		.amdhsa_user_sgpr_dispatch_ptr 0
		.amdhsa_user_sgpr_queue_ptr 0
		.amdhsa_user_sgpr_kernarg_segment_ptr 1
		.amdhsa_user_sgpr_dispatch_id 0
		.amdhsa_user_sgpr_kernarg_preload_length 0
		.amdhsa_user_sgpr_kernarg_preload_offset 0
		.amdhsa_user_sgpr_private_segment_size 0
		.amdhsa_uses_dynamic_stack 0
		.amdhsa_enable_private_segment 0
		.amdhsa_system_sgpr_workgroup_id_x 1
		.amdhsa_system_sgpr_workgroup_id_y 0
		.amdhsa_system_sgpr_workgroup_id_z 0
		.amdhsa_system_sgpr_workgroup_info 0
		.amdhsa_system_vgpr_workitem_id 0
		.amdhsa_next_free_vgpr 1
		.amdhsa_next_free_sgpr 0
		.amdhsa_accum_offset 4
		.amdhsa_reserve_vcc 0
		.amdhsa_float_round_mode_32 0
		.amdhsa_float_round_mode_16_64 0
		.amdhsa_float_denorm_mode_32 3
		.amdhsa_float_denorm_mode_16_64 3
		.amdhsa_dx10_clamp 1
		.amdhsa_ieee_mode 1
		.amdhsa_fp16_overflow 0
		.amdhsa_tg_split 0
		.amdhsa_exception_fp_ieee_invalid_op 0
		.amdhsa_exception_fp_denorm_src 0
		.amdhsa_exception_fp_ieee_div_zero 0
		.amdhsa_exception_fp_ieee_overflow 0
		.amdhsa_exception_fp_ieee_underflow 0
		.amdhsa_exception_fp_ieee_inexact 0
		.amdhsa_exception_int_div_zero 0
	.end_amdhsa_kernel
	.section	.text._ZN7rocprim17ROCPRIM_400000_NS6detail17trampoline_kernelINS0_14default_configENS1_35radix_sort_onesweep_config_selectorIfNS0_10empty_typeEEEZZNS1_29radix_sort_onesweep_iterationIS3_Lb0EN6thrust23THRUST_200600_302600_NS6detail15normal_iteratorINS9_10device_ptrIfEEEESE_PS5_SF_jNS0_19identity_decomposerENS1_16block_id_wrapperIjLb1EEEEE10hipError_tT1_PNSt15iterator_traitsISK_E10value_typeET2_T3_PNSL_ISQ_E10value_typeET4_T5_PSV_SW_PNS1_23onesweep_lookback_stateEbbT6_jjT7_P12ihipStream_tbENKUlT_T0_SK_SP_E_clISE_PfSF_SF_EEDaS13_S14_SK_SP_EUlS13_E_NS1_11comp_targetILNS1_3genE0ELNS1_11target_archE4294967295ELNS1_3gpuE0ELNS1_3repE0EEENS1_47radix_sort_onesweep_sort_config_static_selectorELNS0_4arch9wavefront6targetE1EEEvSK_,"axG",@progbits,_ZN7rocprim17ROCPRIM_400000_NS6detail17trampoline_kernelINS0_14default_configENS1_35radix_sort_onesweep_config_selectorIfNS0_10empty_typeEEEZZNS1_29radix_sort_onesweep_iterationIS3_Lb0EN6thrust23THRUST_200600_302600_NS6detail15normal_iteratorINS9_10device_ptrIfEEEESE_PS5_SF_jNS0_19identity_decomposerENS1_16block_id_wrapperIjLb1EEEEE10hipError_tT1_PNSt15iterator_traitsISK_E10value_typeET2_T3_PNSL_ISQ_E10value_typeET4_T5_PSV_SW_PNS1_23onesweep_lookback_stateEbbT6_jjT7_P12ihipStream_tbENKUlT_T0_SK_SP_E_clISE_PfSF_SF_EEDaS13_S14_SK_SP_EUlS13_E_NS1_11comp_targetILNS1_3genE0ELNS1_11target_archE4294967295ELNS1_3gpuE0ELNS1_3repE0EEENS1_47radix_sort_onesweep_sort_config_static_selectorELNS0_4arch9wavefront6targetE1EEEvSK_,comdat
.Lfunc_end568:
	.size	_ZN7rocprim17ROCPRIM_400000_NS6detail17trampoline_kernelINS0_14default_configENS1_35radix_sort_onesweep_config_selectorIfNS0_10empty_typeEEEZZNS1_29radix_sort_onesweep_iterationIS3_Lb0EN6thrust23THRUST_200600_302600_NS6detail15normal_iteratorINS9_10device_ptrIfEEEESE_PS5_SF_jNS0_19identity_decomposerENS1_16block_id_wrapperIjLb1EEEEE10hipError_tT1_PNSt15iterator_traitsISK_E10value_typeET2_T3_PNSL_ISQ_E10value_typeET4_T5_PSV_SW_PNS1_23onesweep_lookback_stateEbbT6_jjT7_P12ihipStream_tbENKUlT_T0_SK_SP_E_clISE_PfSF_SF_EEDaS13_S14_SK_SP_EUlS13_E_NS1_11comp_targetILNS1_3genE0ELNS1_11target_archE4294967295ELNS1_3gpuE0ELNS1_3repE0EEENS1_47radix_sort_onesweep_sort_config_static_selectorELNS0_4arch9wavefront6targetE1EEEvSK_, .Lfunc_end568-_ZN7rocprim17ROCPRIM_400000_NS6detail17trampoline_kernelINS0_14default_configENS1_35radix_sort_onesweep_config_selectorIfNS0_10empty_typeEEEZZNS1_29radix_sort_onesweep_iterationIS3_Lb0EN6thrust23THRUST_200600_302600_NS6detail15normal_iteratorINS9_10device_ptrIfEEEESE_PS5_SF_jNS0_19identity_decomposerENS1_16block_id_wrapperIjLb1EEEEE10hipError_tT1_PNSt15iterator_traitsISK_E10value_typeET2_T3_PNSL_ISQ_E10value_typeET4_T5_PSV_SW_PNS1_23onesweep_lookback_stateEbbT6_jjT7_P12ihipStream_tbENKUlT_T0_SK_SP_E_clISE_PfSF_SF_EEDaS13_S14_SK_SP_EUlS13_E_NS1_11comp_targetILNS1_3genE0ELNS1_11target_archE4294967295ELNS1_3gpuE0ELNS1_3repE0EEENS1_47radix_sort_onesweep_sort_config_static_selectorELNS0_4arch9wavefront6targetE1EEEvSK_
                                        ; -- End function
	.set _ZN7rocprim17ROCPRIM_400000_NS6detail17trampoline_kernelINS0_14default_configENS1_35radix_sort_onesweep_config_selectorIfNS0_10empty_typeEEEZZNS1_29radix_sort_onesweep_iterationIS3_Lb0EN6thrust23THRUST_200600_302600_NS6detail15normal_iteratorINS9_10device_ptrIfEEEESE_PS5_SF_jNS0_19identity_decomposerENS1_16block_id_wrapperIjLb1EEEEE10hipError_tT1_PNSt15iterator_traitsISK_E10value_typeET2_T3_PNSL_ISQ_E10value_typeET4_T5_PSV_SW_PNS1_23onesweep_lookback_stateEbbT6_jjT7_P12ihipStream_tbENKUlT_T0_SK_SP_E_clISE_PfSF_SF_EEDaS13_S14_SK_SP_EUlS13_E_NS1_11comp_targetILNS1_3genE0ELNS1_11target_archE4294967295ELNS1_3gpuE0ELNS1_3repE0EEENS1_47radix_sort_onesweep_sort_config_static_selectorELNS0_4arch9wavefront6targetE1EEEvSK_.num_vgpr, 0
	.set _ZN7rocprim17ROCPRIM_400000_NS6detail17trampoline_kernelINS0_14default_configENS1_35radix_sort_onesweep_config_selectorIfNS0_10empty_typeEEEZZNS1_29radix_sort_onesweep_iterationIS3_Lb0EN6thrust23THRUST_200600_302600_NS6detail15normal_iteratorINS9_10device_ptrIfEEEESE_PS5_SF_jNS0_19identity_decomposerENS1_16block_id_wrapperIjLb1EEEEE10hipError_tT1_PNSt15iterator_traitsISK_E10value_typeET2_T3_PNSL_ISQ_E10value_typeET4_T5_PSV_SW_PNS1_23onesweep_lookback_stateEbbT6_jjT7_P12ihipStream_tbENKUlT_T0_SK_SP_E_clISE_PfSF_SF_EEDaS13_S14_SK_SP_EUlS13_E_NS1_11comp_targetILNS1_3genE0ELNS1_11target_archE4294967295ELNS1_3gpuE0ELNS1_3repE0EEENS1_47radix_sort_onesweep_sort_config_static_selectorELNS0_4arch9wavefront6targetE1EEEvSK_.num_agpr, 0
	.set _ZN7rocprim17ROCPRIM_400000_NS6detail17trampoline_kernelINS0_14default_configENS1_35radix_sort_onesweep_config_selectorIfNS0_10empty_typeEEEZZNS1_29radix_sort_onesweep_iterationIS3_Lb0EN6thrust23THRUST_200600_302600_NS6detail15normal_iteratorINS9_10device_ptrIfEEEESE_PS5_SF_jNS0_19identity_decomposerENS1_16block_id_wrapperIjLb1EEEEE10hipError_tT1_PNSt15iterator_traitsISK_E10value_typeET2_T3_PNSL_ISQ_E10value_typeET4_T5_PSV_SW_PNS1_23onesweep_lookback_stateEbbT6_jjT7_P12ihipStream_tbENKUlT_T0_SK_SP_E_clISE_PfSF_SF_EEDaS13_S14_SK_SP_EUlS13_E_NS1_11comp_targetILNS1_3genE0ELNS1_11target_archE4294967295ELNS1_3gpuE0ELNS1_3repE0EEENS1_47radix_sort_onesweep_sort_config_static_selectorELNS0_4arch9wavefront6targetE1EEEvSK_.numbered_sgpr, 0
	.set _ZN7rocprim17ROCPRIM_400000_NS6detail17trampoline_kernelINS0_14default_configENS1_35radix_sort_onesweep_config_selectorIfNS0_10empty_typeEEEZZNS1_29radix_sort_onesweep_iterationIS3_Lb0EN6thrust23THRUST_200600_302600_NS6detail15normal_iteratorINS9_10device_ptrIfEEEESE_PS5_SF_jNS0_19identity_decomposerENS1_16block_id_wrapperIjLb1EEEEE10hipError_tT1_PNSt15iterator_traitsISK_E10value_typeET2_T3_PNSL_ISQ_E10value_typeET4_T5_PSV_SW_PNS1_23onesweep_lookback_stateEbbT6_jjT7_P12ihipStream_tbENKUlT_T0_SK_SP_E_clISE_PfSF_SF_EEDaS13_S14_SK_SP_EUlS13_E_NS1_11comp_targetILNS1_3genE0ELNS1_11target_archE4294967295ELNS1_3gpuE0ELNS1_3repE0EEENS1_47radix_sort_onesweep_sort_config_static_selectorELNS0_4arch9wavefront6targetE1EEEvSK_.num_named_barrier, 0
	.set _ZN7rocprim17ROCPRIM_400000_NS6detail17trampoline_kernelINS0_14default_configENS1_35radix_sort_onesweep_config_selectorIfNS0_10empty_typeEEEZZNS1_29radix_sort_onesweep_iterationIS3_Lb0EN6thrust23THRUST_200600_302600_NS6detail15normal_iteratorINS9_10device_ptrIfEEEESE_PS5_SF_jNS0_19identity_decomposerENS1_16block_id_wrapperIjLb1EEEEE10hipError_tT1_PNSt15iterator_traitsISK_E10value_typeET2_T3_PNSL_ISQ_E10value_typeET4_T5_PSV_SW_PNS1_23onesweep_lookback_stateEbbT6_jjT7_P12ihipStream_tbENKUlT_T0_SK_SP_E_clISE_PfSF_SF_EEDaS13_S14_SK_SP_EUlS13_E_NS1_11comp_targetILNS1_3genE0ELNS1_11target_archE4294967295ELNS1_3gpuE0ELNS1_3repE0EEENS1_47radix_sort_onesweep_sort_config_static_selectorELNS0_4arch9wavefront6targetE1EEEvSK_.private_seg_size, 0
	.set _ZN7rocprim17ROCPRIM_400000_NS6detail17trampoline_kernelINS0_14default_configENS1_35radix_sort_onesweep_config_selectorIfNS0_10empty_typeEEEZZNS1_29radix_sort_onesweep_iterationIS3_Lb0EN6thrust23THRUST_200600_302600_NS6detail15normal_iteratorINS9_10device_ptrIfEEEESE_PS5_SF_jNS0_19identity_decomposerENS1_16block_id_wrapperIjLb1EEEEE10hipError_tT1_PNSt15iterator_traitsISK_E10value_typeET2_T3_PNSL_ISQ_E10value_typeET4_T5_PSV_SW_PNS1_23onesweep_lookback_stateEbbT6_jjT7_P12ihipStream_tbENKUlT_T0_SK_SP_E_clISE_PfSF_SF_EEDaS13_S14_SK_SP_EUlS13_E_NS1_11comp_targetILNS1_3genE0ELNS1_11target_archE4294967295ELNS1_3gpuE0ELNS1_3repE0EEENS1_47radix_sort_onesweep_sort_config_static_selectorELNS0_4arch9wavefront6targetE1EEEvSK_.uses_vcc, 0
	.set _ZN7rocprim17ROCPRIM_400000_NS6detail17trampoline_kernelINS0_14default_configENS1_35radix_sort_onesweep_config_selectorIfNS0_10empty_typeEEEZZNS1_29radix_sort_onesweep_iterationIS3_Lb0EN6thrust23THRUST_200600_302600_NS6detail15normal_iteratorINS9_10device_ptrIfEEEESE_PS5_SF_jNS0_19identity_decomposerENS1_16block_id_wrapperIjLb1EEEEE10hipError_tT1_PNSt15iterator_traitsISK_E10value_typeET2_T3_PNSL_ISQ_E10value_typeET4_T5_PSV_SW_PNS1_23onesweep_lookback_stateEbbT6_jjT7_P12ihipStream_tbENKUlT_T0_SK_SP_E_clISE_PfSF_SF_EEDaS13_S14_SK_SP_EUlS13_E_NS1_11comp_targetILNS1_3genE0ELNS1_11target_archE4294967295ELNS1_3gpuE0ELNS1_3repE0EEENS1_47radix_sort_onesweep_sort_config_static_selectorELNS0_4arch9wavefront6targetE1EEEvSK_.uses_flat_scratch, 0
	.set _ZN7rocprim17ROCPRIM_400000_NS6detail17trampoline_kernelINS0_14default_configENS1_35radix_sort_onesweep_config_selectorIfNS0_10empty_typeEEEZZNS1_29radix_sort_onesweep_iterationIS3_Lb0EN6thrust23THRUST_200600_302600_NS6detail15normal_iteratorINS9_10device_ptrIfEEEESE_PS5_SF_jNS0_19identity_decomposerENS1_16block_id_wrapperIjLb1EEEEE10hipError_tT1_PNSt15iterator_traitsISK_E10value_typeET2_T3_PNSL_ISQ_E10value_typeET4_T5_PSV_SW_PNS1_23onesweep_lookback_stateEbbT6_jjT7_P12ihipStream_tbENKUlT_T0_SK_SP_E_clISE_PfSF_SF_EEDaS13_S14_SK_SP_EUlS13_E_NS1_11comp_targetILNS1_3genE0ELNS1_11target_archE4294967295ELNS1_3gpuE0ELNS1_3repE0EEENS1_47radix_sort_onesweep_sort_config_static_selectorELNS0_4arch9wavefront6targetE1EEEvSK_.has_dyn_sized_stack, 0
	.set _ZN7rocprim17ROCPRIM_400000_NS6detail17trampoline_kernelINS0_14default_configENS1_35radix_sort_onesweep_config_selectorIfNS0_10empty_typeEEEZZNS1_29radix_sort_onesweep_iterationIS3_Lb0EN6thrust23THRUST_200600_302600_NS6detail15normal_iteratorINS9_10device_ptrIfEEEESE_PS5_SF_jNS0_19identity_decomposerENS1_16block_id_wrapperIjLb1EEEEE10hipError_tT1_PNSt15iterator_traitsISK_E10value_typeET2_T3_PNSL_ISQ_E10value_typeET4_T5_PSV_SW_PNS1_23onesweep_lookback_stateEbbT6_jjT7_P12ihipStream_tbENKUlT_T0_SK_SP_E_clISE_PfSF_SF_EEDaS13_S14_SK_SP_EUlS13_E_NS1_11comp_targetILNS1_3genE0ELNS1_11target_archE4294967295ELNS1_3gpuE0ELNS1_3repE0EEENS1_47radix_sort_onesweep_sort_config_static_selectorELNS0_4arch9wavefront6targetE1EEEvSK_.has_recursion, 0
	.set _ZN7rocprim17ROCPRIM_400000_NS6detail17trampoline_kernelINS0_14default_configENS1_35radix_sort_onesweep_config_selectorIfNS0_10empty_typeEEEZZNS1_29radix_sort_onesweep_iterationIS3_Lb0EN6thrust23THRUST_200600_302600_NS6detail15normal_iteratorINS9_10device_ptrIfEEEESE_PS5_SF_jNS0_19identity_decomposerENS1_16block_id_wrapperIjLb1EEEEE10hipError_tT1_PNSt15iterator_traitsISK_E10value_typeET2_T3_PNSL_ISQ_E10value_typeET4_T5_PSV_SW_PNS1_23onesweep_lookback_stateEbbT6_jjT7_P12ihipStream_tbENKUlT_T0_SK_SP_E_clISE_PfSF_SF_EEDaS13_S14_SK_SP_EUlS13_E_NS1_11comp_targetILNS1_3genE0ELNS1_11target_archE4294967295ELNS1_3gpuE0ELNS1_3repE0EEENS1_47radix_sort_onesweep_sort_config_static_selectorELNS0_4arch9wavefront6targetE1EEEvSK_.has_indirect_call, 0
	.section	.AMDGPU.csdata,"",@progbits
; Kernel info:
; codeLenInByte = 0
; TotalNumSgprs: 6
; NumVgprs: 0
; NumAgprs: 0
; TotalNumVgprs: 0
; ScratchSize: 0
; MemoryBound: 0
; FloatMode: 240
; IeeeMode: 1
; LDSByteSize: 0 bytes/workgroup (compile time only)
; SGPRBlocks: 0
; VGPRBlocks: 0
; NumSGPRsForWavesPerEU: 6
; NumVGPRsForWavesPerEU: 1
; AccumOffset: 4
; Occupancy: 8
; WaveLimiterHint : 0
; COMPUTE_PGM_RSRC2:SCRATCH_EN: 0
; COMPUTE_PGM_RSRC2:USER_SGPR: 2
; COMPUTE_PGM_RSRC2:TRAP_HANDLER: 0
; COMPUTE_PGM_RSRC2:TGID_X_EN: 1
; COMPUTE_PGM_RSRC2:TGID_Y_EN: 0
; COMPUTE_PGM_RSRC2:TGID_Z_EN: 0
; COMPUTE_PGM_RSRC2:TIDIG_COMP_CNT: 0
; COMPUTE_PGM_RSRC3_GFX90A:ACCUM_OFFSET: 0
; COMPUTE_PGM_RSRC3_GFX90A:TG_SPLIT: 0
	.section	.text._ZN7rocprim17ROCPRIM_400000_NS6detail17trampoline_kernelINS0_14default_configENS1_35radix_sort_onesweep_config_selectorIfNS0_10empty_typeEEEZZNS1_29radix_sort_onesweep_iterationIS3_Lb0EN6thrust23THRUST_200600_302600_NS6detail15normal_iteratorINS9_10device_ptrIfEEEESE_PS5_SF_jNS0_19identity_decomposerENS1_16block_id_wrapperIjLb1EEEEE10hipError_tT1_PNSt15iterator_traitsISK_E10value_typeET2_T3_PNSL_ISQ_E10value_typeET4_T5_PSV_SW_PNS1_23onesweep_lookback_stateEbbT6_jjT7_P12ihipStream_tbENKUlT_T0_SK_SP_E_clISE_PfSF_SF_EEDaS13_S14_SK_SP_EUlS13_E_NS1_11comp_targetILNS1_3genE6ELNS1_11target_archE950ELNS1_3gpuE13ELNS1_3repE0EEENS1_47radix_sort_onesweep_sort_config_static_selectorELNS0_4arch9wavefront6targetE1EEEvSK_,"axG",@progbits,_ZN7rocprim17ROCPRIM_400000_NS6detail17trampoline_kernelINS0_14default_configENS1_35radix_sort_onesweep_config_selectorIfNS0_10empty_typeEEEZZNS1_29radix_sort_onesweep_iterationIS3_Lb0EN6thrust23THRUST_200600_302600_NS6detail15normal_iteratorINS9_10device_ptrIfEEEESE_PS5_SF_jNS0_19identity_decomposerENS1_16block_id_wrapperIjLb1EEEEE10hipError_tT1_PNSt15iterator_traitsISK_E10value_typeET2_T3_PNSL_ISQ_E10value_typeET4_T5_PSV_SW_PNS1_23onesweep_lookback_stateEbbT6_jjT7_P12ihipStream_tbENKUlT_T0_SK_SP_E_clISE_PfSF_SF_EEDaS13_S14_SK_SP_EUlS13_E_NS1_11comp_targetILNS1_3genE6ELNS1_11target_archE950ELNS1_3gpuE13ELNS1_3repE0EEENS1_47radix_sort_onesweep_sort_config_static_selectorELNS0_4arch9wavefront6targetE1EEEvSK_,comdat
	.protected	_ZN7rocprim17ROCPRIM_400000_NS6detail17trampoline_kernelINS0_14default_configENS1_35radix_sort_onesweep_config_selectorIfNS0_10empty_typeEEEZZNS1_29radix_sort_onesweep_iterationIS3_Lb0EN6thrust23THRUST_200600_302600_NS6detail15normal_iteratorINS9_10device_ptrIfEEEESE_PS5_SF_jNS0_19identity_decomposerENS1_16block_id_wrapperIjLb1EEEEE10hipError_tT1_PNSt15iterator_traitsISK_E10value_typeET2_T3_PNSL_ISQ_E10value_typeET4_T5_PSV_SW_PNS1_23onesweep_lookback_stateEbbT6_jjT7_P12ihipStream_tbENKUlT_T0_SK_SP_E_clISE_PfSF_SF_EEDaS13_S14_SK_SP_EUlS13_E_NS1_11comp_targetILNS1_3genE6ELNS1_11target_archE950ELNS1_3gpuE13ELNS1_3repE0EEENS1_47radix_sort_onesweep_sort_config_static_selectorELNS0_4arch9wavefront6targetE1EEEvSK_ ; -- Begin function _ZN7rocprim17ROCPRIM_400000_NS6detail17trampoline_kernelINS0_14default_configENS1_35radix_sort_onesweep_config_selectorIfNS0_10empty_typeEEEZZNS1_29radix_sort_onesweep_iterationIS3_Lb0EN6thrust23THRUST_200600_302600_NS6detail15normal_iteratorINS9_10device_ptrIfEEEESE_PS5_SF_jNS0_19identity_decomposerENS1_16block_id_wrapperIjLb1EEEEE10hipError_tT1_PNSt15iterator_traitsISK_E10value_typeET2_T3_PNSL_ISQ_E10value_typeET4_T5_PSV_SW_PNS1_23onesweep_lookback_stateEbbT6_jjT7_P12ihipStream_tbENKUlT_T0_SK_SP_E_clISE_PfSF_SF_EEDaS13_S14_SK_SP_EUlS13_E_NS1_11comp_targetILNS1_3genE6ELNS1_11target_archE950ELNS1_3gpuE13ELNS1_3repE0EEENS1_47radix_sort_onesweep_sort_config_static_selectorELNS0_4arch9wavefront6targetE1EEEvSK_
	.globl	_ZN7rocprim17ROCPRIM_400000_NS6detail17trampoline_kernelINS0_14default_configENS1_35radix_sort_onesweep_config_selectorIfNS0_10empty_typeEEEZZNS1_29radix_sort_onesweep_iterationIS3_Lb0EN6thrust23THRUST_200600_302600_NS6detail15normal_iteratorINS9_10device_ptrIfEEEESE_PS5_SF_jNS0_19identity_decomposerENS1_16block_id_wrapperIjLb1EEEEE10hipError_tT1_PNSt15iterator_traitsISK_E10value_typeET2_T3_PNSL_ISQ_E10value_typeET4_T5_PSV_SW_PNS1_23onesweep_lookback_stateEbbT6_jjT7_P12ihipStream_tbENKUlT_T0_SK_SP_E_clISE_PfSF_SF_EEDaS13_S14_SK_SP_EUlS13_E_NS1_11comp_targetILNS1_3genE6ELNS1_11target_archE950ELNS1_3gpuE13ELNS1_3repE0EEENS1_47radix_sort_onesweep_sort_config_static_selectorELNS0_4arch9wavefront6targetE1EEEvSK_
	.p2align	8
	.type	_ZN7rocprim17ROCPRIM_400000_NS6detail17trampoline_kernelINS0_14default_configENS1_35radix_sort_onesweep_config_selectorIfNS0_10empty_typeEEEZZNS1_29radix_sort_onesweep_iterationIS3_Lb0EN6thrust23THRUST_200600_302600_NS6detail15normal_iteratorINS9_10device_ptrIfEEEESE_PS5_SF_jNS0_19identity_decomposerENS1_16block_id_wrapperIjLb1EEEEE10hipError_tT1_PNSt15iterator_traitsISK_E10value_typeET2_T3_PNSL_ISQ_E10value_typeET4_T5_PSV_SW_PNS1_23onesweep_lookback_stateEbbT6_jjT7_P12ihipStream_tbENKUlT_T0_SK_SP_E_clISE_PfSF_SF_EEDaS13_S14_SK_SP_EUlS13_E_NS1_11comp_targetILNS1_3genE6ELNS1_11target_archE950ELNS1_3gpuE13ELNS1_3repE0EEENS1_47radix_sort_onesweep_sort_config_static_selectorELNS0_4arch9wavefront6targetE1EEEvSK_,@function
_ZN7rocprim17ROCPRIM_400000_NS6detail17trampoline_kernelINS0_14default_configENS1_35radix_sort_onesweep_config_selectorIfNS0_10empty_typeEEEZZNS1_29radix_sort_onesweep_iterationIS3_Lb0EN6thrust23THRUST_200600_302600_NS6detail15normal_iteratorINS9_10device_ptrIfEEEESE_PS5_SF_jNS0_19identity_decomposerENS1_16block_id_wrapperIjLb1EEEEE10hipError_tT1_PNSt15iterator_traitsISK_E10value_typeET2_T3_PNSL_ISQ_E10value_typeET4_T5_PSV_SW_PNS1_23onesweep_lookback_stateEbbT6_jjT7_P12ihipStream_tbENKUlT_T0_SK_SP_E_clISE_PfSF_SF_EEDaS13_S14_SK_SP_EUlS13_E_NS1_11comp_targetILNS1_3genE6ELNS1_11target_archE950ELNS1_3gpuE13ELNS1_3repE0EEENS1_47radix_sort_onesweep_sort_config_static_selectorELNS0_4arch9wavefront6targetE1EEEvSK_: ; @_ZN7rocprim17ROCPRIM_400000_NS6detail17trampoline_kernelINS0_14default_configENS1_35radix_sort_onesweep_config_selectorIfNS0_10empty_typeEEEZZNS1_29radix_sort_onesweep_iterationIS3_Lb0EN6thrust23THRUST_200600_302600_NS6detail15normal_iteratorINS9_10device_ptrIfEEEESE_PS5_SF_jNS0_19identity_decomposerENS1_16block_id_wrapperIjLb1EEEEE10hipError_tT1_PNSt15iterator_traitsISK_E10value_typeET2_T3_PNSL_ISQ_E10value_typeET4_T5_PSV_SW_PNS1_23onesweep_lookback_stateEbbT6_jjT7_P12ihipStream_tbENKUlT_T0_SK_SP_E_clISE_PfSF_SF_EEDaS13_S14_SK_SP_EUlS13_E_NS1_11comp_targetILNS1_3genE6ELNS1_11target_archE950ELNS1_3gpuE13ELNS1_3repE0EEENS1_47radix_sort_onesweep_sort_config_static_selectorELNS0_4arch9wavefront6targetE1EEEvSK_
; %bb.0:
	s_load_dwordx4 s[20:23], s[0:1], 0x28
	s_load_dwordx2 s[18:19], s[0:1], 0x38
	s_load_dwordx4 s[24:27], s[0:1], 0x44
	v_and_b32_e32 v10, 0x3ff, v0
	v_cmp_eq_u32_e64 s[10:11], 0, v10
	s_and_saveexec_b64 s[4:5], s[10:11]
	s_cbranch_execz .LBB569_4
; %bb.1:
	s_mov_b64 s[8:9], exec
	v_mbcnt_lo_u32_b32 v1, s8, 0
	v_mbcnt_hi_u32_b32 v1, s9, v1
	v_cmp_eq_u32_e32 vcc, 0, v1
                                        ; implicit-def: $vgpr2
	s_and_saveexec_b64 s[6:7], vcc
	s_cbranch_execz .LBB569_3
; %bb.2:
	s_load_dwordx2 s[12:13], s[0:1], 0x50
	s_bcnt1_i32_b64 s3, s[8:9]
	v_mov_b32_e32 v2, 0
	v_mov_b32_e32 v3, s3
	s_waitcnt lgkmcnt(0)
	global_atomic_add v2, v2, v3, s[12:13] sc0
.LBB569_3:
	s_or_b64 exec, exec, s[6:7]
	s_waitcnt vmcnt(0)
	v_readfirstlane_b32 s3, v2
	v_mov_b32_e32 v2, 0
	s_nop 0
	v_add_u32_e32 v1, s3, v1
	ds_write_b32 v2, v1 offset:20544
.LBB569_4:
	s_or_b64 exec, exec, s[4:5]
	v_mov_b32_e32 v3, 0
	s_load_dwordx4 s[28:31], s[0:1], 0x0
	s_load_dword s3, s[0:1], 0x20
	s_waitcnt lgkmcnt(0)
	s_barrier
	ds_read_b32 v1, v3 offset:20544
	s_mov_b64 s[4:5], -1
	s_waitcnt lgkmcnt(0)
	s_barrier
	v_cmp_le_u32_e32 vcc, s26, v1
	v_readfirstlane_b32 s27, v1
	v_mbcnt_lo_u32_b32 v1, -1, 0
	s_cbranch_vccz .LBB569_86
; %bb.5:
	s_lshl_b32 s4, s26, 13
	s_sub_i32 s3, s3, s4
	s_lshl_b32 s4, s27, 13
	s_mov_b32 s5, 0
	s_lshl_b64 s[4:5], s[4:5], 2
	v_mbcnt_hi_u32_b32 v16, -1, v1
	s_add_u32 s4, s28, s4
	v_and_b32_e32 v6, 63, v16
	v_lshlrev_b32_e32 v2, 3, v10
	s_addc_u32 s5, s29, s5
	v_and_b32_e32 v7, 0x1e00, v2
	v_lshlrev_b32_e32 v2, 2, v6
	v_lshl_add_u64 v[4:5], s[4:5], 0, v[2:3]
	v_lshlrev_b32_e32 v2, 2, v7
	v_lshl_add_u64 v[12:13], v[4:5], 0, v[2:3]
	v_or_b32_e32 v11, v6, v7
	v_bfrev_b32_e32 v2, -2
	v_cmp_gt_u32_e32 vcc, s3, v11
	v_mov_b32_e32 v3, v2
	v_mov_b32_e32 v4, v2
	;; [unrolled: 1-line block ×7, first 2 shown]
	s_and_saveexec_b64 s[4:5], vcc
	s_cbranch_execz .LBB569_7
; %bb.6:
	global_load_dword v18, v[12:13], off
	v_mov_b32_e32 v19, v2
	v_mov_b32_e32 v20, v2
	;; [unrolled: 1-line block ×7, first 2 shown]
	s_waitcnt vmcnt(0)
	v_mov_b64_e32 v[2:3], v[18:19]
	v_mov_b64_e32 v[4:5], v[20:21]
	;; [unrolled: 1-line block ×4, first 2 shown]
.LBB569_7:
	s_or_b64 exec, exec, s[4:5]
	v_or_b32_e32 v14, 64, v11
	v_cmp_gt_u32_e32 vcc, s3, v14
	s_and_saveexec_b64 s[4:5], vcc
	s_cbranch_execz .LBB569_9
; %bb.8:
	global_load_dword v3, v[12:13], off offset:256
.LBB569_9:
	s_or_b64 exec, exec, s[4:5]
	v_or_b32_e32 v14, 0x80, v11
	v_cmp_gt_u32_e32 vcc, s3, v14
	s_and_saveexec_b64 s[4:5], vcc
	s_cbranch_execz .LBB569_11
; %bb.10:
	global_load_dword v4, v[12:13], off offset:512
.LBB569_11:
	;; [unrolled: 8-line block ×7, first 2 shown]
	s_or_b64 exec, exec, s[4:5]
	s_load_dword s4, s[0:1], 0x64
	s_load_dword s26, s[0:1], 0x58
	s_add_u32 s5, s0, 0x58
	s_addc_u32 s6, s1, 0
	v_mov_b32_e32 v13, 0
	s_waitcnt lgkmcnt(0)
	s_lshr_b32 s7, s4, 16
	s_cmp_lt_u32 s2, s26
	s_cselect_b32 s4, 12, 18
	s_add_u32 s4, s5, s4
	s_addc_u32 s5, s6, 0
	global_load_ushort v18, v13, s[4:5]
	v_bfrev_b32_e32 v19, 1
	v_cmp_lt_i32_e32 vcc, -1, v2
	s_brev_b32 s34, -2
	s_lshl_b32 s4, -1, s25
	v_cndmask_b32_e32 v11, -1, v19, vcc
	v_xor_b32_e32 v11, v11, v2
	v_cmp_ne_u32_e32 vcc, s34, v11
	v_bfe_u32 v12, v0, 10, 10
	v_bfe_u32 v15, v0, 20, 10
	v_cndmask_b32_e32 v2, v19, v11, vcc
	v_lshrrev_b32_e32 v2, s24, v2
	v_bitop3_b32 v2, v2, s4, v2 bitop3:0x30
	v_mad_u32_u24 v32, v15, s7, v12
	v_and_b32_e32 v12, 1, v2
	v_lshlrev_b32_e32 v15, 30, v2
	v_mov_b32_e32 v14, v13
	v_mov_b32_e32 v22, v13
	v_lshlrev_b32_e32 v21, 29, v2
	v_lshlrev_b32_e32 v23, 28, v2
	v_lshl_add_u64 v[28:29], v[12:13], 0, -1
	v_cmp_ne_u32_e32 vcc, 0, v12
	v_not_b32_e32 v12, v15
	v_mov_b32_e32 v20, v13
	v_mov_b32_e32 v24, v13
	s_not_b32 s33, s4
	v_lshlrev_b32_e32 v25, 27, v2
	v_cmp_gt_i64_e64 s[4:5], 0, v[14:15]
	v_not_b32_e32 v14, v21
	v_cmp_gt_i64_e64 s[8:9], 0, v[22:23]
	v_xor_b32_e32 v22, vcc_hi, v29
	v_ashrrev_i32_e32 v12, 31, v12
	v_cmp_gt_i64_e64 s[6:7], 0, v[20:21]
	v_not_b32_e32 v15, v23
	v_cmp_gt_i64_e64 s[12:13], 0, v[24:25]
	v_xor_b32_e32 v23, vcc_lo, v28
	v_ashrrev_i32_e32 v14, 31, v14
	v_and_b32_e32 v22, exec_hi, v22
	v_xor_b32_e32 v24, s5, v12
	v_mov_b32_e32 v26, v13
	v_lshlrev_b32_e32 v27, 26, v2
	v_not_b32_e32 v20, v25
	v_ashrrev_i32_e32 v15, 31, v15
	v_and_b32_e32 v23, exec_lo, v23
	v_xor_b32_e32 v12, s4, v12
	v_xor_b32_e32 v25, s7, v14
	v_and_b32_e32 v22, v22, v24
	v_cmp_gt_i64_e64 s[14:15], 0, v[26:27]
	v_not_b32_e32 v21, v27
	v_ashrrev_i32_e32 v20, 31, v20
	v_xor_b32_e32 v14, s6, v14
	v_xor_b32_e32 v26, s9, v15
	v_and_b32_e32 v12, v23, v12
	v_and_b32_e32 v22, v22, v25
	v_ashrrev_i32_e32 v21, 31, v21
	v_xor_b32_e32 v15, s8, v15
	v_xor_b32_e32 v27, s13, v20
	v_and_b32_e32 v12, v12, v14
	v_and_b32_e32 v14, v22, v26
	v_xor_b32_e32 v20, s12, v20
	v_xor_b32_e32 v28, s15, v21
	v_and_b32_e32 v12, v12, v15
	v_and_b32_e32 v14, v14, v27
	;; [unrolled: 1-line block ×4, first 2 shown]
	v_lshlrev_b32_e32 v31, 25, v2
	v_mov_b32_e32 v30, v13
	v_cmp_gt_i64_e64 s[16:17], 0, v[30:31]
	v_xor_b32_e32 v21, s14, v21
	s_movk_i32 s35, 0x44
	v_and_b32_e32 v12, v12, v21
	v_mul_lo_u32 v33, v2, s35
	v_mul_u32_u24_e32 v17, 20, v10
	ds_write2_b32 v17, v13, v13 offset0:16 offset1:17
	ds_write2_b32 v17, v13, v13 offset0:18 offset1:19
	ds_write_b32 v17, v13 offset:80
	s_waitcnt lgkmcnt(0)
	s_barrier
	s_waitcnt vmcnt(0)
	; wave barrier
	v_mad_u64_u32 v[14:15], s[4:5], v32, v18, v[10:11]
	v_lshrrev_b32_e32 v14, 4, v14
	v_and_b32_e32 v29, 0xffffffc, v14
	v_not_b32_e32 v14, v31
	v_ashrrev_i32_e32 v14, 31, v14
	v_xor_b32_e32 v15, s17, v14
	v_xor_b32_e32 v14, s16, v14
	v_and_b32_e32 v18, v20, v15
	v_lshlrev_b32_e32 v15, 24, v2
	v_and_b32_e32 v12, v12, v14
	v_mov_b32_e32 v14, v13
	v_not_b32_e32 v2, v15
	v_cmp_gt_i64_e32 vcc, 0, v[14:15]
	v_ashrrev_i32_e32 v2, 31, v2
	v_add_u32_e32 v22, v29, v33
	v_xor_b32_e32 v14, vcc_hi, v2
	v_xor_b32_e32 v2, vcc_lo, v2
	v_and_b32_e32 v15, v18, v14
	v_and_b32_e32 v14, v12, v2
	v_mbcnt_lo_u32_b32 v2, v14, 0
	v_mbcnt_hi_u32_b32 v18, v15, v2
	v_cmp_eq_u32_e32 vcc, 0, v18
	v_cmp_ne_u64_e64 s[4:5], 0, v[14:15]
	s_and_b64 s[6:7], s[4:5], vcc
	s_and_saveexec_b64 s[4:5], s[6:7]
; %bb.22:
	v_bcnt_u32_b32 v2, v14, 0
	v_bcnt_u32_b32 v2, v15, v2
	ds_write_b32 v22, v2 offset:64
; %bb.23:
	s_or_b64 exec, exec, s[4:5]
	v_cmp_lt_i32_e32 vcc, -1, v3
	; wave barrier
	s_nop 1
	v_cndmask_b32_e32 v2, -1, v19, vcc
	v_xor_b32_e32 v14, v2, v3
	v_cmp_ne_u32_e32 vcc, s34, v14
	s_nop 1
	v_cndmask_b32_e32 v2, v19, v14, vcc
	v_lshrrev_b32_e32 v2, s24, v2
	v_and_b32_e32 v15, s33, v2
	v_mul_lo_u32 v2, v15, s35
	v_and_b32_e32 v12, 1, v15
	v_add_u32_e32 v23, v29, v2
	v_lshl_add_u64 v[2:3], v[12:13], 0, -1
	v_cmp_ne_u32_e32 vcc, 0, v12
	ds_read_b32 v19, v23 offset:64
	s_nop 0
	v_xor_b32_e32 v3, vcc_hi, v3
	v_xor_b32_e32 v2, vcc_lo, v2
	v_and_b32_e32 v12, exec_hi, v3
	v_and_b32_e32 v20, exec_lo, v2
	v_lshlrev_b32_e32 v3, 30, v15
	v_mov_b32_e32 v2, v13
	v_cmp_gt_i64_e32 vcc, 0, v[2:3]
	v_not_b32_e32 v2, v3
	v_ashrrev_i32_e32 v2, 31, v2
	v_xor_b32_e32 v3, vcc_hi, v2
	v_xor_b32_e32 v2, vcc_lo, v2
	v_and_b32_e32 v12, v12, v3
	v_and_b32_e32 v20, v20, v2
	v_lshlrev_b32_e32 v3, 29, v15
	v_mov_b32_e32 v2, v13
	v_cmp_gt_i64_e32 vcc, 0, v[2:3]
	v_not_b32_e32 v2, v3
	v_ashrrev_i32_e32 v2, 31, v2
	v_xor_b32_e32 v3, vcc_hi, v2
	v_xor_b32_e32 v2, vcc_lo, v2
	v_and_b32_e32 v12, v12, v3
	v_and_b32_e32 v20, v20, v2
	;; [unrolled: 9-line block ×7, first 2 shown]
	v_mbcnt_lo_u32_b32 v12, v2, 0
	v_mbcnt_hi_u32_b32 v20, v3, v12
	v_cmp_eq_u32_e32 vcc, 0, v20
	v_cmp_ne_u64_e64 s[4:5], 0, v[2:3]
	s_and_b64 s[6:7], s[4:5], vcc
	; wave barrier
	s_and_saveexec_b64 s[4:5], s[6:7]
	s_cbranch_execz .LBB569_25
; %bb.24:
	v_bcnt_u32_b32 v2, v2, 0
	v_bcnt_u32_b32 v2, v3, v2
	s_waitcnt lgkmcnt(0)
	v_add_u32_e32 v2, v19, v2
	ds_write_b32 v23, v2 offset:64
.LBB569_25:
	s_or_b64 exec, exec, s[4:5]
	v_bfrev_b32_e32 v24, 1
	v_cmp_lt_i32_e32 vcc, -1, v4
	s_brev_b32 s6, -2
	s_movk_i32 s7, 0x44
	v_cndmask_b32_e32 v2, -1, v24, vcc
	v_xor_b32_e32 v15, v2, v4
	v_cmp_ne_u32_e32 vcc, s6, v15
	v_mov_b32_e32 v3, 0
	s_nop 0
	v_cndmask_b32_e32 v2, v24, v15, vcc
	v_lshrrev_b32_e32 v2, s24, v2
	v_and_b32_e32 v4, s33, v2
	v_mul_lo_u32 v2, v4, s7
	v_add_u32_e32 v27, v29, v2
	v_and_b32_e32 v2, 1, v4
	v_lshl_add_u64 v[12:13], v[2:3], 0, -1
	v_cmp_ne_u32_e32 vcc, 0, v2
	; wave barrier
	ds_read_b32 v21, v27 offset:64
	s_nop 0
	v_xor_b32_e32 v12, vcc_lo, v12
	v_xor_b32_e32 v2, vcc_hi, v13
	v_and_b32_e32 v25, exec_lo, v12
	v_lshlrev_b32_e32 v13, 30, v4
	v_mov_b32_e32 v12, v3
	v_cmp_gt_i64_e32 vcc, 0, v[12:13]
	v_not_b32_e32 v12, v13
	v_ashrrev_i32_e32 v12, 31, v12
	v_and_b32_e32 v2, exec_hi, v2
	v_xor_b32_e32 v13, vcc_hi, v12
	v_xor_b32_e32 v12, vcc_lo, v12
	v_and_b32_e32 v2, v2, v13
	v_and_b32_e32 v25, v25, v12
	v_lshlrev_b32_e32 v13, 29, v4
	v_mov_b32_e32 v12, v3
	v_cmp_gt_i64_e32 vcc, 0, v[12:13]
	v_not_b32_e32 v12, v13
	v_ashrrev_i32_e32 v12, 31, v12
	v_xor_b32_e32 v13, vcc_hi, v12
	v_xor_b32_e32 v12, vcc_lo, v12
	v_and_b32_e32 v2, v2, v13
	v_and_b32_e32 v25, v25, v12
	v_lshlrev_b32_e32 v13, 28, v4
	v_mov_b32_e32 v12, v3
	v_cmp_gt_i64_e32 vcc, 0, v[12:13]
	v_not_b32_e32 v12, v13
	v_ashrrev_i32_e32 v12, 31, v12
	;; [unrolled: 9-line block ×5, first 2 shown]
	v_xor_b32_e32 v13, vcc_hi, v12
	v_xor_b32_e32 v12, vcc_lo, v12
	v_and_b32_e32 v2, v2, v13
	v_lshlrev_b32_e32 v13, 24, v4
	v_and_b32_e32 v25, v25, v12
	v_mov_b32_e32 v12, v3
	v_not_b32_e32 v4, v13
	v_cmp_gt_i64_e32 vcc, 0, v[12:13]
	v_ashrrev_i32_e32 v4, 31, v4
	s_nop 0
	v_xor_b32_e32 v12, vcc_hi, v4
	v_xor_b32_e32 v4, vcc_lo, v4
	v_and_b32_e32 v13, v2, v12
	v_and_b32_e32 v12, v25, v4
	v_mbcnt_lo_u32_b32 v2, v12, 0
	v_mbcnt_hi_u32_b32 v25, v13, v2
	v_cmp_eq_u32_e32 vcc, 0, v25
	v_cmp_ne_u64_e64 s[4:5], 0, v[12:13]
	s_and_b64 s[8:9], s[4:5], vcc
	; wave barrier
	s_and_saveexec_b64 s[4:5], s[8:9]
	s_cbranch_execz .LBB569_27
; %bb.26:
	v_bcnt_u32_b32 v2, v12, 0
	v_bcnt_u32_b32 v2, v13, v2
	s_waitcnt lgkmcnt(0)
	v_add_u32_e32 v2, v21, v2
	ds_write_b32 v27, v2 offset:64
.LBB569_27:
	s_or_b64 exec, exec, s[4:5]
	v_cmp_lt_i32_e32 vcc, -1, v5
	; wave barrier
	s_nop 1
	v_cndmask_b32_e32 v2, -1, v24, vcc
	v_xor_b32_e32 v12, v2, v5
	v_cmp_ne_u32_e32 vcc, s6, v12
	s_nop 1
	v_cndmask_b32_e32 v2, v24, v12, vcc
	v_lshrrev_b32_e32 v2, s24, v2
	v_and_b32_e32 v13, s33, v2
	v_mul_lo_u32 v2, v13, s7
	v_add_u32_e32 v31, v29, v2
	v_and_b32_e32 v2, 1, v13
	v_lshl_add_u64 v[4:5], v[2:3], 0, -1
	v_cmp_ne_u32_e32 vcc, 0, v2
	ds_read_b32 v26, v31 offset:64
	s_nop 0
	v_xor_b32_e32 v4, vcc_lo, v4
	v_xor_b32_e32 v2, vcc_hi, v5
	v_and_b32_e32 v24, exec_lo, v4
	v_lshlrev_b32_e32 v5, 30, v13
	v_mov_b32_e32 v4, v3
	v_cmp_gt_i64_e32 vcc, 0, v[4:5]
	v_not_b32_e32 v4, v5
	v_ashrrev_i32_e32 v4, 31, v4
	v_and_b32_e32 v2, exec_hi, v2
	v_xor_b32_e32 v5, vcc_hi, v4
	v_xor_b32_e32 v4, vcc_lo, v4
	v_and_b32_e32 v2, v2, v5
	v_and_b32_e32 v24, v24, v4
	v_lshlrev_b32_e32 v5, 29, v13
	v_mov_b32_e32 v4, v3
	v_cmp_gt_i64_e32 vcc, 0, v[4:5]
	v_not_b32_e32 v4, v5
	v_ashrrev_i32_e32 v4, 31, v4
	v_xor_b32_e32 v5, vcc_hi, v4
	v_xor_b32_e32 v4, vcc_lo, v4
	v_and_b32_e32 v2, v2, v5
	v_and_b32_e32 v24, v24, v4
	v_lshlrev_b32_e32 v5, 28, v13
	v_mov_b32_e32 v4, v3
	v_cmp_gt_i64_e32 vcc, 0, v[4:5]
	v_not_b32_e32 v4, v5
	v_ashrrev_i32_e32 v4, 31, v4
	;; [unrolled: 9-line block ×5, first 2 shown]
	v_xor_b32_e32 v5, vcc_hi, v4
	v_xor_b32_e32 v4, vcc_lo, v4
	v_and_b32_e32 v2, v2, v5
	v_lshlrev_b32_e32 v5, 24, v13
	v_and_b32_e32 v24, v24, v4
	v_mov_b32_e32 v4, v3
	v_not_b32_e32 v3, v5
	v_cmp_gt_i64_e32 vcc, 0, v[4:5]
	v_ashrrev_i32_e32 v3, 31, v3
	; wave barrier
	s_nop 0
	v_xor_b32_e32 v4, vcc_hi, v3
	v_xor_b32_e32 v5, vcc_lo, v3
	v_and_b32_e32 v3, v2, v4
	v_and_b32_e32 v2, v24, v5
	v_mbcnt_lo_u32_b32 v4, v2, 0
	v_mbcnt_hi_u32_b32 v28, v3, v4
	v_cmp_eq_u32_e32 vcc, 0, v28
	v_cmp_ne_u64_e64 s[4:5], 0, v[2:3]
	s_and_b64 s[6:7], s[4:5], vcc
	s_and_saveexec_b64 s[4:5], s[6:7]
	s_cbranch_execz .LBB569_29
; %bb.28:
	v_bcnt_u32_b32 v2, v2, 0
	v_bcnt_u32_b32 v2, v3, v2
	s_waitcnt lgkmcnt(0)
	v_add_u32_e32 v2, v26, v2
	ds_write_b32 v31, v2 offset:64
.LBB569_29:
	s_or_b64 exec, exec, s[4:5]
	v_bfrev_b32_e32 v33, 1
	v_cmp_lt_i32_e32 vcc, -1, v6
	s_brev_b32 s6, -2
	s_movk_i32 s7, 0x44
	v_cndmask_b32_e32 v2, -1, v33, vcc
	v_xor_b32_e32 v13, v2, v6
	v_cmp_ne_u32_e32 vcc, s6, v13
	v_mov_b32_e32 v3, 0
	s_nop 0
	v_cndmask_b32_e32 v2, v33, v13, vcc
	v_lshrrev_b32_e32 v2, s24, v2
	v_and_b32_e32 v24, s33, v2
	v_mul_lo_u32 v2, v24, s7
	v_add_u32_e32 v6, v29, v2
	v_and_b32_e32 v2, 1, v24
	v_lshl_add_u64 v[4:5], v[2:3], 0, -1
	v_cmp_ne_u32_e32 vcc, 0, v2
	; wave barrier
	ds_read_b32 v30, v6 offset:64
	s_nop 0
	v_xor_b32_e32 v4, vcc_lo, v4
	v_xor_b32_e32 v2, vcc_hi, v5
	v_and_b32_e32 v32, exec_lo, v4
	v_lshlrev_b32_e32 v5, 30, v24
	v_mov_b32_e32 v4, v3
	v_cmp_gt_i64_e32 vcc, 0, v[4:5]
	v_not_b32_e32 v4, v5
	v_ashrrev_i32_e32 v4, 31, v4
	v_and_b32_e32 v2, exec_hi, v2
	v_xor_b32_e32 v5, vcc_hi, v4
	v_xor_b32_e32 v4, vcc_lo, v4
	v_and_b32_e32 v2, v2, v5
	v_and_b32_e32 v32, v32, v4
	v_lshlrev_b32_e32 v5, 29, v24
	v_mov_b32_e32 v4, v3
	v_cmp_gt_i64_e32 vcc, 0, v[4:5]
	v_not_b32_e32 v4, v5
	v_ashrrev_i32_e32 v4, 31, v4
	v_xor_b32_e32 v5, vcc_hi, v4
	v_xor_b32_e32 v4, vcc_lo, v4
	v_and_b32_e32 v2, v2, v5
	v_and_b32_e32 v32, v32, v4
	v_lshlrev_b32_e32 v5, 28, v24
	v_mov_b32_e32 v4, v3
	v_cmp_gt_i64_e32 vcc, 0, v[4:5]
	v_not_b32_e32 v4, v5
	v_ashrrev_i32_e32 v4, 31, v4
	v_xor_b32_e32 v5, vcc_hi, v4
	v_xor_b32_e32 v4, vcc_lo, v4
	v_and_b32_e32 v2, v2, v5
	v_and_b32_e32 v32, v32, v4
	v_lshlrev_b32_e32 v5, 27, v24
	v_mov_b32_e32 v4, v3
	v_cmp_gt_i64_e32 vcc, 0, v[4:5]
	v_not_b32_e32 v4, v5
	v_ashrrev_i32_e32 v4, 31, v4
	v_xor_b32_e32 v5, vcc_hi, v4
	v_xor_b32_e32 v4, vcc_lo, v4
	v_and_b32_e32 v2, v2, v5
	v_and_b32_e32 v32, v32, v4
	v_lshlrev_b32_e32 v5, 26, v24
	v_mov_b32_e32 v4, v3
	v_cmp_gt_i64_e32 vcc, 0, v[4:5]
	v_not_b32_e32 v4, v5
	v_ashrrev_i32_e32 v4, 31, v4
	v_xor_b32_e32 v5, vcc_hi, v4
	v_xor_b32_e32 v4, vcc_lo, v4
	v_and_b32_e32 v2, v2, v5
	v_and_b32_e32 v32, v32, v4
	v_lshlrev_b32_e32 v5, 25, v24
	v_mov_b32_e32 v4, v3
	v_cmp_gt_i64_e32 vcc, 0, v[4:5]
	v_not_b32_e32 v4, v5
	v_ashrrev_i32_e32 v4, 31, v4
	v_xor_b32_e32 v5, vcc_hi, v4
	v_xor_b32_e32 v4, vcc_lo, v4
	v_and_b32_e32 v2, v2, v5
	v_and_b32_e32 v32, v32, v4
	v_lshlrev_b32_e32 v5, 24, v24
	v_mov_b32_e32 v4, v3
	v_cmp_gt_i64_e32 vcc, 0, v[4:5]
	v_not_b32_e32 v4, v5
	v_ashrrev_i32_e32 v4, 31, v4
	v_xor_b32_e32 v5, vcc_hi, v4
	v_xor_b32_e32 v4, vcc_lo, v4
	v_and_b32_e32 v4, v32, v4
	v_and_b32_e32 v5, v2, v5
	v_mbcnt_lo_u32_b32 v2, v4, 0
	v_mbcnt_hi_u32_b32 v32, v5, v2
	v_cmp_eq_u32_e32 vcc, 0, v32
	v_cmp_ne_u64_e64 s[4:5], 0, v[4:5]
	s_and_b64 s[8:9], s[4:5], vcc
	; wave barrier
	s_and_saveexec_b64 s[4:5], s[8:9]
	s_cbranch_execz .LBB569_31
; %bb.30:
	v_bcnt_u32_b32 v2, v4, 0
	v_bcnt_u32_b32 v2, v5, v2
	s_waitcnt lgkmcnt(0)
	v_add_u32_e32 v2, v30, v2
	ds_write_b32 v6, v2 offset:64
.LBB569_31:
	s_or_b64 exec, exec, s[4:5]
	v_cmp_lt_i32_e32 vcc, -1, v7
	; wave barrier
	s_nop 1
	v_cndmask_b32_e32 v2, -1, v33, vcc
	v_xor_b32_e32 v24, v2, v7
	v_cmp_ne_u32_e32 vcc, s6, v24
	s_nop 1
	v_cndmask_b32_e32 v2, v33, v24, vcc
	v_lshrrev_b32_e32 v2, s24, v2
	v_and_b32_e32 v34, s33, v2
	v_mul_lo_u32 v2, v34, s7
	v_add_u32_e32 v7, v29, v2
	v_and_b32_e32 v2, 1, v34
	v_lshl_add_u64 v[4:5], v[2:3], 0, -1
	v_cmp_ne_u32_e32 vcc, 0, v2
	ds_read_b32 v33, v7 offset:64
	s_nop 0
	v_xor_b32_e32 v4, vcc_lo, v4
	v_xor_b32_e32 v2, vcc_hi, v5
	v_and_b32_e32 v35, exec_lo, v4
	v_lshlrev_b32_e32 v5, 30, v34
	v_mov_b32_e32 v4, v3
	v_cmp_gt_i64_e32 vcc, 0, v[4:5]
	v_not_b32_e32 v4, v5
	v_ashrrev_i32_e32 v4, 31, v4
	v_and_b32_e32 v2, exec_hi, v2
	v_xor_b32_e32 v5, vcc_hi, v4
	v_xor_b32_e32 v4, vcc_lo, v4
	v_and_b32_e32 v2, v2, v5
	v_and_b32_e32 v35, v35, v4
	v_lshlrev_b32_e32 v5, 29, v34
	v_mov_b32_e32 v4, v3
	v_cmp_gt_i64_e32 vcc, 0, v[4:5]
	v_not_b32_e32 v4, v5
	v_ashrrev_i32_e32 v4, 31, v4
	v_xor_b32_e32 v5, vcc_hi, v4
	v_xor_b32_e32 v4, vcc_lo, v4
	v_and_b32_e32 v2, v2, v5
	v_and_b32_e32 v35, v35, v4
	v_lshlrev_b32_e32 v5, 28, v34
	v_mov_b32_e32 v4, v3
	v_cmp_gt_i64_e32 vcc, 0, v[4:5]
	v_not_b32_e32 v4, v5
	v_ashrrev_i32_e32 v4, 31, v4
	;; [unrolled: 9-line block ×5, first 2 shown]
	v_xor_b32_e32 v5, vcc_hi, v4
	v_xor_b32_e32 v4, vcc_lo, v4
	v_and_b32_e32 v2, v2, v5
	v_lshlrev_b32_e32 v5, 24, v34
	v_and_b32_e32 v35, v35, v4
	v_mov_b32_e32 v4, v3
	v_not_b32_e32 v3, v5
	v_cmp_gt_i64_e32 vcc, 0, v[4:5]
	v_ashrrev_i32_e32 v3, 31, v3
	; wave barrier
	s_nop 0
	v_xor_b32_e32 v4, vcc_hi, v3
	v_xor_b32_e32 v5, vcc_lo, v3
	v_and_b32_e32 v3, v2, v4
	v_and_b32_e32 v2, v35, v5
	v_mbcnt_lo_u32_b32 v4, v2, 0
	v_mbcnt_hi_u32_b32 v34, v3, v4
	v_cmp_eq_u32_e32 vcc, 0, v34
	v_cmp_ne_u64_e64 s[4:5], 0, v[2:3]
	s_and_b64 s[6:7], s[4:5], vcc
	s_and_saveexec_b64 s[4:5], s[6:7]
	s_cbranch_execz .LBB569_33
; %bb.32:
	v_bcnt_u32_b32 v2, v2, 0
	v_bcnt_u32_b32 v2, v3, v2
	s_waitcnt lgkmcnt(0)
	v_add_u32_e32 v2, v33, v2
	ds_write_b32 v7, v2 offset:64
.LBB569_33:
	s_or_b64 exec, exec, s[4:5]
	v_bfrev_b32_e32 v38, 1
	v_cmp_lt_i32_e32 vcc, -1, v8
	s_brev_b32 s6, -2
	s_movk_i32 s7, 0x44
	v_cndmask_b32_e32 v2, -1, v38, vcc
	v_xor_b32_e32 v8, v2, v8
	v_cmp_ne_u32_e32 vcc, s6, v8
	v_mov_b32_e32 v3, 0
	s_nop 0
	v_cndmask_b32_e32 v2, v38, v8, vcc
	v_lshrrev_b32_e32 v2, s24, v2
	v_and_b32_e32 v36, s33, v2
	v_mul_lo_u32 v2, v36, s7
	v_add_u32_e32 v37, v29, v2
	v_and_b32_e32 v2, 1, v36
	v_lshl_add_u64 v[4:5], v[2:3], 0, -1
	v_cmp_ne_u32_e32 vcc, 0, v2
	; wave barrier
	ds_read_b32 v35, v37 offset:64
	s_nop 0
	v_xor_b32_e32 v4, vcc_lo, v4
	v_xor_b32_e32 v2, vcc_hi, v5
	v_and_b32_e32 v39, exec_lo, v4
	v_lshlrev_b32_e32 v5, 30, v36
	v_mov_b32_e32 v4, v3
	v_cmp_gt_i64_e32 vcc, 0, v[4:5]
	v_not_b32_e32 v4, v5
	v_ashrrev_i32_e32 v4, 31, v4
	v_and_b32_e32 v2, exec_hi, v2
	v_xor_b32_e32 v5, vcc_hi, v4
	v_xor_b32_e32 v4, vcc_lo, v4
	v_and_b32_e32 v2, v2, v5
	v_and_b32_e32 v39, v39, v4
	v_lshlrev_b32_e32 v5, 29, v36
	v_mov_b32_e32 v4, v3
	v_cmp_gt_i64_e32 vcc, 0, v[4:5]
	v_not_b32_e32 v4, v5
	v_ashrrev_i32_e32 v4, 31, v4
	v_xor_b32_e32 v5, vcc_hi, v4
	v_xor_b32_e32 v4, vcc_lo, v4
	v_and_b32_e32 v2, v2, v5
	v_and_b32_e32 v39, v39, v4
	v_lshlrev_b32_e32 v5, 28, v36
	v_mov_b32_e32 v4, v3
	v_cmp_gt_i64_e32 vcc, 0, v[4:5]
	v_not_b32_e32 v4, v5
	v_ashrrev_i32_e32 v4, 31, v4
	;; [unrolled: 9-line block ×6, first 2 shown]
	v_xor_b32_e32 v5, vcc_hi, v4
	v_xor_b32_e32 v4, vcc_lo, v4
	v_and_b32_e32 v4, v39, v4
	v_and_b32_e32 v5, v2, v5
	v_mbcnt_lo_u32_b32 v2, v4, 0
	v_mbcnt_hi_u32_b32 v36, v5, v2
	v_cmp_eq_u32_e32 vcc, 0, v36
	v_cmp_ne_u64_e64 s[4:5], 0, v[4:5]
	s_and_b64 s[8:9], s[4:5], vcc
	; wave barrier
	s_and_saveexec_b64 s[4:5], s[8:9]
	s_cbranch_execz .LBB569_35
; %bb.34:
	v_bcnt_u32_b32 v2, v4, 0
	v_bcnt_u32_b32 v2, v5, v2
	s_waitcnt lgkmcnt(0)
	v_add_u32_e32 v2, v35, v2
	ds_write_b32 v37, v2 offset:64
.LBB569_35:
	s_or_b64 exec, exec, s[4:5]
	v_cmp_lt_i32_e32 vcc, -1, v9
	; wave barrier
	s_nop 1
	v_cndmask_b32_e32 v2, -1, v38, vcc
	v_xor_b32_e32 v9, v2, v9
	v_cmp_ne_u32_e32 vcc, s6, v9
	s_nop 1
	v_cndmask_b32_e32 v2, v38, v9, vcc
	v_lshrrev_b32_e32 v2, s24, v2
	v_and_b32_e32 v38, s33, v2
	v_mul_lo_u32 v2, v38, s7
	v_add_u32_e32 v39, v29, v2
	v_and_b32_e32 v2, 1, v38
	v_lshl_add_u64 v[4:5], v[2:3], 0, -1
	v_cmp_ne_u32_e32 vcc, 0, v2
	ds_read_b32 v29, v39 offset:64
	s_nop 0
	v_xor_b32_e32 v4, vcc_lo, v4
	v_xor_b32_e32 v2, vcc_hi, v5
	v_and_b32_e32 v40, exec_lo, v4
	v_lshlrev_b32_e32 v5, 30, v38
	v_mov_b32_e32 v4, v3
	v_cmp_gt_i64_e32 vcc, 0, v[4:5]
	v_not_b32_e32 v4, v5
	v_ashrrev_i32_e32 v4, 31, v4
	v_and_b32_e32 v2, exec_hi, v2
	v_xor_b32_e32 v5, vcc_hi, v4
	v_xor_b32_e32 v4, vcc_lo, v4
	v_and_b32_e32 v2, v2, v5
	v_and_b32_e32 v40, v40, v4
	v_lshlrev_b32_e32 v5, 29, v38
	v_mov_b32_e32 v4, v3
	v_cmp_gt_i64_e32 vcc, 0, v[4:5]
	v_not_b32_e32 v4, v5
	v_ashrrev_i32_e32 v4, 31, v4
	v_xor_b32_e32 v5, vcc_hi, v4
	v_xor_b32_e32 v4, vcc_lo, v4
	v_and_b32_e32 v2, v2, v5
	v_and_b32_e32 v40, v40, v4
	v_lshlrev_b32_e32 v5, 28, v38
	v_mov_b32_e32 v4, v3
	v_cmp_gt_i64_e32 vcc, 0, v[4:5]
	v_not_b32_e32 v4, v5
	v_ashrrev_i32_e32 v4, 31, v4
	;; [unrolled: 9-line block ×5, first 2 shown]
	v_xor_b32_e32 v5, vcc_hi, v4
	v_xor_b32_e32 v4, vcc_lo, v4
	v_and_b32_e32 v2, v2, v5
	v_lshlrev_b32_e32 v5, 24, v38
	v_and_b32_e32 v40, v40, v4
	v_mov_b32_e32 v4, v3
	v_not_b32_e32 v3, v5
	v_cmp_gt_i64_e32 vcc, 0, v[4:5]
	v_ashrrev_i32_e32 v3, 31, v3
	; wave barrier
	s_nop 0
	v_xor_b32_e32 v4, vcc_hi, v3
	v_xor_b32_e32 v5, vcc_lo, v3
	v_and_b32_e32 v3, v2, v4
	v_and_b32_e32 v2, v40, v5
	v_mbcnt_lo_u32_b32 v4, v2, 0
	v_mbcnt_hi_u32_b32 v38, v3, v4
	v_cmp_eq_u32_e32 vcc, 0, v38
	v_cmp_ne_u64_e64 s[4:5], 0, v[2:3]
	s_and_b64 s[6:7], s[4:5], vcc
	s_and_saveexec_b64 s[4:5], s[6:7]
	s_cbranch_execz .LBB569_37
; %bb.36:
	v_bcnt_u32_b32 v2, v2, 0
	v_bcnt_u32_b32 v2, v3, v2
	s_waitcnt lgkmcnt(0)
	v_add_u32_e32 v2, v29, v2
	ds_write_b32 v39, v2 offset:64
.LBB569_37:
	s_or_b64 exec, exec, s[4:5]
	; wave barrier
	s_waitcnt lgkmcnt(0)
	s_barrier
	ds_read2_b32 v[4:5], v17 offset0:16 offset1:17
	ds_read2_b32 v[2:3], v17 offset0:18 offset1:19
	ds_read_b32 v40, v17 offset:80
	v_cmp_lt_u32_e64 s[12:13], 31, v16
	s_waitcnt lgkmcnt(1)
	v_add3_u32 v41, v5, v4, v2
	s_waitcnt lgkmcnt(0)
	v_add3_u32 v40, v41, v3, v40
	v_and_b32_e32 v41, 15, v16
	v_cmp_eq_u32_e32 vcc, 0, v41
	v_mov_b32_dpp v42, v40 row_shr:1 row_mask:0xf bank_mask:0xf
	v_cmp_lt_u32_e64 s[4:5], 1, v41
	v_cndmask_b32_e64 v42, v42, 0, vcc
	v_add_u32_e32 v40, v42, v40
	v_cmp_lt_u32_e64 s[6:7], 3, v41
	v_cmp_lt_u32_e64 s[8:9], 7, v41
	v_mov_b32_dpp v42, v40 row_shr:2 row_mask:0xf bank_mask:0xf
	v_cndmask_b32_e64 v42, 0, v42, s[4:5]
	v_add_u32_e32 v40, v40, v42
	s_nop 1
	v_mov_b32_dpp v42, v40 row_shr:4 row_mask:0xf bank_mask:0xf
	v_cndmask_b32_e64 v42, 0, v42, s[6:7]
	v_add_u32_e32 v40, v40, v42
	s_nop 1
	v_mov_b32_dpp v42, v40 row_shr:8 row_mask:0xf bank_mask:0xf
	v_cndmask_b32_e64 v41, 0, v42, s[8:9]
	v_add_u32_e32 v40, v40, v41
	v_bfe_i32 v42, v16, 4, 1
	s_nop 0
	v_mov_b32_dpp v41, v40 row_bcast:15 row_mask:0xf bank_mask:0xf
	v_and_b32_e32 v41, v42, v41
	v_add_u32_e32 v40, v40, v41
	v_and_b32_e32 v42, 63, v10
	s_nop 0
	v_mov_b32_dpp v41, v40 row_bcast:31 row_mask:0xf bank_mask:0xf
	v_cndmask_b32_e64 v41, 0, v41, s[12:13]
	v_add_u32_e32 v40, v40, v41
	v_lshrrev_b32_e32 v41, 6, v10
	v_cmp_eq_u32_e64 s[12:13], 63, v42
	s_and_saveexec_b64 s[14:15], s[12:13]
; %bb.38:
	v_lshlrev_b32_e32 v42, 2, v41
	ds_write_b32 v42, v40
; %bb.39:
	s_or_b64 exec, exec, s[14:15]
	v_cmp_gt_u32_e64 s[12:13], 16, v10
	s_waitcnt lgkmcnt(0)
	s_barrier
	s_and_saveexec_b64 s[14:15], s[12:13]
	s_cbranch_execz .LBB569_41
; %bb.40:
	v_lshlrev_b32_e32 v42, 2, v10
	ds_read_b32 v43, v42
	s_waitcnt lgkmcnt(0)
	s_nop 0
	v_mov_b32_dpp v44, v43 row_shr:1 row_mask:0xf bank_mask:0xf
	v_cndmask_b32_e64 v44, v44, 0, vcc
	v_add_u32_e32 v43, v44, v43
	s_nop 1
	v_mov_b32_dpp v44, v43 row_shr:2 row_mask:0xf bank_mask:0xf
	v_cndmask_b32_e64 v44, 0, v44, s[4:5]
	v_add_u32_e32 v43, v43, v44
	s_nop 1
	v_mov_b32_dpp v44, v43 row_shr:4 row_mask:0xf bank_mask:0xf
	v_cndmask_b32_e64 v44, 0, v44, s[6:7]
	;; [unrolled: 4-line block ×3, first 2 shown]
	v_add_u32_e32 v43, v43, v44
	ds_write_b32 v42, v43
.LBB569_41:
	s_or_b64 exec, exec, s[14:15]
	v_cmp_lt_u32_e32 vcc, 63, v10
	v_mov_b32_e32 v42, 0
	s_waitcnt lgkmcnt(0)
	s_barrier
	s_and_saveexec_b64 s[4:5], vcc
; %bb.42:
	v_lshl_add_u32 v41, v41, 2, -4
	ds_read_b32 v42, v41
; %bb.43:
	s_or_b64 exec, exec, s[4:5]
	v_subrev_co_u32_e32 v41, vcc, 1, v16
	v_and_b32_e32 v43, 64, v16
	v_cmp_lt_i32_e64 s[4:5], v41, v43
	s_waitcnt lgkmcnt(0)
	v_add_u32_e32 v40, v42, v40
	s_movk_i32 s6, 0x100
	v_cndmask_b32_e64 v16, v41, v16, s[4:5]
	v_lshlrev_b32_e32 v16, 2, v16
	ds_bpermute_b32 v16, v16, v40
	s_movk_i32 s4, 0xff
	v_cmp_lt_u32_e64 s[4:5], s4, v10
	s_waitcnt lgkmcnt(0)
	v_cndmask_b32_e32 v16, v16, v42, vcc
	v_cndmask_b32_e64 v16, v16, 0, s[10:11]
	v_add_u32_e32 v4, v16, v4
	v_add_u32_e32 v5, v4, v5
	;; [unrolled: 1-line block ×4, first 2 shown]
	ds_write2_b32 v17, v16, v4 offset0:16 offset1:17
	ds_write2_b32 v17, v5, v2 offset0:18 offset1:19
	ds_write_b32 v17, v3 offset:80
	s_waitcnt lgkmcnt(0)
	s_barrier
	ds_read_b32 v40, v22 offset:64
	ds_read_b32 v23, v23 offset:64
	;; [unrolled: 1-line block ×8, first 2 shown]
	v_cmp_gt_u32_e32 vcc, s6, v10
                                        ; implicit-def: $vgpr16
                                        ; implicit-def: $vgpr17
	s_and_saveexec_b64 s[8:9], vcc
	s_cbranch_execz .LBB569_47
; %bb.44:
	v_mul_u32_u24_e32 v2, 0x44, v10
	ds_read_b32 v16, v2 offset:64
	v_add_u32_e32 v3, 1, v10
	v_cmp_ne_u32_e64 s[6:7], s6, v3
	v_mov_b32_e32 v2, 0x2000
	s_and_saveexec_b64 s[12:13], s[6:7]
; %bb.45:
	v_mul_u32_u24_e32 v2, 0x44, v3
	ds_read_b32 v2, v2 offset:64
; %bb.46:
	s_or_b64 exec, exec, s[12:13]
	s_waitcnt lgkmcnt(0)
	v_sub_u32_e32 v17, v2, v16
.LBB569_47:
	s_or_b64 exec, exec, s[8:9]
	v_mov_b32_e32 v3, 0
	v_lshlrev_b32_e32 v22, 2, v10
	s_waitcnt lgkmcnt(0)
	s_barrier
	s_and_saveexec_b64 s[6:7], vcc
	s_cbranch_execz .LBB569_57
; %bb.48:
	v_lshl_add_u32 v2, s27, 8, v10
	v_lshl_add_u64 v[4:5], v[2:3], 2, s[18:19]
	v_or_b32_e32 v2, 2.0, v17
	s_mov_b64 s[8:9], 0
	s_brev_b32 s16, -4
	s_mov_b32 s17, s27
	v_mov_b32_e32 v43, 0
	global_store_dword v[4:5], v2, off sc1
                                        ; implicit-def: $sgpr12_sgpr13
	s_branch .LBB569_51
.LBB569_49:                             ;   in Loop: Header=BB569_51 Depth=1
	s_or_b64 exec, exec, s[14:15]
.LBB569_50:                             ;   in Loop: Header=BB569_51 Depth=1
	s_or_b64 exec, exec, s[12:13]
	v_and_b32_e32 v6, 0x3fffffff, v2
	v_add_u32_e32 v43, v6, v43
	v_cmp_gt_i32_e64 s[12:13], -2.0, v2
	s_and_b64 s[14:15], exec, s[12:13]
	s_or_b64 s[8:9], s[14:15], s[8:9]
	s_andn2_b64 exec, exec, s[8:9]
	s_cbranch_execz .LBB569_56
.LBB569_51:                             ; =>This Loop Header: Depth=1
                                        ;     Child Loop BB569_54 Depth 2
	s_or_b64 s[12:13], s[12:13], exec
	s_cmp_eq_u32 s17, 0
	s_cbranch_scc1 .LBB569_55
; %bb.52:                               ;   in Loop: Header=BB569_51 Depth=1
	s_add_i32 s17, s17, -1
	v_lshl_or_b32 v2, s17, 8, v10
	v_lshl_add_u64 v[6:7], v[2:3], 2, s[18:19]
	global_load_dword v2, v[6:7], off sc1
	s_waitcnt vmcnt(0)
	v_cmp_gt_u32_e32 vcc, 2.0, v2
	s_and_saveexec_b64 s[12:13], vcc
	s_cbranch_execz .LBB569_50
; %bb.53:                               ;   in Loop: Header=BB569_51 Depth=1
	s_mov_b64 s[14:15], 0
.LBB569_54:                             ;   Parent Loop BB569_51 Depth=1
                                        ; =>  This Inner Loop Header: Depth=2
	global_load_dword v2, v[6:7], off sc1
	s_waitcnt vmcnt(0)
	v_cmp_lt_u32_e32 vcc, s16, v2
	s_or_b64 s[14:15], vcc, s[14:15]
	s_andn2_b64 exec, exec, s[14:15]
	s_cbranch_execnz .LBB569_54
	s_branch .LBB569_49
.LBB569_55:                             ;   in Loop: Header=BB569_51 Depth=1
                                        ; implicit-def: $sgpr17
	s_and_b64 s[14:15], exec, s[12:13]
	s_or_b64 s[8:9], s[14:15], s[8:9]
	s_andn2_b64 exec, exec, s[8:9]
	s_cbranch_execnz .LBB569_51
.LBB569_56:
	s_or_b64 exec, exec, s[8:9]
	v_add_u32_e32 v2, v43, v17
	v_or_b32_e32 v2, 0x80000000, v2
	global_store_dword v[4:5], v2, off sc1
	global_load_dword v2, v22, s[20:21]
	v_sub_u32_e32 v3, v43, v16
	s_waitcnt vmcnt(0)
	v_add_u32_e32 v2, v3, v2
	ds_write_b32 v22, v2
.LBB569_57:
	s_or_b64 exec, exec, s[6:7]
	v_add_u32_e32 v4, v40, v18
	v_add3_u32 v5, v20, v19, v23
	v_add3_u32 v6, v25, v21, v27
	;; [unrolled: 1-line block ×7, first 2 shown]
	v_lshlrev_b32_e32 v23, 2, v21
	v_lshlrev_b32_e32 v25, 2, v20
	;; [unrolled: 1-line block ×8, first 2 shown]
	s_mov_b64 s[6:7], -1
	s_mov_b32 s12, 0
	s_brev_b32 s13, -2
	v_mov_b32_e32 v3, 0
	s_movk_i32 s14, 0x400
	s_movk_i32 s15, 0x800
	;; [unrolled: 1-line block ×3, first 2 shown]
	v_bfrev_b32_e32 v32, 1
	v_mov_b32_e32 v33, v10
	s_branch .LBB569_59
.LBB569_58:                             ;   in Loop: Header=BB569_59 Depth=1
	s_or_b64 exec, exec, s[8:9]
	s_xor_b64 s[8:9], s[6:7], -1
	s_addk_i32 s12, 0xc000
	v_add_u32_e32 v33, 0x1000, v33
	s_mov_b64 s[6:7], 0
	s_and_b64 vcc, exec, s[8:9]
	s_barrier
	s_cbranch_vccnz .LBB569_83
.LBB569_59:                             ; =>This Inner Loop Header: Depth=1
	v_subrev_co_u32_e32 v4, vcc, 0x1000, v4
	s_and_saveexec_b64 s[8:9], vcc
	s_cbranch_execz .LBB569_67
; %bb.60:                               ;   in Loop: Header=BB569_59 Depth=1
	v_add_u32_e32 v2, s12, v31
	ds_write_b32 v2, v11 offset:1024
	s_or_b64 exec, exec, s[8:9]
	v_subrev_co_u32_e32 v5, vcc, 0x1000, v5
	s_and_saveexec_b64 s[8:9], vcc
	s_cbranch_execnz .LBB569_68
.LBB569_61:                             ;   in Loop: Header=BB569_59 Depth=1
	s_or_b64 exec, exec, s[8:9]
	v_subrev_co_u32_e32 v6, vcc, 0x1000, v6
	s_and_saveexec_b64 s[8:9], vcc
	s_cbranch_execz .LBB569_69
.LBB569_62:                             ;   in Loop: Header=BB569_59 Depth=1
	v_add_u32_e32 v2, s12, v29
	ds_write_b32 v2, v15 offset:1024
	s_or_b64 exec, exec, s[8:9]
	v_subrev_co_u32_e32 v7, vcc, 0x1000, v7
	s_and_saveexec_b64 s[8:9], vcc
	s_cbranch_execnz .LBB569_70
.LBB569_63:                             ;   in Loop: Header=BB569_59 Depth=1
	s_or_b64 exec, exec, s[8:9]
	v_subrev_co_u32_e32 v18, vcc, 0x1000, v18
	s_and_saveexec_b64 s[8:9], vcc
	s_cbranch_execz .LBB569_71
.LBB569_64:                             ;   in Loop: Header=BB569_59 Depth=1
	v_add_u32_e32 v2, s12, v27
	ds_write_b32 v2, v13 offset:1024
	s_or_b64 exec, exec, s[8:9]
	v_subrev_co_u32_e32 v19, vcc, 0x1000, v19
	s_and_saveexec_b64 s[8:9], vcc
	s_cbranch_execnz .LBB569_72
.LBB569_65:                             ;   in Loop: Header=BB569_59 Depth=1
	s_or_b64 exec, exec, s[8:9]
	v_subrev_co_u32_e32 v20, vcc, 0x1000, v20
	s_and_saveexec_b64 s[8:9], vcc
	s_cbranch_execz .LBB569_73
.LBB569_66:                             ;   in Loop: Header=BB569_59 Depth=1
	v_add_u32_e32 v2, s12, v25
	ds_write_b32 v2, v8 offset:1024
	s_or_b64 exec, exec, s[8:9]
	v_subrev_co_u32_e32 v21, vcc, 0x1000, v21
	s_and_saveexec_b64 s[8:9], vcc
	s_cbranch_execnz .LBB569_74
	s_branch .LBB569_75
.LBB569_67:                             ;   in Loop: Header=BB569_59 Depth=1
	s_or_b64 exec, exec, s[8:9]
	v_subrev_co_u32_e32 v5, vcc, 0x1000, v5
	s_and_saveexec_b64 s[8:9], vcc
	s_cbranch_execz .LBB569_61
.LBB569_68:                             ;   in Loop: Header=BB569_59 Depth=1
	v_add_u32_e32 v2, s12, v30
	ds_write_b32 v2, v14 offset:1024
	s_or_b64 exec, exec, s[8:9]
	v_subrev_co_u32_e32 v6, vcc, 0x1000, v6
	s_and_saveexec_b64 s[8:9], vcc
	s_cbranch_execnz .LBB569_62
.LBB569_69:                             ;   in Loop: Header=BB569_59 Depth=1
	s_or_b64 exec, exec, s[8:9]
	v_subrev_co_u32_e32 v7, vcc, 0x1000, v7
	s_and_saveexec_b64 s[8:9], vcc
	s_cbranch_execz .LBB569_63
.LBB569_70:                             ;   in Loop: Header=BB569_59 Depth=1
	v_add_u32_e32 v2, s12, v28
	ds_write_b32 v2, v12 offset:1024
	s_or_b64 exec, exec, s[8:9]
	v_subrev_co_u32_e32 v18, vcc, 0x1000, v18
	s_and_saveexec_b64 s[8:9], vcc
	s_cbranch_execnz .LBB569_64
.LBB569_71:                             ;   in Loop: Header=BB569_59 Depth=1
	s_or_b64 exec, exec, s[8:9]
	v_subrev_co_u32_e32 v19, vcc, 0x1000, v19
	s_and_saveexec_b64 s[8:9], vcc
	s_cbranch_execz .LBB569_65
.LBB569_72:                             ;   in Loop: Header=BB569_59 Depth=1
	v_add_u32_e32 v2, s12, v26
	ds_write_b32 v2, v24 offset:1024
	s_or_b64 exec, exec, s[8:9]
	v_subrev_co_u32_e32 v20, vcc, 0x1000, v20
	s_and_saveexec_b64 s[8:9], vcc
	s_cbranch_execnz .LBB569_66
.LBB569_73:                             ;   in Loop: Header=BB569_59 Depth=1
	s_or_b64 exec, exec, s[8:9]
	v_subrev_co_u32_e32 v21, vcc, 0x1000, v21
	s_and_saveexec_b64 s[8:9], vcc
.LBB569_74:                             ;   in Loop: Header=BB569_59 Depth=1
	v_add_u32_e32 v2, s12, v23
	ds_write_b32 v2, v9 offset:1024
.LBB569_75:                             ;   in Loop: Header=BB569_59 Depth=1
	s_or_b64 exec, exec, s[8:9]
	v_cmp_gt_u32_e32 vcc, s3, v33
	s_waitcnt lgkmcnt(0)
	s_barrier
	s_and_saveexec_b64 s[8:9], vcc
	s_cbranch_execz .LBB569_77
; %bb.76:                               ;   in Loop: Header=BB569_59 Depth=1
	ds_read_b32 v2, v22 offset:1024
	s_waitcnt lgkmcnt(0)
	v_cmp_ne_u32_e32 vcc, s13, v2
	s_nop 1
	v_cndmask_b32_e32 v34, v32, v2, vcc
	v_lshrrev_b32_e32 v34, s24, v34
	v_and_b32_e32 v34, s33, v34
	v_lshlrev_b32_e32 v34, 2, v34
	ds_read_b32 v34, v34
	v_cmp_lt_i32_e32 vcc, -1, v2
	s_nop 1
	v_cndmask_b32_e64 v35, v32, -1, vcc
	v_xor_b32_e32 v36, v35, v2
	s_waitcnt lgkmcnt(0)
	v_add_u32_e32 v2, v33, v34
	v_lshl_add_u64 v[34:35], v[2:3], 2, s[30:31]
	global_store_dword v[34:35], v36, off
.LBB569_77:                             ;   in Loop: Header=BB569_59 Depth=1
	s_or_b64 exec, exec, s[8:9]
	v_add_u32_e32 v2, 0x400, v33
	v_cmp_gt_u32_e32 vcc, s3, v2
	s_and_saveexec_b64 s[8:9], vcc
	s_cbranch_execz .LBB569_79
; %bb.78:                               ;   in Loop: Header=BB569_59 Depth=1
	ds_read_b32 v2, v22 offset:5120
	s_waitcnt lgkmcnt(0)
	v_cmp_ne_u32_e32 vcc, s13, v2
	s_nop 1
	v_cndmask_b32_e32 v34, v32, v2, vcc
	v_lshrrev_b32_e32 v34, s24, v34
	v_and_b32_e32 v34, s33, v34
	v_lshlrev_b32_e32 v34, 2, v34
	ds_read_b32 v34, v34
	v_cmp_lt_i32_e32 vcc, -1, v2
	s_nop 1
	v_cndmask_b32_e64 v35, v32, -1, vcc
	v_xor_b32_e32 v36, v35, v2
	s_waitcnt lgkmcnt(0)
	v_add3_u32 v2, v33, v34, s14
	v_lshl_add_u64 v[34:35], v[2:3], 2, s[30:31]
	global_store_dword v[34:35], v36, off
.LBB569_79:                             ;   in Loop: Header=BB569_59 Depth=1
	s_or_b64 exec, exec, s[8:9]
	v_add_u32_e32 v2, 0x800, v33
	v_cmp_gt_u32_e32 vcc, s3, v2
	s_and_saveexec_b64 s[8:9], vcc
	s_cbranch_execz .LBB569_81
; %bb.80:                               ;   in Loop: Header=BB569_59 Depth=1
	ds_read_b32 v2, v22 offset:9216
	s_waitcnt lgkmcnt(0)
	v_cmp_ne_u32_e32 vcc, s13, v2
	s_nop 1
	v_cndmask_b32_e32 v34, v32, v2, vcc
	v_lshrrev_b32_e32 v34, s24, v34
	v_and_b32_e32 v34, s33, v34
	v_lshlrev_b32_e32 v34, 2, v34
	ds_read_b32 v34, v34
	v_cmp_lt_i32_e32 vcc, -1, v2
	s_nop 1
	v_cndmask_b32_e64 v35, v32, -1, vcc
	v_xor_b32_e32 v36, v35, v2
	s_waitcnt lgkmcnt(0)
	v_add3_u32 v2, v33, v34, s15
	v_lshl_add_u64 v[34:35], v[2:3], 2, s[30:31]
	global_store_dword v[34:35], v36, off
.LBB569_81:                             ;   in Loop: Header=BB569_59 Depth=1
	s_or_b64 exec, exec, s[8:9]
	v_add_u32_e32 v2, 0xc00, v33
	v_cmp_gt_u32_e32 vcc, s3, v2
	s_and_saveexec_b64 s[8:9], vcc
	s_cbranch_execz .LBB569_58
; %bb.82:                               ;   in Loop: Header=BB569_59 Depth=1
	ds_read_b32 v2, v22 offset:13312
	s_waitcnt lgkmcnt(0)
	v_cmp_ne_u32_e32 vcc, s13, v2
	s_nop 1
	v_cndmask_b32_e32 v34, v32, v2, vcc
	v_lshrrev_b32_e32 v34, s24, v34
	v_and_b32_e32 v34, s33, v34
	v_lshlrev_b32_e32 v34, 2, v34
	ds_read_b32 v34, v34
	v_cmp_lt_i32_e32 vcc, -1, v2
	s_nop 1
	v_cndmask_b32_e64 v35, v32, -1, vcc
	v_xor_b32_e32 v36, v35, v2
	s_waitcnt lgkmcnt(0)
	v_add3_u32 v2, v33, v34, s16
	v_lshl_add_u64 v[34:35], v[2:3], 2, s[30:31]
	global_store_dword v[34:35], v36, off
	s_branch .LBB569_58
.LBB569_83:
	s_add_i32 s26, s26, -1
	s_cmp_eq_u32 s27, s26
	s_cselect_b64 s[6:7], -1, 0
	s_xor_b64 s[4:5], s[4:5], -1
	s_and_b64 s[6:7], s[4:5], s[6:7]
	s_and_saveexec_b64 s[4:5], s[6:7]
	s_cbranch_execz .LBB569_85
; %bb.84:
	ds_read_b32 v2, v22
	s_waitcnt lgkmcnt(0)
	v_add3_u32 v2, v16, v17, v2
	global_store_dword v22, v2, s[22:23]
.LBB569_85:
	s_or_b64 exec, exec, s[4:5]
	s_mov_b64 s[4:5], 0
.LBB569_86:
	s_and_b64 vcc, exec, s[4:5]
	s_cbranch_vccz .LBB569_143
; %bb.87:
	s_lshl_b32 s4, s27, 13
	s_mov_b32 s5, 0
	s_lshl_b64 s[4:5], s[4:5], 2
	v_mbcnt_hi_u32_b32 v4, -1, v1
	s_add_u32 s4, s28, s4
	v_and_b32_e32 v1, 63, v4
	s_load_dword s12, s[0:1], 0x58
	s_load_dword s3, s[0:1], 0x64
	s_addc_u32 s5, s29, s5
	v_lshlrev_b32_e32 v2, 2, v1
	v_mov_b32_e32 v3, 0
	v_lshlrev_b32_e32 v1, 5, v10
	v_lshl_add_u64 v[6:7], s[4:5], 0, v[2:3]
	v_and_b32_e32 v2, 0x7800, v1
	v_lshl_add_u64 v[16:17], v[6:7], 0, v[2:3]
	global_load_dword v1, v[16:17], off
	s_add_u32 s0, s0, 0x58
	s_addc_u32 s1, s1, 0
	s_waitcnt lgkmcnt(0)
	s_lshr_b32 s3, s3, 16
	s_cmp_lt_u32 s2, s12
	s_cselect_b32 s2, 12, 18
	s_add_u32 s0, s0, s2
	s_addc_u32 s1, s1, 0
	global_load_ushort v2, v3, s[0:1]
	v_mul_u32_u24_e32 v5, 20, v10
	ds_write2_b32 v5, v3, v3 offset0:16 offset1:17
	ds_write2_b32 v5, v3, v3 offset0:18 offset1:19
	ds_write_b32 v5, v3 offset:80
	global_load_dword v7, v[16:17], off offset:256
	global_load_dword v8, v[16:17], off offset:512
	;; [unrolled: 1-line block ×7, first 2 shown]
	v_bfrev_b32_e32 v11, 1
	v_bfe_u32 v6, v0, 10, 10
	v_bfe_u32 v9, v0, 20, 10
	v_mad_u32_u24 v9, v9, s3, v6
	s_brev_b32 s8, -2
	s_lshl_b32 s2, -1, s25
	v_mov_b32_e32 v0, v3
	v_mov_b32_e32 v18, v3
	;; [unrolled: 1-line block ×3, first 2 shown]
	s_not_b32 s13, s2
	v_mov_b32_e32 v28, v3
	s_movk_i32 s9, 0x44
	s_waitcnt lgkmcnt(0)
	s_barrier
	s_waitcnt vmcnt(8)
	; wave barrier
	v_cmp_lt_i32_e32 vcc, -1, v1
	s_nop 1
	v_cndmask_b32_e32 v6, -1, v11, vcc
	v_xor_b32_e32 v6, v6, v1
	v_cmp_ne_u32_e32 vcc, s8, v6
	s_waitcnt vmcnt(7)
	v_mad_u64_u32 v[16:17], s[0:1], v9, v2, v[10:11]
	v_cndmask_b32_e32 v1, v11, v6, vcc
	v_lshrrev_b32_e32 v1, s24, v1
	v_bitop3_b32 v9, v1, s2, v1 bitop3:0x30
	v_and_b32_e32 v2, 1, v9
	v_lshlrev_b32_e32 v1, 30, v9
	v_lshrrev_b32_e32 v13, 4, v16
	v_lshlrev_b32_e32 v19, 29, v9
	v_lshl_add_u64 v[16:17], v[2:3], 0, -1
	v_cmp_ne_u32_e32 vcc, 0, v2
	v_cmp_gt_i64_e64 s[0:1], 0, v[0:1]
	v_not_b32_e32 v0, v1
	v_lshlrev_b32_e32 v27, 28, v9
	v_not_b32_e32 v1, v19
	v_xor_b32_e32 v17, vcc_hi, v17
	v_xor_b32_e32 v16, vcc_lo, v16
	v_ashrrev_i32_e32 v0, 31, v0
	v_lshlrev_b32_e32 v29, 27, v9
	v_cmp_gt_i64_e64 s[2:3], 0, v[18:19]
	v_not_b32_e32 v2, v27
	v_ashrrev_i32_e32 v1, 31, v1
	v_and_b32_e32 v17, exec_hi, v17
	v_and_b32_e32 v16, exec_lo, v16
	v_xor_b32_e32 v18, s1, v0
	v_xor_b32_e32 v0, s0, v0
	v_and_b32_e32 v22, 0xffffffc, v13
	v_cmp_gt_i64_e64 s[4:5], 0, v[26:27]
	v_not_b32_e32 v13, v29
	v_ashrrev_i32_e32 v2, 31, v2
	v_xor_b32_e32 v19, s3, v1
	v_xor_b32_e32 v1, s2, v1
	v_and_b32_e32 v17, v17, v18
	v_and_b32_e32 v0, v16, v0
	v_cmp_gt_i64_e64 s[6:7], 0, v[28:29]
	v_ashrrev_i32_e32 v13, 31, v13
	v_xor_b32_e32 v23, s5, v2
	v_xor_b32_e32 v2, s4, v2
	v_and_b32_e32 v16, v17, v19
	v_and_b32_e32 v0, v0, v1
	v_xor_b32_e32 v24, s7, v13
	v_and_b32_e32 v1, v16, v23
	v_and_b32_e32 v0, v0, v2
	v_xor_b32_e32 v2, s6, v13
	v_and_b32_e32 v13, v1, v24
	v_and_b32_e32 v2, v0, v2
	v_lshlrev_b32_e32 v1, 26, v9
	v_mov_b32_e32 v0, v3
	v_cmp_gt_i64_e32 vcc, 0, v[0:1]
	v_not_b32_e32 v0, v1
	v_ashrrev_i32_e32 v0, 31, v0
	v_xor_b32_e32 v1, vcc_hi, v0
	v_xor_b32_e32 v0, vcc_lo, v0
	v_and_b32_e32 v13, v13, v1
	v_and_b32_e32 v2, v2, v0
	v_lshlrev_b32_e32 v1, 25, v9
	v_mov_b32_e32 v0, v3
	v_cmp_gt_i64_e32 vcc, 0, v[0:1]
	v_not_b32_e32 v0, v1
	v_ashrrev_i32_e32 v0, 31, v0
	v_xor_b32_e32 v1, vcc_hi, v0
	v_xor_b32_e32 v0, vcc_lo, v0
	v_and_b32_e32 v13, v13, v1
	v_and_b32_e32 v2, v2, v0
	;; [unrolled: 9-line block ×3, first 2 shown]
	v_mbcnt_lo_u32_b32 v2, v0, 0
	v_mul_lo_u32 v14, v9, s9
	v_mbcnt_hi_u32_b32 v9, v1, v2
	v_cmp_eq_u32_e32 vcc, 0, v9
	v_cmp_ne_u64_e64 s[0:1], 0, v[0:1]
	s_and_b64 s[2:3], s[0:1], vcc
	v_add_u32_e32 v16, v22, v14
	s_and_saveexec_b64 s[0:1], s[2:3]
; %bb.88:
	v_bcnt_u32_b32 v0, v0, 0
	v_bcnt_u32_b32 v0, v1, v0
	ds_write_b32 v16, v0 offset:64
; %bb.89:
	s_or_b64 exec, exec, s[0:1]
	s_waitcnt vmcnt(6)
	v_cmp_lt_i32_e32 vcc, -1, v7
	; wave barrier
	s_nop 1
	v_cndmask_b32_e32 v0, -1, v11, vcc
	v_xor_b32_e32 v7, v0, v7
	v_cmp_ne_u32_e32 vcc, s8, v7
	s_nop 1
	v_cndmask_b32_e32 v0, v11, v7, vcc
	v_lshrrev_b32_e32 v0, s24, v0
	v_and_b32_e32 v13, s13, v0
	v_mul_lo_u32 v0, v13, s9
	v_and_b32_e32 v2, 1, v13
	v_add_u32_e32 v17, v22, v0
	v_lshl_add_u64 v[0:1], v[2:3], 0, -1
	v_cmp_ne_u32_e32 vcc, 0, v2
	ds_read_b32 v11, v17 offset:64
	s_nop 0
	v_xor_b32_e32 v1, vcc_hi, v1
	v_xor_b32_e32 v0, vcc_lo, v0
	v_and_b32_e32 v2, exec_hi, v1
	v_and_b32_e32 v14, exec_lo, v0
	v_lshlrev_b32_e32 v1, 30, v13
	v_mov_b32_e32 v0, v3
	v_cmp_gt_i64_e32 vcc, 0, v[0:1]
	v_not_b32_e32 v0, v1
	v_ashrrev_i32_e32 v0, 31, v0
	v_xor_b32_e32 v1, vcc_hi, v0
	v_xor_b32_e32 v0, vcc_lo, v0
	v_and_b32_e32 v2, v2, v1
	v_and_b32_e32 v14, v14, v0
	v_lshlrev_b32_e32 v1, 29, v13
	v_mov_b32_e32 v0, v3
	v_cmp_gt_i64_e32 vcc, 0, v[0:1]
	v_not_b32_e32 v0, v1
	v_ashrrev_i32_e32 v0, 31, v0
	v_xor_b32_e32 v1, vcc_hi, v0
	v_xor_b32_e32 v0, vcc_lo, v0
	v_and_b32_e32 v2, v2, v1
	v_and_b32_e32 v14, v14, v0
	;; [unrolled: 9-line block ×7, first 2 shown]
	v_mbcnt_lo_u32_b32 v2, v0, 0
	v_mbcnt_hi_u32_b32 v13, v1, v2
	v_cmp_eq_u32_e32 vcc, 0, v13
	v_cmp_ne_u64_e64 s[0:1], 0, v[0:1]
	s_and_b64 s[2:3], s[0:1], vcc
	; wave barrier
	s_and_saveexec_b64 s[0:1], s[2:3]
	s_cbranch_execz .LBB569_91
; %bb.90:
	v_bcnt_u32_b32 v0, v0, 0
	v_bcnt_u32_b32 v0, v1, v0
	s_waitcnt lgkmcnt(0)
	v_add_u32_e32 v0, v11, v0
	ds_write_b32 v17, v0 offset:64
.LBB569_91:
	s_or_b64 exec, exec, s[0:1]
	v_bfrev_b32_e32 v19, 1
	s_waitcnt vmcnt(5)
	v_cmp_lt_i32_e32 vcc, -1, v8
	s_brev_b32 s2, -2
	s_movk_i32 s3, 0x44
	v_cndmask_b32_e32 v0, -1, v19, vcc
	v_xor_b32_e32 v8, v0, v8
	v_cmp_ne_u32_e32 vcc, s2, v8
	v_mov_b32_e32 v1, 0
	s_nop 0
	v_cndmask_b32_e32 v0, v19, v8, vcc
	v_lshrrev_b32_e32 v0, s24, v0
	v_and_b32_e32 v18, s13, v0
	v_mul_lo_u32 v0, v18, s3
	v_add_u32_e32 v23, v22, v0
	v_and_b32_e32 v0, 1, v18
	v_lshl_add_u64 v[2:3], v[0:1], 0, -1
	v_cmp_ne_u32_e32 vcc, 0, v0
	; wave barrier
	ds_read_b32 v14, v23 offset:64
	s_nop 0
	v_xor_b32_e32 v2, vcc_lo, v2
	v_xor_b32_e32 v0, vcc_hi, v3
	v_and_b32_e32 v24, exec_lo, v2
	v_lshlrev_b32_e32 v3, 30, v18
	v_mov_b32_e32 v2, v1
	v_cmp_gt_i64_e32 vcc, 0, v[2:3]
	v_not_b32_e32 v2, v3
	v_ashrrev_i32_e32 v2, 31, v2
	v_and_b32_e32 v0, exec_hi, v0
	v_xor_b32_e32 v3, vcc_hi, v2
	v_xor_b32_e32 v2, vcc_lo, v2
	v_and_b32_e32 v0, v0, v3
	v_and_b32_e32 v24, v24, v2
	v_lshlrev_b32_e32 v3, 29, v18
	v_mov_b32_e32 v2, v1
	v_cmp_gt_i64_e32 vcc, 0, v[2:3]
	v_not_b32_e32 v2, v3
	v_ashrrev_i32_e32 v2, 31, v2
	v_xor_b32_e32 v3, vcc_hi, v2
	v_xor_b32_e32 v2, vcc_lo, v2
	v_and_b32_e32 v0, v0, v3
	v_and_b32_e32 v24, v24, v2
	v_lshlrev_b32_e32 v3, 28, v18
	v_mov_b32_e32 v2, v1
	v_cmp_gt_i64_e32 vcc, 0, v[2:3]
	v_not_b32_e32 v2, v3
	v_ashrrev_i32_e32 v2, 31, v2
	;; [unrolled: 9-line block ×6, first 2 shown]
	v_xor_b32_e32 v3, vcc_hi, v2
	v_xor_b32_e32 v2, vcc_lo, v2
	v_and_b32_e32 v2, v24, v2
	v_and_b32_e32 v3, v0, v3
	v_mbcnt_lo_u32_b32 v0, v2, 0
	v_mbcnt_hi_u32_b32 v18, v3, v0
	v_cmp_eq_u32_e32 vcc, 0, v18
	v_cmp_ne_u64_e64 s[0:1], 0, v[2:3]
	s_and_b64 s[4:5], s[0:1], vcc
	; wave barrier
	s_and_saveexec_b64 s[0:1], s[4:5]
	s_cbranch_execz .LBB569_93
; %bb.92:
	v_bcnt_u32_b32 v0, v2, 0
	v_bcnt_u32_b32 v0, v3, v0
	s_waitcnt lgkmcnt(0)
	v_add_u32_e32 v0, v14, v0
	ds_write_b32 v23, v0 offset:64
.LBB569_93:
	s_or_b64 exec, exec, s[0:1]
	s_waitcnt vmcnt(4)
	v_cmp_lt_i32_e32 vcc, -1, v12
	; wave barrier
	s_nop 1
	v_cndmask_b32_e32 v0, -1, v19, vcc
	v_xor_b32_e32 v12, v0, v12
	v_cmp_ne_u32_e32 vcc, s2, v12
	s_nop 1
	v_cndmask_b32_e32 v0, v19, v12, vcc
	v_lshrrev_b32_e32 v0, s24, v0
	v_and_b32_e32 v24, s13, v0
	v_mul_lo_u32 v0, v24, s3
	v_add_u32_e32 v27, v22, v0
	v_and_b32_e32 v0, 1, v24
	v_lshl_add_u64 v[2:3], v[0:1], 0, -1
	v_cmp_ne_u32_e32 vcc, 0, v0
	ds_read_b32 v19, v27 offset:64
	s_nop 0
	v_xor_b32_e32 v2, vcc_lo, v2
	v_xor_b32_e32 v0, vcc_hi, v3
	v_and_b32_e32 v26, exec_lo, v2
	v_lshlrev_b32_e32 v3, 30, v24
	v_mov_b32_e32 v2, v1
	v_cmp_gt_i64_e32 vcc, 0, v[2:3]
	v_not_b32_e32 v2, v3
	v_ashrrev_i32_e32 v2, 31, v2
	v_and_b32_e32 v0, exec_hi, v0
	v_xor_b32_e32 v3, vcc_hi, v2
	v_xor_b32_e32 v2, vcc_lo, v2
	v_and_b32_e32 v0, v0, v3
	v_and_b32_e32 v26, v26, v2
	v_lshlrev_b32_e32 v3, 29, v24
	v_mov_b32_e32 v2, v1
	v_cmp_gt_i64_e32 vcc, 0, v[2:3]
	v_not_b32_e32 v2, v3
	v_ashrrev_i32_e32 v2, 31, v2
	v_xor_b32_e32 v3, vcc_hi, v2
	v_xor_b32_e32 v2, vcc_lo, v2
	v_and_b32_e32 v0, v0, v3
	v_and_b32_e32 v26, v26, v2
	v_lshlrev_b32_e32 v3, 28, v24
	v_mov_b32_e32 v2, v1
	v_cmp_gt_i64_e32 vcc, 0, v[2:3]
	v_not_b32_e32 v2, v3
	v_ashrrev_i32_e32 v2, 31, v2
	;; [unrolled: 9-line block ×5, first 2 shown]
	v_xor_b32_e32 v3, vcc_hi, v2
	v_xor_b32_e32 v2, vcc_lo, v2
	v_and_b32_e32 v0, v0, v3
	v_lshlrev_b32_e32 v3, 24, v24
	v_and_b32_e32 v26, v26, v2
	v_mov_b32_e32 v2, v1
	v_not_b32_e32 v1, v3
	v_cmp_gt_i64_e32 vcc, 0, v[2:3]
	v_ashrrev_i32_e32 v1, 31, v1
	; wave barrier
	s_nop 0
	v_xor_b32_e32 v2, vcc_hi, v1
	v_xor_b32_e32 v3, vcc_lo, v1
	v_and_b32_e32 v1, v0, v2
	v_and_b32_e32 v0, v26, v3
	v_mbcnt_lo_u32_b32 v2, v0, 0
	v_mbcnt_hi_u32_b32 v24, v1, v2
	v_cmp_eq_u32_e32 vcc, 0, v24
	v_cmp_ne_u64_e64 s[0:1], 0, v[0:1]
	s_and_b64 s[2:3], s[0:1], vcc
	s_and_saveexec_b64 s[0:1], s[2:3]
	s_cbranch_execz .LBB569_95
; %bb.94:
	v_bcnt_u32_b32 v0, v0, 0
	v_bcnt_u32_b32 v0, v1, v0
	s_waitcnt lgkmcnt(0)
	v_add_u32_e32 v0, v19, v0
	ds_write_b32 v27, v0 offset:64
.LBB569_95:
	s_or_b64 exec, exec, s[0:1]
	v_bfrev_b32_e32 v29, 1
	s_waitcnt vmcnt(3)
	v_cmp_lt_i32_e32 vcc, -1, v15
	s_brev_b32 s2, -2
	s_movk_i32 s3, 0x44
	v_cndmask_b32_e32 v0, -1, v29, vcc
	v_xor_b32_e32 v15, v0, v15
	v_cmp_ne_u32_e32 vcc, s2, v15
	v_mov_b32_e32 v1, 0
	s_nop 0
	v_cndmask_b32_e32 v0, v29, v15, vcc
	v_lshrrev_b32_e32 v0, s24, v0
	v_and_b32_e32 v28, s13, v0
	v_mul_lo_u32 v0, v28, s3
	v_add_u32_e32 v30, v22, v0
	v_and_b32_e32 v0, 1, v28
	v_lshl_add_u64 v[2:3], v[0:1], 0, -1
	v_cmp_ne_u32_e32 vcc, 0, v0
	; wave barrier
	ds_read_b32 v26, v30 offset:64
	s_nop 0
	v_xor_b32_e32 v2, vcc_lo, v2
	v_xor_b32_e32 v0, vcc_hi, v3
	v_and_b32_e32 v31, exec_lo, v2
	v_lshlrev_b32_e32 v3, 30, v28
	v_mov_b32_e32 v2, v1
	v_cmp_gt_i64_e32 vcc, 0, v[2:3]
	v_not_b32_e32 v2, v3
	v_ashrrev_i32_e32 v2, 31, v2
	v_and_b32_e32 v0, exec_hi, v0
	v_xor_b32_e32 v3, vcc_hi, v2
	v_xor_b32_e32 v2, vcc_lo, v2
	v_and_b32_e32 v0, v0, v3
	v_and_b32_e32 v31, v31, v2
	v_lshlrev_b32_e32 v3, 29, v28
	v_mov_b32_e32 v2, v1
	v_cmp_gt_i64_e32 vcc, 0, v[2:3]
	v_not_b32_e32 v2, v3
	v_ashrrev_i32_e32 v2, 31, v2
	v_xor_b32_e32 v3, vcc_hi, v2
	v_xor_b32_e32 v2, vcc_lo, v2
	v_and_b32_e32 v0, v0, v3
	v_and_b32_e32 v31, v31, v2
	v_lshlrev_b32_e32 v3, 28, v28
	v_mov_b32_e32 v2, v1
	v_cmp_gt_i64_e32 vcc, 0, v[2:3]
	v_not_b32_e32 v2, v3
	v_ashrrev_i32_e32 v2, 31, v2
	;; [unrolled: 9-line block ×6, first 2 shown]
	v_xor_b32_e32 v3, vcc_hi, v2
	v_xor_b32_e32 v2, vcc_lo, v2
	v_and_b32_e32 v2, v31, v2
	v_and_b32_e32 v3, v0, v3
	v_mbcnt_lo_u32_b32 v0, v2, 0
	v_mbcnt_hi_u32_b32 v28, v3, v0
	v_cmp_eq_u32_e32 vcc, 0, v28
	v_cmp_ne_u64_e64 s[0:1], 0, v[2:3]
	s_and_b64 s[4:5], s[0:1], vcc
	; wave barrier
	s_and_saveexec_b64 s[0:1], s[4:5]
	s_cbranch_execz .LBB569_97
; %bb.96:
	v_bcnt_u32_b32 v0, v2, 0
	v_bcnt_u32_b32 v0, v3, v0
	s_waitcnt lgkmcnt(0)
	v_add_u32_e32 v0, v26, v0
	ds_write_b32 v30, v0 offset:64
.LBB569_97:
	s_or_b64 exec, exec, s[0:1]
	s_waitcnt vmcnt(2)
	v_cmp_lt_i32_e32 vcc, -1, v20
	; wave barrier
	s_nop 1
	v_cndmask_b32_e32 v0, -1, v29, vcc
	v_xor_b32_e32 v20, v0, v20
	v_cmp_ne_u32_e32 vcc, s2, v20
	s_nop 1
	v_cndmask_b32_e32 v0, v29, v20, vcc
	v_lshrrev_b32_e32 v0, s24, v0
	v_and_b32_e32 v31, s13, v0
	v_mul_lo_u32 v0, v31, s3
	v_add_u32_e32 v33, v22, v0
	v_and_b32_e32 v0, 1, v31
	v_lshl_add_u64 v[2:3], v[0:1], 0, -1
	v_cmp_ne_u32_e32 vcc, 0, v0
	ds_read_b32 v29, v33 offset:64
	s_nop 0
	v_xor_b32_e32 v2, vcc_lo, v2
	v_xor_b32_e32 v0, vcc_hi, v3
	v_and_b32_e32 v32, exec_lo, v2
	v_lshlrev_b32_e32 v3, 30, v31
	v_mov_b32_e32 v2, v1
	v_cmp_gt_i64_e32 vcc, 0, v[2:3]
	v_not_b32_e32 v2, v3
	v_ashrrev_i32_e32 v2, 31, v2
	v_and_b32_e32 v0, exec_hi, v0
	v_xor_b32_e32 v3, vcc_hi, v2
	v_xor_b32_e32 v2, vcc_lo, v2
	v_and_b32_e32 v0, v0, v3
	v_and_b32_e32 v32, v32, v2
	v_lshlrev_b32_e32 v3, 29, v31
	v_mov_b32_e32 v2, v1
	v_cmp_gt_i64_e32 vcc, 0, v[2:3]
	v_not_b32_e32 v2, v3
	v_ashrrev_i32_e32 v2, 31, v2
	v_xor_b32_e32 v3, vcc_hi, v2
	v_xor_b32_e32 v2, vcc_lo, v2
	v_and_b32_e32 v0, v0, v3
	v_and_b32_e32 v32, v32, v2
	v_lshlrev_b32_e32 v3, 28, v31
	v_mov_b32_e32 v2, v1
	v_cmp_gt_i64_e32 vcc, 0, v[2:3]
	v_not_b32_e32 v2, v3
	v_ashrrev_i32_e32 v2, 31, v2
	;; [unrolled: 9-line block ×5, first 2 shown]
	v_xor_b32_e32 v3, vcc_hi, v2
	v_xor_b32_e32 v2, vcc_lo, v2
	v_and_b32_e32 v0, v0, v3
	v_lshlrev_b32_e32 v3, 24, v31
	v_and_b32_e32 v32, v32, v2
	v_mov_b32_e32 v2, v1
	v_not_b32_e32 v1, v3
	v_cmp_gt_i64_e32 vcc, 0, v[2:3]
	v_ashrrev_i32_e32 v1, 31, v1
	; wave barrier
	s_nop 0
	v_xor_b32_e32 v2, vcc_hi, v1
	v_xor_b32_e32 v3, vcc_lo, v1
	v_and_b32_e32 v1, v0, v2
	v_and_b32_e32 v0, v32, v3
	v_mbcnt_lo_u32_b32 v2, v0, 0
	v_mbcnt_hi_u32_b32 v31, v1, v2
	v_cmp_eq_u32_e32 vcc, 0, v31
	v_cmp_ne_u64_e64 s[0:1], 0, v[0:1]
	s_and_b64 s[2:3], s[0:1], vcc
	s_and_saveexec_b64 s[0:1], s[2:3]
	s_cbranch_execz .LBB569_99
; %bb.98:
	v_bcnt_u32_b32 v0, v0, 0
	v_bcnt_u32_b32 v0, v1, v0
	s_waitcnt lgkmcnt(0)
	v_add_u32_e32 v0, v29, v0
	ds_write_b32 v33, v0 offset:64
.LBB569_99:
	s_or_b64 exec, exec, s[0:1]
	v_bfrev_b32_e32 v35, 1
	s_waitcnt vmcnt(1)
	v_cmp_lt_i32_e32 vcc, -1, v25
	s_brev_b32 s2, -2
	s_movk_i32 s3, 0x44
	v_cndmask_b32_e32 v0, -1, v35, vcc
	v_xor_b32_e32 v25, v0, v25
	v_cmp_ne_u32_e32 vcc, s2, v25
	v_mov_b32_e32 v1, 0
	s_nop 0
	v_cndmask_b32_e32 v0, v35, v25, vcc
	v_lshrrev_b32_e32 v0, s24, v0
	v_and_b32_e32 v34, s13, v0
	v_mul_lo_u32 v0, v34, s3
	v_add_u32_e32 v36, v22, v0
	v_and_b32_e32 v0, 1, v34
	v_lshl_add_u64 v[2:3], v[0:1], 0, -1
	v_cmp_ne_u32_e32 vcc, 0, v0
	; wave barrier
	ds_read_b32 v32, v36 offset:64
	s_nop 0
	v_xor_b32_e32 v2, vcc_lo, v2
	v_xor_b32_e32 v0, vcc_hi, v3
	v_and_b32_e32 v37, exec_lo, v2
	v_lshlrev_b32_e32 v3, 30, v34
	v_mov_b32_e32 v2, v1
	v_cmp_gt_i64_e32 vcc, 0, v[2:3]
	v_not_b32_e32 v2, v3
	v_ashrrev_i32_e32 v2, 31, v2
	v_and_b32_e32 v0, exec_hi, v0
	v_xor_b32_e32 v3, vcc_hi, v2
	v_xor_b32_e32 v2, vcc_lo, v2
	v_and_b32_e32 v0, v0, v3
	v_and_b32_e32 v37, v37, v2
	v_lshlrev_b32_e32 v3, 29, v34
	v_mov_b32_e32 v2, v1
	v_cmp_gt_i64_e32 vcc, 0, v[2:3]
	v_not_b32_e32 v2, v3
	v_ashrrev_i32_e32 v2, 31, v2
	v_xor_b32_e32 v3, vcc_hi, v2
	v_xor_b32_e32 v2, vcc_lo, v2
	v_and_b32_e32 v0, v0, v3
	v_and_b32_e32 v37, v37, v2
	v_lshlrev_b32_e32 v3, 28, v34
	v_mov_b32_e32 v2, v1
	v_cmp_gt_i64_e32 vcc, 0, v[2:3]
	v_not_b32_e32 v2, v3
	v_ashrrev_i32_e32 v2, 31, v2
	;; [unrolled: 9-line block ×6, first 2 shown]
	v_xor_b32_e32 v3, vcc_hi, v2
	v_xor_b32_e32 v2, vcc_lo, v2
	v_and_b32_e32 v2, v37, v2
	v_and_b32_e32 v3, v0, v3
	v_mbcnt_lo_u32_b32 v0, v2, 0
	v_mbcnt_hi_u32_b32 v34, v3, v0
	v_cmp_eq_u32_e32 vcc, 0, v34
	v_cmp_ne_u64_e64 s[0:1], 0, v[2:3]
	s_and_b64 s[4:5], s[0:1], vcc
	; wave barrier
	s_and_saveexec_b64 s[0:1], s[4:5]
	s_cbranch_execz .LBB569_101
; %bb.100:
	v_bcnt_u32_b32 v0, v2, 0
	v_bcnt_u32_b32 v0, v3, v0
	s_waitcnt lgkmcnt(0)
	v_add_u32_e32 v0, v32, v0
	ds_write_b32 v36, v0 offset:64
.LBB569_101:
	s_or_b64 exec, exec, s[0:1]
	s_waitcnt vmcnt(0)
	v_cmp_lt_i32_e32 vcc, -1, v21
	; wave barrier
	s_nop 1
	v_cndmask_b32_e32 v0, -1, v35, vcc
	v_xor_b32_e32 v21, v0, v21
	v_cmp_ne_u32_e32 vcc, s2, v21
	s_nop 1
	v_cndmask_b32_e32 v0, v35, v21, vcc
	v_lshrrev_b32_e32 v0, s24, v0
	v_and_b32_e32 v37, s13, v0
	v_mul_lo_u32 v0, v37, s3
	v_add_u32_e32 v38, v22, v0
	v_and_b32_e32 v0, 1, v37
	v_lshl_add_u64 v[2:3], v[0:1], 0, -1
	v_cmp_ne_u32_e32 vcc, 0, v0
	ds_read_b32 v35, v38 offset:64
	s_nop 0
	v_xor_b32_e32 v2, vcc_lo, v2
	v_xor_b32_e32 v0, vcc_hi, v3
	v_and_b32_e32 v22, exec_lo, v2
	v_lshlrev_b32_e32 v3, 30, v37
	v_mov_b32_e32 v2, v1
	v_cmp_gt_i64_e32 vcc, 0, v[2:3]
	v_not_b32_e32 v2, v3
	v_ashrrev_i32_e32 v2, 31, v2
	v_and_b32_e32 v0, exec_hi, v0
	v_xor_b32_e32 v3, vcc_hi, v2
	v_xor_b32_e32 v2, vcc_lo, v2
	v_and_b32_e32 v0, v0, v3
	v_and_b32_e32 v22, v22, v2
	v_lshlrev_b32_e32 v3, 29, v37
	v_mov_b32_e32 v2, v1
	v_cmp_gt_i64_e32 vcc, 0, v[2:3]
	v_not_b32_e32 v2, v3
	v_ashrrev_i32_e32 v2, 31, v2
	v_xor_b32_e32 v3, vcc_hi, v2
	v_xor_b32_e32 v2, vcc_lo, v2
	v_and_b32_e32 v0, v0, v3
	v_and_b32_e32 v22, v22, v2
	v_lshlrev_b32_e32 v3, 28, v37
	v_mov_b32_e32 v2, v1
	v_cmp_gt_i64_e32 vcc, 0, v[2:3]
	v_not_b32_e32 v2, v3
	v_ashrrev_i32_e32 v2, 31, v2
	;; [unrolled: 9-line block ×5, first 2 shown]
	v_xor_b32_e32 v3, vcc_hi, v2
	v_xor_b32_e32 v2, vcc_lo, v2
	v_and_b32_e32 v0, v0, v3
	v_lshlrev_b32_e32 v3, 24, v37
	v_and_b32_e32 v22, v22, v2
	v_mov_b32_e32 v2, v1
	v_not_b32_e32 v1, v3
	v_cmp_gt_i64_e32 vcc, 0, v[2:3]
	v_ashrrev_i32_e32 v1, 31, v1
	; wave barrier
	s_nop 0
	v_xor_b32_e32 v2, vcc_hi, v1
	v_xor_b32_e32 v3, vcc_lo, v1
	v_and_b32_e32 v1, v0, v2
	v_and_b32_e32 v0, v22, v3
	v_mbcnt_lo_u32_b32 v2, v0, 0
	v_mbcnt_hi_u32_b32 v37, v1, v2
	v_cmp_eq_u32_e32 vcc, 0, v37
	v_cmp_ne_u64_e64 s[0:1], 0, v[0:1]
	s_and_b64 s[2:3], s[0:1], vcc
	s_and_saveexec_b64 s[0:1], s[2:3]
	s_cbranch_execz .LBB569_103
; %bb.102:
	v_bcnt_u32_b32 v0, v0, 0
	v_bcnt_u32_b32 v0, v1, v0
	s_waitcnt lgkmcnt(0)
	v_add_u32_e32 v0, v35, v0
	ds_write_b32 v38, v0 offset:64
.LBB569_103:
	s_or_b64 exec, exec, s[0:1]
	; wave barrier
	s_waitcnt lgkmcnt(0)
	s_barrier
	ds_read2_b32 v[2:3], v5 offset0:16 offset1:17
	ds_read2_b32 v[0:1], v5 offset0:18 offset1:19
	ds_read_b32 v22, v5 offset:80
	v_cmp_lt_u32_e64 s[2:3], 31, v4
	s_waitcnt lgkmcnt(1)
	v_add3_u32 v39, v3, v2, v0
	s_waitcnt lgkmcnt(0)
	v_add3_u32 v22, v39, v1, v22
	v_and_b32_e32 v39, 15, v4
	v_cmp_eq_u32_e32 vcc, 0, v39
	v_mov_b32_dpp v40, v22 row_shr:1 row_mask:0xf bank_mask:0xf
	v_cmp_lt_u32_e64 s[0:1], 1, v39
	v_cndmask_b32_e64 v40, v40, 0, vcc
	v_add_u32_e32 v22, v40, v22
	v_cmp_lt_u32_e64 s[4:5], 3, v39
	v_cmp_lt_u32_e64 s[6:7], 7, v39
	v_mov_b32_dpp v40, v22 row_shr:2 row_mask:0xf bank_mask:0xf
	v_cndmask_b32_e64 v40, 0, v40, s[0:1]
	v_add_u32_e32 v22, v22, v40
	s_nop 1
	v_mov_b32_dpp v40, v22 row_shr:4 row_mask:0xf bank_mask:0xf
	v_cndmask_b32_e64 v40, 0, v40, s[4:5]
	v_add_u32_e32 v22, v22, v40
	s_nop 1
	v_mov_b32_dpp v40, v22 row_shr:8 row_mask:0xf bank_mask:0xf
	v_cndmask_b32_e64 v39, 0, v40, s[6:7]
	v_add_u32_e32 v22, v22, v39
	v_bfe_i32 v40, v4, 4, 1
	s_nop 0
	v_mov_b32_dpp v39, v22 row_bcast:15 row_mask:0xf bank_mask:0xf
	v_and_b32_e32 v39, v40, v39
	v_add_u32_e32 v22, v22, v39
	v_lshrrev_b32_e32 v40, 6, v10
	s_nop 0
	v_mov_b32_dpp v39, v22 row_bcast:31 row_mask:0xf bank_mask:0xf
	v_cndmask_b32_e64 v39, 0, v39, s[2:3]
	v_add_u32_e32 v39, v22, v39
	v_and_b32_e32 v22, 63, v10
	v_cmp_eq_u32_e64 s[2:3], 63, v22
	s_and_saveexec_b64 s[8:9], s[2:3]
; %bb.104:
	v_lshlrev_b32_e32 v22, 2, v40
	ds_write_b32 v22, v39
; %bb.105:
	s_or_b64 exec, exec, s[8:9]
	v_cmp_gt_u32_e64 s[2:3], 16, v10
	v_lshlrev_b32_e32 v22, 2, v10
	s_waitcnt lgkmcnt(0)
	s_barrier
	s_and_saveexec_b64 s[8:9], s[2:3]
	s_cbranch_execz .LBB569_107
; %bb.106:
	ds_read_b32 v41, v22
	s_waitcnt lgkmcnt(0)
	s_nop 0
	v_mov_b32_dpp v42, v41 row_shr:1 row_mask:0xf bank_mask:0xf
	v_cndmask_b32_e64 v42, v42, 0, vcc
	v_add_u32_e32 v41, v42, v41
	s_nop 1
	v_mov_b32_dpp v42, v41 row_shr:2 row_mask:0xf bank_mask:0xf
	v_cndmask_b32_e64 v42, 0, v42, s[0:1]
	v_add_u32_e32 v41, v41, v42
	s_nop 1
	v_mov_b32_dpp v42, v41 row_shr:4 row_mask:0xf bank_mask:0xf
	v_cndmask_b32_e64 v42, 0, v42, s[4:5]
	v_add_u32_e32 v41, v41, v42
	s_nop 1
	v_mov_b32_dpp v42, v41 row_shr:8 row_mask:0xf bank_mask:0xf
	v_cndmask_b32_e64 v42, 0, v42, s[6:7]
	v_add_u32_e32 v41, v41, v42
	ds_write_b32 v22, v41
.LBB569_107:
	s_or_b64 exec, exec, s[8:9]
	v_cmp_lt_u32_e32 vcc, 63, v10
	v_mov_b32_e32 v41, 0
	s_waitcnt lgkmcnt(0)
	s_barrier
	s_and_saveexec_b64 s[0:1], vcc
; %bb.108:
	v_lshl_add_u32 v40, v40, 2, -4
	ds_read_b32 v41, v40
; %bb.109:
	s_or_b64 exec, exec, s[0:1]
	v_subrev_co_u32_e32 v40, vcc, 1, v4
	v_and_b32_e32 v42, 64, v4
	v_cmp_lt_i32_e64 s[0:1], v40, v42
	s_waitcnt lgkmcnt(0)
	v_add_u32_e32 v39, v41, v39
	s_movk_i32 s2, 0x100
	v_cndmask_b32_e64 v4, v40, v4, s[0:1]
	v_lshlrev_b32_e32 v4, 2, v4
	ds_bpermute_b32 v4, v4, v39
	s_movk_i32 s0, 0xff
	v_cmp_lt_u32_e64 s[0:1], s0, v10
	s_waitcnt lgkmcnt(0)
	v_cndmask_b32_e32 v4, v4, v41, vcc
	v_cndmask_b32_e64 v4, v4, 0, s[10:11]
	v_add_u32_e32 v2, v4, v2
	v_add_u32_e32 v3, v2, v3
	;; [unrolled: 1-line block ×4, first 2 shown]
	ds_write2_b32 v5, v4, v2 offset0:16 offset1:17
	ds_write2_b32 v5, v3, v0 offset0:18 offset1:19
	ds_write_b32 v5, v1 offset:80
	s_waitcnt lgkmcnt(0)
	s_barrier
	ds_read_b32 v42, v16 offset:64
	ds_read_b32 v39, v17 offset:64
	;; [unrolled: 1-line block ×8, first 2 shown]
	v_cmp_gt_u32_e32 vcc, s2, v10
                                        ; implicit-def: $vgpr16
                                        ; implicit-def: $vgpr17
	s_and_saveexec_b64 s[4:5], vcc
	s_cbranch_execz .LBB569_113
; %bb.110:
	v_mul_u32_u24_e32 v0, 0x44, v10
	ds_read_b32 v16, v0 offset:64
	v_add_u32_e32 v1, 1, v10
	v_cmp_ne_u32_e64 s[2:3], s2, v1
	v_mov_b32_e32 v0, 0x2000
	s_and_saveexec_b64 s[6:7], s[2:3]
; %bb.111:
	v_mul_u32_u24_e32 v0, 0x44, v1
	ds_read_b32 v0, v0 offset:64
; %bb.112:
	s_or_b64 exec, exec, s[6:7]
	s_waitcnt lgkmcnt(0)
	v_sub_u32_e32 v17, v0, v16
.LBB569_113:
	s_or_b64 exec, exec, s[4:5]
	v_mov_b32_e32 v1, 0
	s_waitcnt lgkmcnt(0)
	s_barrier
	s_and_saveexec_b64 s[2:3], vcc
	s_cbranch_execz .LBB569_123
; %bb.114:
	v_lshl_add_u32 v0, s27, 8, v10
	v_lshl_add_u64 v[2:3], v[0:1], 2, s[18:19]
	v_or_b32_e32 v0, 2.0, v17
	s_mov_b64 s[4:5], 0
	s_brev_b32 s10, -4
	s_mov_b32 s11, s27
	v_mov_b32_e32 v36, 0
	global_store_dword v[2:3], v0, off sc1
                                        ; implicit-def: $sgpr6_sgpr7
	s_branch .LBB569_117
.LBB569_115:                            ;   in Loop: Header=BB569_117 Depth=1
	s_or_b64 exec, exec, s[8:9]
.LBB569_116:                            ;   in Loop: Header=BB569_117 Depth=1
	s_or_b64 exec, exec, s[6:7]
	v_and_b32_e32 v4, 0x3fffffff, v0
	v_add_u32_e32 v36, v4, v36
	v_cmp_gt_i32_e64 s[6:7], -2.0, v0
	s_and_b64 s[8:9], exec, s[6:7]
	s_or_b64 s[4:5], s[8:9], s[4:5]
	s_andn2_b64 exec, exec, s[4:5]
	s_cbranch_execz .LBB569_122
.LBB569_117:                            ; =>This Loop Header: Depth=1
                                        ;     Child Loop BB569_120 Depth 2
	s_or_b64 s[6:7], s[6:7], exec
	s_cmp_eq_u32 s11, 0
	s_cbranch_scc1 .LBB569_121
; %bb.118:                              ;   in Loop: Header=BB569_117 Depth=1
	s_add_i32 s11, s11, -1
	v_lshl_or_b32 v0, s11, 8, v10
	v_lshl_add_u64 v[4:5], v[0:1], 2, s[18:19]
	global_load_dword v0, v[4:5], off sc1
	s_waitcnt vmcnt(0)
	v_cmp_gt_u32_e32 vcc, 2.0, v0
	s_and_saveexec_b64 s[6:7], vcc
	s_cbranch_execz .LBB569_116
; %bb.119:                              ;   in Loop: Header=BB569_117 Depth=1
	s_mov_b64 s[8:9], 0
.LBB569_120:                            ;   Parent Loop BB569_117 Depth=1
                                        ; =>  This Inner Loop Header: Depth=2
	global_load_dword v0, v[4:5], off sc1
	s_waitcnt vmcnt(0)
	v_cmp_lt_u32_e32 vcc, s10, v0
	s_or_b64 s[8:9], vcc, s[8:9]
	s_andn2_b64 exec, exec, s[8:9]
	s_cbranch_execnz .LBB569_120
	s_branch .LBB569_115
.LBB569_121:                            ;   in Loop: Header=BB569_117 Depth=1
                                        ; implicit-def: $sgpr11
	s_and_b64 s[8:9], exec, s[6:7]
	s_or_b64 s[4:5], s[8:9], s[4:5]
	s_andn2_b64 exec, exec, s[4:5]
	s_cbranch_execnz .LBB569_117
.LBB569_122:
	s_or_b64 exec, exec, s[4:5]
	v_add_u32_e32 v0, v36, v17
	v_or_b32_e32 v0, 0x80000000, v0
	global_store_dword v[2:3], v0, off sc1
	global_load_dword v0, v22, s[20:21]
	v_sub_u32_e32 v1, v36, v16
	s_waitcnt vmcnt(0)
	v_add_u32_e32 v0, v1, v0
	ds_write_b32 v22, v0
.LBB569_123:
	s_or_b64 exec, exec, s[2:3]
	v_add_u32_e32 v0, v37, v35
	v_add_u32_e32 v1, v34, v32
	;; [unrolled: 1-line block ×8, first 2 shown]
	v_add_lshl_u32 v3, v0, v33, 2
	v_add3_u32 v4, v37, v33, v35
	v_add_lshl_u32 v5, v1, v23, 2
	v_add3_u32 v9, v34, v23, v32
	;; [unrolled: 2-line block ×7, first 2 shown]
	v_lshlrev_b32_e32 v13, 2, v2
	s_mov_b64 s[2:3], -1
	s_mov_b32 s6, 0
	s_movk_i32 s7, 0x1000
	s_brev_b32 s8, -2
	v_bfrev_b32_e32 v30, 1
	v_mov_b32_e32 v1, 0
	s_movk_i32 s9, 0x400
	s_movk_i32 s10, 0x800
	;; [unrolled: 1-line block ×3, first 2 shown]
	s_mov_b32 s14, 0
	s_branch .LBB569_125
.LBB569_124:                            ;   in Loop: Header=BB569_125 Depth=1
	s_or_b64 exec, exec, s[4:5]
	s_waitcnt lgkmcnt(0)
	s_barrier
	ds_read2st64_b32 v[32:33], v22 offset0:4 offset1:20
	s_xor_b64 s[4:5], s[2:3], -1
	s_addk_i32 s14, 0xc000
	s_addk_i32 s6, 0xf000
	s_mov_b64 s[2:3], 0
	s_waitcnt lgkmcnt(0)
	v_cmp_ne_u32_e32 vcc, s8, v32
	s_nop 1
	v_cndmask_b32_e32 v0, v30, v32, vcc
	v_lshrrev_b32_e32 v0, s24, v0
	v_and_b32_e32 v0, s13, v0
	v_lshlrev_b32_e32 v0, 2, v0
	ds_read_b32 v0, v0
	ds_read2st64_b32 v[34:35], v22 offset0:36 offset1:52
	v_cmp_lt_i32_e32 vcc, -1, v32
	s_waitcnt lgkmcnt(1)
	v_add_u32_e32 v0, v10, v0
	v_cndmask_b32_e64 v31, v30, -1, vcc
	v_cmp_ne_u32_e32 vcc, s8, v33
	v_xor_b32_e32 v31, v31, v32
	s_nop 0
	v_cndmask_b32_e32 v32, v30, v33, vcc
	s_waitcnt lgkmcnt(0)
	v_cmp_ne_u32_e32 vcc, s8, v34
	v_lshrrev_b32_e32 v32, s24, v32
	v_and_b32_e32 v32, s13, v32
	v_cndmask_b32_e32 v36, v30, v34, vcc
	v_cmp_ne_u32_e32 vcc, s8, v35
	v_lshrrev_b32_e32 v36, s24, v36
	v_lshlrev_b32_e32 v32, 2, v32
	v_cndmask_b32_e32 v37, v30, v35, vcc
	v_lshrrev_b32_e32 v37, s24, v37
	v_and_b32_e32 v36, s13, v36
	v_and_b32_e32 v37, s13, v37
	v_lshlrev_b32_e32 v36, 2, v36
	v_lshlrev_b32_e32 v37, 2, v37
	ds_read_b32 v32, v32
	ds_read_b32 v38, v36
	;; [unrolled: 1-line block ×3, first 2 shown]
	v_cmp_lt_i32_e32 vcc, -1, v33
	v_lshl_add_u64 v[36:37], v[0:1], 2, s[30:31]
	global_store_dword v[36:37], v31, off
	v_cndmask_b32_e64 v0, v30, -1, vcc
	v_xor_b32_e32 v31, v0, v33
	s_waitcnt lgkmcnt(2)
	v_add3_u32 v0, v10, v32, s9
	v_cmp_lt_i32_e32 vcc, -1, v34
	v_lshl_add_u64 v[32:33], v[0:1], 2, s[30:31]
	global_store_dword v[32:33], v31, off
	v_cndmask_b32_e64 v0, v30, -1, vcc
	v_xor_b32_e32 v31, v0, v34
	s_waitcnt lgkmcnt(1)
	v_add3_u32 v0, v10, v38, s10
	;; [unrolled: 7-line block ×3, first 2 shown]
	v_lshl_add_u64 v[32:33], v[0:1], 2, s[30:31]
	v_add_u32_e32 v10, 0x1000, v10
	s_and_b64 vcc, exec, s[4:5]
	global_store_dword v[32:33], v31, off
	s_barrier
	s_cbranch_vccnz .LBB569_141
.LBB569_125:                            ; =>This Inner Loop Header: Depth=1
	v_add_u32_e32 v0, s6, v2
	v_cmp_gt_u32_e32 vcc, s7, v0
	s_and_saveexec_b64 s[4:5], vcc
; %bb.126:                              ;   in Loop: Header=BB569_125 Depth=1
	v_add_u32_e32 v0, s14, v13
	ds_write_b32 v0, v6 offset:1024
; %bb.127:                              ;   in Loop: Header=BB569_125 Depth=1
	s_or_b64 exec, exec, s[4:5]
	v_add_u32_e32 v0, s6, v11
	v_cmp_gt_u32_e32 vcc, s7, v0
	s_and_saveexec_b64 s[4:5], vcc
; %bb.128:                              ;   in Loop: Header=BB569_125 Depth=1
	v_add_u32_e32 v0, s14, v18
	ds_write_b32 v0, v7 offset:1024
; %bb.129:                              ;   in Loop: Header=BB569_125 Depth=1
	s_or_b64 exec, exec, s[4:5]
	;; [unrolled: 8-line block ×7, first 2 shown]
	v_add_u32_e32 v0, s6, v4
	v_cmp_gt_u32_e32 vcc, s7, v0
	s_and_saveexec_b64 s[4:5], vcc
	s_cbranch_execz .LBB569_124
; %bb.140:                              ;   in Loop: Header=BB569_125 Depth=1
	v_add_u32_e32 v0, s14, v3
	ds_write_b32 v0, v21 offset:1024
	s_branch .LBB569_124
.LBB569_141:
	s_add_i32 s12, s12, -1
	s_cmp_eq_u32 s27, s12
	s_cselect_b64 s[2:3], -1, 0
	s_xor_b64 s[0:1], s[0:1], -1
	s_and_b64 s[0:1], s[0:1], s[2:3]
	s_and_saveexec_b64 s[2:3], s[0:1]
	s_cbranch_execz .LBB569_143
; %bb.142:
	ds_read_b32 v0, v22
	s_waitcnt lgkmcnt(0)
	v_add3_u32 v0, v16, v17, v0
	global_store_dword v22, v0, s[22:23]
.LBB569_143:
	s_endpgm
	.section	.rodata,"a",@progbits
	.p2align	6, 0x0
	.amdhsa_kernel _ZN7rocprim17ROCPRIM_400000_NS6detail17trampoline_kernelINS0_14default_configENS1_35radix_sort_onesweep_config_selectorIfNS0_10empty_typeEEEZZNS1_29radix_sort_onesweep_iterationIS3_Lb0EN6thrust23THRUST_200600_302600_NS6detail15normal_iteratorINS9_10device_ptrIfEEEESE_PS5_SF_jNS0_19identity_decomposerENS1_16block_id_wrapperIjLb1EEEEE10hipError_tT1_PNSt15iterator_traitsISK_E10value_typeET2_T3_PNSL_ISQ_E10value_typeET4_T5_PSV_SW_PNS1_23onesweep_lookback_stateEbbT6_jjT7_P12ihipStream_tbENKUlT_T0_SK_SP_E_clISE_PfSF_SF_EEDaS13_S14_SK_SP_EUlS13_E_NS1_11comp_targetILNS1_3genE6ELNS1_11target_archE950ELNS1_3gpuE13ELNS1_3repE0EEENS1_47radix_sort_onesweep_sort_config_static_selectorELNS0_4arch9wavefront6targetE1EEEvSK_
		.amdhsa_group_segment_fixed_size 20552
		.amdhsa_private_segment_fixed_size 0
		.amdhsa_kernarg_size 344
		.amdhsa_user_sgpr_count 2
		.amdhsa_user_sgpr_dispatch_ptr 0
		.amdhsa_user_sgpr_queue_ptr 0
		.amdhsa_user_sgpr_kernarg_segment_ptr 1
		.amdhsa_user_sgpr_dispatch_id 0
		.amdhsa_user_sgpr_kernarg_preload_length 0
		.amdhsa_user_sgpr_kernarg_preload_offset 0
		.amdhsa_user_sgpr_private_segment_size 0
		.amdhsa_uses_dynamic_stack 0
		.amdhsa_enable_private_segment 0
		.amdhsa_system_sgpr_workgroup_id_x 1
		.amdhsa_system_sgpr_workgroup_id_y 0
		.amdhsa_system_sgpr_workgroup_id_z 0
		.amdhsa_system_sgpr_workgroup_info 0
		.amdhsa_system_vgpr_workitem_id 2
		.amdhsa_next_free_vgpr 46
		.amdhsa_next_free_sgpr 36
		.amdhsa_accum_offset 48
		.amdhsa_reserve_vcc 1
		.amdhsa_float_round_mode_32 0
		.amdhsa_float_round_mode_16_64 0
		.amdhsa_float_denorm_mode_32 3
		.amdhsa_float_denorm_mode_16_64 3
		.amdhsa_dx10_clamp 1
		.amdhsa_ieee_mode 1
		.amdhsa_fp16_overflow 0
		.amdhsa_tg_split 0
		.amdhsa_exception_fp_ieee_invalid_op 0
		.amdhsa_exception_fp_denorm_src 0
		.amdhsa_exception_fp_ieee_div_zero 0
		.amdhsa_exception_fp_ieee_overflow 0
		.amdhsa_exception_fp_ieee_underflow 0
		.amdhsa_exception_fp_ieee_inexact 0
		.amdhsa_exception_int_div_zero 0
	.end_amdhsa_kernel
	.section	.text._ZN7rocprim17ROCPRIM_400000_NS6detail17trampoline_kernelINS0_14default_configENS1_35radix_sort_onesweep_config_selectorIfNS0_10empty_typeEEEZZNS1_29radix_sort_onesweep_iterationIS3_Lb0EN6thrust23THRUST_200600_302600_NS6detail15normal_iteratorINS9_10device_ptrIfEEEESE_PS5_SF_jNS0_19identity_decomposerENS1_16block_id_wrapperIjLb1EEEEE10hipError_tT1_PNSt15iterator_traitsISK_E10value_typeET2_T3_PNSL_ISQ_E10value_typeET4_T5_PSV_SW_PNS1_23onesweep_lookback_stateEbbT6_jjT7_P12ihipStream_tbENKUlT_T0_SK_SP_E_clISE_PfSF_SF_EEDaS13_S14_SK_SP_EUlS13_E_NS1_11comp_targetILNS1_3genE6ELNS1_11target_archE950ELNS1_3gpuE13ELNS1_3repE0EEENS1_47radix_sort_onesweep_sort_config_static_selectorELNS0_4arch9wavefront6targetE1EEEvSK_,"axG",@progbits,_ZN7rocprim17ROCPRIM_400000_NS6detail17trampoline_kernelINS0_14default_configENS1_35radix_sort_onesweep_config_selectorIfNS0_10empty_typeEEEZZNS1_29radix_sort_onesweep_iterationIS3_Lb0EN6thrust23THRUST_200600_302600_NS6detail15normal_iteratorINS9_10device_ptrIfEEEESE_PS5_SF_jNS0_19identity_decomposerENS1_16block_id_wrapperIjLb1EEEEE10hipError_tT1_PNSt15iterator_traitsISK_E10value_typeET2_T3_PNSL_ISQ_E10value_typeET4_T5_PSV_SW_PNS1_23onesweep_lookback_stateEbbT6_jjT7_P12ihipStream_tbENKUlT_T0_SK_SP_E_clISE_PfSF_SF_EEDaS13_S14_SK_SP_EUlS13_E_NS1_11comp_targetILNS1_3genE6ELNS1_11target_archE950ELNS1_3gpuE13ELNS1_3repE0EEENS1_47radix_sort_onesweep_sort_config_static_selectorELNS0_4arch9wavefront6targetE1EEEvSK_,comdat
.Lfunc_end569:
	.size	_ZN7rocprim17ROCPRIM_400000_NS6detail17trampoline_kernelINS0_14default_configENS1_35radix_sort_onesweep_config_selectorIfNS0_10empty_typeEEEZZNS1_29radix_sort_onesweep_iterationIS3_Lb0EN6thrust23THRUST_200600_302600_NS6detail15normal_iteratorINS9_10device_ptrIfEEEESE_PS5_SF_jNS0_19identity_decomposerENS1_16block_id_wrapperIjLb1EEEEE10hipError_tT1_PNSt15iterator_traitsISK_E10value_typeET2_T3_PNSL_ISQ_E10value_typeET4_T5_PSV_SW_PNS1_23onesweep_lookback_stateEbbT6_jjT7_P12ihipStream_tbENKUlT_T0_SK_SP_E_clISE_PfSF_SF_EEDaS13_S14_SK_SP_EUlS13_E_NS1_11comp_targetILNS1_3genE6ELNS1_11target_archE950ELNS1_3gpuE13ELNS1_3repE0EEENS1_47radix_sort_onesweep_sort_config_static_selectorELNS0_4arch9wavefront6targetE1EEEvSK_, .Lfunc_end569-_ZN7rocprim17ROCPRIM_400000_NS6detail17trampoline_kernelINS0_14default_configENS1_35radix_sort_onesweep_config_selectorIfNS0_10empty_typeEEEZZNS1_29radix_sort_onesweep_iterationIS3_Lb0EN6thrust23THRUST_200600_302600_NS6detail15normal_iteratorINS9_10device_ptrIfEEEESE_PS5_SF_jNS0_19identity_decomposerENS1_16block_id_wrapperIjLb1EEEEE10hipError_tT1_PNSt15iterator_traitsISK_E10value_typeET2_T3_PNSL_ISQ_E10value_typeET4_T5_PSV_SW_PNS1_23onesweep_lookback_stateEbbT6_jjT7_P12ihipStream_tbENKUlT_T0_SK_SP_E_clISE_PfSF_SF_EEDaS13_S14_SK_SP_EUlS13_E_NS1_11comp_targetILNS1_3genE6ELNS1_11target_archE950ELNS1_3gpuE13ELNS1_3repE0EEENS1_47radix_sort_onesweep_sort_config_static_selectorELNS0_4arch9wavefront6targetE1EEEvSK_
                                        ; -- End function
	.set _ZN7rocprim17ROCPRIM_400000_NS6detail17trampoline_kernelINS0_14default_configENS1_35radix_sort_onesweep_config_selectorIfNS0_10empty_typeEEEZZNS1_29radix_sort_onesweep_iterationIS3_Lb0EN6thrust23THRUST_200600_302600_NS6detail15normal_iteratorINS9_10device_ptrIfEEEESE_PS5_SF_jNS0_19identity_decomposerENS1_16block_id_wrapperIjLb1EEEEE10hipError_tT1_PNSt15iterator_traitsISK_E10value_typeET2_T3_PNSL_ISQ_E10value_typeET4_T5_PSV_SW_PNS1_23onesweep_lookback_stateEbbT6_jjT7_P12ihipStream_tbENKUlT_T0_SK_SP_E_clISE_PfSF_SF_EEDaS13_S14_SK_SP_EUlS13_E_NS1_11comp_targetILNS1_3genE6ELNS1_11target_archE950ELNS1_3gpuE13ELNS1_3repE0EEENS1_47radix_sort_onesweep_sort_config_static_selectorELNS0_4arch9wavefront6targetE1EEEvSK_.num_vgpr, 46
	.set _ZN7rocprim17ROCPRIM_400000_NS6detail17trampoline_kernelINS0_14default_configENS1_35radix_sort_onesweep_config_selectorIfNS0_10empty_typeEEEZZNS1_29radix_sort_onesweep_iterationIS3_Lb0EN6thrust23THRUST_200600_302600_NS6detail15normal_iteratorINS9_10device_ptrIfEEEESE_PS5_SF_jNS0_19identity_decomposerENS1_16block_id_wrapperIjLb1EEEEE10hipError_tT1_PNSt15iterator_traitsISK_E10value_typeET2_T3_PNSL_ISQ_E10value_typeET4_T5_PSV_SW_PNS1_23onesweep_lookback_stateEbbT6_jjT7_P12ihipStream_tbENKUlT_T0_SK_SP_E_clISE_PfSF_SF_EEDaS13_S14_SK_SP_EUlS13_E_NS1_11comp_targetILNS1_3genE6ELNS1_11target_archE950ELNS1_3gpuE13ELNS1_3repE0EEENS1_47radix_sort_onesweep_sort_config_static_selectorELNS0_4arch9wavefront6targetE1EEEvSK_.num_agpr, 0
	.set _ZN7rocprim17ROCPRIM_400000_NS6detail17trampoline_kernelINS0_14default_configENS1_35radix_sort_onesweep_config_selectorIfNS0_10empty_typeEEEZZNS1_29radix_sort_onesweep_iterationIS3_Lb0EN6thrust23THRUST_200600_302600_NS6detail15normal_iteratorINS9_10device_ptrIfEEEESE_PS5_SF_jNS0_19identity_decomposerENS1_16block_id_wrapperIjLb1EEEEE10hipError_tT1_PNSt15iterator_traitsISK_E10value_typeET2_T3_PNSL_ISQ_E10value_typeET4_T5_PSV_SW_PNS1_23onesweep_lookback_stateEbbT6_jjT7_P12ihipStream_tbENKUlT_T0_SK_SP_E_clISE_PfSF_SF_EEDaS13_S14_SK_SP_EUlS13_E_NS1_11comp_targetILNS1_3genE6ELNS1_11target_archE950ELNS1_3gpuE13ELNS1_3repE0EEENS1_47radix_sort_onesweep_sort_config_static_selectorELNS0_4arch9wavefront6targetE1EEEvSK_.numbered_sgpr, 36
	.set _ZN7rocprim17ROCPRIM_400000_NS6detail17trampoline_kernelINS0_14default_configENS1_35radix_sort_onesweep_config_selectorIfNS0_10empty_typeEEEZZNS1_29radix_sort_onesweep_iterationIS3_Lb0EN6thrust23THRUST_200600_302600_NS6detail15normal_iteratorINS9_10device_ptrIfEEEESE_PS5_SF_jNS0_19identity_decomposerENS1_16block_id_wrapperIjLb1EEEEE10hipError_tT1_PNSt15iterator_traitsISK_E10value_typeET2_T3_PNSL_ISQ_E10value_typeET4_T5_PSV_SW_PNS1_23onesweep_lookback_stateEbbT6_jjT7_P12ihipStream_tbENKUlT_T0_SK_SP_E_clISE_PfSF_SF_EEDaS13_S14_SK_SP_EUlS13_E_NS1_11comp_targetILNS1_3genE6ELNS1_11target_archE950ELNS1_3gpuE13ELNS1_3repE0EEENS1_47radix_sort_onesweep_sort_config_static_selectorELNS0_4arch9wavefront6targetE1EEEvSK_.num_named_barrier, 0
	.set _ZN7rocprim17ROCPRIM_400000_NS6detail17trampoline_kernelINS0_14default_configENS1_35radix_sort_onesweep_config_selectorIfNS0_10empty_typeEEEZZNS1_29radix_sort_onesweep_iterationIS3_Lb0EN6thrust23THRUST_200600_302600_NS6detail15normal_iteratorINS9_10device_ptrIfEEEESE_PS5_SF_jNS0_19identity_decomposerENS1_16block_id_wrapperIjLb1EEEEE10hipError_tT1_PNSt15iterator_traitsISK_E10value_typeET2_T3_PNSL_ISQ_E10value_typeET4_T5_PSV_SW_PNS1_23onesweep_lookback_stateEbbT6_jjT7_P12ihipStream_tbENKUlT_T0_SK_SP_E_clISE_PfSF_SF_EEDaS13_S14_SK_SP_EUlS13_E_NS1_11comp_targetILNS1_3genE6ELNS1_11target_archE950ELNS1_3gpuE13ELNS1_3repE0EEENS1_47radix_sort_onesweep_sort_config_static_selectorELNS0_4arch9wavefront6targetE1EEEvSK_.private_seg_size, 0
	.set _ZN7rocprim17ROCPRIM_400000_NS6detail17trampoline_kernelINS0_14default_configENS1_35radix_sort_onesweep_config_selectorIfNS0_10empty_typeEEEZZNS1_29radix_sort_onesweep_iterationIS3_Lb0EN6thrust23THRUST_200600_302600_NS6detail15normal_iteratorINS9_10device_ptrIfEEEESE_PS5_SF_jNS0_19identity_decomposerENS1_16block_id_wrapperIjLb1EEEEE10hipError_tT1_PNSt15iterator_traitsISK_E10value_typeET2_T3_PNSL_ISQ_E10value_typeET4_T5_PSV_SW_PNS1_23onesweep_lookback_stateEbbT6_jjT7_P12ihipStream_tbENKUlT_T0_SK_SP_E_clISE_PfSF_SF_EEDaS13_S14_SK_SP_EUlS13_E_NS1_11comp_targetILNS1_3genE6ELNS1_11target_archE950ELNS1_3gpuE13ELNS1_3repE0EEENS1_47radix_sort_onesweep_sort_config_static_selectorELNS0_4arch9wavefront6targetE1EEEvSK_.uses_vcc, 1
	.set _ZN7rocprim17ROCPRIM_400000_NS6detail17trampoline_kernelINS0_14default_configENS1_35radix_sort_onesweep_config_selectorIfNS0_10empty_typeEEEZZNS1_29radix_sort_onesweep_iterationIS3_Lb0EN6thrust23THRUST_200600_302600_NS6detail15normal_iteratorINS9_10device_ptrIfEEEESE_PS5_SF_jNS0_19identity_decomposerENS1_16block_id_wrapperIjLb1EEEEE10hipError_tT1_PNSt15iterator_traitsISK_E10value_typeET2_T3_PNSL_ISQ_E10value_typeET4_T5_PSV_SW_PNS1_23onesweep_lookback_stateEbbT6_jjT7_P12ihipStream_tbENKUlT_T0_SK_SP_E_clISE_PfSF_SF_EEDaS13_S14_SK_SP_EUlS13_E_NS1_11comp_targetILNS1_3genE6ELNS1_11target_archE950ELNS1_3gpuE13ELNS1_3repE0EEENS1_47radix_sort_onesweep_sort_config_static_selectorELNS0_4arch9wavefront6targetE1EEEvSK_.uses_flat_scratch, 0
	.set _ZN7rocprim17ROCPRIM_400000_NS6detail17trampoline_kernelINS0_14default_configENS1_35radix_sort_onesweep_config_selectorIfNS0_10empty_typeEEEZZNS1_29radix_sort_onesweep_iterationIS3_Lb0EN6thrust23THRUST_200600_302600_NS6detail15normal_iteratorINS9_10device_ptrIfEEEESE_PS5_SF_jNS0_19identity_decomposerENS1_16block_id_wrapperIjLb1EEEEE10hipError_tT1_PNSt15iterator_traitsISK_E10value_typeET2_T3_PNSL_ISQ_E10value_typeET4_T5_PSV_SW_PNS1_23onesweep_lookback_stateEbbT6_jjT7_P12ihipStream_tbENKUlT_T0_SK_SP_E_clISE_PfSF_SF_EEDaS13_S14_SK_SP_EUlS13_E_NS1_11comp_targetILNS1_3genE6ELNS1_11target_archE950ELNS1_3gpuE13ELNS1_3repE0EEENS1_47radix_sort_onesweep_sort_config_static_selectorELNS0_4arch9wavefront6targetE1EEEvSK_.has_dyn_sized_stack, 0
	.set _ZN7rocprim17ROCPRIM_400000_NS6detail17trampoline_kernelINS0_14default_configENS1_35radix_sort_onesweep_config_selectorIfNS0_10empty_typeEEEZZNS1_29radix_sort_onesweep_iterationIS3_Lb0EN6thrust23THRUST_200600_302600_NS6detail15normal_iteratorINS9_10device_ptrIfEEEESE_PS5_SF_jNS0_19identity_decomposerENS1_16block_id_wrapperIjLb1EEEEE10hipError_tT1_PNSt15iterator_traitsISK_E10value_typeET2_T3_PNSL_ISQ_E10value_typeET4_T5_PSV_SW_PNS1_23onesweep_lookback_stateEbbT6_jjT7_P12ihipStream_tbENKUlT_T0_SK_SP_E_clISE_PfSF_SF_EEDaS13_S14_SK_SP_EUlS13_E_NS1_11comp_targetILNS1_3genE6ELNS1_11target_archE950ELNS1_3gpuE13ELNS1_3repE0EEENS1_47radix_sort_onesweep_sort_config_static_selectorELNS0_4arch9wavefront6targetE1EEEvSK_.has_recursion, 0
	.set _ZN7rocprim17ROCPRIM_400000_NS6detail17trampoline_kernelINS0_14default_configENS1_35radix_sort_onesweep_config_selectorIfNS0_10empty_typeEEEZZNS1_29radix_sort_onesweep_iterationIS3_Lb0EN6thrust23THRUST_200600_302600_NS6detail15normal_iteratorINS9_10device_ptrIfEEEESE_PS5_SF_jNS0_19identity_decomposerENS1_16block_id_wrapperIjLb1EEEEE10hipError_tT1_PNSt15iterator_traitsISK_E10value_typeET2_T3_PNSL_ISQ_E10value_typeET4_T5_PSV_SW_PNS1_23onesweep_lookback_stateEbbT6_jjT7_P12ihipStream_tbENKUlT_T0_SK_SP_E_clISE_PfSF_SF_EEDaS13_S14_SK_SP_EUlS13_E_NS1_11comp_targetILNS1_3genE6ELNS1_11target_archE950ELNS1_3gpuE13ELNS1_3repE0EEENS1_47radix_sort_onesweep_sort_config_static_selectorELNS0_4arch9wavefront6targetE1EEEvSK_.has_indirect_call, 0
	.section	.AMDGPU.csdata,"",@progbits
; Kernel info:
; codeLenInByte = 11884
; TotalNumSgprs: 42
; NumVgprs: 46
; NumAgprs: 0
; TotalNumVgprs: 46
; ScratchSize: 0
; MemoryBound: 0
; FloatMode: 240
; IeeeMode: 1
; LDSByteSize: 20552 bytes/workgroup (compile time only)
; SGPRBlocks: 5
; VGPRBlocks: 5
; NumSGPRsForWavesPerEU: 42
; NumVGPRsForWavesPerEU: 46
; AccumOffset: 48
; Occupancy: 8
; WaveLimiterHint : 1
; COMPUTE_PGM_RSRC2:SCRATCH_EN: 0
; COMPUTE_PGM_RSRC2:USER_SGPR: 2
; COMPUTE_PGM_RSRC2:TRAP_HANDLER: 0
; COMPUTE_PGM_RSRC2:TGID_X_EN: 1
; COMPUTE_PGM_RSRC2:TGID_Y_EN: 0
; COMPUTE_PGM_RSRC2:TGID_Z_EN: 0
; COMPUTE_PGM_RSRC2:TIDIG_COMP_CNT: 2
; COMPUTE_PGM_RSRC3_GFX90A:ACCUM_OFFSET: 11
; COMPUTE_PGM_RSRC3_GFX90A:TG_SPLIT: 0
	.section	.text._ZN7rocprim17ROCPRIM_400000_NS6detail17trampoline_kernelINS0_14default_configENS1_35radix_sort_onesweep_config_selectorIfNS0_10empty_typeEEEZZNS1_29radix_sort_onesweep_iterationIS3_Lb0EN6thrust23THRUST_200600_302600_NS6detail15normal_iteratorINS9_10device_ptrIfEEEESE_PS5_SF_jNS0_19identity_decomposerENS1_16block_id_wrapperIjLb1EEEEE10hipError_tT1_PNSt15iterator_traitsISK_E10value_typeET2_T3_PNSL_ISQ_E10value_typeET4_T5_PSV_SW_PNS1_23onesweep_lookback_stateEbbT6_jjT7_P12ihipStream_tbENKUlT_T0_SK_SP_E_clISE_PfSF_SF_EEDaS13_S14_SK_SP_EUlS13_E_NS1_11comp_targetILNS1_3genE5ELNS1_11target_archE942ELNS1_3gpuE9ELNS1_3repE0EEENS1_47radix_sort_onesweep_sort_config_static_selectorELNS0_4arch9wavefront6targetE1EEEvSK_,"axG",@progbits,_ZN7rocprim17ROCPRIM_400000_NS6detail17trampoline_kernelINS0_14default_configENS1_35radix_sort_onesweep_config_selectorIfNS0_10empty_typeEEEZZNS1_29radix_sort_onesweep_iterationIS3_Lb0EN6thrust23THRUST_200600_302600_NS6detail15normal_iteratorINS9_10device_ptrIfEEEESE_PS5_SF_jNS0_19identity_decomposerENS1_16block_id_wrapperIjLb1EEEEE10hipError_tT1_PNSt15iterator_traitsISK_E10value_typeET2_T3_PNSL_ISQ_E10value_typeET4_T5_PSV_SW_PNS1_23onesweep_lookback_stateEbbT6_jjT7_P12ihipStream_tbENKUlT_T0_SK_SP_E_clISE_PfSF_SF_EEDaS13_S14_SK_SP_EUlS13_E_NS1_11comp_targetILNS1_3genE5ELNS1_11target_archE942ELNS1_3gpuE9ELNS1_3repE0EEENS1_47radix_sort_onesweep_sort_config_static_selectorELNS0_4arch9wavefront6targetE1EEEvSK_,comdat
	.protected	_ZN7rocprim17ROCPRIM_400000_NS6detail17trampoline_kernelINS0_14default_configENS1_35radix_sort_onesweep_config_selectorIfNS0_10empty_typeEEEZZNS1_29radix_sort_onesweep_iterationIS3_Lb0EN6thrust23THRUST_200600_302600_NS6detail15normal_iteratorINS9_10device_ptrIfEEEESE_PS5_SF_jNS0_19identity_decomposerENS1_16block_id_wrapperIjLb1EEEEE10hipError_tT1_PNSt15iterator_traitsISK_E10value_typeET2_T3_PNSL_ISQ_E10value_typeET4_T5_PSV_SW_PNS1_23onesweep_lookback_stateEbbT6_jjT7_P12ihipStream_tbENKUlT_T0_SK_SP_E_clISE_PfSF_SF_EEDaS13_S14_SK_SP_EUlS13_E_NS1_11comp_targetILNS1_3genE5ELNS1_11target_archE942ELNS1_3gpuE9ELNS1_3repE0EEENS1_47radix_sort_onesweep_sort_config_static_selectorELNS0_4arch9wavefront6targetE1EEEvSK_ ; -- Begin function _ZN7rocprim17ROCPRIM_400000_NS6detail17trampoline_kernelINS0_14default_configENS1_35radix_sort_onesweep_config_selectorIfNS0_10empty_typeEEEZZNS1_29radix_sort_onesweep_iterationIS3_Lb0EN6thrust23THRUST_200600_302600_NS6detail15normal_iteratorINS9_10device_ptrIfEEEESE_PS5_SF_jNS0_19identity_decomposerENS1_16block_id_wrapperIjLb1EEEEE10hipError_tT1_PNSt15iterator_traitsISK_E10value_typeET2_T3_PNSL_ISQ_E10value_typeET4_T5_PSV_SW_PNS1_23onesweep_lookback_stateEbbT6_jjT7_P12ihipStream_tbENKUlT_T0_SK_SP_E_clISE_PfSF_SF_EEDaS13_S14_SK_SP_EUlS13_E_NS1_11comp_targetILNS1_3genE5ELNS1_11target_archE942ELNS1_3gpuE9ELNS1_3repE0EEENS1_47radix_sort_onesweep_sort_config_static_selectorELNS0_4arch9wavefront6targetE1EEEvSK_
	.globl	_ZN7rocprim17ROCPRIM_400000_NS6detail17trampoline_kernelINS0_14default_configENS1_35radix_sort_onesweep_config_selectorIfNS0_10empty_typeEEEZZNS1_29radix_sort_onesweep_iterationIS3_Lb0EN6thrust23THRUST_200600_302600_NS6detail15normal_iteratorINS9_10device_ptrIfEEEESE_PS5_SF_jNS0_19identity_decomposerENS1_16block_id_wrapperIjLb1EEEEE10hipError_tT1_PNSt15iterator_traitsISK_E10value_typeET2_T3_PNSL_ISQ_E10value_typeET4_T5_PSV_SW_PNS1_23onesweep_lookback_stateEbbT6_jjT7_P12ihipStream_tbENKUlT_T0_SK_SP_E_clISE_PfSF_SF_EEDaS13_S14_SK_SP_EUlS13_E_NS1_11comp_targetILNS1_3genE5ELNS1_11target_archE942ELNS1_3gpuE9ELNS1_3repE0EEENS1_47radix_sort_onesweep_sort_config_static_selectorELNS0_4arch9wavefront6targetE1EEEvSK_
	.p2align	8
	.type	_ZN7rocprim17ROCPRIM_400000_NS6detail17trampoline_kernelINS0_14default_configENS1_35radix_sort_onesweep_config_selectorIfNS0_10empty_typeEEEZZNS1_29radix_sort_onesweep_iterationIS3_Lb0EN6thrust23THRUST_200600_302600_NS6detail15normal_iteratorINS9_10device_ptrIfEEEESE_PS5_SF_jNS0_19identity_decomposerENS1_16block_id_wrapperIjLb1EEEEE10hipError_tT1_PNSt15iterator_traitsISK_E10value_typeET2_T3_PNSL_ISQ_E10value_typeET4_T5_PSV_SW_PNS1_23onesweep_lookback_stateEbbT6_jjT7_P12ihipStream_tbENKUlT_T0_SK_SP_E_clISE_PfSF_SF_EEDaS13_S14_SK_SP_EUlS13_E_NS1_11comp_targetILNS1_3genE5ELNS1_11target_archE942ELNS1_3gpuE9ELNS1_3repE0EEENS1_47radix_sort_onesweep_sort_config_static_selectorELNS0_4arch9wavefront6targetE1EEEvSK_,@function
_ZN7rocprim17ROCPRIM_400000_NS6detail17trampoline_kernelINS0_14default_configENS1_35radix_sort_onesweep_config_selectorIfNS0_10empty_typeEEEZZNS1_29radix_sort_onesweep_iterationIS3_Lb0EN6thrust23THRUST_200600_302600_NS6detail15normal_iteratorINS9_10device_ptrIfEEEESE_PS5_SF_jNS0_19identity_decomposerENS1_16block_id_wrapperIjLb1EEEEE10hipError_tT1_PNSt15iterator_traitsISK_E10value_typeET2_T3_PNSL_ISQ_E10value_typeET4_T5_PSV_SW_PNS1_23onesweep_lookback_stateEbbT6_jjT7_P12ihipStream_tbENKUlT_T0_SK_SP_E_clISE_PfSF_SF_EEDaS13_S14_SK_SP_EUlS13_E_NS1_11comp_targetILNS1_3genE5ELNS1_11target_archE942ELNS1_3gpuE9ELNS1_3repE0EEENS1_47radix_sort_onesweep_sort_config_static_selectorELNS0_4arch9wavefront6targetE1EEEvSK_: ; @_ZN7rocprim17ROCPRIM_400000_NS6detail17trampoline_kernelINS0_14default_configENS1_35radix_sort_onesweep_config_selectorIfNS0_10empty_typeEEEZZNS1_29radix_sort_onesweep_iterationIS3_Lb0EN6thrust23THRUST_200600_302600_NS6detail15normal_iteratorINS9_10device_ptrIfEEEESE_PS5_SF_jNS0_19identity_decomposerENS1_16block_id_wrapperIjLb1EEEEE10hipError_tT1_PNSt15iterator_traitsISK_E10value_typeET2_T3_PNSL_ISQ_E10value_typeET4_T5_PSV_SW_PNS1_23onesweep_lookback_stateEbbT6_jjT7_P12ihipStream_tbENKUlT_T0_SK_SP_E_clISE_PfSF_SF_EEDaS13_S14_SK_SP_EUlS13_E_NS1_11comp_targetILNS1_3genE5ELNS1_11target_archE942ELNS1_3gpuE9ELNS1_3repE0EEENS1_47radix_sort_onesweep_sort_config_static_selectorELNS0_4arch9wavefront6targetE1EEEvSK_
; %bb.0:
	.section	.rodata,"a",@progbits
	.p2align	6, 0x0
	.amdhsa_kernel _ZN7rocprim17ROCPRIM_400000_NS6detail17trampoline_kernelINS0_14default_configENS1_35radix_sort_onesweep_config_selectorIfNS0_10empty_typeEEEZZNS1_29radix_sort_onesweep_iterationIS3_Lb0EN6thrust23THRUST_200600_302600_NS6detail15normal_iteratorINS9_10device_ptrIfEEEESE_PS5_SF_jNS0_19identity_decomposerENS1_16block_id_wrapperIjLb1EEEEE10hipError_tT1_PNSt15iterator_traitsISK_E10value_typeET2_T3_PNSL_ISQ_E10value_typeET4_T5_PSV_SW_PNS1_23onesweep_lookback_stateEbbT6_jjT7_P12ihipStream_tbENKUlT_T0_SK_SP_E_clISE_PfSF_SF_EEDaS13_S14_SK_SP_EUlS13_E_NS1_11comp_targetILNS1_3genE5ELNS1_11target_archE942ELNS1_3gpuE9ELNS1_3repE0EEENS1_47radix_sort_onesweep_sort_config_static_selectorELNS0_4arch9wavefront6targetE1EEEvSK_
		.amdhsa_group_segment_fixed_size 0
		.amdhsa_private_segment_fixed_size 0
		.amdhsa_kernarg_size 88
		.amdhsa_user_sgpr_count 2
		.amdhsa_user_sgpr_dispatch_ptr 0
		.amdhsa_user_sgpr_queue_ptr 0
		.amdhsa_user_sgpr_kernarg_segment_ptr 1
		.amdhsa_user_sgpr_dispatch_id 0
		.amdhsa_user_sgpr_kernarg_preload_length 0
		.amdhsa_user_sgpr_kernarg_preload_offset 0
		.amdhsa_user_sgpr_private_segment_size 0
		.amdhsa_uses_dynamic_stack 0
		.amdhsa_enable_private_segment 0
		.amdhsa_system_sgpr_workgroup_id_x 1
		.amdhsa_system_sgpr_workgroup_id_y 0
		.amdhsa_system_sgpr_workgroup_id_z 0
		.amdhsa_system_sgpr_workgroup_info 0
		.amdhsa_system_vgpr_workitem_id 0
		.amdhsa_next_free_vgpr 1
		.amdhsa_next_free_sgpr 0
		.amdhsa_accum_offset 4
		.amdhsa_reserve_vcc 0
		.amdhsa_float_round_mode_32 0
		.amdhsa_float_round_mode_16_64 0
		.amdhsa_float_denorm_mode_32 3
		.amdhsa_float_denorm_mode_16_64 3
		.amdhsa_dx10_clamp 1
		.amdhsa_ieee_mode 1
		.amdhsa_fp16_overflow 0
		.amdhsa_tg_split 0
		.amdhsa_exception_fp_ieee_invalid_op 0
		.amdhsa_exception_fp_denorm_src 0
		.amdhsa_exception_fp_ieee_div_zero 0
		.amdhsa_exception_fp_ieee_overflow 0
		.amdhsa_exception_fp_ieee_underflow 0
		.amdhsa_exception_fp_ieee_inexact 0
		.amdhsa_exception_int_div_zero 0
	.end_amdhsa_kernel
	.section	.text._ZN7rocprim17ROCPRIM_400000_NS6detail17trampoline_kernelINS0_14default_configENS1_35radix_sort_onesweep_config_selectorIfNS0_10empty_typeEEEZZNS1_29radix_sort_onesweep_iterationIS3_Lb0EN6thrust23THRUST_200600_302600_NS6detail15normal_iteratorINS9_10device_ptrIfEEEESE_PS5_SF_jNS0_19identity_decomposerENS1_16block_id_wrapperIjLb1EEEEE10hipError_tT1_PNSt15iterator_traitsISK_E10value_typeET2_T3_PNSL_ISQ_E10value_typeET4_T5_PSV_SW_PNS1_23onesweep_lookback_stateEbbT6_jjT7_P12ihipStream_tbENKUlT_T0_SK_SP_E_clISE_PfSF_SF_EEDaS13_S14_SK_SP_EUlS13_E_NS1_11comp_targetILNS1_3genE5ELNS1_11target_archE942ELNS1_3gpuE9ELNS1_3repE0EEENS1_47radix_sort_onesweep_sort_config_static_selectorELNS0_4arch9wavefront6targetE1EEEvSK_,"axG",@progbits,_ZN7rocprim17ROCPRIM_400000_NS6detail17trampoline_kernelINS0_14default_configENS1_35radix_sort_onesweep_config_selectorIfNS0_10empty_typeEEEZZNS1_29radix_sort_onesweep_iterationIS3_Lb0EN6thrust23THRUST_200600_302600_NS6detail15normal_iteratorINS9_10device_ptrIfEEEESE_PS5_SF_jNS0_19identity_decomposerENS1_16block_id_wrapperIjLb1EEEEE10hipError_tT1_PNSt15iterator_traitsISK_E10value_typeET2_T3_PNSL_ISQ_E10value_typeET4_T5_PSV_SW_PNS1_23onesweep_lookback_stateEbbT6_jjT7_P12ihipStream_tbENKUlT_T0_SK_SP_E_clISE_PfSF_SF_EEDaS13_S14_SK_SP_EUlS13_E_NS1_11comp_targetILNS1_3genE5ELNS1_11target_archE942ELNS1_3gpuE9ELNS1_3repE0EEENS1_47radix_sort_onesweep_sort_config_static_selectorELNS0_4arch9wavefront6targetE1EEEvSK_,comdat
.Lfunc_end570:
	.size	_ZN7rocprim17ROCPRIM_400000_NS6detail17trampoline_kernelINS0_14default_configENS1_35radix_sort_onesweep_config_selectorIfNS0_10empty_typeEEEZZNS1_29radix_sort_onesweep_iterationIS3_Lb0EN6thrust23THRUST_200600_302600_NS6detail15normal_iteratorINS9_10device_ptrIfEEEESE_PS5_SF_jNS0_19identity_decomposerENS1_16block_id_wrapperIjLb1EEEEE10hipError_tT1_PNSt15iterator_traitsISK_E10value_typeET2_T3_PNSL_ISQ_E10value_typeET4_T5_PSV_SW_PNS1_23onesweep_lookback_stateEbbT6_jjT7_P12ihipStream_tbENKUlT_T0_SK_SP_E_clISE_PfSF_SF_EEDaS13_S14_SK_SP_EUlS13_E_NS1_11comp_targetILNS1_3genE5ELNS1_11target_archE942ELNS1_3gpuE9ELNS1_3repE0EEENS1_47radix_sort_onesweep_sort_config_static_selectorELNS0_4arch9wavefront6targetE1EEEvSK_, .Lfunc_end570-_ZN7rocprim17ROCPRIM_400000_NS6detail17trampoline_kernelINS0_14default_configENS1_35radix_sort_onesweep_config_selectorIfNS0_10empty_typeEEEZZNS1_29radix_sort_onesweep_iterationIS3_Lb0EN6thrust23THRUST_200600_302600_NS6detail15normal_iteratorINS9_10device_ptrIfEEEESE_PS5_SF_jNS0_19identity_decomposerENS1_16block_id_wrapperIjLb1EEEEE10hipError_tT1_PNSt15iterator_traitsISK_E10value_typeET2_T3_PNSL_ISQ_E10value_typeET4_T5_PSV_SW_PNS1_23onesweep_lookback_stateEbbT6_jjT7_P12ihipStream_tbENKUlT_T0_SK_SP_E_clISE_PfSF_SF_EEDaS13_S14_SK_SP_EUlS13_E_NS1_11comp_targetILNS1_3genE5ELNS1_11target_archE942ELNS1_3gpuE9ELNS1_3repE0EEENS1_47radix_sort_onesweep_sort_config_static_selectorELNS0_4arch9wavefront6targetE1EEEvSK_
                                        ; -- End function
	.set _ZN7rocprim17ROCPRIM_400000_NS6detail17trampoline_kernelINS0_14default_configENS1_35radix_sort_onesweep_config_selectorIfNS0_10empty_typeEEEZZNS1_29radix_sort_onesweep_iterationIS3_Lb0EN6thrust23THRUST_200600_302600_NS6detail15normal_iteratorINS9_10device_ptrIfEEEESE_PS5_SF_jNS0_19identity_decomposerENS1_16block_id_wrapperIjLb1EEEEE10hipError_tT1_PNSt15iterator_traitsISK_E10value_typeET2_T3_PNSL_ISQ_E10value_typeET4_T5_PSV_SW_PNS1_23onesweep_lookback_stateEbbT6_jjT7_P12ihipStream_tbENKUlT_T0_SK_SP_E_clISE_PfSF_SF_EEDaS13_S14_SK_SP_EUlS13_E_NS1_11comp_targetILNS1_3genE5ELNS1_11target_archE942ELNS1_3gpuE9ELNS1_3repE0EEENS1_47radix_sort_onesweep_sort_config_static_selectorELNS0_4arch9wavefront6targetE1EEEvSK_.num_vgpr, 0
	.set _ZN7rocprim17ROCPRIM_400000_NS6detail17trampoline_kernelINS0_14default_configENS1_35radix_sort_onesweep_config_selectorIfNS0_10empty_typeEEEZZNS1_29radix_sort_onesweep_iterationIS3_Lb0EN6thrust23THRUST_200600_302600_NS6detail15normal_iteratorINS9_10device_ptrIfEEEESE_PS5_SF_jNS0_19identity_decomposerENS1_16block_id_wrapperIjLb1EEEEE10hipError_tT1_PNSt15iterator_traitsISK_E10value_typeET2_T3_PNSL_ISQ_E10value_typeET4_T5_PSV_SW_PNS1_23onesweep_lookback_stateEbbT6_jjT7_P12ihipStream_tbENKUlT_T0_SK_SP_E_clISE_PfSF_SF_EEDaS13_S14_SK_SP_EUlS13_E_NS1_11comp_targetILNS1_3genE5ELNS1_11target_archE942ELNS1_3gpuE9ELNS1_3repE0EEENS1_47radix_sort_onesweep_sort_config_static_selectorELNS0_4arch9wavefront6targetE1EEEvSK_.num_agpr, 0
	.set _ZN7rocprim17ROCPRIM_400000_NS6detail17trampoline_kernelINS0_14default_configENS1_35radix_sort_onesweep_config_selectorIfNS0_10empty_typeEEEZZNS1_29radix_sort_onesweep_iterationIS3_Lb0EN6thrust23THRUST_200600_302600_NS6detail15normal_iteratorINS9_10device_ptrIfEEEESE_PS5_SF_jNS0_19identity_decomposerENS1_16block_id_wrapperIjLb1EEEEE10hipError_tT1_PNSt15iterator_traitsISK_E10value_typeET2_T3_PNSL_ISQ_E10value_typeET4_T5_PSV_SW_PNS1_23onesweep_lookback_stateEbbT6_jjT7_P12ihipStream_tbENKUlT_T0_SK_SP_E_clISE_PfSF_SF_EEDaS13_S14_SK_SP_EUlS13_E_NS1_11comp_targetILNS1_3genE5ELNS1_11target_archE942ELNS1_3gpuE9ELNS1_3repE0EEENS1_47radix_sort_onesweep_sort_config_static_selectorELNS0_4arch9wavefront6targetE1EEEvSK_.numbered_sgpr, 0
	.set _ZN7rocprim17ROCPRIM_400000_NS6detail17trampoline_kernelINS0_14default_configENS1_35radix_sort_onesweep_config_selectorIfNS0_10empty_typeEEEZZNS1_29radix_sort_onesweep_iterationIS3_Lb0EN6thrust23THRUST_200600_302600_NS6detail15normal_iteratorINS9_10device_ptrIfEEEESE_PS5_SF_jNS0_19identity_decomposerENS1_16block_id_wrapperIjLb1EEEEE10hipError_tT1_PNSt15iterator_traitsISK_E10value_typeET2_T3_PNSL_ISQ_E10value_typeET4_T5_PSV_SW_PNS1_23onesweep_lookback_stateEbbT6_jjT7_P12ihipStream_tbENKUlT_T0_SK_SP_E_clISE_PfSF_SF_EEDaS13_S14_SK_SP_EUlS13_E_NS1_11comp_targetILNS1_3genE5ELNS1_11target_archE942ELNS1_3gpuE9ELNS1_3repE0EEENS1_47radix_sort_onesweep_sort_config_static_selectorELNS0_4arch9wavefront6targetE1EEEvSK_.num_named_barrier, 0
	.set _ZN7rocprim17ROCPRIM_400000_NS6detail17trampoline_kernelINS0_14default_configENS1_35radix_sort_onesweep_config_selectorIfNS0_10empty_typeEEEZZNS1_29radix_sort_onesweep_iterationIS3_Lb0EN6thrust23THRUST_200600_302600_NS6detail15normal_iteratorINS9_10device_ptrIfEEEESE_PS5_SF_jNS0_19identity_decomposerENS1_16block_id_wrapperIjLb1EEEEE10hipError_tT1_PNSt15iterator_traitsISK_E10value_typeET2_T3_PNSL_ISQ_E10value_typeET4_T5_PSV_SW_PNS1_23onesweep_lookback_stateEbbT6_jjT7_P12ihipStream_tbENKUlT_T0_SK_SP_E_clISE_PfSF_SF_EEDaS13_S14_SK_SP_EUlS13_E_NS1_11comp_targetILNS1_3genE5ELNS1_11target_archE942ELNS1_3gpuE9ELNS1_3repE0EEENS1_47radix_sort_onesweep_sort_config_static_selectorELNS0_4arch9wavefront6targetE1EEEvSK_.private_seg_size, 0
	.set _ZN7rocprim17ROCPRIM_400000_NS6detail17trampoline_kernelINS0_14default_configENS1_35radix_sort_onesweep_config_selectorIfNS0_10empty_typeEEEZZNS1_29radix_sort_onesweep_iterationIS3_Lb0EN6thrust23THRUST_200600_302600_NS6detail15normal_iteratorINS9_10device_ptrIfEEEESE_PS5_SF_jNS0_19identity_decomposerENS1_16block_id_wrapperIjLb1EEEEE10hipError_tT1_PNSt15iterator_traitsISK_E10value_typeET2_T3_PNSL_ISQ_E10value_typeET4_T5_PSV_SW_PNS1_23onesweep_lookback_stateEbbT6_jjT7_P12ihipStream_tbENKUlT_T0_SK_SP_E_clISE_PfSF_SF_EEDaS13_S14_SK_SP_EUlS13_E_NS1_11comp_targetILNS1_3genE5ELNS1_11target_archE942ELNS1_3gpuE9ELNS1_3repE0EEENS1_47radix_sort_onesweep_sort_config_static_selectorELNS0_4arch9wavefront6targetE1EEEvSK_.uses_vcc, 0
	.set _ZN7rocprim17ROCPRIM_400000_NS6detail17trampoline_kernelINS0_14default_configENS1_35radix_sort_onesweep_config_selectorIfNS0_10empty_typeEEEZZNS1_29radix_sort_onesweep_iterationIS3_Lb0EN6thrust23THRUST_200600_302600_NS6detail15normal_iteratorINS9_10device_ptrIfEEEESE_PS5_SF_jNS0_19identity_decomposerENS1_16block_id_wrapperIjLb1EEEEE10hipError_tT1_PNSt15iterator_traitsISK_E10value_typeET2_T3_PNSL_ISQ_E10value_typeET4_T5_PSV_SW_PNS1_23onesweep_lookback_stateEbbT6_jjT7_P12ihipStream_tbENKUlT_T0_SK_SP_E_clISE_PfSF_SF_EEDaS13_S14_SK_SP_EUlS13_E_NS1_11comp_targetILNS1_3genE5ELNS1_11target_archE942ELNS1_3gpuE9ELNS1_3repE0EEENS1_47radix_sort_onesweep_sort_config_static_selectorELNS0_4arch9wavefront6targetE1EEEvSK_.uses_flat_scratch, 0
	.set _ZN7rocprim17ROCPRIM_400000_NS6detail17trampoline_kernelINS0_14default_configENS1_35radix_sort_onesweep_config_selectorIfNS0_10empty_typeEEEZZNS1_29radix_sort_onesweep_iterationIS3_Lb0EN6thrust23THRUST_200600_302600_NS6detail15normal_iteratorINS9_10device_ptrIfEEEESE_PS5_SF_jNS0_19identity_decomposerENS1_16block_id_wrapperIjLb1EEEEE10hipError_tT1_PNSt15iterator_traitsISK_E10value_typeET2_T3_PNSL_ISQ_E10value_typeET4_T5_PSV_SW_PNS1_23onesweep_lookback_stateEbbT6_jjT7_P12ihipStream_tbENKUlT_T0_SK_SP_E_clISE_PfSF_SF_EEDaS13_S14_SK_SP_EUlS13_E_NS1_11comp_targetILNS1_3genE5ELNS1_11target_archE942ELNS1_3gpuE9ELNS1_3repE0EEENS1_47radix_sort_onesweep_sort_config_static_selectorELNS0_4arch9wavefront6targetE1EEEvSK_.has_dyn_sized_stack, 0
	.set _ZN7rocprim17ROCPRIM_400000_NS6detail17trampoline_kernelINS0_14default_configENS1_35radix_sort_onesweep_config_selectorIfNS0_10empty_typeEEEZZNS1_29radix_sort_onesweep_iterationIS3_Lb0EN6thrust23THRUST_200600_302600_NS6detail15normal_iteratorINS9_10device_ptrIfEEEESE_PS5_SF_jNS0_19identity_decomposerENS1_16block_id_wrapperIjLb1EEEEE10hipError_tT1_PNSt15iterator_traitsISK_E10value_typeET2_T3_PNSL_ISQ_E10value_typeET4_T5_PSV_SW_PNS1_23onesweep_lookback_stateEbbT6_jjT7_P12ihipStream_tbENKUlT_T0_SK_SP_E_clISE_PfSF_SF_EEDaS13_S14_SK_SP_EUlS13_E_NS1_11comp_targetILNS1_3genE5ELNS1_11target_archE942ELNS1_3gpuE9ELNS1_3repE0EEENS1_47radix_sort_onesweep_sort_config_static_selectorELNS0_4arch9wavefront6targetE1EEEvSK_.has_recursion, 0
	.set _ZN7rocprim17ROCPRIM_400000_NS6detail17trampoline_kernelINS0_14default_configENS1_35radix_sort_onesweep_config_selectorIfNS0_10empty_typeEEEZZNS1_29radix_sort_onesweep_iterationIS3_Lb0EN6thrust23THRUST_200600_302600_NS6detail15normal_iteratorINS9_10device_ptrIfEEEESE_PS5_SF_jNS0_19identity_decomposerENS1_16block_id_wrapperIjLb1EEEEE10hipError_tT1_PNSt15iterator_traitsISK_E10value_typeET2_T3_PNSL_ISQ_E10value_typeET4_T5_PSV_SW_PNS1_23onesweep_lookback_stateEbbT6_jjT7_P12ihipStream_tbENKUlT_T0_SK_SP_E_clISE_PfSF_SF_EEDaS13_S14_SK_SP_EUlS13_E_NS1_11comp_targetILNS1_3genE5ELNS1_11target_archE942ELNS1_3gpuE9ELNS1_3repE0EEENS1_47radix_sort_onesweep_sort_config_static_selectorELNS0_4arch9wavefront6targetE1EEEvSK_.has_indirect_call, 0
	.section	.AMDGPU.csdata,"",@progbits
; Kernel info:
; codeLenInByte = 0
; TotalNumSgprs: 6
; NumVgprs: 0
; NumAgprs: 0
; TotalNumVgprs: 0
; ScratchSize: 0
; MemoryBound: 0
; FloatMode: 240
; IeeeMode: 1
; LDSByteSize: 0 bytes/workgroup (compile time only)
; SGPRBlocks: 0
; VGPRBlocks: 0
; NumSGPRsForWavesPerEU: 6
; NumVGPRsForWavesPerEU: 1
; AccumOffset: 4
; Occupancy: 8
; WaveLimiterHint : 0
; COMPUTE_PGM_RSRC2:SCRATCH_EN: 0
; COMPUTE_PGM_RSRC2:USER_SGPR: 2
; COMPUTE_PGM_RSRC2:TRAP_HANDLER: 0
; COMPUTE_PGM_RSRC2:TGID_X_EN: 1
; COMPUTE_PGM_RSRC2:TGID_Y_EN: 0
; COMPUTE_PGM_RSRC2:TGID_Z_EN: 0
; COMPUTE_PGM_RSRC2:TIDIG_COMP_CNT: 0
; COMPUTE_PGM_RSRC3_GFX90A:ACCUM_OFFSET: 0
; COMPUTE_PGM_RSRC3_GFX90A:TG_SPLIT: 0
	.section	.text._ZN7rocprim17ROCPRIM_400000_NS6detail17trampoline_kernelINS0_14default_configENS1_35radix_sort_onesweep_config_selectorIfNS0_10empty_typeEEEZZNS1_29radix_sort_onesweep_iterationIS3_Lb0EN6thrust23THRUST_200600_302600_NS6detail15normal_iteratorINS9_10device_ptrIfEEEESE_PS5_SF_jNS0_19identity_decomposerENS1_16block_id_wrapperIjLb1EEEEE10hipError_tT1_PNSt15iterator_traitsISK_E10value_typeET2_T3_PNSL_ISQ_E10value_typeET4_T5_PSV_SW_PNS1_23onesweep_lookback_stateEbbT6_jjT7_P12ihipStream_tbENKUlT_T0_SK_SP_E_clISE_PfSF_SF_EEDaS13_S14_SK_SP_EUlS13_E_NS1_11comp_targetILNS1_3genE2ELNS1_11target_archE906ELNS1_3gpuE6ELNS1_3repE0EEENS1_47radix_sort_onesweep_sort_config_static_selectorELNS0_4arch9wavefront6targetE1EEEvSK_,"axG",@progbits,_ZN7rocprim17ROCPRIM_400000_NS6detail17trampoline_kernelINS0_14default_configENS1_35radix_sort_onesweep_config_selectorIfNS0_10empty_typeEEEZZNS1_29radix_sort_onesweep_iterationIS3_Lb0EN6thrust23THRUST_200600_302600_NS6detail15normal_iteratorINS9_10device_ptrIfEEEESE_PS5_SF_jNS0_19identity_decomposerENS1_16block_id_wrapperIjLb1EEEEE10hipError_tT1_PNSt15iterator_traitsISK_E10value_typeET2_T3_PNSL_ISQ_E10value_typeET4_T5_PSV_SW_PNS1_23onesweep_lookback_stateEbbT6_jjT7_P12ihipStream_tbENKUlT_T0_SK_SP_E_clISE_PfSF_SF_EEDaS13_S14_SK_SP_EUlS13_E_NS1_11comp_targetILNS1_3genE2ELNS1_11target_archE906ELNS1_3gpuE6ELNS1_3repE0EEENS1_47radix_sort_onesweep_sort_config_static_selectorELNS0_4arch9wavefront6targetE1EEEvSK_,comdat
	.protected	_ZN7rocprim17ROCPRIM_400000_NS6detail17trampoline_kernelINS0_14default_configENS1_35radix_sort_onesweep_config_selectorIfNS0_10empty_typeEEEZZNS1_29radix_sort_onesweep_iterationIS3_Lb0EN6thrust23THRUST_200600_302600_NS6detail15normal_iteratorINS9_10device_ptrIfEEEESE_PS5_SF_jNS0_19identity_decomposerENS1_16block_id_wrapperIjLb1EEEEE10hipError_tT1_PNSt15iterator_traitsISK_E10value_typeET2_T3_PNSL_ISQ_E10value_typeET4_T5_PSV_SW_PNS1_23onesweep_lookback_stateEbbT6_jjT7_P12ihipStream_tbENKUlT_T0_SK_SP_E_clISE_PfSF_SF_EEDaS13_S14_SK_SP_EUlS13_E_NS1_11comp_targetILNS1_3genE2ELNS1_11target_archE906ELNS1_3gpuE6ELNS1_3repE0EEENS1_47radix_sort_onesweep_sort_config_static_selectorELNS0_4arch9wavefront6targetE1EEEvSK_ ; -- Begin function _ZN7rocprim17ROCPRIM_400000_NS6detail17trampoline_kernelINS0_14default_configENS1_35radix_sort_onesweep_config_selectorIfNS0_10empty_typeEEEZZNS1_29radix_sort_onesweep_iterationIS3_Lb0EN6thrust23THRUST_200600_302600_NS6detail15normal_iteratorINS9_10device_ptrIfEEEESE_PS5_SF_jNS0_19identity_decomposerENS1_16block_id_wrapperIjLb1EEEEE10hipError_tT1_PNSt15iterator_traitsISK_E10value_typeET2_T3_PNSL_ISQ_E10value_typeET4_T5_PSV_SW_PNS1_23onesweep_lookback_stateEbbT6_jjT7_P12ihipStream_tbENKUlT_T0_SK_SP_E_clISE_PfSF_SF_EEDaS13_S14_SK_SP_EUlS13_E_NS1_11comp_targetILNS1_3genE2ELNS1_11target_archE906ELNS1_3gpuE6ELNS1_3repE0EEENS1_47radix_sort_onesweep_sort_config_static_selectorELNS0_4arch9wavefront6targetE1EEEvSK_
	.globl	_ZN7rocprim17ROCPRIM_400000_NS6detail17trampoline_kernelINS0_14default_configENS1_35radix_sort_onesweep_config_selectorIfNS0_10empty_typeEEEZZNS1_29radix_sort_onesweep_iterationIS3_Lb0EN6thrust23THRUST_200600_302600_NS6detail15normal_iteratorINS9_10device_ptrIfEEEESE_PS5_SF_jNS0_19identity_decomposerENS1_16block_id_wrapperIjLb1EEEEE10hipError_tT1_PNSt15iterator_traitsISK_E10value_typeET2_T3_PNSL_ISQ_E10value_typeET4_T5_PSV_SW_PNS1_23onesweep_lookback_stateEbbT6_jjT7_P12ihipStream_tbENKUlT_T0_SK_SP_E_clISE_PfSF_SF_EEDaS13_S14_SK_SP_EUlS13_E_NS1_11comp_targetILNS1_3genE2ELNS1_11target_archE906ELNS1_3gpuE6ELNS1_3repE0EEENS1_47radix_sort_onesweep_sort_config_static_selectorELNS0_4arch9wavefront6targetE1EEEvSK_
	.p2align	8
	.type	_ZN7rocprim17ROCPRIM_400000_NS6detail17trampoline_kernelINS0_14default_configENS1_35radix_sort_onesweep_config_selectorIfNS0_10empty_typeEEEZZNS1_29radix_sort_onesweep_iterationIS3_Lb0EN6thrust23THRUST_200600_302600_NS6detail15normal_iteratorINS9_10device_ptrIfEEEESE_PS5_SF_jNS0_19identity_decomposerENS1_16block_id_wrapperIjLb1EEEEE10hipError_tT1_PNSt15iterator_traitsISK_E10value_typeET2_T3_PNSL_ISQ_E10value_typeET4_T5_PSV_SW_PNS1_23onesweep_lookback_stateEbbT6_jjT7_P12ihipStream_tbENKUlT_T0_SK_SP_E_clISE_PfSF_SF_EEDaS13_S14_SK_SP_EUlS13_E_NS1_11comp_targetILNS1_3genE2ELNS1_11target_archE906ELNS1_3gpuE6ELNS1_3repE0EEENS1_47radix_sort_onesweep_sort_config_static_selectorELNS0_4arch9wavefront6targetE1EEEvSK_,@function
_ZN7rocprim17ROCPRIM_400000_NS6detail17trampoline_kernelINS0_14default_configENS1_35radix_sort_onesweep_config_selectorIfNS0_10empty_typeEEEZZNS1_29radix_sort_onesweep_iterationIS3_Lb0EN6thrust23THRUST_200600_302600_NS6detail15normal_iteratorINS9_10device_ptrIfEEEESE_PS5_SF_jNS0_19identity_decomposerENS1_16block_id_wrapperIjLb1EEEEE10hipError_tT1_PNSt15iterator_traitsISK_E10value_typeET2_T3_PNSL_ISQ_E10value_typeET4_T5_PSV_SW_PNS1_23onesweep_lookback_stateEbbT6_jjT7_P12ihipStream_tbENKUlT_T0_SK_SP_E_clISE_PfSF_SF_EEDaS13_S14_SK_SP_EUlS13_E_NS1_11comp_targetILNS1_3genE2ELNS1_11target_archE906ELNS1_3gpuE6ELNS1_3repE0EEENS1_47radix_sort_onesweep_sort_config_static_selectorELNS0_4arch9wavefront6targetE1EEEvSK_: ; @_ZN7rocprim17ROCPRIM_400000_NS6detail17trampoline_kernelINS0_14default_configENS1_35radix_sort_onesweep_config_selectorIfNS0_10empty_typeEEEZZNS1_29radix_sort_onesweep_iterationIS3_Lb0EN6thrust23THRUST_200600_302600_NS6detail15normal_iteratorINS9_10device_ptrIfEEEESE_PS5_SF_jNS0_19identity_decomposerENS1_16block_id_wrapperIjLb1EEEEE10hipError_tT1_PNSt15iterator_traitsISK_E10value_typeET2_T3_PNSL_ISQ_E10value_typeET4_T5_PSV_SW_PNS1_23onesweep_lookback_stateEbbT6_jjT7_P12ihipStream_tbENKUlT_T0_SK_SP_E_clISE_PfSF_SF_EEDaS13_S14_SK_SP_EUlS13_E_NS1_11comp_targetILNS1_3genE2ELNS1_11target_archE906ELNS1_3gpuE6ELNS1_3repE0EEENS1_47radix_sort_onesweep_sort_config_static_selectorELNS0_4arch9wavefront6targetE1EEEvSK_
; %bb.0:
	.section	.rodata,"a",@progbits
	.p2align	6, 0x0
	.amdhsa_kernel _ZN7rocprim17ROCPRIM_400000_NS6detail17trampoline_kernelINS0_14default_configENS1_35radix_sort_onesweep_config_selectorIfNS0_10empty_typeEEEZZNS1_29radix_sort_onesweep_iterationIS3_Lb0EN6thrust23THRUST_200600_302600_NS6detail15normal_iteratorINS9_10device_ptrIfEEEESE_PS5_SF_jNS0_19identity_decomposerENS1_16block_id_wrapperIjLb1EEEEE10hipError_tT1_PNSt15iterator_traitsISK_E10value_typeET2_T3_PNSL_ISQ_E10value_typeET4_T5_PSV_SW_PNS1_23onesweep_lookback_stateEbbT6_jjT7_P12ihipStream_tbENKUlT_T0_SK_SP_E_clISE_PfSF_SF_EEDaS13_S14_SK_SP_EUlS13_E_NS1_11comp_targetILNS1_3genE2ELNS1_11target_archE906ELNS1_3gpuE6ELNS1_3repE0EEENS1_47radix_sort_onesweep_sort_config_static_selectorELNS0_4arch9wavefront6targetE1EEEvSK_
		.amdhsa_group_segment_fixed_size 0
		.amdhsa_private_segment_fixed_size 0
		.amdhsa_kernarg_size 88
		.amdhsa_user_sgpr_count 2
		.amdhsa_user_sgpr_dispatch_ptr 0
		.amdhsa_user_sgpr_queue_ptr 0
		.amdhsa_user_sgpr_kernarg_segment_ptr 1
		.amdhsa_user_sgpr_dispatch_id 0
		.amdhsa_user_sgpr_kernarg_preload_length 0
		.amdhsa_user_sgpr_kernarg_preload_offset 0
		.amdhsa_user_sgpr_private_segment_size 0
		.amdhsa_uses_dynamic_stack 0
		.amdhsa_enable_private_segment 0
		.amdhsa_system_sgpr_workgroup_id_x 1
		.amdhsa_system_sgpr_workgroup_id_y 0
		.amdhsa_system_sgpr_workgroup_id_z 0
		.amdhsa_system_sgpr_workgroup_info 0
		.amdhsa_system_vgpr_workitem_id 0
		.amdhsa_next_free_vgpr 1
		.amdhsa_next_free_sgpr 0
		.amdhsa_accum_offset 4
		.amdhsa_reserve_vcc 0
		.amdhsa_float_round_mode_32 0
		.amdhsa_float_round_mode_16_64 0
		.amdhsa_float_denorm_mode_32 3
		.amdhsa_float_denorm_mode_16_64 3
		.amdhsa_dx10_clamp 1
		.amdhsa_ieee_mode 1
		.amdhsa_fp16_overflow 0
		.amdhsa_tg_split 0
		.amdhsa_exception_fp_ieee_invalid_op 0
		.amdhsa_exception_fp_denorm_src 0
		.amdhsa_exception_fp_ieee_div_zero 0
		.amdhsa_exception_fp_ieee_overflow 0
		.amdhsa_exception_fp_ieee_underflow 0
		.amdhsa_exception_fp_ieee_inexact 0
		.amdhsa_exception_int_div_zero 0
	.end_amdhsa_kernel
	.section	.text._ZN7rocprim17ROCPRIM_400000_NS6detail17trampoline_kernelINS0_14default_configENS1_35radix_sort_onesweep_config_selectorIfNS0_10empty_typeEEEZZNS1_29radix_sort_onesweep_iterationIS3_Lb0EN6thrust23THRUST_200600_302600_NS6detail15normal_iteratorINS9_10device_ptrIfEEEESE_PS5_SF_jNS0_19identity_decomposerENS1_16block_id_wrapperIjLb1EEEEE10hipError_tT1_PNSt15iterator_traitsISK_E10value_typeET2_T3_PNSL_ISQ_E10value_typeET4_T5_PSV_SW_PNS1_23onesweep_lookback_stateEbbT6_jjT7_P12ihipStream_tbENKUlT_T0_SK_SP_E_clISE_PfSF_SF_EEDaS13_S14_SK_SP_EUlS13_E_NS1_11comp_targetILNS1_3genE2ELNS1_11target_archE906ELNS1_3gpuE6ELNS1_3repE0EEENS1_47radix_sort_onesweep_sort_config_static_selectorELNS0_4arch9wavefront6targetE1EEEvSK_,"axG",@progbits,_ZN7rocprim17ROCPRIM_400000_NS6detail17trampoline_kernelINS0_14default_configENS1_35radix_sort_onesweep_config_selectorIfNS0_10empty_typeEEEZZNS1_29radix_sort_onesweep_iterationIS3_Lb0EN6thrust23THRUST_200600_302600_NS6detail15normal_iteratorINS9_10device_ptrIfEEEESE_PS5_SF_jNS0_19identity_decomposerENS1_16block_id_wrapperIjLb1EEEEE10hipError_tT1_PNSt15iterator_traitsISK_E10value_typeET2_T3_PNSL_ISQ_E10value_typeET4_T5_PSV_SW_PNS1_23onesweep_lookback_stateEbbT6_jjT7_P12ihipStream_tbENKUlT_T0_SK_SP_E_clISE_PfSF_SF_EEDaS13_S14_SK_SP_EUlS13_E_NS1_11comp_targetILNS1_3genE2ELNS1_11target_archE906ELNS1_3gpuE6ELNS1_3repE0EEENS1_47radix_sort_onesweep_sort_config_static_selectorELNS0_4arch9wavefront6targetE1EEEvSK_,comdat
.Lfunc_end571:
	.size	_ZN7rocprim17ROCPRIM_400000_NS6detail17trampoline_kernelINS0_14default_configENS1_35radix_sort_onesweep_config_selectorIfNS0_10empty_typeEEEZZNS1_29radix_sort_onesweep_iterationIS3_Lb0EN6thrust23THRUST_200600_302600_NS6detail15normal_iteratorINS9_10device_ptrIfEEEESE_PS5_SF_jNS0_19identity_decomposerENS1_16block_id_wrapperIjLb1EEEEE10hipError_tT1_PNSt15iterator_traitsISK_E10value_typeET2_T3_PNSL_ISQ_E10value_typeET4_T5_PSV_SW_PNS1_23onesweep_lookback_stateEbbT6_jjT7_P12ihipStream_tbENKUlT_T0_SK_SP_E_clISE_PfSF_SF_EEDaS13_S14_SK_SP_EUlS13_E_NS1_11comp_targetILNS1_3genE2ELNS1_11target_archE906ELNS1_3gpuE6ELNS1_3repE0EEENS1_47radix_sort_onesweep_sort_config_static_selectorELNS0_4arch9wavefront6targetE1EEEvSK_, .Lfunc_end571-_ZN7rocprim17ROCPRIM_400000_NS6detail17trampoline_kernelINS0_14default_configENS1_35radix_sort_onesweep_config_selectorIfNS0_10empty_typeEEEZZNS1_29radix_sort_onesweep_iterationIS3_Lb0EN6thrust23THRUST_200600_302600_NS6detail15normal_iteratorINS9_10device_ptrIfEEEESE_PS5_SF_jNS0_19identity_decomposerENS1_16block_id_wrapperIjLb1EEEEE10hipError_tT1_PNSt15iterator_traitsISK_E10value_typeET2_T3_PNSL_ISQ_E10value_typeET4_T5_PSV_SW_PNS1_23onesweep_lookback_stateEbbT6_jjT7_P12ihipStream_tbENKUlT_T0_SK_SP_E_clISE_PfSF_SF_EEDaS13_S14_SK_SP_EUlS13_E_NS1_11comp_targetILNS1_3genE2ELNS1_11target_archE906ELNS1_3gpuE6ELNS1_3repE0EEENS1_47radix_sort_onesweep_sort_config_static_selectorELNS0_4arch9wavefront6targetE1EEEvSK_
                                        ; -- End function
	.set _ZN7rocprim17ROCPRIM_400000_NS6detail17trampoline_kernelINS0_14default_configENS1_35radix_sort_onesweep_config_selectorIfNS0_10empty_typeEEEZZNS1_29radix_sort_onesweep_iterationIS3_Lb0EN6thrust23THRUST_200600_302600_NS6detail15normal_iteratorINS9_10device_ptrIfEEEESE_PS5_SF_jNS0_19identity_decomposerENS1_16block_id_wrapperIjLb1EEEEE10hipError_tT1_PNSt15iterator_traitsISK_E10value_typeET2_T3_PNSL_ISQ_E10value_typeET4_T5_PSV_SW_PNS1_23onesweep_lookback_stateEbbT6_jjT7_P12ihipStream_tbENKUlT_T0_SK_SP_E_clISE_PfSF_SF_EEDaS13_S14_SK_SP_EUlS13_E_NS1_11comp_targetILNS1_3genE2ELNS1_11target_archE906ELNS1_3gpuE6ELNS1_3repE0EEENS1_47radix_sort_onesweep_sort_config_static_selectorELNS0_4arch9wavefront6targetE1EEEvSK_.num_vgpr, 0
	.set _ZN7rocprim17ROCPRIM_400000_NS6detail17trampoline_kernelINS0_14default_configENS1_35radix_sort_onesweep_config_selectorIfNS0_10empty_typeEEEZZNS1_29radix_sort_onesweep_iterationIS3_Lb0EN6thrust23THRUST_200600_302600_NS6detail15normal_iteratorINS9_10device_ptrIfEEEESE_PS5_SF_jNS0_19identity_decomposerENS1_16block_id_wrapperIjLb1EEEEE10hipError_tT1_PNSt15iterator_traitsISK_E10value_typeET2_T3_PNSL_ISQ_E10value_typeET4_T5_PSV_SW_PNS1_23onesweep_lookback_stateEbbT6_jjT7_P12ihipStream_tbENKUlT_T0_SK_SP_E_clISE_PfSF_SF_EEDaS13_S14_SK_SP_EUlS13_E_NS1_11comp_targetILNS1_3genE2ELNS1_11target_archE906ELNS1_3gpuE6ELNS1_3repE0EEENS1_47radix_sort_onesweep_sort_config_static_selectorELNS0_4arch9wavefront6targetE1EEEvSK_.num_agpr, 0
	.set _ZN7rocprim17ROCPRIM_400000_NS6detail17trampoline_kernelINS0_14default_configENS1_35radix_sort_onesweep_config_selectorIfNS0_10empty_typeEEEZZNS1_29radix_sort_onesweep_iterationIS3_Lb0EN6thrust23THRUST_200600_302600_NS6detail15normal_iteratorINS9_10device_ptrIfEEEESE_PS5_SF_jNS0_19identity_decomposerENS1_16block_id_wrapperIjLb1EEEEE10hipError_tT1_PNSt15iterator_traitsISK_E10value_typeET2_T3_PNSL_ISQ_E10value_typeET4_T5_PSV_SW_PNS1_23onesweep_lookback_stateEbbT6_jjT7_P12ihipStream_tbENKUlT_T0_SK_SP_E_clISE_PfSF_SF_EEDaS13_S14_SK_SP_EUlS13_E_NS1_11comp_targetILNS1_3genE2ELNS1_11target_archE906ELNS1_3gpuE6ELNS1_3repE0EEENS1_47radix_sort_onesweep_sort_config_static_selectorELNS0_4arch9wavefront6targetE1EEEvSK_.numbered_sgpr, 0
	.set _ZN7rocprim17ROCPRIM_400000_NS6detail17trampoline_kernelINS0_14default_configENS1_35radix_sort_onesweep_config_selectorIfNS0_10empty_typeEEEZZNS1_29radix_sort_onesweep_iterationIS3_Lb0EN6thrust23THRUST_200600_302600_NS6detail15normal_iteratorINS9_10device_ptrIfEEEESE_PS5_SF_jNS0_19identity_decomposerENS1_16block_id_wrapperIjLb1EEEEE10hipError_tT1_PNSt15iterator_traitsISK_E10value_typeET2_T3_PNSL_ISQ_E10value_typeET4_T5_PSV_SW_PNS1_23onesweep_lookback_stateEbbT6_jjT7_P12ihipStream_tbENKUlT_T0_SK_SP_E_clISE_PfSF_SF_EEDaS13_S14_SK_SP_EUlS13_E_NS1_11comp_targetILNS1_3genE2ELNS1_11target_archE906ELNS1_3gpuE6ELNS1_3repE0EEENS1_47radix_sort_onesweep_sort_config_static_selectorELNS0_4arch9wavefront6targetE1EEEvSK_.num_named_barrier, 0
	.set _ZN7rocprim17ROCPRIM_400000_NS6detail17trampoline_kernelINS0_14default_configENS1_35radix_sort_onesweep_config_selectorIfNS0_10empty_typeEEEZZNS1_29radix_sort_onesweep_iterationIS3_Lb0EN6thrust23THRUST_200600_302600_NS6detail15normal_iteratorINS9_10device_ptrIfEEEESE_PS5_SF_jNS0_19identity_decomposerENS1_16block_id_wrapperIjLb1EEEEE10hipError_tT1_PNSt15iterator_traitsISK_E10value_typeET2_T3_PNSL_ISQ_E10value_typeET4_T5_PSV_SW_PNS1_23onesweep_lookback_stateEbbT6_jjT7_P12ihipStream_tbENKUlT_T0_SK_SP_E_clISE_PfSF_SF_EEDaS13_S14_SK_SP_EUlS13_E_NS1_11comp_targetILNS1_3genE2ELNS1_11target_archE906ELNS1_3gpuE6ELNS1_3repE0EEENS1_47radix_sort_onesweep_sort_config_static_selectorELNS0_4arch9wavefront6targetE1EEEvSK_.private_seg_size, 0
	.set _ZN7rocprim17ROCPRIM_400000_NS6detail17trampoline_kernelINS0_14default_configENS1_35radix_sort_onesweep_config_selectorIfNS0_10empty_typeEEEZZNS1_29radix_sort_onesweep_iterationIS3_Lb0EN6thrust23THRUST_200600_302600_NS6detail15normal_iteratorINS9_10device_ptrIfEEEESE_PS5_SF_jNS0_19identity_decomposerENS1_16block_id_wrapperIjLb1EEEEE10hipError_tT1_PNSt15iterator_traitsISK_E10value_typeET2_T3_PNSL_ISQ_E10value_typeET4_T5_PSV_SW_PNS1_23onesweep_lookback_stateEbbT6_jjT7_P12ihipStream_tbENKUlT_T0_SK_SP_E_clISE_PfSF_SF_EEDaS13_S14_SK_SP_EUlS13_E_NS1_11comp_targetILNS1_3genE2ELNS1_11target_archE906ELNS1_3gpuE6ELNS1_3repE0EEENS1_47radix_sort_onesweep_sort_config_static_selectorELNS0_4arch9wavefront6targetE1EEEvSK_.uses_vcc, 0
	.set _ZN7rocprim17ROCPRIM_400000_NS6detail17trampoline_kernelINS0_14default_configENS1_35radix_sort_onesweep_config_selectorIfNS0_10empty_typeEEEZZNS1_29radix_sort_onesweep_iterationIS3_Lb0EN6thrust23THRUST_200600_302600_NS6detail15normal_iteratorINS9_10device_ptrIfEEEESE_PS5_SF_jNS0_19identity_decomposerENS1_16block_id_wrapperIjLb1EEEEE10hipError_tT1_PNSt15iterator_traitsISK_E10value_typeET2_T3_PNSL_ISQ_E10value_typeET4_T5_PSV_SW_PNS1_23onesweep_lookback_stateEbbT6_jjT7_P12ihipStream_tbENKUlT_T0_SK_SP_E_clISE_PfSF_SF_EEDaS13_S14_SK_SP_EUlS13_E_NS1_11comp_targetILNS1_3genE2ELNS1_11target_archE906ELNS1_3gpuE6ELNS1_3repE0EEENS1_47radix_sort_onesweep_sort_config_static_selectorELNS0_4arch9wavefront6targetE1EEEvSK_.uses_flat_scratch, 0
	.set _ZN7rocprim17ROCPRIM_400000_NS6detail17trampoline_kernelINS0_14default_configENS1_35radix_sort_onesweep_config_selectorIfNS0_10empty_typeEEEZZNS1_29radix_sort_onesweep_iterationIS3_Lb0EN6thrust23THRUST_200600_302600_NS6detail15normal_iteratorINS9_10device_ptrIfEEEESE_PS5_SF_jNS0_19identity_decomposerENS1_16block_id_wrapperIjLb1EEEEE10hipError_tT1_PNSt15iterator_traitsISK_E10value_typeET2_T3_PNSL_ISQ_E10value_typeET4_T5_PSV_SW_PNS1_23onesweep_lookback_stateEbbT6_jjT7_P12ihipStream_tbENKUlT_T0_SK_SP_E_clISE_PfSF_SF_EEDaS13_S14_SK_SP_EUlS13_E_NS1_11comp_targetILNS1_3genE2ELNS1_11target_archE906ELNS1_3gpuE6ELNS1_3repE0EEENS1_47radix_sort_onesweep_sort_config_static_selectorELNS0_4arch9wavefront6targetE1EEEvSK_.has_dyn_sized_stack, 0
	.set _ZN7rocprim17ROCPRIM_400000_NS6detail17trampoline_kernelINS0_14default_configENS1_35radix_sort_onesweep_config_selectorIfNS0_10empty_typeEEEZZNS1_29radix_sort_onesweep_iterationIS3_Lb0EN6thrust23THRUST_200600_302600_NS6detail15normal_iteratorINS9_10device_ptrIfEEEESE_PS5_SF_jNS0_19identity_decomposerENS1_16block_id_wrapperIjLb1EEEEE10hipError_tT1_PNSt15iterator_traitsISK_E10value_typeET2_T3_PNSL_ISQ_E10value_typeET4_T5_PSV_SW_PNS1_23onesweep_lookback_stateEbbT6_jjT7_P12ihipStream_tbENKUlT_T0_SK_SP_E_clISE_PfSF_SF_EEDaS13_S14_SK_SP_EUlS13_E_NS1_11comp_targetILNS1_3genE2ELNS1_11target_archE906ELNS1_3gpuE6ELNS1_3repE0EEENS1_47radix_sort_onesweep_sort_config_static_selectorELNS0_4arch9wavefront6targetE1EEEvSK_.has_recursion, 0
	.set _ZN7rocprim17ROCPRIM_400000_NS6detail17trampoline_kernelINS0_14default_configENS1_35radix_sort_onesweep_config_selectorIfNS0_10empty_typeEEEZZNS1_29radix_sort_onesweep_iterationIS3_Lb0EN6thrust23THRUST_200600_302600_NS6detail15normal_iteratorINS9_10device_ptrIfEEEESE_PS5_SF_jNS0_19identity_decomposerENS1_16block_id_wrapperIjLb1EEEEE10hipError_tT1_PNSt15iterator_traitsISK_E10value_typeET2_T3_PNSL_ISQ_E10value_typeET4_T5_PSV_SW_PNS1_23onesweep_lookback_stateEbbT6_jjT7_P12ihipStream_tbENKUlT_T0_SK_SP_E_clISE_PfSF_SF_EEDaS13_S14_SK_SP_EUlS13_E_NS1_11comp_targetILNS1_3genE2ELNS1_11target_archE906ELNS1_3gpuE6ELNS1_3repE0EEENS1_47radix_sort_onesweep_sort_config_static_selectorELNS0_4arch9wavefront6targetE1EEEvSK_.has_indirect_call, 0
	.section	.AMDGPU.csdata,"",@progbits
; Kernel info:
; codeLenInByte = 0
; TotalNumSgprs: 6
; NumVgprs: 0
; NumAgprs: 0
; TotalNumVgprs: 0
; ScratchSize: 0
; MemoryBound: 0
; FloatMode: 240
; IeeeMode: 1
; LDSByteSize: 0 bytes/workgroup (compile time only)
; SGPRBlocks: 0
; VGPRBlocks: 0
; NumSGPRsForWavesPerEU: 6
; NumVGPRsForWavesPerEU: 1
; AccumOffset: 4
; Occupancy: 8
; WaveLimiterHint : 0
; COMPUTE_PGM_RSRC2:SCRATCH_EN: 0
; COMPUTE_PGM_RSRC2:USER_SGPR: 2
; COMPUTE_PGM_RSRC2:TRAP_HANDLER: 0
; COMPUTE_PGM_RSRC2:TGID_X_EN: 1
; COMPUTE_PGM_RSRC2:TGID_Y_EN: 0
; COMPUTE_PGM_RSRC2:TGID_Z_EN: 0
; COMPUTE_PGM_RSRC2:TIDIG_COMP_CNT: 0
; COMPUTE_PGM_RSRC3_GFX90A:ACCUM_OFFSET: 0
; COMPUTE_PGM_RSRC3_GFX90A:TG_SPLIT: 0
	.section	.text._ZN7rocprim17ROCPRIM_400000_NS6detail17trampoline_kernelINS0_14default_configENS1_35radix_sort_onesweep_config_selectorIfNS0_10empty_typeEEEZZNS1_29radix_sort_onesweep_iterationIS3_Lb0EN6thrust23THRUST_200600_302600_NS6detail15normal_iteratorINS9_10device_ptrIfEEEESE_PS5_SF_jNS0_19identity_decomposerENS1_16block_id_wrapperIjLb1EEEEE10hipError_tT1_PNSt15iterator_traitsISK_E10value_typeET2_T3_PNSL_ISQ_E10value_typeET4_T5_PSV_SW_PNS1_23onesweep_lookback_stateEbbT6_jjT7_P12ihipStream_tbENKUlT_T0_SK_SP_E_clISE_PfSF_SF_EEDaS13_S14_SK_SP_EUlS13_E_NS1_11comp_targetILNS1_3genE4ELNS1_11target_archE910ELNS1_3gpuE8ELNS1_3repE0EEENS1_47radix_sort_onesweep_sort_config_static_selectorELNS0_4arch9wavefront6targetE1EEEvSK_,"axG",@progbits,_ZN7rocprim17ROCPRIM_400000_NS6detail17trampoline_kernelINS0_14default_configENS1_35radix_sort_onesweep_config_selectorIfNS0_10empty_typeEEEZZNS1_29radix_sort_onesweep_iterationIS3_Lb0EN6thrust23THRUST_200600_302600_NS6detail15normal_iteratorINS9_10device_ptrIfEEEESE_PS5_SF_jNS0_19identity_decomposerENS1_16block_id_wrapperIjLb1EEEEE10hipError_tT1_PNSt15iterator_traitsISK_E10value_typeET2_T3_PNSL_ISQ_E10value_typeET4_T5_PSV_SW_PNS1_23onesweep_lookback_stateEbbT6_jjT7_P12ihipStream_tbENKUlT_T0_SK_SP_E_clISE_PfSF_SF_EEDaS13_S14_SK_SP_EUlS13_E_NS1_11comp_targetILNS1_3genE4ELNS1_11target_archE910ELNS1_3gpuE8ELNS1_3repE0EEENS1_47radix_sort_onesweep_sort_config_static_selectorELNS0_4arch9wavefront6targetE1EEEvSK_,comdat
	.protected	_ZN7rocprim17ROCPRIM_400000_NS6detail17trampoline_kernelINS0_14default_configENS1_35radix_sort_onesweep_config_selectorIfNS0_10empty_typeEEEZZNS1_29radix_sort_onesweep_iterationIS3_Lb0EN6thrust23THRUST_200600_302600_NS6detail15normal_iteratorINS9_10device_ptrIfEEEESE_PS5_SF_jNS0_19identity_decomposerENS1_16block_id_wrapperIjLb1EEEEE10hipError_tT1_PNSt15iterator_traitsISK_E10value_typeET2_T3_PNSL_ISQ_E10value_typeET4_T5_PSV_SW_PNS1_23onesweep_lookback_stateEbbT6_jjT7_P12ihipStream_tbENKUlT_T0_SK_SP_E_clISE_PfSF_SF_EEDaS13_S14_SK_SP_EUlS13_E_NS1_11comp_targetILNS1_3genE4ELNS1_11target_archE910ELNS1_3gpuE8ELNS1_3repE0EEENS1_47radix_sort_onesweep_sort_config_static_selectorELNS0_4arch9wavefront6targetE1EEEvSK_ ; -- Begin function _ZN7rocprim17ROCPRIM_400000_NS6detail17trampoline_kernelINS0_14default_configENS1_35radix_sort_onesweep_config_selectorIfNS0_10empty_typeEEEZZNS1_29radix_sort_onesweep_iterationIS3_Lb0EN6thrust23THRUST_200600_302600_NS6detail15normal_iteratorINS9_10device_ptrIfEEEESE_PS5_SF_jNS0_19identity_decomposerENS1_16block_id_wrapperIjLb1EEEEE10hipError_tT1_PNSt15iterator_traitsISK_E10value_typeET2_T3_PNSL_ISQ_E10value_typeET4_T5_PSV_SW_PNS1_23onesweep_lookback_stateEbbT6_jjT7_P12ihipStream_tbENKUlT_T0_SK_SP_E_clISE_PfSF_SF_EEDaS13_S14_SK_SP_EUlS13_E_NS1_11comp_targetILNS1_3genE4ELNS1_11target_archE910ELNS1_3gpuE8ELNS1_3repE0EEENS1_47radix_sort_onesweep_sort_config_static_selectorELNS0_4arch9wavefront6targetE1EEEvSK_
	.globl	_ZN7rocprim17ROCPRIM_400000_NS6detail17trampoline_kernelINS0_14default_configENS1_35radix_sort_onesweep_config_selectorIfNS0_10empty_typeEEEZZNS1_29radix_sort_onesweep_iterationIS3_Lb0EN6thrust23THRUST_200600_302600_NS6detail15normal_iteratorINS9_10device_ptrIfEEEESE_PS5_SF_jNS0_19identity_decomposerENS1_16block_id_wrapperIjLb1EEEEE10hipError_tT1_PNSt15iterator_traitsISK_E10value_typeET2_T3_PNSL_ISQ_E10value_typeET4_T5_PSV_SW_PNS1_23onesweep_lookback_stateEbbT6_jjT7_P12ihipStream_tbENKUlT_T0_SK_SP_E_clISE_PfSF_SF_EEDaS13_S14_SK_SP_EUlS13_E_NS1_11comp_targetILNS1_3genE4ELNS1_11target_archE910ELNS1_3gpuE8ELNS1_3repE0EEENS1_47radix_sort_onesweep_sort_config_static_selectorELNS0_4arch9wavefront6targetE1EEEvSK_
	.p2align	8
	.type	_ZN7rocprim17ROCPRIM_400000_NS6detail17trampoline_kernelINS0_14default_configENS1_35radix_sort_onesweep_config_selectorIfNS0_10empty_typeEEEZZNS1_29radix_sort_onesweep_iterationIS3_Lb0EN6thrust23THRUST_200600_302600_NS6detail15normal_iteratorINS9_10device_ptrIfEEEESE_PS5_SF_jNS0_19identity_decomposerENS1_16block_id_wrapperIjLb1EEEEE10hipError_tT1_PNSt15iterator_traitsISK_E10value_typeET2_T3_PNSL_ISQ_E10value_typeET4_T5_PSV_SW_PNS1_23onesweep_lookback_stateEbbT6_jjT7_P12ihipStream_tbENKUlT_T0_SK_SP_E_clISE_PfSF_SF_EEDaS13_S14_SK_SP_EUlS13_E_NS1_11comp_targetILNS1_3genE4ELNS1_11target_archE910ELNS1_3gpuE8ELNS1_3repE0EEENS1_47radix_sort_onesweep_sort_config_static_selectorELNS0_4arch9wavefront6targetE1EEEvSK_,@function
_ZN7rocprim17ROCPRIM_400000_NS6detail17trampoline_kernelINS0_14default_configENS1_35radix_sort_onesweep_config_selectorIfNS0_10empty_typeEEEZZNS1_29radix_sort_onesweep_iterationIS3_Lb0EN6thrust23THRUST_200600_302600_NS6detail15normal_iteratorINS9_10device_ptrIfEEEESE_PS5_SF_jNS0_19identity_decomposerENS1_16block_id_wrapperIjLb1EEEEE10hipError_tT1_PNSt15iterator_traitsISK_E10value_typeET2_T3_PNSL_ISQ_E10value_typeET4_T5_PSV_SW_PNS1_23onesweep_lookback_stateEbbT6_jjT7_P12ihipStream_tbENKUlT_T0_SK_SP_E_clISE_PfSF_SF_EEDaS13_S14_SK_SP_EUlS13_E_NS1_11comp_targetILNS1_3genE4ELNS1_11target_archE910ELNS1_3gpuE8ELNS1_3repE0EEENS1_47radix_sort_onesweep_sort_config_static_selectorELNS0_4arch9wavefront6targetE1EEEvSK_: ; @_ZN7rocprim17ROCPRIM_400000_NS6detail17trampoline_kernelINS0_14default_configENS1_35radix_sort_onesweep_config_selectorIfNS0_10empty_typeEEEZZNS1_29radix_sort_onesweep_iterationIS3_Lb0EN6thrust23THRUST_200600_302600_NS6detail15normal_iteratorINS9_10device_ptrIfEEEESE_PS5_SF_jNS0_19identity_decomposerENS1_16block_id_wrapperIjLb1EEEEE10hipError_tT1_PNSt15iterator_traitsISK_E10value_typeET2_T3_PNSL_ISQ_E10value_typeET4_T5_PSV_SW_PNS1_23onesweep_lookback_stateEbbT6_jjT7_P12ihipStream_tbENKUlT_T0_SK_SP_E_clISE_PfSF_SF_EEDaS13_S14_SK_SP_EUlS13_E_NS1_11comp_targetILNS1_3genE4ELNS1_11target_archE910ELNS1_3gpuE8ELNS1_3repE0EEENS1_47radix_sort_onesweep_sort_config_static_selectorELNS0_4arch9wavefront6targetE1EEEvSK_
; %bb.0:
	.section	.rodata,"a",@progbits
	.p2align	6, 0x0
	.amdhsa_kernel _ZN7rocprim17ROCPRIM_400000_NS6detail17trampoline_kernelINS0_14default_configENS1_35radix_sort_onesweep_config_selectorIfNS0_10empty_typeEEEZZNS1_29radix_sort_onesweep_iterationIS3_Lb0EN6thrust23THRUST_200600_302600_NS6detail15normal_iteratorINS9_10device_ptrIfEEEESE_PS5_SF_jNS0_19identity_decomposerENS1_16block_id_wrapperIjLb1EEEEE10hipError_tT1_PNSt15iterator_traitsISK_E10value_typeET2_T3_PNSL_ISQ_E10value_typeET4_T5_PSV_SW_PNS1_23onesweep_lookback_stateEbbT6_jjT7_P12ihipStream_tbENKUlT_T0_SK_SP_E_clISE_PfSF_SF_EEDaS13_S14_SK_SP_EUlS13_E_NS1_11comp_targetILNS1_3genE4ELNS1_11target_archE910ELNS1_3gpuE8ELNS1_3repE0EEENS1_47radix_sort_onesweep_sort_config_static_selectorELNS0_4arch9wavefront6targetE1EEEvSK_
		.amdhsa_group_segment_fixed_size 0
		.amdhsa_private_segment_fixed_size 0
		.amdhsa_kernarg_size 88
		.amdhsa_user_sgpr_count 2
		.amdhsa_user_sgpr_dispatch_ptr 0
		.amdhsa_user_sgpr_queue_ptr 0
		.amdhsa_user_sgpr_kernarg_segment_ptr 1
		.amdhsa_user_sgpr_dispatch_id 0
		.amdhsa_user_sgpr_kernarg_preload_length 0
		.amdhsa_user_sgpr_kernarg_preload_offset 0
		.amdhsa_user_sgpr_private_segment_size 0
		.amdhsa_uses_dynamic_stack 0
		.amdhsa_enable_private_segment 0
		.amdhsa_system_sgpr_workgroup_id_x 1
		.amdhsa_system_sgpr_workgroup_id_y 0
		.amdhsa_system_sgpr_workgroup_id_z 0
		.amdhsa_system_sgpr_workgroup_info 0
		.amdhsa_system_vgpr_workitem_id 0
		.amdhsa_next_free_vgpr 1
		.amdhsa_next_free_sgpr 0
		.amdhsa_accum_offset 4
		.amdhsa_reserve_vcc 0
		.amdhsa_float_round_mode_32 0
		.amdhsa_float_round_mode_16_64 0
		.amdhsa_float_denorm_mode_32 3
		.amdhsa_float_denorm_mode_16_64 3
		.amdhsa_dx10_clamp 1
		.amdhsa_ieee_mode 1
		.amdhsa_fp16_overflow 0
		.amdhsa_tg_split 0
		.amdhsa_exception_fp_ieee_invalid_op 0
		.amdhsa_exception_fp_denorm_src 0
		.amdhsa_exception_fp_ieee_div_zero 0
		.amdhsa_exception_fp_ieee_overflow 0
		.amdhsa_exception_fp_ieee_underflow 0
		.amdhsa_exception_fp_ieee_inexact 0
		.amdhsa_exception_int_div_zero 0
	.end_amdhsa_kernel
	.section	.text._ZN7rocprim17ROCPRIM_400000_NS6detail17trampoline_kernelINS0_14default_configENS1_35radix_sort_onesweep_config_selectorIfNS0_10empty_typeEEEZZNS1_29radix_sort_onesweep_iterationIS3_Lb0EN6thrust23THRUST_200600_302600_NS6detail15normal_iteratorINS9_10device_ptrIfEEEESE_PS5_SF_jNS0_19identity_decomposerENS1_16block_id_wrapperIjLb1EEEEE10hipError_tT1_PNSt15iterator_traitsISK_E10value_typeET2_T3_PNSL_ISQ_E10value_typeET4_T5_PSV_SW_PNS1_23onesweep_lookback_stateEbbT6_jjT7_P12ihipStream_tbENKUlT_T0_SK_SP_E_clISE_PfSF_SF_EEDaS13_S14_SK_SP_EUlS13_E_NS1_11comp_targetILNS1_3genE4ELNS1_11target_archE910ELNS1_3gpuE8ELNS1_3repE0EEENS1_47radix_sort_onesweep_sort_config_static_selectorELNS0_4arch9wavefront6targetE1EEEvSK_,"axG",@progbits,_ZN7rocprim17ROCPRIM_400000_NS6detail17trampoline_kernelINS0_14default_configENS1_35radix_sort_onesweep_config_selectorIfNS0_10empty_typeEEEZZNS1_29radix_sort_onesweep_iterationIS3_Lb0EN6thrust23THRUST_200600_302600_NS6detail15normal_iteratorINS9_10device_ptrIfEEEESE_PS5_SF_jNS0_19identity_decomposerENS1_16block_id_wrapperIjLb1EEEEE10hipError_tT1_PNSt15iterator_traitsISK_E10value_typeET2_T3_PNSL_ISQ_E10value_typeET4_T5_PSV_SW_PNS1_23onesweep_lookback_stateEbbT6_jjT7_P12ihipStream_tbENKUlT_T0_SK_SP_E_clISE_PfSF_SF_EEDaS13_S14_SK_SP_EUlS13_E_NS1_11comp_targetILNS1_3genE4ELNS1_11target_archE910ELNS1_3gpuE8ELNS1_3repE0EEENS1_47radix_sort_onesweep_sort_config_static_selectorELNS0_4arch9wavefront6targetE1EEEvSK_,comdat
.Lfunc_end572:
	.size	_ZN7rocprim17ROCPRIM_400000_NS6detail17trampoline_kernelINS0_14default_configENS1_35radix_sort_onesweep_config_selectorIfNS0_10empty_typeEEEZZNS1_29radix_sort_onesweep_iterationIS3_Lb0EN6thrust23THRUST_200600_302600_NS6detail15normal_iteratorINS9_10device_ptrIfEEEESE_PS5_SF_jNS0_19identity_decomposerENS1_16block_id_wrapperIjLb1EEEEE10hipError_tT1_PNSt15iterator_traitsISK_E10value_typeET2_T3_PNSL_ISQ_E10value_typeET4_T5_PSV_SW_PNS1_23onesweep_lookback_stateEbbT6_jjT7_P12ihipStream_tbENKUlT_T0_SK_SP_E_clISE_PfSF_SF_EEDaS13_S14_SK_SP_EUlS13_E_NS1_11comp_targetILNS1_3genE4ELNS1_11target_archE910ELNS1_3gpuE8ELNS1_3repE0EEENS1_47radix_sort_onesweep_sort_config_static_selectorELNS0_4arch9wavefront6targetE1EEEvSK_, .Lfunc_end572-_ZN7rocprim17ROCPRIM_400000_NS6detail17trampoline_kernelINS0_14default_configENS1_35radix_sort_onesweep_config_selectorIfNS0_10empty_typeEEEZZNS1_29radix_sort_onesweep_iterationIS3_Lb0EN6thrust23THRUST_200600_302600_NS6detail15normal_iteratorINS9_10device_ptrIfEEEESE_PS5_SF_jNS0_19identity_decomposerENS1_16block_id_wrapperIjLb1EEEEE10hipError_tT1_PNSt15iterator_traitsISK_E10value_typeET2_T3_PNSL_ISQ_E10value_typeET4_T5_PSV_SW_PNS1_23onesweep_lookback_stateEbbT6_jjT7_P12ihipStream_tbENKUlT_T0_SK_SP_E_clISE_PfSF_SF_EEDaS13_S14_SK_SP_EUlS13_E_NS1_11comp_targetILNS1_3genE4ELNS1_11target_archE910ELNS1_3gpuE8ELNS1_3repE0EEENS1_47radix_sort_onesweep_sort_config_static_selectorELNS0_4arch9wavefront6targetE1EEEvSK_
                                        ; -- End function
	.set _ZN7rocprim17ROCPRIM_400000_NS6detail17trampoline_kernelINS0_14default_configENS1_35radix_sort_onesweep_config_selectorIfNS0_10empty_typeEEEZZNS1_29radix_sort_onesweep_iterationIS3_Lb0EN6thrust23THRUST_200600_302600_NS6detail15normal_iteratorINS9_10device_ptrIfEEEESE_PS5_SF_jNS0_19identity_decomposerENS1_16block_id_wrapperIjLb1EEEEE10hipError_tT1_PNSt15iterator_traitsISK_E10value_typeET2_T3_PNSL_ISQ_E10value_typeET4_T5_PSV_SW_PNS1_23onesweep_lookback_stateEbbT6_jjT7_P12ihipStream_tbENKUlT_T0_SK_SP_E_clISE_PfSF_SF_EEDaS13_S14_SK_SP_EUlS13_E_NS1_11comp_targetILNS1_3genE4ELNS1_11target_archE910ELNS1_3gpuE8ELNS1_3repE0EEENS1_47radix_sort_onesweep_sort_config_static_selectorELNS0_4arch9wavefront6targetE1EEEvSK_.num_vgpr, 0
	.set _ZN7rocprim17ROCPRIM_400000_NS6detail17trampoline_kernelINS0_14default_configENS1_35radix_sort_onesweep_config_selectorIfNS0_10empty_typeEEEZZNS1_29radix_sort_onesweep_iterationIS3_Lb0EN6thrust23THRUST_200600_302600_NS6detail15normal_iteratorINS9_10device_ptrIfEEEESE_PS5_SF_jNS0_19identity_decomposerENS1_16block_id_wrapperIjLb1EEEEE10hipError_tT1_PNSt15iterator_traitsISK_E10value_typeET2_T3_PNSL_ISQ_E10value_typeET4_T5_PSV_SW_PNS1_23onesweep_lookback_stateEbbT6_jjT7_P12ihipStream_tbENKUlT_T0_SK_SP_E_clISE_PfSF_SF_EEDaS13_S14_SK_SP_EUlS13_E_NS1_11comp_targetILNS1_3genE4ELNS1_11target_archE910ELNS1_3gpuE8ELNS1_3repE0EEENS1_47radix_sort_onesweep_sort_config_static_selectorELNS0_4arch9wavefront6targetE1EEEvSK_.num_agpr, 0
	.set _ZN7rocprim17ROCPRIM_400000_NS6detail17trampoline_kernelINS0_14default_configENS1_35radix_sort_onesweep_config_selectorIfNS0_10empty_typeEEEZZNS1_29radix_sort_onesweep_iterationIS3_Lb0EN6thrust23THRUST_200600_302600_NS6detail15normal_iteratorINS9_10device_ptrIfEEEESE_PS5_SF_jNS0_19identity_decomposerENS1_16block_id_wrapperIjLb1EEEEE10hipError_tT1_PNSt15iterator_traitsISK_E10value_typeET2_T3_PNSL_ISQ_E10value_typeET4_T5_PSV_SW_PNS1_23onesweep_lookback_stateEbbT6_jjT7_P12ihipStream_tbENKUlT_T0_SK_SP_E_clISE_PfSF_SF_EEDaS13_S14_SK_SP_EUlS13_E_NS1_11comp_targetILNS1_3genE4ELNS1_11target_archE910ELNS1_3gpuE8ELNS1_3repE0EEENS1_47radix_sort_onesweep_sort_config_static_selectorELNS0_4arch9wavefront6targetE1EEEvSK_.numbered_sgpr, 0
	.set _ZN7rocprim17ROCPRIM_400000_NS6detail17trampoline_kernelINS0_14default_configENS1_35radix_sort_onesweep_config_selectorIfNS0_10empty_typeEEEZZNS1_29radix_sort_onesweep_iterationIS3_Lb0EN6thrust23THRUST_200600_302600_NS6detail15normal_iteratorINS9_10device_ptrIfEEEESE_PS5_SF_jNS0_19identity_decomposerENS1_16block_id_wrapperIjLb1EEEEE10hipError_tT1_PNSt15iterator_traitsISK_E10value_typeET2_T3_PNSL_ISQ_E10value_typeET4_T5_PSV_SW_PNS1_23onesweep_lookback_stateEbbT6_jjT7_P12ihipStream_tbENKUlT_T0_SK_SP_E_clISE_PfSF_SF_EEDaS13_S14_SK_SP_EUlS13_E_NS1_11comp_targetILNS1_3genE4ELNS1_11target_archE910ELNS1_3gpuE8ELNS1_3repE0EEENS1_47radix_sort_onesweep_sort_config_static_selectorELNS0_4arch9wavefront6targetE1EEEvSK_.num_named_barrier, 0
	.set _ZN7rocprim17ROCPRIM_400000_NS6detail17trampoline_kernelINS0_14default_configENS1_35radix_sort_onesweep_config_selectorIfNS0_10empty_typeEEEZZNS1_29radix_sort_onesweep_iterationIS3_Lb0EN6thrust23THRUST_200600_302600_NS6detail15normal_iteratorINS9_10device_ptrIfEEEESE_PS5_SF_jNS0_19identity_decomposerENS1_16block_id_wrapperIjLb1EEEEE10hipError_tT1_PNSt15iterator_traitsISK_E10value_typeET2_T3_PNSL_ISQ_E10value_typeET4_T5_PSV_SW_PNS1_23onesweep_lookback_stateEbbT6_jjT7_P12ihipStream_tbENKUlT_T0_SK_SP_E_clISE_PfSF_SF_EEDaS13_S14_SK_SP_EUlS13_E_NS1_11comp_targetILNS1_3genE4ELNS1_11target_archE910ELNS1_3gpuE8ELNS1_3repE0EEENS1_47radix_sort_onesweep_sort_config_static_selectorELNS0_4arch9wavefront6targetE1EEEvSK_.private_seg_size, 0
	.set _ZN7rocprim17ROCPRIM_400000_NS6detail17trampoline_kernelINS0_14default_configENS1_35radix_sort_onesweep_config_selectorIfNS0_10empty_typeEEEZZNS1_29radix_sort_onesweep_iterationIS3_Lb0EN6thrust23THRUST_200600_302600_NS6detail15normal_iteratorINS9_10device_ptrIfEEEESE_PS5_SF_jNS0_19identity_decomposerENS1_16block_id_wrapperIjLb1EEEEE10hipError_tT1_PNSt15iterator_traitsISK_E10value_typeET2_T3_PNSL_ISQ_E10value_typeET4_T5_PSV_SW_PNS1_23onesweep_lookback_stateEbbT6_jjT7_P12ihipStream_tbENKUlT_T0_SK_SP_E_clISE_PfSF_SF_EEDaS13_S14_SK_SP_EUlS13_E_NS1_11comp_targetILNS1_3genE4ELNS1_11target_archE910ELNS1_3gpuE8ELNS1_3repE0EEENS1_47radix_sort_onesweep_sort_config_static_selectorELNS0_4arch9wavefront6targetE1EEEvSK_.uses_vcc, 0
	.set _ZN7rocprim17ROCPRIM_400000_NS6detail17trampoline_kernelINS0_14default_configENS1_35radix_sort_onesweep_config_selectorIfNS0_10empty_typeEEEZZNS1_29radix_sort_onesweep_iterationIS3_Lb0EN6thrust23THRUST_200600_302600_NS6detail15normal_iteratorINS9_10device_ptrIfEEEESE_PS5_SF_jNS0_19identity_decomposerENS1_16block_id_wrapperIjLb1EEEEE10hipError_tT1_PNSt15iterator_traitsISK_E10value_typeET2_T3_PNSL_ISQ_E10value_typeET4_T5_PSV_SW_PNS1_23onesweep_lookback_stateEbbT6_jjT7_P12ihipStream_tbENKUlT_T0_SK_SP_E_clISE_PfSF_SF_EEDaS13_S14_SK_SP_EUlS13_E_NS1_11comp_targetILNS1_3genE4ELNS1_11target_archE910ELNS1_3gpuE8ELNS1_3repE0EEENS1_47radix_sort_onesweep_sort_config_static_selectorELNS0_4arch9wavefront6targetE1EEEvSK_.uses_flat_scratch, 0
	.set _ZN7rocprim17ROCPRIM_400000_NS6detail17trampoline_kernelINS0_14default_configENS1_35radix_sort_onesweep_config_selectorIfNS0_10empty_typeEEEZZNS1_29radix_sort_onesweep_iterationIS3_Lb0EN6thrust23THRUST_200600_302600_NS6detail15normal_iteratorINS9_10device_ptrIfEEEESE_PS5_SF_jNS0_19identity_decomposerENS1_16block_id_wrapperIjLb1EEEEE10hipError_tT1_PNSt15iterator_traitsISK_E10value_typeET2_T3_PNSL_ISQ_E10value_typeET4_T5_PSV_SW_PNS1_23onesweep_lookback_stateEbbT6_jjT7_P12ihipStream_tbENKUlT_T0_SK_SP_E_clISE_PfSF_SF_EEDaS13_S14_SK_SP_EUlS13_E_NS1_11comp_targetILNS1_3genE4ELNS1_11target_archE910ELNS1_3gpuE8ELNS1_3repE0EEENS1_47radix_sort_onesweep_sort_config_static_selectorELNS0_4arch9wavefront6targetE1EEEvSK_.has_dyn_sized_stack, 0
	.set _ZN7rocprim17ROCPRIM_400000_NS6detail17trampoline_kernelINS0_14default_configENS1_35radix_sort_onesweep_config_selectorIfNS0_10empty_typeEEEZZNS1_29radix_sort_onesweep_iterationIS3_Lb0EN6thrust23THRUST_200600_302600_NS6detail15normal_iteratorINS9_10device_ptrIfEEEESE_PS5_SF_jNS0_19identity_decomposerENS1_16block_id_wrapperIjLb1EEEEE10hipError_tT1_PNSt15iterator_traitsISK_E10value_typeET2_T3_PNSL_ISQ_E10value_typeET4_T5_PSV_SW_PNS1_23onesweep_lookback_stateEbbT6_jjT7_P12ihipStream_tbENKUlT_T0_SK_SP_E_clISE_PfSF_SF_EEDaS13_S14_SK_SP_EUlS13_E_NS1_11comp_targetILNS1_3genE4ELNS1_11target_archE910ELNS1_3gpuE8ELNS1_3repE0EEENS1_47radix_sort_onesweep_sort_config_static_selectorELNS0_4arch9wavefront6targetE1EEEvSK_.has_recursion, 0
	.set _ZN7rocprim17ROCPRIM_400000_NS6detail17trampoline_kernelINS0_14default_configENS1_35radix_sort_onesweep_config_selectorIfNS0_10empty_typeEEEZZNS1_29radix_sort_onesweep_iterationIS3_Lb0EN6thrust23THRUST_200600_302600_NS6detail15normal_iteratorINS9_10device_ptrIfEEEESE_PS5_SF_jNS0_19identity_decomposerENS1_16block_id_wrapperIjLb1EEEEE10hipError_tT1_PNSt15iterator_traitsISK_E10value_typeET2_T3_PNSL_ISQ_E10value_typeET4_T5_PSV_SW_PNS1_23onesweep_lookback_stateEbbT6_jjT7_P12ihipStream_tbENKUlT_T0_SK_SP_E_clISE_PfSF_SF_EEDaS13_S14_SK_SP_EUlS13_E_NS1_11comp_targetILNS1_3genE4ELNS1_11target_archE910ELNS1_3gpuE8ELNS1_3repE0EEENS1_47radix_sort_onesweep_sort_config_static_selectorELNS0_4arch9wavefront6targetE1EEEvSK_.has_indirect_call, 0
	.section	.AMDGPU.csdata,"",@progbits
; Kernel info:
; codeLenInByte = 0
; TotalNumSgprs: 6
; NumVgprs: 0
; NumAgprs: 0
; TotalNumVgprs: 0
; ScratchSize: 0
; MemoryBound: 0
; FloatMode: 240
; IeeeMode: 1
; LDSByteSize: 0 bytes/workgroup (compile time only)
; SGPRBlocks: 0
; VGPRBlocks: 0
; NumSGPRsForWavesPerEU: 6
; NumVGPRsForWavesPerEU: 1
; AccumOffset: 4
; Occupancy: 8
; WaveLimiterHint : 0
; COMPUTE_PGM_RSRC2:SCRATCH_EN: 0
; COMPUTE_PGM_RSRC2:USER_SGPR: 2
; COMPUTE_PGM_RSRC2:TRAP_HANDLER: 0
; COMPUTE_PGM_RSRC2:TGID_X_EN: 1
; COMPUTE_PGM_RSRC2:TGID_Y_EN: 0
; COMPUTE_PGM_RSRC2:TGID_Z_EN: 0
; COMPUTE_PGM_RSRC2:TIDIG_COMP_CNT: 0
; COMPUTE_PGM_RSRC3_GFX90A:ACCUM_OFFSET: 0
; COMPUTE_PGM_RSRC3_GFX90A:TG_SPLIT: 0
	.section	.text._ZN7rocprim17ROCPRIM_400000_NS6detail17trampoline_kernelINS0_14default_configENS1_35radix_sort_onesweep_config_selectorIfNS0_10empty_typeEEEZZNS1_29radix_sort_onesweep_iterationIS3_Lb0EN6thrust23THRUST_200600_302600_NS6detail15normal_iteratorINS9_10device_ptrIfEEEESE_PS5_SF_jNS0_19identity_decomposerENS1_16block_id_wrapperIjLb1EEEEE10hipError_tT1_PNSt15iterator_traitsISK_E10value_typeET2_T3_PNSL_ISQ_E10value_typeET4_T5_PSV_SW_PNS1_23onesweep_lookback_stateEbbT6_jjT7_P12ihipStream_tbENKUlT_T0_SK_SP_E_clISE_PfSF_SF_EEDaS13_S14_SK_SP_EUlS13_E_NS1_11comp_targetILNS1_3genE3ELNS1_11target_archE908ELNS1_3gpuE7ELNS1_3repE0EEENS1_47radix_sort_onesweep_sort_config_static_selectorELNS0_4arch9wavefront6targetE1EEEvSK_,"axG",@progbits,_ZN7rocprim17ROCPRIM_400000_NS6detail17trampoline_kernelINS0_14default_configENS1_35radix_sort_onesweep_config_selectorIfNS0_10empty_typeEEEZZNS1_29radix_sort_onesweep_iterationIS3_Lb0EN6thrust23THRUST_200600_302600_NS6detail15normal_iteratorINS9_10device_ptrIfEEEESE_PS5_SF_jNS0_19identity_decomposerENS1_16block_id_wrapperIjLb1EEEEE10hipError_tT1_PNSt15iterator_traitsISK_E10value_typeET2_T3_PNSL_ISQ_E10value_typeET4_T5_PSV_SW_PNS1_23onesweep_lookback_stateEbbT6_jjT7_P12ihipStream_tbENKUlT_T0_SK_SP_E_clISE_PfSF_SF_EEDaS13_S14_SK_SP_EUlS13_E_NS1_11comp_targetILNS1_3genE3ELNS1_11target_archE908ELNS1_3gpuE7ELNS1_3repE0EEENS1_47radix_sort_onesweep_sort_config_static_selectorELNS0_4arch9wavefront6targetE1EEEvSK_,comdat
	.protected	_ZN7rocprim17ROCPRIM_400000_NS6detail17trampoline_kernelINS0_14default_configENS1_35radix_sort_onesweep_config_selectorIfNS0_10empty_typeEEEZZNS1_29radix_sort_onesweep_iterationIS3_Lb0EN6thrust23THRUST_200600_302600_NS6detail15normal_iteratorINS9_10device_ptrIfEEEESE_PS5_SF_jNS0_19identity_decomposerENS1_16block_id_wrapperIjLb1EEEEE10hipError_tT1_PNSt15iterator_traitsISK_E10value_typeET2_T3_PNSL_ISQ_E10value_typeET4_T5_PSV_SW_PNS1_23onesweep_lookback_stateEbbT6_jjT7_P12ihipStream_tbENKUlT_T0_SK_SP_E_clISE_PfSF_SF_EEDaS13_S14_SK_SP_EUlS13_E_NS1_11comp_targetILNS1_3genE3ELNS1_11target_archE908ELNS1_3gpuE7ELNS1_3repE0EEENS1_47radix_sort_onesweep_sort_config_static_selectorELNS0_4arch9wavefront6targetE1EEEvSK_ ; -- Begin function _ZN7rocprim17ROCPRIM_400000_NS6detail17trampoline_kernelINS0_14default_configENS1_35radix_sort_onesweep_config_selectorIfNS0_10empty_typeEEEZZNS1_29radix_sort_onesweep_iterationIS3_Lb0EN6thrust23THRUST_200600_302600_NS6detail15normal_iteratorINS9_10device_ptrIfEEEESE_PS5_SF_jNS0_19identity_decomposerENS1_16block_id_wrapperIjLb1EEEEE10hipError_tT1_PNSt15iterator_traitsISK_E10value_typeET2_T3_PNSL_ISQ_E10value_typeET4_T5_PSV_SW_PNS1_23onesweep_lookback_stateEbbT6_jjT7_P12ihipStream_tbENKUlT_T0_SK_SP_E_clISE_PfSF_SF_EEDaS13_S14_SK_SP_EUlS13_E_NS1_11comp_targetILNS1_3genE3ELNS1_11target_archE908ELNS1_3gpuE7ELNS1_3repE0EEENS1_47radix_sort_onesweep_sort_config_static_selectorELNS0_4arch9wavefront6targetE1EEEvSK_
	.globl	_ZN7rocprim17ROCPRIM_400000_NS6detail17trampoline_kernelINS0_14default_configENS1_35radix_sort_onesweep_config_selectorIfNS0_10empty_typeEEEZZNS1_29radix_sort_onesweep_iterationIS3_Lb0EN6thrust23THRUST_200600_302600_NS6detail15normal_iteratorINS9_10device_ptrIfEEEESE_PS5_SF_jNS0_19identity_decomposerENS1_16block_id_wrapperIjLb1EEEEE10hipError_tT1_PNSt15iterator_traitsISK_E10value_typeET2_T3_PNSL_ISQ_E10value_typeET4_T5_PSV_SW_PNS1_23onesweep_lookback_stateEbbT6_jjT7_P12ihipStream_tbENKUlT_T0_SK_SP_E_clISE_PfSF_SF_EEDaS13_S14_SK_SP_EUlS13_E_NS1_11comp_targetILNS1_3genE3ELNS1_11target_archE908ELNS1_3gpuE7ELNS1_3repE0EEENS1_47radix_sort_onesweep_sort_config_static_selectorELNS0_4arch9wavefront6targetE1EEEvSK_
	.p2align	8
	.type	_ZN7rocprim17ROCPRIM_400000_NS6detail17trampoline_kernelINS0_14default_configENS1_35radix_sort_onesweep_config_selectorIfNS0_10empty_typeEEEZZNS1_29radix_sort_onesweep_iterationIS3_Lb0EN6thrust23THRUST_200600_302600_NS6detail15normal_iteratorINS9_10device_ptrIfEEEESE_PS5_SF_jNS0_19identity_decomposerENS1_16block_id_wrapperIjLb1EEEEE10hipError_tT1_PNSt15iterator_traitsISK_E10value_typeET2_T3_PNSL_ISQ_E10value_typeET4_T5_PSV_SW_PNS1_23onesweep_lookback_stateEbbT6_jjT7_P12ihipStream_tbENKUlT_T0_SK_SP_E_clISE_PfSF_SF_EEDaS13_S14_SK_SP_EUlS13_E_NS1_11comp_targetILNS1_3genE3ELNS1_11target_archE908ELNS1_3gpuE7ELNS1_3repE0EEENS1_47radix_sort_onesweep_sort_config_static_selectorELNS0_4arch9wavefront6targetE1EEEvSK_,@function
_ZN7rocprim17ROCPRIM_400000_NS6detail17trampoline_kernelINS0_14default_configENS1_35radix_sort_onesweep_config_selectorIfNS0_10empty_typeEEEZZNS1_29radix_sort_onesweep_iterationIS3_Lb0EN6thrust23THRUST_200600_302600_NS6detail15normal_iteratorINS9_10device_ptrIfEEEESE_PS5_SF_jNS0_19identity_decomposerENS1_16block_id_wrapperIjLb1EEEEE10hipError_tT1_PNSt15iterator_traitsISK_E10value_typeET2_T3_PNSL_ISQ_E10value_typeET4_T5_PSV_SW_PNS1_23onesweep_lookback_stateEbbT6_jjT7_P12ihipStream_tbENKUlT_T0_SK_SP_E_clISE_PfSF_SF_EEDaS13_S14_SK_SP_EUlS13_E_NS1_11comp_targetILNS1_3genE3ELNS1_11target_archE908ELNS1_3gpuE7ELNS1_3repE0EEENS1_47radix_sort_onesweep_sort_config_static_selectorELNS0_4arch9wavefront6targetE1EEEvSK_: ; @_ZN7rocprim17ROCPRIM_400000_NS6detail17trampoline_kernelINS0_14default_configENS1_35radix_sort_onesweep_config_selectorIfNS0_10empty_typeEEEZZNS1_29radix_sort_onesweep_iterationIS3_Lb0EN6thrust23THRUST_200600_302600_NS6detail15normal_iteratorINS9_10device_ptrIfEEEESE_PS5_SF_jNS0_19identity_decomposerENS1_16block_id_wrapperIjLb1EEEEE10hipError_tT1_PNSt15iterator_traitsISK_E10value_typeET2_T3_PNSL_ISQ_E10value_typeET4_T5_PSV_SW_PNS1_23onesweep_lookback_stateEbbT6_jjT7_P12ihipStream_tbENKUlT_T0_SK_SP_E_clISE_PfSF_SF_EEDaS13_S14_SK_SP_EUlS13_E_NS1_11comp_targetILNS1_3genE3ELNS1_11target_archE908ELNS1_3gpuE7ELNS1_3repE0EEENS1_47radix_sort_onesweep_sort_config_static_selectorELNS0_4arch9wavefront6targetE1EEEvSK_
; %bb.0:
	.section	.rodata,"a",@progbits
	.p2align	6, 0x0
	.amdhsa_kernel _ZN7rocprim17ROCPRIM_400000_NS6detail17trampoline_kernelINS0_14default_configENS1_35radix_sort_onesweep_config_selectorIfNS0_10empty_typeEEEZZNS1_29radix_sort_onesweep_iterationIS3_Lb0EN6thrust23THRUST_200600_302600_NS6detail15normal_iteratorINS9_10device_ptrIfEEEESE_PS5_SF_jNS0_19identity_decomposerENS1_16block_id_wrapperIjLb1EEEEE10hipError_tT1_PNSt15iterator_traitsISK_E10value_typeET2_T3_PNSL_ISQ_E10value_typeET4_T5_PSV_SW_PNS1_23onesweep_lookback_stateEbbT6_jjT7_P12ihipStream_tbENKUlT_T0_SK_SP_E_clISE_PfSF_SF_EEDaS13_S14_SK_SP_EUlS13_E_NS1_11comp_targetILNS1_3genE3ELNS1_11target_archE908ELNS1_3gpuE7ELNS1_3repE0EEENS1_47radix_sort_onesweep_sort_config_static_selectorELNS0_4arch9wavefront6targetE1EEEvSK_
		.amdhsa_group_segment_fixed_size 0
		.amdhsa_private_segment_fixed_size 0
		.amdhsa_kernarg_size 88
		.amdhsa_user_sgpr_count 2
		.amdhsa_user_sgpr_dispatch_ptr 0
		.amdhsa_user_sgpr_queue_ptr 0
		.amdhsa_user_sgpr_kernarg_segment_ptr 1
		.amdhsa_user_sgpr_dispatch_id 0
		.amdhsa_user_sgpr_kernarg_preload_length 0
		.amdhsa_user_sgpr_kernarg_preload_offset 0
		.amdhsa_user_sgpr_private_segment_size 0
		.amdhsa_uses_dynamic_stack 0
		.amdhsa_enable_private_segment 0
		.amdhsa_system_sgpr_workgroup_id_x 1
		.amdhsa_system_sgpr_workgroup_id_y 0
		.amdhsa_system_sgpr_workgroup_id_z 0
		.amdhsa_system_sgpr_workgroup_info 0
		.amdhsa_system_vgpr_workitem_id 0
		.amdhsa_next_free_vgpr 1
		.amdhsa_next_free_sgpr 0
		.amdhsa_accum_offset 4
		.amdhsa_reserve_vcc 0
		.amdhsa_float_round_mode_32 0
		.amdhsa_float_round_mode_16_64 0
		.amdhsa_float_denorm_mode_32 3
		.amdhsa_float_denorm_mode_16_64 3
		.amdhsa_dx10_clamp 1
		.amdhsa_ieee_mode 1
		.amdhsa_fp16_overflow 0
		.amdhsa_tg_split 0
		.amdhsa_exception_fp_ieee_invalid_op 0
		.amdhsa_exception_fp_denorm_src 0
		.amdhsa_exception_fp_ieee_div_zero 0
		.amdhsa_exception_fp_ieee_overflow 0
		.amdhsa_exception_fp_ieee_underflow 0
		.amdhsa_exception_fp_ieee_inexact 0
		.amdhsa_exception_int_div_zero 0
	.end_amdhsa_kernel
	.section	.text._ZN7rocprim17ROCPRIM_400000_NS6detail17trampoline_kernelINS0_14default_configENS1_35radix_sort_onesweep_config_selectorIfNS0_10empty_typeEEEZZNS1_29radix_sort_onesweep_iterationIS3_Lb0EN6thrust23THRUST_200600_302600_NS6detail15normal_iteratorINS9_10device_ptrIfEEEESE_PS5_SF_jNS0_19identity_decomposerENS1_16block_id_wrapperIjLb1EEEEE10hipError_tT1_PNSt15iterator_traitsISK_E10value_typeET2_T3_PNSL_ISQ_E10value_typeET4_T5_PSV_SW_PNS1_23onesweep_lookback_stateEbbT6_jjT7_P12ihipStream_tbENKUlT_T0_SK_SP_E_clISE_PfSF_SF_EEDaS13_S14_SK_SP_EUlS13_E_NS1_11comp_targetILNS1_3genE3ELNS1_11target_archE908ELNS1_3gpuE7ELNS1_3repE0EEENS1_47radix_sort_onesweep_sort_config_static_selectorELNS0_4arch9wavefront6targetE1EEEvSK_,"axG",@progbits,_ZN7rocprim17ROCPRIM_400000_NS6detail17trampoline_kernelINS0_14default_configENS1_35radix_sort_onesweep_config_selectorIfNS0_10empty_typeEEEZZNS1_29radix_sort_onesweep_iterationIS3_Lb0EN6thrust23THRUST_200600_302600_NS6detail15normal_iteratorINS9_10device_ptrIfEEEESE_PS5_SF_jNS0_19identity_decomposerENS1_16block_id_wrapperIjLb1EEEEE10hipError_tT1_PNSt15iterator_traitsISK_E10value_typeET2_T3_PNSL_ISQ_E10value_typeET4_T5_PSV_SW_PNS1_23onesweep_lookback_stateEbbT6_jjT7_P12ihipStream_tbENKUlT_T0_SK_SP_E_clISE_PfSF_SF_EEDaS13_S14_SK_SP_EUlS13_E_NS1_11comp_targetILNS1_3genE3ELNS1_11target_archE908ELNS1_3gpuE7ELNS1_3repE0EEENS1_47radix_sort_onesweep_sort_config_static_selectorELNS0_4arch9wavefront6targetE1EEEvSK_,comdat
.Lfunc_end573:
	.size	_ZN7rocprim17ROCPRIM_400000_NS6detail17trampoline_kernelINS0_14default_configENS1_35radix_sort_onesweep_config_selectorIfNS0_10empty_typeEEEZZNS1_29radix_sort_onesweep_iterationIS3_Lb0EN6thrust23THRUST_200600_302600_NS6detail15normal_iteratorINS9_10device_ptrIfEEEESE_PS5_SF_jNS0_19identity_decomposerENS1_16block_id_wrapperIjLb1EEEEE10hipError_tT1_PNSt15iterator_traitsISK_E10value_typeET2_T3_PNSL_ISQ_E10value_typeET4_T5_PSV_SW_PNS1_23onesweep_lookback_stateEbbT6_jjT7_P12ihipStream_tbENKUlT_T0_SK_SP_E_clISE_PfSF_SF_EEDaS13_S14_SK_SP_EUlS13_E_NS1_11comp_targetILNS1_3genE3ELNS1_11target_archE908ELNS1_3gpuE7ELNS1_3repE0EEENS1_47radix_sort_onesweep_sort_config_static_selectorELNS0_4arch9wavefront6targetE1EEEvSK_, .Lfunc_end573-_ZN7rocprim17ROCPRIM_400000_NS6detail17trampoline_kernelINS0_14default_configENS1_35radix_sort_onesweep_config_selectorIfNS0_10empty_typeEEEZZNS1_29radix_sort_onesweep_iterationIS3_Lb0EN6thrust23THRUST_200600_302600_NS6detail15normal_iteratorINS9_10device_ptrIfEEEESE_PS5_SF_jNS0_19identity_decomposerENS1_16block_id_wrapperIjLb1EEEEE10hipError_tT1_PNSt15iterator_traitsISK_E10value_typeET2_T3_PNSL_ISQ_E10value_typeET4_T5_PSV_SW_PNS1_23onesweep_lookback_stateEbbT6_jjT7_P12ihipStream_tbENKUlT_T0_SK_SP_E_clISE_PfSF_SF_EEDaS13_S14_SK_SP_EUlS13_E_NS1_11comp_targetILNS1_3genE3ELNS1_11target_archE908ELNS1_3gpuE7ELNS1_3repE0EEENS1_47radix_sort_onesweep_sort_config_static_selectorELNS0_4arch9wavefront6targetE1EEEvSK_
                                        ; -- End function
	.set _ZN7rocprim17ROCPRIM_400000_NS6detail17trampoline_kernelINS0_14default_configENS1_35radix_sort_onesweep_config_selectorIfNS0_10empty_typeEEEZZNS1_29radix_sort_onesweep_iterationIS3_Lb0EN6thrust23THRUST_200600_302600_NS6detail15normal_iteratorINS9_10device_ptrIfEEEESE_PS5_SF_jNS0_19identity_decomposerENS1_16block_id_wrapperIjLb1EEEEE10hipError_tT1_PNSt15iterator_traitsISK_E10value_typeET2_T3_PNSL_ISQ_E10value_typeET4_T5_PSV_SW_PNS1_23onesweep_lookback_stateEbbT6_jjT7_P12ihipStream_tbENKUlT_T0_SK_SP_E_clISE_PfSF_SF_EEDaS13_S14_SK_SP_EUlS13_E_NS1_11comp_targetILNS1_3genE3ELNS1_11target_archE908ELNS1_3gpuE7ELNS1_3repE0EEENS1_47radix_sort_onesweep_sort_config_static_selectorELNS0_4arch9wavefront6targetE1EEEvSK_.num_vgpr, 0
	.set _ZN7rocprim17ROCPRIM_400000_NS6detail17trampoline_kernelINS0_14default_configENS1_35radix_sort_onesweep_config_selectorIfNS0_10empty_typeEEEZZNS1_29radix_sort_onesweep_iterationIS3_Lb0EN6thrust23THRUST_200600_302600_NS6detail15normal_iteratorINS9_10device_ptrIfEEEESE_PS5_SF_jNS0_19identity_decomposerENS1_16block_id_wrapperIjLb1EEEEE10hipError_tT1_PNSt15iterator_traitsISK_E10value_typeET2_T3_PNSL_ISQ_E10value_typeET4_T5_PSV_SW_PNS1_23onesweep_lookback_stateEbbT6_jjT7_P12ihipStream_tbENKUlT_T0_SK_SP_E_clISE_PfSF_SF_EEDaS13_S14_SK_SP_EUlS13_E_NS1_11comp_targetILNS1_3genE3ELNS1_11target_archE908ELNS1_3gpuE7ELNS1_3repE0EEENS1_47radix_sort_onesweep_sort_config_static_selectorELNS0_4arch9wavefront6targetE1EEEvSK_.num_agpr, 0
	.set _ZN7rocprim17ROCPRIM_400000_NS6detail17trampoline_kernelINS0_14default_configENS1_35radix_sort_onesweep_config_selectorIfNS0_10empty_typeEEEZZNS1_29radix_sort_onesweep_iterationIS3_Lb0EN6thrust23THRUST_200600_302600_NS6detail15normal_iteratorINS9_10device_ptrIfEEEESE_PS5_SF_jNS0_19identity_decomposerENS1_16block_id_wrapperIjLb1EEEEE10hipError_tT1_PNSt15iterator_traitsISK_E10value_typeET2_T3_PNSL_ISQ_E10value_typeET4_T5_PSV_SW_PNS1_23onesweep_lookback_stateEbbT6_jjT7_P12ihipStream_tbENKUlT_T0_SK_SP_E_clISE_PfSF_SF_EEDaS13_S14_SK_SP_EUlS13_E_NS1_11comp_targetILNS1_3genE3ELNS1_11target_archE908ELNS1_3gpuE7ELNS1_3repE0EEENS1_47radix_sort_onesweep_sort_config_static_selectorELNS0_4arch9wavefront6targetE1EEEvSK_.numbered_sgpr, 0
	.set _ZN7rocprim17ROCPRIM_400000_NS6detail17trampoline_kernelINS0_14default_configENS1_35radix_sort_onesweep_config_selectorIfNS0_10empty_typeEEEZZNS1_29radix_sort_onesweep_iterationIS3_Lb0EN6thrust23THRUST_200600_302600_NS6detail15normal_iteratorINS9_10device_ptrIfEEEESE_PS5_SF_jNS0_19identity_decomposerENS1_16block_id_wrapperIjLb1EEEEE10hipError_tT1_PNSt15iterator_traitsISK_E10value_typeET2_T3_PNSL_ISQ_E10value_typeET4_T5_PSV_SW_PNS1_23onesweep_lookback_stateEbbT6_jjT7_P12ihipStream_tbENKUlT_T0_SK_SP_E_clISE_PfSF_SF_EEDaS13_S14_SK_SP_EUlS13_E_NS1_11comp_targetILNS1_3genE3ELNS1_11target_archE908ELNS1_3gpuE7ELNS1_3repE0EEENS1_47radix_sort_onesweep_sort_config_static_selectorELNS0_4arch9wavefront6targetE1EEEvSK_.num_named_barrier, 0
	.set _ZN7rocprim17ROCPRIM_400000_NS6detail17trampoline_kernelINS0_14default_configENS1_35radix_sort_onesweep_config_selectorIfNS0_10empty_typeEEEZZNS1_29radix_sort_onesweep_iterationIS3_Lb0EN6thrust23THRUST_200600_302600_NS6detail15normal_iteratorINS9_10device_ptrIfEEEESE_PS5_SF_jNS0_19identity_decomposerENS1_16block_id_wrapperIjLb1EEEEE10hipError_tT1_PNSt15iterator_traitsISK_E10value_typeET2_T3_PNSL_ISQ_E10value_typeET4_T5_PSV_SW_PNS1_23onesweep_lookback_stateEbbT6_jjT7_P12ihipStream_tbENKUlT_T0_SK_SP_E_clISE_PfSF_SF_EEDaS13_S14_SK_SP_EUlS13_E_NS1_11comp_targetILNS1_3genE3ELNS1_11target_archE908ELNS1_3gpuE7ELNS1_3repE0EEENS1_47radix_sort_onesweep_sort_config_static_selectorELNS0_4arch9wavefront6targetE1EEEvSK_.private_seg_size, 0
	.set _ZN7rocprim17ROCPRIM_400000_NS6detail17trampoline_kernelINS0_14default_configENS1_35radix_sort_onesweep_config_selectorIfNS0_10empty_typeEEEZZNS1_29radix_sort_onesweep_iterationIS3_Lb0EN6thrust23THRUST_200600_302600_NS6detail15normal_iteratorINS9_10device_ptrIfEEEESE_PS5_SF_jNS0_19identity_decomposerENS1_16block_id_wrapperIjLb1EEEEE10hipError_tT1_PNSt15iterator_traitsISK_E10value_typeET2_T3_PNSL_ISQ_E10value_typeET4_T5_PSV_SW_PNS1_23onesweep_lookback_stateEbbT6_jjT7_P12ihipStream_tbENKUlT_T0_SK_SP_E_clISE_PfSF_SF_EEDaS13_S14_SK_SP_EUlS13_E_NS1_11comp_targetILNS1_3genE3ELNS1_11target_archE908ELNS1_3gpuE7ELNS1_3repE0EEENS1_47radix_sort_onesweep_sort_config_static_selectorELNS0_4arch9wavefront6targetE1EEEvSK_.uses_vcc, 0
	.set _ZN7rocprim17ROCPRIM_400000_NS6detail17trampoline_kernelINS0_14default_configENS1_35radix_sort_onesweep_config_selectorIfNS0_10empty_typeEEEZZNS1_29radix_sort_onesweep_iterationIS3_Lb0EN6thrust23THRUST_200600_302600_NS6detail15normal_iteratorINS9_10device_ptrIfEEEESE_PS5_SF_jNS0_19identity_decomposerENS1_16block_id_wrapperIjLb1EEEEE10hipError_tT1_PNSt15iterator_traitsISK_E10value_typeET2_T3_PNSL_ISQ_E10value_typeET4_T5_PSV_SW_PNS1_23onesweep_lookback_stateEbbT6_jjT7_P12ihipStream_tbENKUlT_T0_SK_SP_E_clISE_PfSF_SF_EEDaS13_S14_SK_SP_EUlS13_E_NS1_11comp_targetILNS1_3genE3ELNS1_11target_archE908ELNS1_3gpuE7ELNS1_3repE0EEENS1_47radix_sort_onesweep_sort_config_static_selectorELNS0_4arch9wavefront6targetE1EEEvSK_.uses_flat_scratch, 0
	.set _ZN7rocprim17ROCPRIM_400000_NS6detail17trampoline_kernelINS0_14default_configENS1_35radix_sort_onesweep_config_selectorIfNS0_10empty_typeEEEZZNS1_29radix_sort_onesweep_iterationIS3_Lb0EN6thrust23THRUST_200600_302600_NS6detail15normal_iteratorINS9_10device_ptrIfEEEESE_PS5_SF_jNS0_19identity_decomposerENS1_16block_id_wrapperIjLb1EEEEE10hipError_tT1_PNSt15iterator_traitsISK_E10value_typeET2_T3_PNSL_ISQ_E10value_typeET4_T5_PSV_SW_PNS1_23onesweep_lookback_stateEbbT6_jjT7_P12ihipStream_tbENKUlT_T0_SK_SP_E_clISE_PfSF_SF_EEDaS13_S14_SK_SP_EUlS13_E_NS1_11comp_targetILNS1_3genE3ELNS1_11target_archE908ELNS1_3gpuE7ELNS1_3repE0EEENS1_47radix_sort_onesweep_sort_config_static_selectorELNS0_4arch9wavefront6targetE1EEEvSK_.has_dyn_sized_stack, 0
	.set _ZN7rocprim17ROCPRIM_400000_NS6detail17trampoline_kernelINS0_14default_configENS1_35radix_sort_onesweep_config_selectorIfNS0_10empty_typeEEEZZNS1_29radix_sort_onesweep_iterationIS3_Lb0EN6thrust23THRUST_200600_302600_NS6detail15normal_iteratorINS9_10device_ptrIfEEEESE_PS5_SF_jNS0_19identity_decomposerENS1_16block_id_wrapperIjLb1EEEEE10hipError_tT1_PNSt15iterator_traitsISK_E10value_typeET2_T3_PNSL_ISQ_E10value_typeET4_T5_PSV_SW_PNS1_23onesweep_lookback_stateEbbT6_jjT7_P12ihipStream_tbENKUlT_T0_SK_SP_E_clISE_PfSF_SF_EEDaS13_S14_SK_SP_EUlS13_E_NS1_11comp_targetILNS1_3genE3ELNS1_11target_archE908ELNS1_3gpuE7ELNS1_3repE0EEENS1_47radix_sort_onesweep_sort_config_static_selectorELNS0_4arch9wavefront6targetE1EEEvSK_.has_recursion, 0
	.set _ZN7rocprim17ROCPRIM_400000_NS6detail17trampoline_kernelINS0_14default_configENS1_35radix_sort_onesweep_config_selectorIfNS0_10empty_typeEEEZZNS1_29radix_sort_onesweep_iterationIS3_Lb0EN6thrust23THRUST_200600_302600_NS6detail15normal_iteratorINS9_10device_ptrIfEEEESE_PS5_SF_jNS0_19identity_decomposerENS1_16block_id_wrapperIjLb1EEEEE10hipError_tT1_PNSt15iterator_traitsISK_E10value_typeET2_T3_PNSL_ISQ_E10value_typeET4_T5_PSV_SW_PNS1_23onesweep_lookback_stateEbbT6_jjT7_P12ihipStream_tbENKUlT_T0_SK_SP_E_clISE_PfSF_SF_EEDaS13_S14_SK_SP_EUlS13_E_NS1_11comp_targetILNS1_3genE3ELNS1_11target_archE908ELNS1_3gpuE7ELNS1_3repE0EEENS1_47radix_sort_onesweep_sort_config_static_selectorELNS0_4arch9wavefront6targetE1EEEvSK_.has_indirect_call, 0
	.section	.AMDGPU.csdata,"",@progbits
; Kernel info:
; codeLenInByte = 0
; TotalNumSgprs: 6
; NumVgprs: 0
; NumAgprs: 0
; TotalNumVgprs: 0
; ScratchSize: 0
; MemoryBound: 0
; FloatMode: 240
; IeeeMode: 1
; LDSByteSize: 0 bytes/workgroup (compile time only)
; SGPRBlocks: 0
; VGPRBlocks: 0
; NumSGPRsForWavesPerEU: 6
; NumVGPRsForWavesPerEU: 1
; AccumOffset: 4
; Occupancy: 8
; WaveLimiterHint : 0
; COMPUTE_PGM_RSRC2:SCRATCH_EN: 0
; COMPUTE_PGM_RSRC2:USER_SGPR: 2
; COMPUTE_PGM_RSRC2:TRAP_HANDLER: 0
; COMPUTE_PGM_RSRC2:TGID_X_EN: 1
; COMPUTE_PGM_RSRC2:TGID_Y_EN: 0
; COMPUTE_PGM_RSRC2:TGID_Z_EN: 0
; COMPUTE_PGM_RSRC2:TIDIG_COMP_CNT: 0
; COMPUTE_PGM_RSRC3_GFX90A:ACCUM_OFFSET: 0
; COMPUTE_PGM_RSRC3_GFX90A:TG_SPLIT: 0
	.section	.text._ZN7rocprim17ROCPRIM_400000_NS6detail17trampoline_kernelINS0_14default_configENS1_35radix_sort_onesweep_config_selectorIfNS0_10empty_typeEEEZZNS1_29radix_sort_onesweep_iterationIS3_Lb0EN6thrust23THRUST_200600_302600_NS6detail15normal_iteratorINS9_10device_ptrIfEEEESE_PS5_SF_jNS0_19identity_decomposerENS1_16block_id_wrapperIjLb1EEEEE10hipError_tT1_PNSt15iterator_traitsISK_E10value_typeET2_T3_PNSL_ISQ_E10value_typeET4_T5_PSV_SW_PNS1_23onesweep_lookback_stateEbbT6_jjT7_P12ihipStream_tbENKUlT_T0_SK_SP_E_clISE_PfSF_SF_EEDaS13_S14_SK_SP_EUlS13_E_NS1_11comp_targetILNS1_3genE10ELNS1_11target_archE1201ELNS1_3gpuE5ELNS1_3repE0EEENS1_47radix_sort_onesweep_sort_config_static_selectorELNS0_4arch9wavefront6targetE1EEEvSK_,"axG",@progbits,_ZN7rocprim17ROCPRIM_400000_NS6detail17trampoline_kernelINS0_14default_configENS1_35radix_sort_onesweep_config_selectorIfNS0_10empty_typeEEEZZNS1_29radix_sort_onesweep_iterationIS3_Lb0EN6thrust23THRUST_200600_302600_NS6detail15normal_iteratorINS9_10device_ptrIfEEEESE_PS5_SF_jNS0_19identity_decomposerENS1_16block_id_wrapperIjLb1EEEEE10hipError_tT1_PNSt15iterator_traitsISK_E10value_typeET2_T3_PNSL_ISQ_E10value_typeET4_T5_PSV_SW_PNS1_23onesweep_lookback_stateEbbT6_jjT7_P12ihipStream_tbENKUlT_T0_SK_SP_E_clISE_PfSF_SF_EEDaS13_S14_SK_SP_EUlS13_E_NS1_11comp_targetILNS1_3genE10ELNS1_11target_archE1201ELNS1_3gpuE5ELNS1_3repE0EEENS1_47radix_sort_onesweep_sort_config_static_selectorELNS0_4arch9wavefront6targetE1EEEvSK_,comdat
	.protected	_ZN7rocprim17ROCPRIM_400000_NS6detail17trampoline_kernelINS0_14default_configENS1_35radix_sort_onesweep_config_selectorIfNS0_10empty_typeEEEZZNS1_29radix_sort_onesweep_iterationIS3_Lb0EN6thrust23THRUST_200600_302600_NS6detail15normal_iteratorINS9_10device_ptrIfEEEESE_PS5_SF_jNS0_19identity_decomposerENS1_16block_id_wrapperIjLb1EEEEE10hipError_tT1_PNSt15iterator_traitsISK_E10value_typeET2_T3_PNSL_ISQ_E10value_typeET4_T5_PSV_SW_PNS1_23onesweep_lookback_stateEbbT6_jjT7_P12ihipStream_tbENKUlT_T0_SK_SP_E_clISE_PfSF_SF_EEDaS13_S14_SK_SP_EUlS13_E_NS1_11comp_targetILNS1_3genE10ELNS1_11target_archE1201ELNS1_3gpuE5ELNS1_3repE0EEENS1_47radix_sort_onesweep_sort_config_static_selectorELNS0_4arch9wavefront6targetE1EEEvSK_ ; -- Begin function _ZN7rocprim17ROCPRIM_400000_NS6detail17trampoline_kernelINS0_14default_configENS1_35radix_sort_onesweep_config_selectorIfNS0_10empty_typeEEEZZNS1_29radix_sort_onesweep_iterationIS3_Lb0EN6thrust23THRUST_200600_302600_NS6detail15normal_iteratorINS9_10device_ptrIfEEEESE_PS5_SF_jNS0_19identity_decomposerENS1_16block_id_wrapperIjLb1EEEEE10hipError_tT1_PNSt15iterator_traitsISK_E10value_typeET2_T3_PNSL_ISQ_E10value_typeET4_T5_PSV_SW_PNS1_23onesweep_lookback_stateEbbT6_jjT7_P12ihipStream_tbENKUlT_T0_SK_SP_E_clISE_PfSF_SF_EEDaS13_S14_SK_SP_EUlS13_E_NS1_11comp_targetILNS1_3genE10ELNS1_11target_archE1201ELNS1_3gpuE5ELNS1_3repE0EEENS1_47radix_sort_onesweep_sort_config_static_selectorELNS0_4arch9wavefront6targetE1EEEvSK_
	.globl	_ZN7rocprim17ROCPRIM_400000_NS6detail17trampoline_kernelINS0_14default_configENS1_35radix_sort_onesweep_config_selectorIfNS0_10empty_typeEEEZZNS1_29radix_sort_onesweep_iterationIS3_Lb0EN6thrust23THRUST_200600_302600_NS6detail15normal_iteratorINS9_10device_ptrIfEEEESE_PS5_SF_jNS0_19identity_decomposerENS1_16block_id_wrapperIjLb1EEEEE10hipError_tT1_PNSt15iterator_traitsISK_E10value_typeET2_T3_PNSL_ISQ_E10value_typeET4_T5_PSV_SW_PNS1_23onesweep_lookback_stateEbbT6_jjT7_P12ihipStream_tbENKUlT_T0_SK_SP_E_clISE_PfSF_SF_EEDaS13_S14_SK_SP_EUlS13_E_NS1_11comp_targetILNS1_3genE10ELNS1_11target_archE1201ELNS1_3gpuE5ELNS1_3repE0EEENS1_47radix_sort_onesweep_sort_config_static_selectorELNS0_4arch9wavefront6targetE1EEEvSK_
	.p2align	8
	.type	_ZN7rocprim17ROCPRIM_400000_NS6detail17trampoline_kernelINS0_14default_configENS1_35radix_sort_onesweep_config_selectorIfNS0_10empty_typeEEEZZNS1_29radix_sort_onesweep_iterationIS3_Lb0EN6thrust23THRUST_200600_302600_NS6detail15normal_iteratorINS9_10device_ptrIfEEEESE_PS5_SF_jNS0_19identity_decomposerENS1_16block_id_wrapperIjLb1EEEEE10hipError_tT1_PNSt15iterator_traitsISK_E10value_typeET2_T3_PNSL_ISQ_E10value_typeET4_T5_PSV_SW_PNS1_23onesweep_lookback_stateEbbT6_jjT7_P12ihipStream_tbENKUlT_T0_SK_SP_E_clISE_PfSF_SF_EEDaS13_S14_SK_SP_EUlS13_E_NS1_11comp_targetILNS1_3genE10ELNS1_11target_archE1201ELNS1_3gpuE5ELNS1_3repE0EEENS1_47radix_sort_onesweep_sort_config_static_selectorELNS0_4arch9wavefront6targetE1EEEvSK_,@function
_ZN7rocprim17ROCPRIM_400000_NS6detail17trampoline_kernelINS0_14default_configENS1_35radix_sort_onesweep_config_selectorIfNS0_10empty_typeEEEZZNS1_29radix_sort_onesweep_iterationIS3_Lb0EN6thrust23THRUST_200600_302600_NS6detail15normal_iteratorINS9_10device_ptrIfEEEESE_PS5_SF_jNS0_19identity_decomposerENS1_16block_id_wrapperIjLb1EEEEE10hipError_tT1_PNSt15iterator_traitsISK_E10value_typeET2_T3_PNSL_ISQ_E10value_typeET4_T5_PSV_SW_PNS1_23onesweep_lookback_stateEbbT6_jjT7_P12ihipStream_tbENKUlT_T0_SK_SP_E_clISE_PfSF_SF_EEDaS13_S14_SK_SP_EUlS13_E_NS1_11comp_targetILNS1_3genE10ELNS1_11target_archE1201ELNS1_3gpuE5ELNS1_3repE0EEENS1_47radix_sort_onesweep_sort_config_static_selectorELNS0_4arch9wavefront6targetE1EEEvSK_: ; @_ZN7rocprim17ROCPRIM_400000_NS6detail17trampoline_kernelINS0_14default_configENS1_35radix_sort_onesweep_config_selectorIfNS0_10empty_typeEEEZZNS1_29radix_sort_onesweep_iterationIS3_Lb0EN6thrust23THRUST_200600_302600_NS6detail15normal_iteratorINS9_10device_ptrIfEEEESE_PS5_SF_jNS0_19identity_decomposerENS1_16block_id_wrapperIjLb1EEEEE10hipError_tT1_PNSt15iterator_traitsISK_E10value_typeET2_T3_PNSL_ISQ_E10value_typeET4_T5_PSV_SW_PNS1_23onesweep_lookback_stateEbbT6_jjT7_P12ihipStream_tbENKUlT_T0_SK_SP_E_clISE_PfSF_SF_EEDaS13_S14_SK_SP_EUlS13_E_NS1_11comp_targetILNS1_3genE10ELNS1_11target_archE1201ELNS1_3gpuE5ELNS1_3repE0EEENS1_47radix_sort_onesweep_sort_config_static_selectorELNS0_4arch9wavefront6targetE1EEEvSK_
; %bb.0:
	.section	.rodata,"a",@progbits
	.p2align	6, 0x0
	.amdhsa_kernel _ZN7rocprim17ROCPRIM_400000_NS6detail17trampoline_kernelINS0_14default_configENS1_35radix_sort_onesweep_config_selectorIfNS0_10empty_typeEEEZZNS1_29radix_sort_onesweep_iterationIS3_Lb0EN6thrust23THRUST_200600_302600_NS6detail15normal_iteratorINS9_10device_ptrIfEEEESE_PS5_SF_jNS0_19identity_decomposerENS1_16block_id_wrapperIjLb1EEEEE10hipError_tT1_PNSt15iterator_traitsISK_E10value_typeET2_T3_PNSL_ISQ_E10value_typeET4_T5_PSV_SW_PNS1_23onesweep_lookback_stateEbbT6_jjT7_P12ihipStream_tbENKUlT_T0_SK_SP_E_clISE_PfSF_SF_EEDaS13_S14_SK_SP_EUlS13_E_NS1_11comp_targetILNS1_3genE10ELNS1_11target_archE1201ELNS1_3gpuE5ELNS1_3repE0EEENS1_47radix_sort_onesweep_sort_config_static_selectorELNS0_4arch9wavefront6targetE1EEEvSK_
		.amdhsa_group_segment_fixed_size 0
		.amdhsa_private_segment_fixed_size 0
		.amdhsa_kernarg_size 88
		.amdhsa_user_sgpr_count 2
		.amdhsa_user_sgpr_dispatch_ptr 0
		.amdhsa_user_sgpr_queue_ptr 0
		.amdhsa_user_sgpr_kernarg_segment_ptr 1
		.amdhsa_user_sgpr_dispatch_id 0
		.amdhsa_user_sgpr_kernarg_preload_length 0
		.amdhsa_user_sgpr_kernarg_preload_offset 0
		.amdhsa_user_sgpr_private_segment_size 0
		.amdhsa_uses_dynamic_stack 0
		.amdhsa_enable_private_segment 0
		.amdhsa_system_sgpr_workgroup_id_x 1
		.amdhsa_system_sgpr_workgroup_id_y 0
		.amdhsa_system_sgpr_workgroup_id_z 0
		.amdhsa_system_sgpr_workgroup_info 0
		.amdhsa_system_vgpr_workitem_id 0
		.amdhsa_next_free_vgpr 1
		.amdhsa_next_free_sgpr 0
		.amdhsa_accum_offset 4
		.amdhsa_reserve_vcc 0
		.amdhsa_float_round_mode_32 0
		.amdhsa_float_round_mode_16_64 0
		.amdhsa_float_denorm_mode_32 3
		.amdhsa_float_denorm_mode_16_64 3
		.amdhsa_dx10_clamp 1
		.amdhsa_ieee_mode 1
		.amdhsa_fp16_overflow 0
		.amdhsa_tg_split 0
		.amdhsa_exception_fp_ieee_invalid_op 0
		.amdhsa_exception_fp_denorm_src 0
		.amdhsa_exception_fp_ieee_div_zero 0
		.amdhsa_exception_fp_ieee_overflow 0
		.amdhsa_exception_fp_ieee_underflow 0
		.amdhsa_exception_fp_ieee_inexact 0
		.amdhsa_exception_int_div_zero 0
	.end_amdhsa_kernel
	.section	.text._ZN7rocprim17ROCPRIM_400000_NS6detail17trampoline_kernelINS0_14default_configENS1_35radix_sort_onesweep_config_selectorIfNS0_10empty_typeEEEZZNS1_29radix_sort_onesweep_iterationIS3_Lb0EN6thrust23THRUST_200600_302600_NS6detail15normal_iteratorINS9_10device_ptrIfEEEESE_PS5_SF_jNS0_19identity_decomposerENS1_16block_id_wrapperIjLb1EEEEE10hipError_tT1_PNSt15iterator_traitsISK_E10value_typeET2_T3_PNSL_ISQ_E10value_typeET4_T5_PSV_SW_PNS1_23onesweep_lookback_stateEbbT6_jjT7_P12ihipStream_tbENKUlT_T0_SK_SP_E_clISE_PfSF_SF_EEDaS13_S14_SK_SP_EUlS13_E_NS1_11comp_targetILNS1_3genE10ELNS1_11target_archE1201ELNS1_3gpuE5ELNS1_3repE0EEENS1_47radix_sort_onesweep_sort_config_static_selectorELNS0_4arch9wavefront6targetE1EEEvSK_,"axG",@progbits,_ZN7rocprim17ROCPRIM_400000_NS6detail17trampoline_kernelINS0_14default_configENS1_35radix_sort_onesweep_config_selectorIfNS0_10empty_typeEEEZZNS1_29radix_sort_onesweep_iterationIS3_Lb0EN6thrust23THRUST_200600_302600_NS6detail15normal_iteratorINS9_10device_ptrIfEEEESE_PS5_SF_jNS0_19identity_decomposerENS1_16block_id_wrapperIjLb1EEEEE10hipError_tT1_PNSt15iterator_traitsISK_E10value_typeET2_T3_PNSL_ISQ_E10value_typeET4_T5_PSV_SW_PNS1_23onesweep_lookback_stateEbbT6_jjT7_P12ihipStream_tbENKUlT_T0_SK_SP_E_clISE_PfSF_SF_EEDaS13_S14_SK_SP_EUlS13_E_NS1_11comp_targetILNS1_3genE10ELNS1_11target_archE1201ELNS1_3gpuE5ELNS1_3repE0EEENS1_47radix_sort_onesweep_sort_config_static_selectorELNS0_4arch9wavefront6targetE1EEEvSK_,comdat
.Lfunc_end574:
	.size	_ZN7rocprim17ROCPRIM_400000_NS6detail17trampoline_kernelINS0_14default_configENS1_35radix_sort_onesweep_config_selectorIfNS0_10empty_typeEEEZZNS1_29radix_sort_onesweep_iterationIS3_Lb0EN6thrust23THRUST_200600_302600_NS6detail15normal_iteratorINS9_10device_ptrIfEEEESE_PS5_SF_jNS0_19identity_decomposerENS1_16block_id_wrapperIjLb1EEEEE10hipError_tT1_PNSt15iterator_traitsISK_E10value_typeET2_T3_PNSL_ISQ_E10value_typeET4_T5_PSV_SW_PNS1_23onesweep_lookback_stateEbbT6_jjT7_P12ihipStream_tbENKUlT_T0_SK_SP_E_clISE_PfSF_SF_EEDaS13_S14_SK_SP_EUlS13_E_NS1_11comp_targetILNS1_3genE10ELNS1_11target_archE1201ELNS1_3gpuE5ELNS1_3repE0EEENS1_47radix_sort_onesweep_sort_config_static_selectorELNS0_4arch9wavefront6targetE1EEEvSK_, .Lfunc_end574-_ZN7rocprim17ROCPRIM_400000_NS6detail17trampoline_kernelINS0_14default_configENS1_35radix_sort_onesweep_config_selectorIfNS0_10empty_typeEEEZZNS1_29radix_sort_onesweep_iterationIS3_Lb0EN6thrust23THRUST_200600_302600_NS6detail15normal_iteratorINS9_10device_ptrIfEEEESE_PS5_SF_jNS0_19identity_decomposerENS1_16block_id_wrapperIjLb1EEEEE10hipError_tT1_PNSt15iterator_traitsISK_E10value_typeET2_T3_PNSL_ISQ_E10value_typeET4_T5_PSV_SW_PNS1_23onesweep_lookback_stateEbbT6_jjT7_P12ihipStream_tbENKUlT_T0_SK_SP_E_clISE_PfSF_SF_EEDaS13_S14_SK_SP_EUlS13_E_NS1_11comp_targetILNS1_3genE10ELNS1_11target_archE1201ELNS1_3gpuE5ELNS1_3repE0EEENS1_47radix_sort_onesweep_sort_config_static_selectorELNS0_4arch9wavefront6targetE1EEEvSK_
                                        ; -- End function
	.set _ZN7rocprim17ROCPRIM_400000_NS6detail17trampoline_kernelINS0_14default_configENS1_35radix_sort_onesweep_config_selectorIfNS0_10empty_typeEEEZZNS1_29radix_sort_onesweep_iterationIS3_Lb0EN6thrust23THRUST_200600_302600_NS6detail15normal_iteratorINS9_10device_ptrIfEEEESE_PS5_SF_jNS0_19identity_decomposerENS1_16block_id_wrapperIjLb1EEEEE10hipError_tT1_PNSt15iterator_traitsISK_E10value_typeET2_T3_PNSL_ISQ_E10value_typeET4_T5_PSV_SW_PNS1_23onesweep_lookback_stateEbbT6_jjT7_P12ihipStream_tbENKUlT_T0_SK_SP_E_clISE_PfSF_SF_EEDaS13_S14_SK_SP_EUlS13_E_NS1_11comp_targetILNS1_3genE10ELNS1_11target_archE1201ELNS1_3gpuE5ELNS1_3repE0EEENS1_47radix_sort_onesweep_sort_config_static_selectorELNS0_4arch9wavefront6targetE1EEEvSK_.num_vgpr, 0
	.set _ZN7rocprim17ROCPRIM_400000_NS6detail17trampoline_kernelINS0_14default_configENS1_35radix_sort_onesweep_config_selectorIfNS0_10empty_typeEEEZZNS1_29radix_sort_onesweep_iterationIS3_Lb0EN6thrust23THRUST_200600_302600_NS6detail15normal_iteratorINS9_10device_ptrIfEEEESE_PS5_SF_jNS0_19identity_decomposerENS1_16block_id_wrapperIjLb1EEEEE10hipError_tT1_PNSt15iterator_traitsISK_E10value_typeET2_T3_PNSL_ISQ_E10value_typeET4_T5_PSV_SW_PNS1_23onesweep_lookback_stateEbbT6_jjT7_P12ihipStream_tbENKUlT_T0_SK_SP_E_clISE_PfSF_SF_EEDaS13_S14_SK_SP_EUlS13_E_NS1_11comp_targetILNS1_3genE10ELNS1_11target_archE1201ELNS1_3gpuE5ELNS1_3repE0EEENS1_47radix_sort_onesweep_sort_config_static_selectorELNS0_4arch9wavefront6targetE1EEEvSK_.num_agpr, 0
	.set _ZN7rocprim17ROCPRIM_400000_NS6detail17trampoline_kernelINS0_14default_configENS1_35radix_sort_onesweep_config_selectorIfNS0_10empty_typeEEEZZNS1_29radix_sort_onesweep_iterationIS3_Lb0EN6thrust23THRUST_200600_302600_NS6detail15normal_iteratorINS9_10device_ptrIfEEEESE_PS5_SF_jNS0_19identity_decomposerENS1_16block_id_wrapperIjLb1EEEEE10hipError_tT1_PNSt15iterator_traitsISK_E10value_typeET2_T3_PNSL_ISQ_E10value_typeET4_T5_PSV_SW_PNS1_23onesweep_lookback_stateEbbT6_jjT7_P12ihipStream_tbENKUlT_T0_SK_SP_E_clISE_PfSF_SF_EEDaS13_S14_SK_SP_EUlS13_E_NS1_11comp_targetILNS1_3genE10ELNS1_11target_archE1201ELNS1_3gpuE5ELNS1_3repE0EEENS1_47radix_sort_onesweep_sort_config_static_selectorELNS0_4arch9wavefront6targetE1EEEvSK_.numbered_sgpr, 0
	.set _ZN7rocprim17ROCPRIM_400000_NS6detail17trampoline_kernelINS0_14default_configENS1_35radix_sort_onesweep_config_selectorIfNS0_10empty_typeEEEZZNS1_29radix_sort_onesweep_iterationIS3_Lb0EN6thrust23THRUST_200600_302600_NS6detail15normal_iteratorINS9_10device_ptrIfEEEESE_PS5_SF_jNS0_19identity_decomposerENS1_16block_id_wrapperIjLb1EEEEE10hipError_tT1_PNSt15iterator_traitsISK_E10value_typeET2_T3_PNSL_ISQ_E10value_typeET4_T5_PSV_SW_PNS1_23onesweep_lookback_stateEbbT6_jjT7_P12ihipStream_tbENKUlT_T0_SK_SP_E_clISE_PfSF_SF_EEDaS13_S14_SK_SP_EUlS13_E_NS1_11comp_targetILNS1_3genE10ELNS1_11target_archE1201ELNS1_3gpuE5ELNS1_3repE0EEENS1_47radix_sort_onesweep_sort_config_static_selectorELNS0_4arch9wavefront6targetE1EEEvSK_.num_named_barrier, 0
	.set _ZN7rocprim17ROCPRIM_400000_NS6detail17trampoline_kernelINS0_14default_configENS1_35radix_sort_onesweep_config_selectorIfNS0_10empty_typeEEEZZNS1_29radix_sort_onesweep_iterationIS3_Lb0EN6thrust23THRUST_200600_302600_NS6detail15normal_iteratorINS9_10device_ptrIfEEEESE_PS5_SF_jNS0_19identity_decomposerENS1_16block_id_wrapperIjLb1EEEEE10hipError_tT1_PNSt15iterator_traitsISK_E10value_typeET2_T3_PNSL_ISQ_E10value_typeET4_T5_PSV_SW_PNS1_23onesweep_lookback_stateEbbT6_jjT7_P12ihipStream_tbENKUlT_T0_SK_SP_E_clISE_PfSF_SF_EEDaS13_S14_SK_SP_EUlS13_E_NS1_11comp_targetILNS1_3genE10ELNS1_11target_archE1201ELNS1_3gpuE5ELNS1_3repE0EEENS1_47radix_sort_onesweep_sort_config_static_selectorELNS0_4arch9wavefront6targetE1EEEvSK_.private_seg_size, 0
	.set _ZN7rocprim17ROCPRIM_400000_NS6detail17trampoline_kernelINS0_14default_configENS1_35radix_sort_onesweep_config_selectorIfNS0_10empty_typeEEEZZNS1_29radix_sort_onesweep_iterationIS3_Lb0EN6thrust23THRUST_200600_302600_NS6detail15normal_iteratorINS9_10device_ptrIfEEEESE_PS5_SF_jNS0_19identity_decomposerENS1_16block_id_wrapperIjLb1EEEEE10hipError_tT1_PNSt15iterator_traitsISK_E10value_typeET2_T3_PNSL_ISQ_E10value_typeET4_T5_PSV_SW_PNS1_23onesweep_lookback_stateEbbT6_jjT7_P12ihipStream_tbENKUlT_T0_SK_SP_E_clISE_PfSF_SF_EEDaS13_S14_SK_SP_EUlS13_E_NS1_11comp_targetILNS1_3genE10ELNS1_11target_archE1201ELNS1_3gpuE5ELNS1_3repE0EEENS1_47radix_sort_onesweep_sort_config_static_selectorELNS0_4arch9wavefront6targetE1EEEvSK_.uses_vcc, 0
	.set _ZN7rocprim17ROCPRIM_400000_NS6detail17trampoline_kernelINS0_14default_configENS1_35radix_sort_onesweep_config_selectorIfNS0_10empty_typeEEEZZNS1_29radix_sort_onesweep_iterationIS3_Lb0EN6thrust23THRUST_200600_302600_NS6detail15normal_iteratorINS9_10device_ptrIfEEEESE_PS5_SF_jNS0_19identity_decomposerENS1_16block_id_wrapperIjLb1EEEEE10hipError_tT1_PNSt15iterator_traitsISK_E10value_typeET2_T3_PNSL_ISQ_E10value_typeET4_T5_PSV_SW_PNS1_23onesweep_lookback_stateEbbT6_jjT7_P12ihipStream_tbENKUlT_T0_SK_SP_E_clISE_PfSF_SF_EEDaS13_S14_SK_SP_EUlS13_E_NS1_11comp_targetILNS1_3genE10ELNS1_11target_archE1201ELNS1_3gpuE5ELNS1_3repE0EEENS1_47radix_sort_onesweep_sort_config_static_selectorELNS0_4arch9wavefront6targetE1EEEvSK_.uses_flat_scratch, 0
	.set _ZN7rocprim17ROCPRIM_400000_NS6detail17trampoline_kernelINS0_14default_configENS1_35radix_sort_onesweep_config_selectorIfNS0_10empty_typeEEEZZNS1_29radix_sort_onesweep_iterationIS3_Lb0EN6thrust23THRUST_200600_302600_NS6detail15normal_iteratorINS9_10device_ptrIfEEEESE_PS5_SF_jNS0_19identity_decomposerENS1_16block_id_wrapperIjLb1EEEEE10hipError_tT1_PNSt15iterator_traitsISK_E10value_typeET2_T3_PNSL_ISQ_E10value_typeET4_T5_PSV_SW_PNS1_23onesweep_lookback_stateEbbT6_jjT7_P12ihipStream_tbENKUlT_T0_SK_SP_E_clISE_PfSF_SF_EEDaS13_S14_SK_SP_EUlS13_E_NS1_11comp_targetILNS1_3genE10ELNS1_11target_archE1201ELNS1_3gpuE5ELNS1_3repE0EEENS1_47radix_sort_onesweep_sort_config_static_selectorELNS0_4arch9wavefront6targetE1EEEvSK_.has_dyn_sized_stack, 0
	.set _ZN7rocprim17ROCPRIM_400000_NS6detail17trampoline_kernelINS0_14default_configENS1_35radix_sort_onesweep_config_selectorIfNS0_10empty_typeEEEZZNS1_29radix_sort_onesweep_iterationIS3_Lb0EN6thrust23THRUST_200600_302600_NS6detail15normal_iteratorINS9_10device_ptrIfEEEESE_PS5_SF_jNS0_19identity_decomposerENS1_16block_id_wrapperIjLb1EEEEE10hipError_tT1_PNSt15iterator_traitsISK_E10value_typeET2_T3_PNSL_ISQ_E10value_typeET4_T5_PSV_SW_PNS1_23onesweep_lookback_stateEbbT6_jjT7_P12ihipStream_tbENKUlT_T0_SK_SP_E_clISE_PfSF_SF_EEDaS13_S14_SK_SP_EUlS13_E_NS1_11comp_targetILNS1_3genE10ELNS1_11target_archE1201ELNS1_3gpuE5ELNS1_3repE0EEENS1_47radix_sort_onesweep_sort_config_static_selectorELNS0_4arch9wavefront6targetE1EEEvSK_.has_recursion, 0
	.set _ZN7rocprim17ROCPRIM_400000_NS6detail17trampoline_kernelINS0_14default_configENS1_35radix_sort_onesweep_config_selectorIfNS0_10empty_typeEEEZZNS1_29radix_sort_onesweep_iterationIS3_Lb0EN6thrust23THRUST_200600_302600_NS6detail15normal_iteratorINS9_10device_ptrIfEEEESE_PS5_SF_jNS0_19identity_decomposerENS1_16block_id_wrapperIjLb1EEEEE10hipError_tT1_PNSt15iterator_traitsISK_E10value_typeET2_T3_PNSL_ISQ_E10value_typeET4_T5_PSV_SW_PNS1_23onesweep_lookback_stateEbbT6_jjT7_P12ihipStream_tbENKUlT_T0_SK_SP_E_clISE_PfSF_SF_EEDaS13_S14_SK_SP_EUlS13_E_NS1_11comp_targetILNS1_3genE10ELNS1_11target_archE1201ELNS1_3gpuE5ELNS1_3repE0EEENS1_47radix_sort_onesweep_sort_config_static_selectorELNS0_4arch9wavefront6targetE1EEEvSK_.has_indirect_call, 0
	.section	.AMDGPU.csdata,"",@progbits
; Kernel info:
; codeLenInByte = 0
; TotalNumSgprs: 6
; NumVgprs: 0
; NumAgprs: 0
; TotalNumVgprs: 0
; ScratchSize: 0
; MemoryBound: 0
; FloatMode: 240
; IeeeMode: 1
; LDSByteSize: 0 bytes/workgroup (compile time only)
; SGPRBlocks: 0
; VGPRBlocks: 0
; NumSGPRsForWavesPerEU: 6
; NumVGPRsForWavesPerEU: 1
; AccumOffset: 4
; Occupancy: 8
; WaveLimiterHint : 0
; COMPUTE_PGM_RSRC2:SCRATCH_EN: 0
; COMPUTE_PGM_RSRC2:USER_SGPR: 2
; COMPUTE_PGM_RSRC2:TRAP_HANDLER: 0
; COMPUTE_PGM_RSRC2:TGID_X_EN: 1
; COMPUTE_PGM_RSRC2:TGID_Y_EN: 0
; COMPUTE_PGM_RSRC2:TGID_Z_EN: 0
; COMPUTE_PGM_RSRC2:TIDIG_COMP_CNT: 0
; COMPUTE_PGM_RSRC3_GFX90A:ACCUM_OFFSET: 0
; COMPUTE_PGM_RSRC3_GFX90A:TG_SPLIT: 0
	.section	.text._ZN7rocprim17ROCPRIM_400000_NS6detail17trampoline_kernelINS0_14default_configENS1_35radix_sort_onesweep_config_selectorIfNS0_10empty_typeEEEZZNS1_29radix_sort_onesweep_iterationIS3_Lb0EN6thrust23THRUST_200600_302600_NS6detail15normal_iteratorINS9_10device_ptrIfEEEESE_PS5_SF_jNS0_19identity_decomposerENS1_16block_id_wrapperIjLb1EEEEE10hipError_tT1_PNSt15iterator_traitsISK_E10value_typeET2_T3_PNSL_ISQ_E10value_typeET4_T5_PSV_SW_PNS1_23onesweep_lookback_stateEbbT6_jjT7_P12ihipStream_tbENKUlT_T0_SK_SP_E_clISE_PfSF_SF_EEDaS13_S14_SK_SP_EUlS13_E_NS1_11comp_targetILNS1_3genE9ELNS1_11target_archE1100ELNS1_3gpuE3ELNS1_3repE0EEENS1_47radix_sort_onesweep_sort_config_static_selectorELNS0_4arch9wavefront6targetE1EEEvSK_,"axG",@progbits,_ZN7rocprim17ROCPRIM_400000_NS6detail17trampoline_kernelINS0_14default_configENS1_35radix_sort_onesweep_config_selectorIfNS0_10empty_typeEEEZZNS1_29radix_sort_onesweep_iterationIS3_Lb0EN6thrust23THRUST_200600_302600_NS6detail15normal_iteratorINS9_10device_ptrIfEEEESE_PS5_SF_jNS0_19identity_decomposerENS1_16block_id_wrapperIjLb1EEEEE10hipError_tT1_PNSt15iterator_traitsISK_E10value_typeET2_T3_PNSL_ISQ_E10value_typeET4_T5_PSV_SW_PNS1_23onesweep_lookback_stateEbbT6_jjT7_P12ihipStream_tbENKUlT_T0_SK_SP_E_clISE_PfSF_SF_EEDaS13_S14_SK_SP_EUlS13_E_NS1_11comp_targetILNS1_3genE9ELNS1_11target_archE1100ELNS1_3gpuE3ELNS1_3repE0EEENS1_47radix_sort_onesweep_sort_config_static_selectorELNS0_4arch9wavefront6targetE1EEEvSK_,comdat
	.protected	_ZN7rocprim17ROCPRIM_400000_NS6detail17trampoline_kernelINS0_14default_configENS1_35radix_sort_onesweep_config_selectorIfNS0_10empty_typeEEEZZNS1_29radix_sort_onesweep_iterationIS3_Lb0EN6thrust23THRUST_200600_302600_NS6detail15normal_iteratorINS9_10device_ptrIfEEEESE_PS5_SF_jNS0_19identity_decomposerENS1_16block_id_wrapperIjLb1EEEEE10hipError_tT1_PNSt15iterator_traitsISK_E10value_typeET2_T3_PNSL_ISQ_E10value_typeET4_T5_PSV_SW_PNS1_23onesweep_lookback_stateEbbT6_jjT7_P12ihipStream_tbENKUlT_T0_SK_SP_E_clISE_PfSF_SF_EEDaS13_S14_SK_SP_EUlS13_E_NS1_11comp_targetILNS1_3genE9ELNS1_11target_archE1100ELNS1_3gpuE3ELNS1_3repE0EEENS1_47radix_sort_onesweep_sort_config_static_selectorELNS0_4arch9wavefront6targetE1EEEvSK_ ; -- Begin function _ZN7rocprim17ROCPRIM_400000_NS6detail17trampoline_kernelINS0_14default_configENS1_35radix_sort_onesweep_config_selectorIfNS0_10empty_typeEEEZZNS1_29radix_sort_onesweep_iterationIS3_Lb0EN6thrust23THRUST_200600_302600_NS6detail15normal_iteratorINS9_10device_ptrIfEEEESE_PS5_SF_jNS0_19identity_decomposerENS1_16block_id_wrapperIjLb1EEEEE10hipError_tT1_PNSt15iterator_traitsISK_E10value_typeET2_T3_PNSL_ISQ_E10value_typeET4_T5_PSV_SW_PNS1_23onesweep_lookback_stateEbbT6_jjT7_P12ihipStream_tbENKUlT_T0_SK_SP_E_clISE_PfSF_SF_EEDaS13_S14_SK_SP_EUlS13_E_NS1_11comp_targetILNS1_3genE9ELNS1_11target_archE1100ELNS1_3gpuE3ELNS1_3repE0EEENS1_47radix_sort_onesweep_sort_config_static_selectorELNS0_4arch9wavefront6targetE1EEEvSK_
	.globl	_ZN7rocprim17ROCPRIM_400000_NS6detail17trampoline_kernelINS0_14default_configENS1_35radix_sort_onesweep_config_selectorIfNS0_10empty_typeEEEZZNS1_29radix_sort_onesweep_iterationIS3_Lb0EN6thrust23THRUST_200600_302600_NS6detail15normal_iteratorINS9_10device_ptrIfEEEESE_PS5_SF_jNS0_19identity_decomposerENS1_16block_id_wrapperIjLb1EEEEE10hipError_tT1_PNSt15iterator_traitsISK_E10value_typeET2_T3_PNSL_ISQ_E10value_typeET4_T5_PSV_SW_PNS1_23onesweep_lookback_stateEbbT6_jjT7_P12ihipStream_tbENKUlT_T0_SK_SP_E_clISE_PfSF_SF_EEDaS13_S14_SK_SP_EUlS13_E_NS1_11comp_targetILNS1_3genE9ELNS1_11target_archE1100ELNS1_3gpuE3ELNS1_3repE0EEENS1_47radix_sort_onesweep_sort_config_static_selectorELNS0_4arch9wavefront6targetE1EEEvSK_
	.p2align	8
	.type	_ZN7rocprim17ROCPRIM_400000_NS6detail17trampoline_kernelINS0_14default_configENS1_35radix_sort_onesweep_config_selectorIfNS0_10empty_typeEEEZZNS1_29radix_sort_onesweep_iterationIS3_Lb0EN6thrust23THRUST_200600_302600_NS6detail15normal_iteratorINS9_10device_ptrIfEEEESE_PS5_SF_jNS0_19identity_decomposerENS1_16block_id_wrapperIjLb1EEEEE10hipError_tT1_PNSt15iterator_traitsISK_E10value_typeET2_T3_PNSL_ISQ_E10value_typeET4_T5_PSV_SW_PNS1_23onesweep_lookback_stateEbbT6_jjT7_P12ihipStream_tbENKUlT_T0_SK_SP_E_clISE_PfSF_SF_EEDaS13_S14_SK_SP_EUlS13_E_NS1_11comp_targetILNS1_3genE9ELNS1_11target_archE1100ELNS1_3gpuE3ELNS1_3repE0EEENS1_47radix_sort_onesweep_sort_config_static_selectorELNS0_4arch9wavefront6targetE1EEEvSK_,@function
_ZN7rocprim17ROCPRIM_400000_NS6detail17trampoline_kernelINS0_14default_configENS1_35radix_sort_onesweep_config_selectorIfNS0_10empty_typeEEEZZNS1_29radix_sort_onesweep_iterationIS3_Lb0EN6thrust23THRUST_200600_302600_NS6detail15normal_iteratorINS9_10device_ptrIfEEEESE_PS5_SF_jNS0_19identity_decomposerENS1_16block_id_wrapperIjLb1EEEEE10hipError_tT1_PNSt15iterator_traitsISK_E10value_typeET2_T3_PNSL_ISQ_E10value_typeET4_T5_PSV_SW_PNS1_23onesweep_lookback_stateEbbT6_jjT7_P12ihipStream_tbENKUlT_T0_SK_SP_E_clISE_PfSF_SF_EEDaS13_S14_SK_SP_EUlS13_E_NS1_11comp_targetILNS1_3genE9ELNS1_11target_archE1100ELNS1_3gpuE3ELNS1_3repE0EEENS1_47radix_sort_onesweep_sort_config_static_selectorELNS0_4arch9wavefront6targetE1EEEvSK_: ; @_ZN7rocprim17ROCPRIM_400000_NS6detail17trampoline_kernelINS0_14default_configENS1_35radix_sort_onesweep_config_selectorIfNS0_10empty_typeEEEZZNS1_29radix_sort_onesweep_iterationIS3_Lb0EN6thrust23THRUST_200600_302600_NS6detail15normal_iteratorINS9_10device_ptrIfEEEESE_PS5_SF_jNS0_19identity_decomposerENS1_16block_id_wrapperIjLb1EEEEE10hipError_tT1_PNSt15iterator_traitsISK_E10value_typeET2_T3_PNSL_ISQ_E10value_typeET4_T5_PSV_SW_PNS1_23onesweep_lookback_stateEbbT6_jjT7_P12ihipStream_tbENKUlT_T0_SK_SP_E_clISE_PfSF_SF_EEDaS13_S14_SK_SP_EUlS13_E_NS1_11comp_targetILNS1_3genE9ELNS1_11target_archE1100ELNS1_3gpuE3ELNS1_3repE0EEENS1_47radix_sort_onesweep_sort_config_static_selectorELNS0_4arch9wavefront6targetE1EEEvSK_
; %bb.0:
	.section	.rodata,"a",@progbits
	.p2align	6, 0x0
	.amdhsa_kernel _ZN7rocprim17ROCPRIM_400000_NS6detail17trampoline_kernelINS0_14default_configENS1_35radix_sort_onesweep_config_selectorIfNS0_10empty_typeEEEZZNS1_29radix_sort_onesweep_iterationIS3_Lb0EN6thrust23THRUST_200600_302600_NS6detail15normal_iteratorINS9_10device_ptrIfEEEESE_PS5_SF_jNS0_19identity_decomposerENS1_16block_id_wrapperIjLb1EEEEE10hipError_tT1_PNSt15iterator_traitsISK_E10value_typeET2_T3_PNSL_ISQ_E10value_typeET4_T5_PSV_SW_PNS1_23onesweep_lookback_stateEbbT6_jjT7_P12ihipStream_tbENKUlT_T0_SK_SP_E_clISE_PfSF_SF_EEDaS13_S14_SK_SP_EUlS13_E_NS1_11comp_targetILNS1_3genE9ELNS1_11target_archE1100ELNS1_3gpuE3ELNS1_3repE0EEENS1_47radix_sort_onesweep_sort_config_static_selectorELNS0_4arch9wavefront6targetE1EEEvSK_
		.amdhsa_group_segment_fixed_size 0
		.amdhsa_private_segment_fixed_size 0
		.amdhsa_kernarg_size 88
		.amdhsa_user_sgpr_count 2
		.amdhsa_user_sgpr_dispatch_ptr 0
		.amdhsa_user_sgpr_queue_ptr 0
		.amdhsa_user_sgpr_kernarg_segment_ptr 1
		.amdhsa_user_sgpr_dispatch_id 0
		.amdhsa_user_sgpr_kernarg_preload_length 0
		.amdhsa_user_sgpr_kernarg_preload_offset 0
		.amdhsa_user_sgpr_private_segment_size 0
		.amdhsa_uses_dynamic_stack 0
		.amdhsa_enable_private_segment 0
		.amdhsa_system_sgpr_workgroup_id_x 1
		.amdhsa_system_sgpr_workgroup_id_y 0
		.amdhsa_system_sgpr_workgroup_id_z 0
		.amdhsa_system_sgpr_workgroup_info 0
		.amdhsa_system_vgpr_workitem_id 0
		.amdhsa_next_free_vgpr 1
		.amdhsa_next_free_sgpr 0
		.amdhsa_accum_offset 4
		.amdhsa_reserve_vcc 0
		.amdhsa_float_round_mode_32 0
		.amdhsa_float_round_mode_16_64 0
		.amdhsa_float_denorm_mode_32 3
		.amdhsa_float_denorm_mode_16_64 3
		.amdhsa_dx10_clamp 1
		.amdhsa_ieee_mode 1
		.amdhsa_fp16_overflow 0
		.amdhsa_tg_split 0
		.amdhsa_exception_fp_ieee_invalid_op 0
		.amdhsa_exception_fp_denorm_src 0
		.amdhsa_exception_fp_ieee_div_zero 0
		.amdhsa_exception_fp_ieee_overflow 0
		.amdhsa_exception_fp_ieee_underflow 0
		.amdhsa_exception_fp_ieee_inexact 0
		.amdhsa_exception_int_div_zero 0
	.end_amdhsa_kernel
	.section	.text._ZN7rocprim17ROCPRIM_400000_NS6detail17trampoline_kernelINS0_14default_configENS1_35radix_sort_onesweep_config_selectorIfNS0_10empty_typeEEEZZNS1_29radix_sort_onesweep_iterationIS3_Lb0EN6thrust23THRUST_200600_302600_NS6detail15normal_iteratorINS9_10device_ptrIfEEEESE_PS5_SF_jNS0_19identity_decomposerENS1_16block_id_wrapperIjLb1EEEEE10hipError_tT1_PNSt15iterator_traitsISK_E10value_typeET2_T3_PNSL_ISQ_E10value_typeET4_T5_PSV_SW_PNS1_23onesweep_lookback_stateEbbT6_jjT7_P12ihipStream_tbENKUlT_T0_SK_SP_E_clISE_PfSF_SF_EEDaS13_S14_SK_SP_EUlS13_E_NS1_11comp_targetILNS1_3genE9ELNS1_11target_archE1100ELNS1_3gpuE3ELNS1_3repE0EEENS1_47radix_sort_onesweep_sort_config_static_selectorELNS0_4arch9wavefront6targetE1EEEvSK_,"axG",@progbits,_ZN7rocprim17ROCPRIM_400000_NS6detail17trampoline_kernelINS0_14default_configENS1_35radix_sort_onesweep_config_selectorIfNS0_10empty_typeEEEZZNS1_29radix_sort_onesweep_iterationIS3_Lb0EN6thrust23THRUST_200600_302600_NS6detail15normal_iteratorINS9_10device_ptrIfEEEESE_PS5_SF_jNS0_19identity_decomposerENS1_16block_id_wrapperIjLb1EEEEE10hipError_tT1_PNSt15iterator_traitsISK_E10value_typeET2_T3_PNSL_ISQ_E10value_typeET4_T5_PSV_SW_PNS1_23onesweep_lookback_stateEbbT6_jjT7_P12ihipStream_tbENKUlT_T0_SK_SP_E_clISE_PfSF_SF_EEDaS13_S14_SK_SP_EUlS13_E_NS1_11comp_targetILNS1_3genE9ELNS1_11target_archE1100ELNS1_3gpuE3ELNS1_3repE0EEENS1_47radix_sort_onesweep_sort_config_static_selectorELNS0_4arch9wavefront6targetE1EEEvSK_,comdat
.Lfunc_end575:
	.size	_ZN7rocprim17ROCPRIM_400000_NS6detail17trampoline_kernelINS0_14default_configENS1_35radix_sort_onesweep_config_selectorIfNS0_10empty_typeEEEZZNS1_29radix_sort_onesweep_iterationIS3_Lb0EN6thrust23THRUST_200600_302600_NS6detail15normal_iteratorINS9_10device_ptrIfEEEESE_PS5_SF_jNS0_19identity_decomposerENS1_16block_id_wrapperIjLb1EEEEE10hipError_tT1_PNSt15iterator_traitsISK_E10value_typeET2_T3_PNSL_ISQ_E10value_typeET4_T5_PSV_SW_PNS1_23onesweep_lookback_stateEbbT6_jjT7_P12ihipStream_tbENKUlT_T0_SK_SP_E_clISE_PfSF_SF_EEDaS13_S14_SK_SP_EUlS13_E_NS1_11comp_targetILNS1_3genE9ELNS1_11target_archE1100ELNS1_3gpuE3ELNS1_3repE0EEENS1_47radix_sort_onesweep_sort_config_static_selectorELNS0_4arch9wavefront6targetE1EEEvSK_, .Lfunc_end575-_ZN7rocprim17ROCPRIM_400000_NS6detail17trampoline_kernelINS0_14default_configENS1_35radix_sort_onesweep_config_selectorIfNS0_10empty_typeEEEZZNS1_29radix_sort_onesweep_iterationIS3_Lb0EN6thrust23THRUST_200600_302600_NS6detail15normal_iteratorINS9_10device_ptrIfEEEESE_PS5_SF_jNS0_19identity_decomposerENS1_16block_id_wrapperIjLb1EEEEE10hipError_tT1_PNSt15iterator_traitsISK_E10value_typeET2_T3_PNSL_ISQ_E10value_typeET4_T5_PSV_SW_PNS1_23onesweep_lookback_stateEbbT6_jjT7_P12ihipStream_tbENKUlT_T0_SK_SP_E_clISE_PfSF_SF_EEDaS13_S14_SK_SP_EUlS13_E_NS1_11comp_targetILNS1_3genE9ELNS1_11target_archE1100ELNS1_3gpuE3ELNS1_3repE0EEENS1_47radix_sort_onesweep_sort_config_static_selectorELNS0_4arch9wavefront6targetE1EEEvSK_
                                        ; -- End function
	.set _ZN7rocprim17ROCPRIM_400000_NS6detail17trampoline_kernelINS0_14default_configENS1_35radix_sort_onesweep_config_selectorIfNS0_10empty_typeEEEZZNS1_29radix_sort_onesweep_iterationIS3_Lb0EN6thrust23THRUST_200600_302600_NS6detail15normal_iteratorINS9_10device_ptrIfEEEESE_PS5_SF_jNS0_19identity_decomposerENS1_16block_id_wrapperIjLb1EEEEE10hipError_tT1_PNSt15iterator_traitsISK_E10value_typeET2_T3_PNSL_ISQ_E10value_typeET4_T5_PSV_SW_PNS1_23onesweep_lookback_stateEbbT6_jjT7_P12ihipStream_tbENKUlT_T0_SK_SP_E_clISE_PfSF_SF_EEDaS13_S14_SK_SP_EUlS13_E_NS1_11comp_targetILNS1_3genE9ELNS1_11target_archE1100ELNS1_3gpuE3ELNS1_3repE0EEENS1_47radix_sort_onesweep_sort_config_static_selectorELNS0_4arch9wavefront6targetE1EEEvSK_.num_vgpr, 0
	.set _ZN7rocprim17ROCPRIM_400000_NS6detail17trampoline_kernelINS0_14default_configENS1_35radix_sort_onesweep_config_selectorIfNS0_10empty_typeEEEZZNS1_29radix_sort_onesweep_iterationIS3_Lb0EN6thrust23THRUST_200600_302600_NS6detail15normal_iteratorINS9_10device_ptrIfEEEESE_PS5_SF_jNS0_19identity_decomposerENS1_16block_id_wrapperIjLb1EEEEE10hipError_tT1_PNSt15iterator_traitsISK_E10value_typeET2_T3_PNSL_ISQ_E10value_typeET4_T5_PSV_SW_PNS1_23onesweep_lookback_stateEbbT6_jjT7_P12ihipStream_tbENKUlT_T0_SK_SP_E_clISE_PfSF_SF_EEDaS13_S14_SK_SP_EUlS13_E_NS1_11comp_targetILNS1_3genE9ELNS1_11target_archE1100ELNS1_3gpuE3ELNS1_3repE0EEENS1_47radix_sort_onesweep_sort_config_static_selectorELNS0_4arch9wavefront6targetE1EEEvSK_.num_agpr, 0
	.set _ZN7rocprim17ROCPRIM_400000_NS6detail17trampoline_kernelINS0_14default_configENS1_35radix_sort_onesweep_config_selectorIfNS0_10empty_typeEEEZZNS1_29radix_sort_onesweep_iterationIS3_Lb0EN6thrust23THRUST_200600_302600_NS6detail15normal_iteratorINS9_10device_ptrIfEEEESE_PS5_SF_jNS0_19identity_decomposerENS1_16block_id_wrapperIjLb1EEEEE10hipError_tT1_PNSt15iterator_traitsISK_E10value_typeET2_T3_PNSL_ISQ_E10value_typeET4_T5_PSV_SW_PNS1_23onesweep_lookback_stateEbbT6_jjT7_P12ihipStream_tbENKUlT_T0_SK_SP_E_clISE_PfSF_SF_EEDaS13_S14_SK_SP_EUlS13_E_NS1_11comp_targetILNS1_3genE9ELNS1_11target_archE1100ELNS1_3gpuE3ELNS1_3repE0EEENS1_47radix_sort_onesweep_sort_config_static_selectorELNS0_4arch9wavefront6targetE1EEEvSK_.numbered_sgpr, 0
	.set _ZN7rocprim17ROCPRIM_400000_NS6detail17trampoline_kernelINS0_14default_configENS1_35radix_sort_onesweep_config_selectorIfNS0_10empty_typeEEEZZNS1_29radix_sort_onesweep_iterationIS3_Lb0EN6thrust23THRUST_200600_302600_NS6detail15normal_iteratorINS9_10device_ptrIfEEEESE_PS5_SF_jNS0_19identity_decomposerENS1_16block_id_wrapperIjLb1EEEEE10hipError_tT1_PNSt15iterator_traitsISK_E10value_typeET2_T3_PNSL_ISQ_E10value_typeET4_T5_PSV_SW_PNS1_23onesweep_lookback_stateEbbT6_jjT7_P12ihipStream_tbENKUlT_T0_SK_SP_E_clISE_PfSF_SF_EEDaS13_S14_SK_SP_EUlS13_E_NS1_11comp_targetILNS1_3genE9ELNS1_11target_archE1100ELNS1_3gpuE3ELNS1_3repE0EEENS1_47radix_sort_onesweep_sort_config_static_selectorELNS0_4arch9wavefront6targetE1EEEvSK_.num_named_barrier, 0
	.set _ZN7rocprim17ROCPRIM_400000_NS6detail17trampoline_kernelINS0_14default_configENS1_35radix_sort_onesweep_config_selectorIfNS0_10empty_typeEEEZZNS1_29radix_sort_onesweep_iterationIS3_Lb0EN6thrust23THRUST_200600_302600_NS6detail15normal_iteratorINS9_10device_ptrIfEEEESE_PS5_SF_jNS0_19identity_decomposerENS1_16block_id_wrapperIjLb1EEEEE10hipError_tT1_PNSt15iterator_traitsISK_E10value_typeET2_T3_PNSL_ISQ_E10value_typeET4_T5_PSV_SW_PNS1_23onesweep_lookback_stateEbbT6_jjT7_P12ihipStream_tbENKUlT_T0_SK_SP_E_clISE_PfSF_SF_EEDaS13_S14_SK_SP_EUlS13_E_NS1_11comp_targetILNS1_3genE9ELNS1_11target_archE1100ELNS1_3gpuE3ELNS1_3repE0EEENS1_47radix_sort_onesweep_sort_config_static_selectorELNS0_4arch9wavefront6targetE1EEEvSK_.private_seg_size, 0
	.set _ZN7rocprim17ROCPRIM_400000_NS6detail17trampoline_kernelINS0_14default_configENS1_35radix_sort_onesweep_config_selectorIfNS0_10empty_typeEEEZZNS1_29radix_sort_onesweep_iterationIS3_Lb0EN6thrust23THRUST_200600_302600_NS6detail15normal_iteratorINS9_10device_ptrIfEEEESE_PS5_SF_jNS0_19identity_decomposerENS1_16block_id_wrapperIjLb1EEEEE10hipError_tT1_PNSt15iterator_traitsISK_E10value_typeET2_T3_PNSL_ISQ_E10value_typeET4_T5_PSV_SW_PNS1_23onesweep_lookback_stateEbbT6_jjT7_P12ihipStream_tbENKUlT_T0_SK_SP_E_clISE_PfSF_SF_EEDaS13_S14_SK_SP_EUlS13_E_NS1_11comp_targetILNS1_3genE9ELNS1_11target_archE1100ELNS1_3gpuE3ELNS1_3repE0EEENS1_47radix_sort_onesweep_sort_config_static_selectorELNS0_4arch9wavefront6targetE1EEEvSK_.uses_vcc, 0
	.set _ZN7rocprim17ROCPRIM_400000_NS6detail17trampoline_kernelINS0_14default_configENS1_35radix_sort_onesweep_config_selectorIfNS0_10empty_typeEEEZZNS1_29radix_sort_onesweep_iterationIS3_Lb0EN6thrust23THRUST_200600_302600_NS6detail15normal_iteratorINS9_10device_ptrIfEEEESE_PS5_SF_jNS0_19identity_decomposerENS1_16block_id_wrapperIjLb1EEEEE10hipError_tT1_PNSt15iterator_traitsISK_E10value_typeET2_T3_PNSL_ISQ_E10value_typeET4_T5_PSV_SW_PNS1_23onesweep_lookback_stateEbbT6_jjT7_P12ihipStream_tbENKUlT_T0_SK_SP_E_clISE_PfSF_SF_EEDaS13_S14_SK_SP_EUlS13_E_NS1_11comp_targetILNS1_3genE9ELNS1_11target_archE1100ELNS1_3gpuE3ELNS1_3repE0EEENS1_47radix_sort_onesweep_sort_config_static_selectorELNS0_4arch9wavefront6targetE1EEEvSK_.uses_flat_scratch, 0
	.set _ZN7rocprim17ROCPRIM_400000_NS6detail17trampoline_kernelINS0_14default_configENS1_35radix_sort_onesweep_config_selectorIfNS0_10empty_typeEEEZZNS1_29radix_sort_onesweep_iterationIS3_Lb0EN6thrust23THRUST_200600_302600_NS6detail15normal_iteratorINS9_10device_ptrIfEEEESE_PS5_SF_jNS0_19identity_decomposerENS1_16block_id_wrapperIjLb1EEEEE10hipError_tT1_PNSt15iterator_traitsISK_E10value_typeET2_T3_PNSL_ISQ_E10value_typeET4_T5_PSV_SW_PNS1_23onesweep_lookback_stateEbbT6_jjT7_P12ihipStream_tbENKUlT_T0_SK_SP_E_clISE_PfSF_SF_EEDaS13_S14_SK_SP_EUlS13_E_NS1_11comp_targetILNS1_3genE9ELNS1_11target_archE1100ELNS1_3gpuE3ELNS1_3repE0EEENS1_47radix_sort_onesweep_sort_config_static_selectorELNS0_4arch9wavefront6targetE1EEEvSK_.has_dyn_sized_stack, 0
	.set _ZN7rocprim17ROCPRIM_400000_NS6detail17trampoline_kernelINS0_14default_configENS1_35radix_sort_onesweep_config_selectorIfNS0_10empty_typeEEEZZNS1_29radix_sort_onesweep_iterationIS3_Lb0EN6thrust23THRUST_200600_302600_NS6detail15normal_iteratorINS9_10device_ptrIfEEEESE_PS5_SF_jNS0_19identity_decomposerENS1_16block_id_wrapperIjLb1EEEEE10hipError_tT1_PNSt15iterator_traitsISK_E10value_typeET2_T3_PNSL_ISQ_E10value_typeET4_T5_PSV_SW_PNS1_23onesweep_lookback_stateEbbT6_jjT7_P12ihipStream_tbENKUlT_T0_SK_SP_E_clISE_PfSF_SF_EEDaS13_S14_SK_SP_EUlS13_E_NS1_11comp_targetILNS1_3genE9ELNS1_11target_archE1100ELNS1_3gpuE3ELNS1_3repE0EEENS1_47radix_sort_onesweep_sort_config_static_selectorELNS0_4arch9wavefront6targetE1EEEvSK_.has_recursion, 0
	.set _ZN7rocprim17ROCPRIM_400000_NS6detail17trampoline_kernelINS0_14default_configENS1_35radix_sort_onesweep_config_selectorIfNS0_10empty_typeEEEZZNS1_29radix_sort_onesweep_iterationIS3_Lb0EN6thrust23THRUST_200600_302600_NS6detail15normal_iteratorINS9_10device_ptrIfEEEESE_PS5_SF_jNS0_19identity_decomposerENS1_16block_id_wrapperIjLb1EEEEE10hipError_tT1_PNSt15iterator_traitsISK_E10value_typeET2_T3_PNSL_ISQ_E10value_typeET4_T5_PSV_SW_PNS1_23onesweep_lookback_stateEbbT6_jjT7_P12ihipStream_tbENKUlT_T0_SK_SP_E_clISE_PfSF_SF_EEDaS13_S14_SK_SP_EUlS13_E_NS1_11comp_targetILNS1_3genE9ELNS1_11target_archE1100ELNS1_3gpuE3ELNS1_3repE0EEENS1_47radix_sort_onesweep_sort_config_static_selectorELNS0_4arch9wavefront6targetE1EEEvSK_.has_indirect_call, 0
	.section	.AMDGPU.csdata,"",@progbits
; Kernel info:
; codeLenInByte = 0
; TotalNumSgprs: 6
; NumVgprs: 0
; NumAgprs: 0
; TotalNumVgprs: 0
; ScratchSize: 0
; MemoryBound: 0
; FloatMode: 240
; IeeeMode: 1
; LDSByteSize: 0 bytes/workgroup (compile time only)
; SGPRBlocks: 0
; VGPRBlocks: 0
; NumSGPRsForWavesPerEU: 6
; NumVGPRsForWavesPerEU: 1
; AccumOffset: 4
; Occupancy: 8
; WaveLimiterHint : 0
; COMPUTE_PGM_RSRC2:SCRATCH_EN: 0
; COMPUTE_PGM_RSRC2:USER_SGPR: 2
; COMPUTE_PGM_RSRC2:TRAP_HANDLER: 0
; COMPUTE_PGM_RSRC2:TGID_X_EN: 1
; COMPUTE_PGM_RSRC2:TGID_Y_EN: 0
; COMPUTE_PGM_RSRC2:TGID_Z_EN: 0
; COMPUTE_PGM_RSRC2:TIDIG_COMP_CNT: 0
; COMPUTE_PGM_RSRC3_GFX90A:ACCUM_OFFSET: 0
; COMPUTE_PGM_RSRC3_GFX90A:TG_SPLIT: 0
	.section	.text._ZN7rocprim17ROCPRIM_400000_NS6detail17trampoline_kernelINS0_14default_configENS1_35radix_sort_onesweep_config_selectorIfNS0_10empty_typeEEEZZNS1_29radix_sort_onesweep_iterationIS3_Lb0EN6thrust23THRUST_200600_302600_NS6detail15normal_iteratorINS9_10device_ptrIfEEEESE_PS5_SF_jNS0_19identity_decomposerENS1_16block_id_wrapperIjLb1EEEEE10hipError_tT1_PNSt15iterator_traitsISK_E10value_typeET2_T3_PNSL_ISQ_E10value_typeET4_T5_PSV_SW_PNS1_23onesweep_lookback_stateEbbT6_jjT7_P12ihipStream_tbENKUlT_T0_SK_SP_E_clISE_PfSF_SF_EEDaS13_S14_SK_SP_EUlS13_E_NS1_11comp_targetILNS1_3genE8ELNS1_11target_archE1030ELNS1_3gpuE2ELNS1_3repE0EEENS1_47radix_sort_onesweep_sort_config_static_selectorELNS0_4arch9wavefront6targetE1EEEvSK_,"axG",@progbits,_ZN7rocprim17ROCPRIM_400000_NS6detail17trampoline_kernelINS0_14default_configENS1_35radix_sort_onesweep_config_selectorIfNS0_10empty_typeEEEZZNS1_29radix_sort_onesweep_iterationIS3_Lb0EN6thrust23THRUST_200600_302600_NS6detail15normal_iteratorINS9_10device_ptrIfEEEESE_PS5_SF_jNS0_19identity_decomposerENS1_16block_id_wrapperIjLb1EEEEE10hipError_tT1_PNSt15iterator_traitsISK_E10value_typeET2_T3_PNSL_ISQ_E10value_typeET4_T5_PSV_SW_PNS1_23onesweep_lookback_stateEbbT6_jjT7_P12ihipStream_tbENKUlT_T0_SK_SP_E_clISE_PfSF_SF_EEDaS13_S14_SK_SP_EUlS13_E_NS1_11comp_targetILNS1_3genE8ELNS1_11target_archE1030ELNS1_3gpuE2ELNS1_3repE0EEENS1_47radix_sort_onesweep_sort_config_static_selectorELNS0_4arch9wavefront6targetE1EEEvSK_,comdat
	.protected	_ZN7rocprim17ROCPRIM_400000_NS6detail17trampoline_kernelINS0_14default_configENS1_35radix_sort_onesweep_config_selectorIfNS0_10empty_typeEEEZZNS1_29radix_sort_onesweep_iterationIS3_Lb0EN6thrust23THRUST_200600_302600_NS6detail15normal_iteratorINS9_10device_ptrIfEEEESE_PS5_SF_jNS0_19identity_decomposerENS1_16block_id_wrapperIjLb1EEEEE10hipError_tT1_PNSt15iterator_traitsISK_E10value_typeET2_T3_PNSL_ISQ_E10value_typeET4_T5_PSV_SW_PNS1_23onesweep_lookback_stateEbbT6_jjT7_P12ihipStream_tbENKUlT_T0_SK_SP_E_clISE_PfSF_SF_EEDaS13_S14_SK_SP_EUlS13_E_NS1_11comp_targetILNS1_3genE8ELNS1_11target_archE1030ELNS1_3gpuE2ELNS1_3repE0EEENS1_47radix_sort_onesweep_sort_config_static_selectorELNS0_4arch9wavefront6targetE1EEEvSK_ ; -- Begin function _ZN7rocprim17ROCPRIM_400000_NS6detail17trampoline_kernelINS0_14default_configENS1_35radix_sort_onesweep_config_selectorIfNS0_10empty_typeEEEZZNS1_29radix_sort_onesweep_iterationIS3_Lb0EN6thrust23THRUST_200600_302600_NS6detail15normal_iteratorINS9_10device_ptrIfEEEESE_PS5_SF_jNS0_19identity_decomposerENS1_16block_id_wrapperIjLb1EEEEE10hipError_tT1_PNSt15iterator_traitsISK_E10value_typeET2_T3_PNSL_ISQ_E10value_typeET4_T5_PSV_SW_PNS1_23onesweep_lookback_stateEbbT6_jjT7_P12ihipStream_tbENKUlT_T0_SK_SP_E_clISE_PfSF_SF_EEDaS13_S14_SK_SP_EUlS13_E_NS1_11comp_targetILNS1_3genE8ELNS1_11target_archE1030ELNS1_3gpuE2ELNS1_3repE0EEENS1_47radix_sort_onesweep_sort_config_static_selectorELNS0_4arch9wavefront6targetE1EEEvSK_
	.globl	_ZN7rocprim17ROCPRIM_400000_NS6detail17trampoline_kernelINS0_14default_configENS1_35radix_sort_onesweep_config_selectorIfNS0_10empty_typeEEEZZNS1_29radix_sort_onesweep_iterationIS3_Lb0EN6thrust23THRUST_200600_302600_NS6detail15normal_iteratorINS9_10device_ptrIfEEEESE_PS5_SF_jNS0_19identity_decomposerENS1_16block_id_wrapperIjLb1EEEEE10hipError_tT1_PNSt15iterator_traitsISK_E10value_typeET2_T3_PNSL_ISQ_E10value_typeET4_T5_PSV_SW_PNS1_23onesweep_lookback_stateEbbT6_jjT7_P12ihipStream_tbENKUlT_T0_SK_SP_E_clISE_PfSF_SF_EEDaS13_S14_SK_SP_EUlS13_E_NS1_11comp_targetILNS1_3genE8ELNS1_11target_archE1030ELNS1_3gpuE2ELNS1_3repE0EEENS1_47radix_sort_onesweep_sort_config_static_selectorELNS0_4arch9wavefront6targetE1EEEvSK_
	.p2align	8
	.type	_ZN7rocprim17ROCPRIM_400000_NS6detail17trampoline_kernelINS0_14default_configENS1_35radix_sort_onesweep_config_selectorIfNS0_10empty_typeEEEZZNS1_29radix_sort_onesweep_iterationIS3_Lb0EN6thrust23THRUST_200600_302600_NS6detail15normal_iteratorINS9_10device_ptrIfEEEESE_PS5_SF_jNS0_19identity_decomposerENS1_16block_id_wrapperIjLb1EEEEE10hipError_tT1_PNSt15iterator_traitsISK_E10value_typeET2_T3_PNSL_ISQ_E10value_typeET4_T5_PSV_SW_PNS1_23onesweep_lookback_stateEbbT6_jjT7_P12ihipStream_tbENKUlT_T0_SK_SP_E_clISE_PfSF_SF_EEDaS13_S14_SK_SP_EUlS13_E_NS1_11comp_targetILNS1_3genE8ELNS1_11target_archE1030ELNS1_3gpuE2ELNS1_3repE0EEENS1_47radix_sort_onesweep_sort_config_static_selectorELNS0_4arch9wavefront6targetE1EEEvSK_,@function
_ZN7rocprim17ROCPRIM_400000_NS6detail17trampoline_kernelINS0_14default_configENS1_35radix_sort_onesweep_config_selectorIfNS0_10empty_typeEEEZZNS1_29radix_sort_onesweep_iterationIS3_Lb0EN6thrust23THRUST_200600_302600_NS6detail15normal_iteratorINS9_10device_ptrIfEEEESE_PS5_SF_jNS0_19identity_decomposerENS1_16block_id_wrapperIjLb1EEEEE10hipError_tT1_PNSt15iterator_traitsISK_E10value_typeET2_T3_PNSL_ISQ_E10value_typeET4_T5_PSV_SW_PNS1_23onesweep_lookback_stateEbbT6_jjT7_P12ihipStream_tbENKUlT_T0_SK_SP_E_clISE_PfSF_SF_EEDaS13_S14_SK_SP_EUlS13_E_NS1_11comp_targetILNS1_3genE8ELNS1_11target_archE1030ELNS1_3gpuE2ELNS1_3repE0EEENS1_47radix_sort_onesweep_sort_config_static_selectorELNS0_4arch9wavefront6targetE1EEEvSK_: ; @_ZN7rocprim17ROCPRIM_400000_NS6detail17trampoline_kernelINS0_14default_configENS1_35radix_sort_onesweep_config_selectorIfNS0_10empty_typeEEEZZNS1_29radix_sort_onesweep_iterationIS3_Lb0EN6thrust23THRUST_200600_302600_NS6detail15normal_iteratorINS9_10device_ptrIfEEEESE_PS5_SF_jNS0_19identity_decomposerENS1_16block_id_wrapperIjLb1EEEEE10hipError_tT1_PNSt15iterator_traitsISK_E10value_typeET2_T3_PNSL_ISQ_E10value_typeET4_T5_PSV_SW_PNS1_23onesweep_lookback_stateEbbT6_jjT7_P12ihipStream_tbENKUlT_T0_SK_SP_E_clISE_PfSF_SF_EEDaS13_S14_SK_SP_EUlS13_E_NS1_11comp_targetILNS1_3genE8ELNS1_11target_archE1030ELNS1_3gpuE2ELNS1_3repE0EEENS1_47radix_sort_onesweep_sort_config_static_selectorELNS0_4arch9wavefront6targetE1EEEvSK_
; %bb.0:
	.section	.rodata,"a",@progbits
	.p2align	6, 0x0
	.amdhsa_kernel _ZN7rocprim17ROCPRIM_400000_NS6detail17trampoline_kernelINS0_14default_configENS1_35radix_sort_onesweep_config_selectorIfNS0_10empty_typeEEEZZNS1_29radix_sort_onesweep_iterationIS3_Lb0EN6thrust23THRUST_200600_302600_NS6detail15normal_iteratorINS9_10device_ptrIfEEEESE_PS5_SF_jNS0_19identity_decomposerENS1_16block_id_wrapperIjLb1EEEEE10hipError_tT1_PNSt15iterator_traitsISK_E10value_typeET2_T3_PNSL_ISQ_E10value_typeET4_T5_PSV_SW_PNS1_23onesweep_lookback_stateEbbT6_jjT7_P12ihipStream_tbENKUlT_T0_SK_SP_E_clISE_PfSF_SF_EEDaS13_S14_SK_SP_EUlS13_E_NS1_11comp_targetILNS1_3genE8ELNS1_11target_archE1030ELNS1_3gpuE2ELNS1_3repE0EEENS1_47radix_sort_onesweep_sort_config_static_selectorELNS0_4arch9wavefront6targetE1EEEvSK_
		.amdhsa_group_segment_fixed_size 0
		.amdhsa_private_segment_fixed_size 0
		.amdhsa_kernarg_size 88
		.amdhsa_user_sgpr_count 2
		.amdhsa_user_sgpr_dispatch_ptr 0
		.amdhsa_user_sgpr_queue_ptr 0
		.amdhsa_user_sgpr_kernarg_segment_ptr 1
		.amdhsa_user_sgpr_dispatch_id 0
		.amdhsa_user_sgpr_kernarg_preload_length 0
		.amdhsa_user_sgpr_kernarg_preload_offset 0
		.amdhsa_user_sgpr_private_segment_size 0
		.amdhsa_uses_dynamic_stack 0
		.amdhsa_enable_private_segment 0
		.amdhsa_system_sgpr_workgroup_id_x 1
		.amdhsa_system_sgpr_workgroup_id_y 0
		.amdhsa_system_sgpr_workgroup_id_z 0
		.amdhsa_system_sgpr_workgroup_info 0
		.amdhsa_system_vgpr_workitem_id 0
		.amdhsa_next_free_vgpr 1
		.amdhsa_next_free_sgpr 0
		.amdhsa_accum_offset 4
		.amdhsa_reserve_vcc 0
		.amdhsa_float_round_mode_32 0
		.amdhsa_float_round_mode_16_64 0
		.amdhsa_float_denorm_mode_32 3
		.amdhsa_float_denorm_mode_16_64 3
		.amdhsa_dx10_clamp 1
		.amdhsa_ieee_mode 1
		.amdhsa_fp16_overflow 0
		.amdhsa_tg_split 0
		.amdhsa_exception_fp_ieee_invalid_op 0
		.amdhsa_exception_fp_denorm_src 0
		.amdhsa_exception_fp_ieee_div_zero 0
		.amdhsa_exception_fp_ieee_overflow 0
		.amdhsa_exception_fp_ieee_underflow 0
		.amdhsa_exception_fp_ieee_inexact 0
		.amdhsa_exception_int_div_zero 0
	.end_amdhsa_kernel
	.section	.text._ZN7rocprim17ROCPRIM_400000_NS6detail17trampoline_kernelINS0_14default_configENS1_35radix_sort_onesweep_config_selectorIfNS0_10empty_typeEEEZZNS1_29radix_sort_onesweep_iterationIS3_Lb0EN6thrust23THRUST_200600_302600_NS6detail15normal_iteratorINS9_10device_ptrIfEEEESE_PS5_SF_jNS0_19identity_decomposerENS1_16block_id_wrapperIjLb1EEEEE10hipError_tT1_PNSt15iterator_traitsISK_E10value_typeET2_T3_PNSL_ISQ_E10value_typeET4_T5_PSV_SW_PNS1_23onesweep_lookback_stateEbbT6_jjT7_P12ihipStream_tbENKUlT_T0_SK_SP_E_clISE_PfSF_SF_EEDaS13_S14_SK_SP_EUlS13_E_NS1_11comp_targetILNS1_3genE8ELNS1_11target_archE1030ELNS1_3gpuE2ELNS1_3repE0EEENS1_47radix_sort_onesweep_sort_config_static_selectorELNS0_4arch9wavefront6targetE1EEEvSK_,"axG",@progbits,_ZN7rocprim17ROCPRIM_400000_NS6detail17trampoline_kernelINS0_14default_configENS1_35radix_sort_onesweep_config_selectorIfNS0_10empty_typeEEEZZNS1_29radix_sort_onesweep_iterationIS3_Lb0EN6thrust23THRUST_200600_302600_NS6detail15normal_iteratorINS9_10device_ptrIfEEEESE_PS5_SF_jNS0_19identity_decomposerENS1_16block_id_wrapperIjLb1EEEEE10hipError_tT1_PNSt15iterator_traitsISK_E10value_typeET2_T3_PNSL_ISQ_E10value_typeET4_T5_PSV_SW_PNS1_23onesweep_lookback_stateEbbT6_jjT7_P12ihipStream_tbENKUlT_T0_SK_SP_E_clISE_PfSF_SF_EEDaS13_S14_SK_SP_EUlS13_E_NS1_11comp_targetILNS1_3genE8ELNS1_11target_archE1030ELNS1_3gpuE2ELNS1_3repE0EEENS1_47radix_sort_onesweep_sort_config_static_selectorELNS0_4arch9wavefront6targetE1EEEvSK_,comdat
.Lfunc_end576:
	.size	_ZN7rocprim17ROCPRIM_400000_NS6detail17trampoline_kernelINS0_14default_configENS1_35radix_sort_onesweep_config_selectorIfNS0_10empty_typeEEEZZNS1_29radix_sort_onesweep_iterationIS3_Lb0EN6thrust23THRUST_200600_302600_NS6detail15normal_iteratorINS9_10device_ptrIfEEEESE_PS5_SF_jNS0_19identity_decomposerENS1_16block_id_wrapperIjLb1EEEEE10hipError_tT1_PNSt15iterator_traitsISK_E10value_typeET2_T3_PNSL_ISQ_E10value_typeET4_T5_PSV_SW_PNS1_23onesweep_lookback_stateEbbT6_jjT7_P12ihipStream_tbENKUlT_T0_SK_SP_E_clISE_PfSF_SF_EEDaS13_S14_SK_SP_EUlS13_E_NS1_11comp_targetILNS1_3genE8ELNS1_11target_archE1030ELNS1_3gpuE2ELNS1_3repE0EEENS1_47radix_sort_onesweep_sort_config_static_selectorELNS0_4arch9wavefront6targetE1EEEvSK_, .Lfunc_end576-_ZN7rocprim17ROCPRIM_400000_NS6detail17trampoline_kernelINS0_14default_configENS1_35radix_sort_onesweep_config_selectorIfNS0_10empty_typeEEEZZNS1_29radix_sort_onesweep_iterationIS3_Lb0EN6thrust23THRUST_200600_302600_NS6detail15normal_iteratorINS9_10device_ptrIfEEEESE_PS5_SF_jNS0_19identity_decomposerENS1_16block_id_wrapperIjLb1EEEEE10hipError_tT1_PNSt15iterator_traitsISK_E10value_typeET2_T3_PNSL_ISQ_E10value_typeET4_T5_PSV_SW_PNS1_23onesweep_lookback_stateEbbT6_jjT7_P12ihipStream_tbENKUlT_T0_SK_SP_E_clISE_PfSF_SF_EEDaS13_S14_SK_SP_EUlS13_E_NS1_11comp_targetILNS1_3genE8ELNS1_11target_archE1030ELNS1_3gpuE2ELNS1_3repE0EEENS1_47radix_sort_onesweep_sort_config_static_selectorELNS0_4arch9wavefront6targetE1EEEvSK_
                                        ; -- End function
	.set _ZN7rocprim17ROCPRIM_400000_NS6detail17trampoline_kernelINS0_14default_configENS1_35radix_sort_onesweep_config_selectorIfNS0_10empty_typeEEEZZNS1_29radix_sort_onesweep_iterationIS3_Lb0EN6thrust23THRUST_200600_302600_NS6detail15normal_iteratorINS9_10device_ptrIfEEEESE_PS5_SF_jNS0_19identity_decomposerENS1_16block_id_wrapperIjLb1EEEEE10hipError_tT1_PNSt15iterator_traitsISK_E10value_typeET2_T3_PNSL_ISQ_E10value_typeET4_T5_PSV_SW_PNS1_23onesweep_lookback_stateEbbT6_jjT7_P12ihipStream_tbENKUlT_T0_SK_SP_E_clISE_PfSF_SF_EEDaS13_S14_SK_SP_EUlS13_E_NS1_11comp_targetILNS1_3genE8ELNS1_11target_archE1030ELNS1_3gpuE2ELNS1_3repE0EEENS1_47radix_sort_onesweep_sort_config_static_selectorELNS0_4arch9wavefront6targetE1EEEvSK_.num_vgpr, 0
	.set _ZN7rocprim17ROCPRIM_400000_NS6detail17trampoline_kernelINS0_14default_configENS1_35radix_sort_onesweep_config_selectorIfNS0_10empty_typeEEEZZNS1_29radix_sort_onesweep_iterationIS3_Lb0EN6thrust23THRUST_200600_302600_NS6detail15normal_iteratorINS9_10device_ptrIfEEEESE_PS5_SF_jNS0_19identity_decomposerENS1_16block_id_wrapperIjLb1EEEEE10hipError_tT1_PNSt15iterator_traitsISK_E10value_typeET2_T3_PNSL_ISQ_E10value_typeET4_T5_PSV_SW_PNS1_23onesweep_lookback_stateEbbT6_jjT7_P12ihipStream_tbENKUlT_T0_SK_SP_E_clISE_PfSF_SF_EEDaS13_S14_SK_SP_EUlS13_E_NS1_11comp_targetILNS1_3genE8ELNS1_11target_archE1030ELNS1_3gpuE2ELNS1_3repE0EEENS1_47radix_sort_onesweep_sort_config_static_selectorELNS0_4arch9wavefront6targetE1EEEvSK_.num_agpr, 0
	.set _ZN7rocprim17ROCPRIM_400000_NS6detail17trampoline_kernelINS0_14default_configENS1_35radix_sort_onesweep_config_selectorIfNS0_10empty_typeEEEZZNS1_29radix_sort_onesweep_iterationIS3_Lb0EN6thrust23THRUST_200600_302600_NS6detail15normal_iteratorINS9_10device_ptrIfEEEESE_PS5_SF_jNS0_19identity_decomposerENS1_16block_id_wrapperIjLb1EEEEE10hipError_tT1_PNSt15iterator_traitsISK_E10value_typeET2_T3_PNSL_ISQ_E10value_typeET4_T5_PSV_SW_PNS1_23onesweep_lookback_stateEbbT6_jjT7_P12ihipStream_tbENKUlT_T0_SK_SP_E_clISE_PfSF_SF_EEDaS13_S14_SK_SP_EUlS13_E_NS1_11comp_targetILNS1_3genE8ELNS1_11target_archE1030ELNS1_3gpuE2ELNS1_3repE0EEENS1_47radix_sort_onesweep_sort_config_static_selectorELNS0_4arch9wavefront6targetE1EEEvSK_.numbered_sgpr, 0
	.set _ZN7rocprim17ROCPRIM_400000_NS6detail17trampoline_kernelINS0_14default_configENS1_35radix_sort_onesweep_config_selectorIfNS0_10empty_typeEEEZZNS1_29radix_sort_onesweep_iterationIS3_Lb0EN6thrust23THRUST_200600_302600_NS6detail15normal_iteratorINS9_10device_ptrIfEEEESE_PS5_SF_jNS0_19identity_decomposerENS1_16block_id_wrapperIjLb1EEEEE10hipError_tT1_PNSt15iterator_traitsISK_E10value_typeET2_T3_PNSL_ISQ_E10value_typeET4_T5_PSV_SW_PNS1_23onesweep_lookback_stateEbbT6_jjT7_P12ihipStream_tbENKUlT_T0_SK_SP_E_clISE_PfSF_SF_EEDaS13_S14_SK_SP_EUlS13_E_NS1_11comp_targetILNS1_3genE8ELNS1_11target_archE1030ELNS1_3gpuE2ELNS1_3repE0EEENS1_47radix_sort_onesweep_sort_config_static_selectorELNS0_4arch9wavefront6targetE1EEEvSK_.num_named_barrier, 0
	.set _ZN7rocprim17ROCPRIM_400000_NS6detail17trampoline_kernelINS0_14default_configENS1_35radix_sort_onesweep_config_selectorIfNS0_10empty_typeEEEZZNS1_29radix_sort_onesweep_iterationIS3_Lb0EN6thrust23THRUST_200600_302600_NS6detail15normal_iteratorINS9_10device_ptrIfEEEESE_PS5_SF_jNS0_19identity_decomposerENS1_16block_id_wrapperIjLb1EEEEE10hipError_tT1_PNSt15iterator_traitsISK_E10value_typeET2_T3_PNSL_ISQ_E10value_typeET4_T5_PSV_SW_PNS1_23onesweep_lookback_stateEbbT6_jjT7_P12ihipStream_tbENKUlT_T0_SK_SP_E_clISE_PfSF_SF_EEDaS13_S14_SK_SP_EUlS13_E_NS1_11comp_targetILNS1_3genE8ELNS1_11target_archE1030ELNS1_3gpuE2ELNS1_3repE0EEENS1_47radix_sort_onesweep_sort_config_static_selectorELNS0_4arch9wavefront6targetE1EEEvSK_.private_seg_size, 0
	.set _ZN7rocprim17ROCPRIM_400000_NS6detail17trampoline_kernelINS0_14default_configENS1_35radix_sort_onesweep_config_selectorIfNS0_10empty_typeEEEZZNS1_29radix_sort_onesweep_iterationIS3_Lb0EN6thrust23THRUST_200600_302600_NS6detail15normal_iteratorINS9_10device_ptrIfEEEESE_PS5_SF_jNS0_19identity_decomposerENS1_16block_id_wrapperIjLb1EEEEE10hipError_tT1_PNSt15iterator_traitsISK_E10value_typeET2_T3_PNSL_ISQ_E10value_typeET4_T5_PSV_SW_PNS1_23onesweep_lookback_stateEbbT6_jjT7_P12ihipStream_tbENKUlT_T0_SK_SP_E_clISE_PfSF_SF_EEDaS13_S14_SK_SP_EUlS13_E_NS1_11comp_targetILNS1_3genE8ELNS1_11target_archE1030ELNS1_3gpuE2ELNS1_3repE0EEENS1_47radix_sort_onesweep_sort_config_static_selectorELNS0_4arch9wavefront6targetE1EEEvSK_.uses_vcc, 0
	.set _ZN7rocprim17ROCPRIM_400000_NS6detail17trampoline_kernelINS0_14default_configENS1_35radix_sort_onesweep_config_selectorIfNS0_10empty_typeEEEZZNS1_29radix_sort_onesweep_iterationIS3_Lb0EN6thrust23THRUST_200600_302600_NS6detail15normal_iteratorINS9_10device_ptrIfEEEESE_PS5_SF_jNS0_19identity_decomposerENS1_16block_id_wrapperIjLb1EEEEE10hipError_tT1_PNSt15iterator_traitsISK_E10value_typeET2_T3_PNSL_ISQ_E10value_typeET4_T5_PSV_SW_PNS1_23onesweep_lookback_stateEbbT6_jjT7_P12ihipStream_tbENKUlT_T0_SK_SP_E_clISE_PfSF_SF_EEDaS13_S14_SK_SP_EUlS13_E_NS1_11comp_targetILNS1_3genE8ELNS1_11target_archE1030ELNS1_3gpuE2ELNS1_3repE0EEENS1_47radix_sort_onesweep_sort_config_static_selectorELNS0_4arch9wavefront6targetE1EEEvSK_.uses_flat_scratch, 0
	.set _ZN7rocprim17ROCPRIM_400000_NS6detail17trampoline_kernelINS0_14default_configENS1_35radix_sort_onesweep_config_selectorIfNS0_10empty_typeEEEZZNS1_29radix_sort_onesweep_iterationIS3_Lb0EN6thrust23THRUST_200600_302600_NS6detail15normal_iteratorINS9_10device_ptrIfEEEESE_PS5_SF_jNS0_19identity_decomposerENS1_16block_id_wrapperIjLb1EEEEE10hipError_tT1_PNSt15iterator_traitsISK_E10value_typeET2_T3_PNSL_ISQ_E10value_typeET4_T5_PSV_SW_PNS1_23onesweep_lookback_stateEbbT6_jjT7_P12ihipStream_tbENKUlT_T0_SK_SP_E_clISE_PfSF_SF_EEDaS13_S14_SK_SP_EUlS13_E_NS1_11comp_targetILNS1_3genE8ELNS1_11target_archE1030ELNS1_3gpuE2ELNS1_3repE0EEENS1_47radix_sort_onesweep_sort_config_static_selectorELNS0_4arch9wavefront6targetE1EEEvSK_.has_dyn_sized_stack, 0
	.set _ZN7rocprim17ROCPRIM_400000_NS6detail17trampoline_kernelINS0_14default_configENS1_35radix_sort_onesweep_config_selectorIfNS0_10empty_typeEEEZZNS1_29radix_sort_onesweep_iterationIS3_Lb0EN6thrust23THRUST_200600_302600_NS6detail15normal_iteratorINS9_10device_ptrIfEEEESE_PS5_SF_jNS0_19identity_decomposerENS1_16block_id_wrapperIjLb1EEEEE10hipError_tT1_PNSt15iterator_traitsISK_E10value_typeET2_T3_PNSL_ISQ_E10value_typeET4_T5_PSV_SW_PNS1_23onesweep_lookback_stateEbbT6_jjT7_P12ihipStream_tbENKUlT_T0_SK_SP_E_clISE_PfSF_SF_EEDaS13_S14_SK_SP_EUlS13_E_NS1_11comp_targetILNS1_3genE8ELNS1_11target_archE1030ELNS1_3gpuE2ELNS1_3repE0EEENS1_47radix_sort_onesweep_sort_config_static_selectorELNS0_4arch9wavefront6targetE1EEEvSK_.has_recursion, 0
	.set _ZN7rocprim17ROCPRIM_400000_NS6detail17trampoline_kernelINS0_14default_configENS1_35radix_sort_onesweep_config_selectorIfNS0_10empty_typeEEEZZNS1_29radix_sort_onesweep_iterationIS3_Lb0EN6thrust23THRUST_200600_302600_NS6detail15normal_iteratorINS9_10device_ptrIfEEEESE_PS5_SF_jNS0_19identity_decomposerENS1_16block_id_wrapperIjLb1EEEEE10hipError_tT1_PNSt15iterator_traitsISK_E10value_typeET2_T3_PNSL_ISQ_E10value_typeET4_T5_PSV_SW_PNS1_23onesweep_lookback_stateEbbT6_jjT7_P12ihipStream_tbENKUlT_T0_SK_SP_E_clISE_PfSF_SF_EEDaS13_S14_SK_SP_EUlS13_E_NS1_11comp_targetILNS1_3genE8ELNS1_11target_archE1030ELNS1_3gpuE2ELNS1_3repE0EEENS1_47radix_sort_onesweep_sort_config_static_selectorELNS0_4arch9wavefront6targetE1EEEvSK_.has_indirect_call, 0
	.section	.AMDGPU.csdata,"",@progbits
; Kernel info:
; codeLenInByte = 0
; TotalNumSgprs: 6
; NumVgprs: 0
; NumAgprs: 0
; TotalNumVgprs: 0
; ScratchSize: 0
; MemoryBound: 0
; FloatMode: 240
; IeeeMode: 1
; LDSByteSize: 0 bytes/workgroup (compile time only)
; SGPRBlocks: 0
; VGPRBlocks: 0
; NumSGPRsForWavesPerEU: 6
; NumVGPRsForWavesPerEU: 1
; AccumOffset: 4
; Occupancy: 8
; WaveLimiterHint : 0
; COMPUTE_PGM_RSRC2:SCRATCH_EN: 0
; COMPUTE_PGM_RSRC2:USER_SGPR: 2
; COMPUTE_PGM_RSRC2:TRAP_HANDLER: 0
; COMPUTE_PGM_RSRC2:TGID_X_EN: 1
; COMPUTE_PGM_RSRC2:TGID_Y_EN: 0
; COMPUTE_PGM_RSRC2:TGID_Z_EN: 0
; COMPUTE_PGM_RSRC2:TIDIG_COMP_CNT: 0
; COMPUTE_PGM_RSRC3_GFX90A:ACCUM_OFFSET: 0
; COMPUTE_PGM_RSRC3_GFX90A:TG_SPLIT: 0
	.section	.text._ZN7rocprim17ROCPRIM_400000_NS6detail17trampoline_kernelINS0_14default_configENS1_35radix_sort_onesweep_config_selectorIfNS0_10empty_typeEEEZZNS1_29radix_sort_onesweep_iterationIS3_Lb0EN6thrust23THRUST_200600_302600_NS6detail15normal_iteratorINS9_10device_ptrIfEEEESE_PS5_SF_jNS0_19identity_decomposerENS1_16block_id_wrapperIjLb1EEEEE10hipError_tT1_PNSt15iterator_traitsISK_E10value_typeET2_T3_PNSL_ISQ_E10value_typeET4_T5_PSV_SW_PNS1_23onesweep_lookback_stateEbbT6_jjT7_P12ihipStream_tbENKUlT_T0_SK_SP_E_clIPfSE_SF_SF_EEDaS13_S14_SK_SP_EUlS13_E_NS1_11comp_targetILNS1_3genE0ELNS1_11target_archE4294967295ELNS1_3gpuE0ELNS1_3repE0EEENS1_47radix_sort_onesweep_sort_config_static_selectorELNS0_4arch9wavefront6targetE1EEEvSK_,"axG",@progbits,_ZN7rocprim17ROCPRIM_400000_NS6detail17trampoline_kernelINS0_14default_configENS1_35radix_sort_onesweep_config_selectorIfNS0_10empty_typeEEEZZNS1_29radix_sort_onesweep_iterationIS3_Lb0EN6thrust23THRUST_200600_302600_NS6detail15normal_iteratorINS9_10device_ptrIfEEEESE_PS5_SF_jNS0_19identity_decomposerENS1_16block_id_wrapperIjLb1EEEEE10hipError_tT1_PNSt15iterator_traitsISK_E10value_typeET2_T3_PNSL_ISQ_E10value_typeET4_T5_PSV_SW_PNS1_23onesweep_lookback_stateEbbT6_jjT7_P12ihipStream_tbENKUlT_T0_SK_SP_E_clIPfSE_SF_SF_EEDaS13_S14_SK_SP_EUlS13_E_NS1_11comp_targetILNS1_3genE0ELNS1_11target_archE4294967295ELNS1_3gpuE0ELNS1_3repE0EEENS1_47radix_sort_onesweep_sort_config_static_selectorELNS0_4arch9wavefront6targetE1EEEvSK_,comdat
	.protected	_ZN7rocprim17ROCPRIM_400000_NS6detail17trampoline_kernelINS0_14default_configENS1_35radix_sort_onesweep_config_selectorIfNS0_10empty_typeEEEZZNS1_29radix_sort_onesweep_iterationIS3_Lb0EN6thrust23THRUST_200600_302600_NS6detail15normal_iteratorINS9_10device_ptrIfEEEESE_PS5_SF_jNS0_19identity_decomposerENS1_16block_id_wrapperIjLb1EEEEE10hipError_tT1_PNSt15iterator_traitsISK_E10value_typeET2_T3_PNSL_ISQ_E10value_typeET4_T5_PSV_SW_PNS1_23onesweep_lookback_stateEbbT6_jjT7_P12ihipStream_tbENKUlT_T0_SK_SP_E_clIPfSE_SF_SF_EEDaS13_S14_SK_SP_EUlS13_E_NS1_11comp_targetILNS1_3genE0ELNS1_11target_archE4294967295ELNS1_3gpuE0ELNS1_3repE0EEENS1_47radix_sort_onesweep_sort_config_static_selectorELNS0_4arch9wavefront6targetE1EEEvSK_ ; -- Begin function _ZN7rocprim17ROCPRIM_400000_NS6detail17trampoline_kernelINS0_14default_configENS1_35radix_sort_onesweep_config_selectorIfNS0_10empty_typeEEEZZNS1_29radix_sort_onesweep_iterationIS3_Lb0EN6thrust23THRUST_200600_302600_NS6detail15normal_iteratorINS9_10device_ptrIfEEEESE_PS5_SF_jNS0_19identity_decomposerENS1_16block_id_wrapperIjLb1EEEEE10hipError_tT1_PNSt15iterator_traitsISK_E10value_typeET2_T3_PNSL_ISQ_E10value_typeET4_T5_PSV_SW_PNS1_23onesweep_lookback_stateEbbT6_jjT7_P12ihipStream_tbENKUlT_T0_SK_SP_E_clIPfSE_SF_SF_EEDaS13_S14_SK_SP_EUlS13_E_NS1_11comp_targetILNS1_3genE0ELNS1_11target_archE4294967295ELNS1_3gpuE0ELNS1_3repE0EEENS1_47radix_sort_onesweep_sort_config_static_selectorELNS0_4arch9wavefront6targetE1EEEvSK_
	.globl	_ZN7rocprim17ROCPRIM_400000_NS6detail17trampoline_kernelINS0_14default_configENS1_35radix_sort_onesweep_config_selectorIfNS0_10empty_typeEEEZZNS1_29radix_sort_onesweep_iterationIS3_Lb0EN6thrust23THRUST_200600_302600_NS6detail15normal_iteratorINS9_10device_ptrIfEEEESE_PS5_SF_jNS0_19identity_decomposerENS1_16block_id_wrapperIjLb1EEEEE10hipError_tT1_PNSt15iterator_traitsISK_E10value_typeET2_T3_PNSL_ISQ_E10value_typeET4_T5_PSV_SW_PNS1_23onesweep_lookback_stateEbbT6_jjT7_P12ihipStream_tbENKUlT_T0_SK_SP_E_clIPfSE_SF_SF_EEDaS13_S14_SK_SP_EUlS13_E_NS1_11comp_targetILNS1_3genE0ELNS1_11target_archE4294967295ELNS1_3gpuE0ELNS1_3repE0EEENS1_47radix_sort_onesweep_sort_config_static_selectorELNS0_4arch9wavefront6targetE1EEEvSK_
	.p2align	8
	.type	_ZN7rocprim17ROCPRIM_400000_NS6detail17trampoline_kernelINS0_14default_configENS1_35radix_sort_onesweep_config_selectorIfNS0_10empty_typeEEEZZNS1_29radix_sort_onesweep_iterationIS3_Lb0EN6thrust23THRUST_200600_302600_NS6detail15normal_iteratorINS9_10device_ptrIfEEEESE_PS5_SF_jNS0_19identity_decomposerENS1_16block_id_wrapperIjLb1EEEEE10hipError_tT1_PNSt15iterator_traitsISK_E10value_typeET2_T3_PNSL_ISQ_E10value_typeET4_T5_PSV_SW_PNS1_23onesweep_lookback_stateEbbT6_jjT7_P12ihipStream_tbENKUlT_T0_SK_SP_E_clIPfSE_SF_SF_EEDaS13_S14_SK_SP_EUlS13_E_NS1_11comp_targetILNS1_3genE0ELNS1_11target_archE4294967295ELNS1_3gpuE0ELNS1_3repE0EEENS1_47radix_sort_onesweep_sort_config_static_selectorELNS0_4arch9wavefront6targetE1EEEvSK_,@function
_ZN7rocprim17ROCPRIM_400000_NS6detail17trampoline_kernelINS0_14default_configENS1_35radix_sort_onesweep_config_selectorIfNS0_10empty_typeEEEZZNS1_29radix_sort_onesweep_iterationIS3_Lb0EN6thrust23THRUST_200600_302600_NS6detail15normal_iteratorINS9_10device_ptrIfEEEESE_PS5_SF_jNS0_19identity_decomposerENS1_16block_id_wrapperIjLb1EEEEE10hipError_tT1_PNSt15iterator_traitsISK_E10value_typeET2_T3_PNSL_ISQ_E10value_typeET4_T5_PSV_SW_PNS1_23onesweep_lookback_stateEbbT6_jjT7_P12ihipStream_tbENKUlT_T0_SK_SP_E_clIPfSE_SF_SF_EEDaS13_S14_SK_SP_EUlS13_E_NS1_11comp_targetILNS1_3genE0ELNS1_11target_archE4294967295ELNS1_3gpuE0ELNS1_3repE0EEENS1_47radix_sort_onesweep_sort_config_static_selectorELNS0_4arch9wavefront6targetE1EEEvSK_: ; @_ZN7rocprim17ROCPRIM_400000_NS6detail17trampoline_kernelINS0_14default_configENS1_35radix_sort_onesweep_config_selectorIfNS0_10empty_typeEEEZZNS1_29radix_sort_onesweep_iterationIS3_Lb0EN6thrust23THRUST_200600_302600_NS6detail15normal_iteratorINS9_10device_ptrIfEEEESE_PS5_SF_jNS0_19identity_decomposerENS1_16block_id_wrapperIjLb1EEEEE10hipError_tT1_PNSt15iterator_traitsISK_E10value_typeET2_T3_PNSL_ISQ_E10value_typeET4_T5_PSV_SW_PNS1_23onesweep_lookback_stateEbbT6_jjT7_P12ihipStream_tbENKUlT_T0_SK_SP_E_clIPfSE_SF_SF_EEDaS13_S14_SK_SP_EUlS13_E_NS1_11comp_targetILNS1_3genE0ELNS1_11target_archE4294967295ELNS1_3gpuE0ELNS1_3repE0EEENS1_47radix_sort_onesweep_sort_config_static_selectorELNS0_4arch9wavefront6targetE1EEEvSK_
; %bb.0:
	.section	.rodata,"a",@progbits
	.p2align	6, 0x0
	.amdhsa_kernel _ZN7rocprim17ROCPRIM_400000_NS6detail17trampoline_kernelINS0_14default_configENS1_35radix_sort_onesweep_config_selectorIfNS0_10empty_typeEEEZZNS1_29radix_sort_onesweep_iterationIS3_Lb0EN6thrust23THRUST_200600_302600_NS6detail15normal_iteratorINS9_10device_ptrIfEEEESE_PS5_SF_jNS0_19identity_decomposerENS1_16block_id_wrapperIjLb1EEEEE10hipError_tT1_PNSt15iterator_traitsISK_E10value_typeET2_T3_PNSL_ISQ_E10value_typeET4_T5_PSV_SW_PNS1_23onesweep_lookback_stateEbbT6_jjT7_P12ihipStream_tbENKUlT_T0_SK_SP_E_clIPfSE_SF_SF_EEDaS13_S14_SK_SP_EUlS13_E_NS1_11comp_targetILNS1_3genE0ELNS1_11target_archE4294967295ELNS1_3gpuE0ELNS1_3repE0EEENS1_47radix_sort_onesweep_sort_config_static_selectorELNS0_4arch9wavefront6targetE1EEEvSK_
		.amdhsa_group_segment_fixed_size 0
		.amdhsa_private_segment_fixed_size 0
		.amdhsa_kernarg_size 88
		.amdhsa_user_sgpr_count 2
		.amdhsa_user_sgpr_dispatch_ptr 0
		.amdhsa_user_sgpr_queue_ptr 0
		.amdhsa_user_sgpr_kernarg_segment_ptr 1
		.amdhsa_user_sgpr_dispatch_id 0
		.amdhsa_user_sgpr_kernarg_preload_length 0
		.amdhsa_user_sgpr_kernarg_preload_offset 0
		.amdhsa_user_sgpr_private_segment_size 0
		.amdhsa_uses_dynamic_stack 0
		.amdhsa_enable_private_segment 0
		.amdhsa_system_sgpr_workgroup_id_x 1
		.amdhsa_system_sgpr_workgroup_id_y 0
		.amdhsa_system_sgpr_workgroup_id_z 0
		.amdhsa_system_sgpr_workgroup_info 0
		.amdhsa_system_vgpr_workitem_id 0
		.amdhsa_next_free_vgpr 1
		.amdhsa_next_free_sgpr 0
		.amdhsa_accum_offset 4
		.amdhsa_reserve_vcc 0
		.amdhsa_float_round_mode_32 0
		.amdhsa_float_round_mode_16_64 0
		.amdhsa_float_denorm_mode_32 3
		.amdhsa_float_denorm_mode_16_64 3
		.amdhsa_dx10_clamp 1
		.amdhsa_ieee_mode 1
		.amdhsa_fp16_overflow 0
		.amdhsa_tg_split 0
		.amdhsa_exception_fp_ieee_invalid_op 0
		.amdhsa_exception_fp_denorm_src 0
		.amdhsa_exception_fp_ieee_div_zero 0
		.amdhsa_exception_fp_ieee_overflow 0
		.amdhsa_exception_fp_ieee_underflow 0
		.amdhsa_exception_fp_ieee_inexact 0
		.amdhsa_exception_int_div_zero 0
	.end_amdhsa_kernel
	.section	.text._ZN7rocprim17ROCPRIM_400000_NS6detail17trampoline_kernelINS0_14default_configENS1_35radix_sort_onesweep_config_selectorIfNS0_10empty_typeEEEZZNS1_29radix_sort_onesweep_iterationIS3_Lb0EN6thrust23THRUST_200600_302600_NS6detail15normal_iteratorINS9_10device_ptrIfEEEESE_PS5_SF_jNS0_19identity_decomposerENS1_16block_id_wrapperIjLb1EEEEE10hipError_tT1_PNSt15iterator_traitsISK_E10value_typeET2_T3_PNSL_ISQ_E10value_typeET4_T5_PSV_SW_PNS1_23onesweep_lookback_stateEbbT6_jjT7_P12ihipStream_tbENKUlT_T0_SK_SP_E_clIPfSE_SF_SF_EEDaS13_S14_SK_SP_EUlS13_E_NS1_11comp_targetILNS1_3genE0ELNS1_11target_archE4294967295ELNS1_3gpuE0ELNS1_3repE0EEENS1_47radix_sort_onesweep_sort_config_static_selectorELNS0_4arch9wavefront6targetE1EEEvSK_,"axG",@progbits,_ZN7rocprim17ROCPRIM_400000_NS6detail17trampoline_kernelINS0_14default_configENS1_35radix_sort_onesweep_config_selectorIfNS0_10empty_typeEEEZZNS1_29radix_sort_onesweep_iterationIS3_Lb0EN6thrust23THRUST_200600_302600_NS6detail15normal_iteratorINS9_10device_ptrIfEEEESE_PS5_SF_jNS0_19identity_decomposerENS1_16block_id_wrapperIjLb1EEEEE10hipError_tT1_PNSt15iterator_traitsISK_E10value_typeET2_T3_PNSL_ISQ_E10value_typeET4_T5_PSV_SW_PNS1_23onesweep_lookback_stateEbbT6_jjT7_P12ihipStream_tbENKUlT_T0_SK_SP_E_clIPfSE_SF_SF_EEDaS13_S14_SK_SP_EUlS13_E_NS1_11comp_targetILNS1_3genE0ELNS1_11target_archE4294967295ELNS1_3gpuE0ELNS1_3repE0EEENS1_47radix_sort_onesweep_sort_config_static_selectorELNS0_4arch9wavefront6targetE1EEEvSK_,comdat
.Lfunc_end577:
	.size	_ZN7rocprim17ROCPRIM_400000_NS6detail17trampoline_kernelINS0_14default_configENS1_35radix_sort_onesweep_config_selectorIfNS0_10empty_typeEEEZZNS1_29radix_sort_onesweep_iterationIS3_Lb0EN6thrust23THRUST_200600_302600_NS6detail15normal_iteratorINS9_10device_ptrIfEEEESE_PS5_SF_jNS0_19identity_decomposerENS1_16block_id_wrapperIjLb1EEEEE10hipError_tT1_PNSt15iterator_traitsISK_E10value_typeET2_T3_PNSL_ISQ_E10value_typeET4_T5_PSV_SW_PNS1_23onesweep_lookback_stateEbbT6_jjT7_P12ihipStream_tbENKUlT_T0_SK_SP_E_clIPfSE_SF_SF_EEDaS13_S14_SK_SP_EUlS13_E_NS1_11comp_targetILNS1_3genE0ELNS1_11target_archE4294967295ELNS1_3gpuE0ELNS1_3repE0EEENS1_47radix_sort_onesweep_sort_config_static_selectorELNS0_4arch9wavefront6targetE1EEEvSK_, .Lfunc_end577-_ZN7rocprim17ROCPRIM_400000_NS6detail17trampoline_kernelINS0_14default_configENS1_35radix_sort_onesweep_config_selectorIfNS0_10empty_typeEEEZZNS1_29radix_sort_onesweep_iterationIS3_Lb0EN6thrust23THRUST_200600_302600_NS6detail15normal_iteratorINS9_10device_ptrIfEEEESE_PS5_SF_jNS0_19identity_decomposerENS1_16block_id_wrapperIjLb1EEEEE10hipError_tT1_PNSt15iterator_traitsISK_E10value_typeET2_T3_PNSL_ISQ_E10value_typeET4_T5_PSV_SW_PNS1_23onesweep_lookback_stateEbbT6_jjT7_P12ihipStream_tbENKUlT_T0_SK_SP_E_clIPfSE_SF_SF_EEDaS13_S14_SK_SP_EUlS13_E_NS1_11comp_targetILNS1_3genE0ELNS1_11target_archE4294967295ELNS1_3gpuE0ELNS1_3repE0EEENS1_47radix_sort_onesweep_sort_config_static_selectorELNS0_4arch9wavefront6targetE1EEEvSK_
                                        ; -- End function
	.set _ZN7rocprim17ROCPRIM_400000_NS6detail17trampoline_kernelINS0_14default_configENS1_35radix_sort_onesweep_config_selectorIfNS0_10empty_typeEEEZZNS1_29radix_sort_onesweep_iterationIS3_Lb0EN6thrust23THRUST_200600_302600_NS6detail15normal_iteratorINS9_10device_ptrIfEEEESE_PS5_SF_jNS0_19identity_decomposerENS1_16block_id_wrapperIjLb1EEEEE10hipError_tT1_PNSt15iterator_traitsISK_E10value_typeET2_T3_PNSL_ISQ_E10value_typeET4_T5_PSV_SW_PNS1_23onesweep_lookback_stateEbbT6_jjT7_P12ihipStream_tbENKUlT_T0_SK_SP_E_clIPfSE_SF_SF_EEDaS13_S14_SK_SP_EUlS13_E_NS1_11comp_targetILNS1_3genE0ELNS1_11target_archE4294967295ELNS1_3gpuE0ELNS1_3repE0EEENS1_47radix_sort_onesweep_sort_config_static_selectorELNS0_4arch9wavefront6targetE1EEEvSK_.num_vgpr, 0
	.set _ZN7rocprim17ROCPRIM_400000_NS6detail17trampoline_kernelINS0_14default_configENS1_35radix_sort_onesweep_config_selectorIfNS0_10empty_typeEEEZZNS1_29radix_sort_onesweep_iterationIS3_Lb0EN6thrust23THRUST_200600_302600_NS6detail15normal_iteratorINS9_10device_ptrIfEEEESE_PS5_SF_jNS0_19identity_decomposerENS1_16block_id_wrapperIjLb1EEEEE10hipError_tT1_PNSt15iterator_traitsISK_E10value_typeET2_T3_PNSL_ISQ_E10value_typeET4_T5_PSV_SW_PNS1_23onesweep_lookback_stateEbbT6_jjT7_P12ihipStream_tbENKUlT_T0_SK_SP_E_clIPfSE_SF_SF_EEDaS13_S14_SK_SP_EUlS13_E_NS1_11comp_targetILNS1_3genE0ELNS1_11target_archE4294967295ELNS1_3gpuE0ELNS1_3repE0EEENS1_47radix_sort_onesweep_sort_config_static_selectorELNS0_4arch9wavefront6targetE1EEEvSK_.num_agpr, 0
	.set _ZN7rocprim17ROCPRIM_400000_NS6detail17trampoline_kernelINS0_14default_configENS1_35radix_sort_onesweep_config_selectorIfNS0_10empty_typeEEEZZNS1_29radix_sort_onesweep_iterationIS3_Lb0EN6thrust23THRUST_200600_302600_NS6detail15normal_iteratorINS9_10device_ptrIfEEEESE_PS5_SF_jNS0_19identity_decomposerENS1_16block_id_wrapperIjLb1EEEEE10hipError_tT1_PNSt15iterator_traitsISK_E10value_typeET2_T3_PNSL_ISQ_E10value_typeET4_T5_PSV_SW_PNS1_23onesweep_lookback_stateEbbT6_jjT7_P12ihipStream_tbENKUlT_T0_SK_SP_E_clIPfSE_SF_SF_EEDaS13_S14_SK_SP_EUlS13_E_NS1_11comp_targetILNS1_3genE0ELNS1_11target_archE4294967295ELNS1_3gpuE0ELNS1_3repE0EEENS1_47radix_sort_onesweep_sort_config_static_selectorELNS0_4arch9wavefront6targetE1EEEvSK_.numbered_sgpr, 0
	.set _ZN7rocprim17ROCPRIM_400000_NS6detail17trampoline_kernelINS0_14default_configENS1_35radix_sort_onesweep_config_selectorIfNS0_10empty_typeEEEZZNS1_29radix_sort_onesweep_iterationIS3_Lb0EN6thrust23THRUST_200600_302600_NS6detail15normal_iteratorINS9_10device_ptrIfEEEESE_PS5_SF_jNS0_19identity_decomposerENS1_16block_id_wrapperIjLb1EEEEE10hipError_tT1_PNSt15iterator_traitsISK_E10value_typeET2_T3_PNSL_ISQ_E10value_typeET4_T5_PSV_SW_PNS1_23onesweep_lookback_stateEbbT6_jjT7_P12ihipStream_tbENKUlT_T0_SK_SP_E_clIPfSE_SF_SF_EEDaS13_S14_SK_SP_EUlS13_E_NS1_11comp_targetILNS1_3genE0ELNS1_11target_archE4294967295ELNS1_3gpuE0ELNS1_3repE0EEENS1_47radix_sort_onesweep_sort_config_static_selectorELNS0_4arch9wavefront6targetE1EEEvSK_.num_named_barrier, 0
	.set _ZN7rocprim17ROCPRIM_400000_NS6detail17trampoline_kernelINS0_14default_configENS1_35radix_sort_onesweep_config_selectorIfNS0_10empty_typeEEEZZNS1_29radix_sort_onesweep_iterationIS3_Lb0EN6thrust23THRUST_200600_302600_NS6detail15normal_iteratorINS9_10device_ptrIfEEEESE_PS5_SF_jNS0_19identity_decomposerENS1_16block_id_wrapperIjLb1EEEEE10hipError_tT1_PNSt15iterator_traitsISK_E10value_typeET2_T3_PNSL_ISQ_E10value_typeET4_T5_PSV_SW_PNS1_23onesweep_lookback_stateEbbT6_jjT7_P12ihipStream_tbENKUlT_T0_SK_SP_E_clIPfSE_SF_SF_EEDaS13_S14_SK_SP_EUlS13_E_NS1_11comp_targetILNS1_3genE0ELNS1_11target_archE4294967295ELNS1_3gpuE0ELNS1_3repE0EEENS1_47radix_sort_onesweep_sort_config_static_selectorELNS0_4arch9wavefront6targetE1EEEvSK_.private_seg_size, 0
	.set _ZN7rocprim17ROCPRIM_400000_NS6detail17trampoline_kernelINS0_14default_configENS1_35radix_sort_onesweep_config_selectorIfNS0_10empty_typeEEEZZNS1_29radix_sort_onesweep_iterationIS3_Lb0EN6thrust23THRUST_200600_302600_NS6detail15normal_iteratorINS9_10device_ptrIfEEEESE_PS5_SF_jNS0_19identity_decomposerENS1_16block_id_wrapperIjLb1EEEEE10hipError_tT1_PNSt15iterator_traitsISK_E10value_typeET2_T3_PNSL_ISQ_E10value_typeET4_T5_PSV_SW_PNS1_23onesweep_lookback_stateEbbT6_jjT7_P12ihipStream_tbENKUlT_T0_SK_SP_E_clIPfSE_SF_SF_EEDaS13_S14_SK_SP_EUlS13_E_NS1_11comp_targetILNS1_3genE0ELNS1_11target_archE4294967295ELNS1_3gpuE0ELNS1_3repE0EEENS1_47radix_sort_onesweep_sort_config_static_selectorELNS0_4arch9wavefront6targetE1EEEvSK_.uses_vcc, 0
	.set _ZN7rocprim17ROCPRIM_400000_NS6detail17trampoline_kernelINS0_14default_configENS1_35radix_sort_onesweep_config_selectorIfNS0_10empty_typeEEEZZNS1_29radix_sort_onesweep_iterationIS3_Lb0EN6thrust23THRUST_200600_302600_NS6detail15normal_iteratorINS9_10device_ptrIfEEEESE_PS5_SF_jNS0_19identity_decomposerENS1_16block_id_wrapperIjLb1EEEEE10hipError_tT1_PNSt15iterator_traitsISK_E10value_typeET2_T3_PNSL_ISQ_E10value_typeET4_T5_PSV_SW_PNS1_23onesweep_lookback_stateEbbT6_jjT7_P12ihipStream_tbENKUlT_T0_SK_SP_E_clIPfSE_SF_SF_EEDaS13_S14_SK_SP_EUlS13_E_NS1_11comp_targetILNS1_3genE0ELNS1_11target_archE4294967295ELNS1_3gpuE0ELNS1_3repE0EEENS1_47radix_sort_onesweep_sort_config_static_selectorELNS0_4arch9wavefront6targetE1EEEvSK_.uses_flat_scratch, 0
	.set _ZN7rocprim17ROCPRIM_400000_NS6detail17trampoline_kernelINS0_14default_configENS1_35radix_sort_onesweep_config_selectorIfNS0_10empty_typeEEEZZNS1_29radix_sort_onesweep_iterationIS3_Lb0EN6thrust23THRUST_200600_302600_NS6detail15normal_iteratorINS9_10device_ptrIfEEEESE_PS5_SF_jNS0_19identity_decomposerENS1_16block_id_wrapperIjLb1EEEEE10hipError_tT1_PNSt15iterator_traitsISK_E10value_typeET2_T3_PNSL_ISQ_E10value_typeET4_T5_PSV_SW_PNS1_23onesweep_lookback_stateEbbT6_jjT7_P12ihipStream_tbENKUlT_T0_SK_SP_E_clIPfSE_SF_SF_EEDaS13_S14_SK_SP_EUlS13_E_NS1_11comp_targetILNS1_3genE0ELNS1_11target_archE4294967295ELNS1_3gpuE0ELNS1_3repE0EEENS1_47radix_sort_onesweep_sort_config_static_selectorELNS0_4arch9wavefront6targetE1EEEvSK_.has_dyn_sized_stack, 0
	.set _ZN7rocprim17ROCPRIM_400000_NS6detail17trampoline_kernelINS0_14default_configENS1_35radix_sort_onesweep_config_selectorIfNS0_10empty_typeEEEZZNS1_29radix_sort_onesweep_iterationIS3_Lb0EN6thrust23THRUST_200600_302600_NS6detail15normal_iteratorINS9_10device_ptrIfEEEESE_PS5_SF_jNS0_19identity_decomposerENS1_16block_id_wrapperIjLb1EEEEE10hipError_tT1_PNSt15iterator_traitsISK_E10value_typeET2_T3_PNSL_ISQ_E10value_typeET4_T5_PSV_SW_PNS1_23onesweep_lookback_stateEbbT6_jjT7_P12ihipStream_tbENKUlT_T0_SK_SP_E_clIPfSE_SF_SF_EEDaS13_S14_SK_SP_EUlS13_E_NS1_11comp_targetILNS1_3genE0ELNS1_11target_archE4294967295ELNS1_3gpuE0ELNS1_3repE0EEENS1_47radix_sort_onesweep_sort_config_static_selectorELNS0_4arch9wavefront6targetE1EEEvSK_.has_recursion, 0
	.set _ZN7rocprim17ROCPRIM_400000_NS6detail17trampoline_kernelINS0_14default_configENS1_35radix_sort_onesweep_config_selectorIfNS0_10empty_typeEEEZZNS1_29radix_sort_onesweep_iterationIS3_Lb0EN6thrust23THRUST_200600_302600_NS6detail15normal_iteratorINS9_10device_ptrIfEEEESE_PS5_SF_jNS0_19identity_decomposerENS1_16block_id_wrapperIjLb1EEEEE10hipError_tT1_PNSt15iterator_traitsISK_E10value_typeET2_T3_PNSL_ISQ_E10value_typeET4_T5_PSV_SW_PNS1_23onesweep_lookback_stateEbbT6_jjT7_P12ihipStream_tbENKUlT_T0_SK_SP_E_clIPfSE_SF_SF_EEDaS13_S14_SK_SP_EUlS13_E_NS1_11comp_targetILNS1_3genE0ELNS1_11target_archE4294967295ELNS1_3gpuE0ELNS1_3repE0EEENS1_47radix_sort_onesweep_sort_config_static_selectorELNS0_4arch9wavefront6targetE1EEEvSK_.has_indirect_call, 0
	.section	.AMDGPU.csdata,"",@progbits
; Kernel info:
; codeLenInByte = 0
; TotalNumSgprs: 6
; NumVgprs: 0
; NumAgprs: 0
; TotalNumVgprs: 0
; ScratchSize: 0
; MemoryBound: 0
; FloatMode: 240
; IeeeMode: 1
; LDSByteSize: 0 bytes/workgroup (compile time only)
; SGPRBlocks: 0
; VGPRBlocks: 0
; NumSGPRsForWavesPerEU: 6
; NumVGPRsForWavesPerEU: 1
; AccumOffset: 4
; Occupancy: 8
; WaveLimiterHint : 0
; COMPUTE_PGM_RSRC2:SCRATCH_EN: 0
; COMPUTE_PGM_RSRC2:USER_SGPR: 2
; COMPUTE_PGM_RSRC2:TRAP_HANDLER: 0
; COMPUTE_PGM_RSRC2:TGID_X_EN: 1
; COMPUTE_PGM_RSRC2:TGID_Y_EN: 0
; COMPUTE_PGM_RSRC2:TGID_Z_EN: 0
; COMPUTE_PGM_RSRC2:TIDIG_COMP_CNT: 0
; COMPUTE_PGM_RSRC3_GFX90A:ACCUM_OFFSET: 0
; COMPUTE_PGM_RSRC3_GFX90A:TG_SPLIT: 0
	.section	.text._ZN7rocprim17ROCPRIM_400000_NS6detail17trampoline_kernelINS0_14default_configENS1_35radix_sort_onesweep_config_selectorIfNS0_10empty_typeEEEZZNS1_29radix_sort_onesweep_iterationIS3_Lb0EN6thrust23THRUST_200600_302600_NS6detail15normal_iteratorINS9_10device_ptrIfEEEESE_PS5_SF_jNS0_19identity_decomposerENS1_16block_id_wrapperIjLb1EEEEE10hipError_tT1_PNSt15iterator_traitsISK_E10value_typeET2_T3_PNSL_ISQ_E10value_typeET4_T5_PSV_SW_PNS1_23onesweep_lookback_stateEbbT6_jjT7_P12ihipStream_tbENKUlT_T0_SK_SP_E_clIPfSE_SF_SF_EEDaS13_S14_SK_SP_EUlS13_E_NS1_11comp_targetILNS1_3genE6ELNS1_11target_archE950ELNS1_3gpuE13ELNS1_3repE0EEENS1_47radix_sort_onesweep_sort_config_static_selectorELNS0_4arch9wavefront6targetE1EEEvSK_,"axG",@progbits,_ZN7rocprim17ROCPRIM_400000_NS6detail17trampoline_kernelINS0_14default_configENS1_35radix_sort_onesweep_config_selectorIfNS0_10empty_typeEEEZZNS1_29radix_sort_onesweep_iterationIS3_Lb0EN6thrust23THRUST_200600_302600_NS6detail15normal_iteratorINS9_10device_ptrIfEEEESE_PS5_SF_jNS0_19identity_decomposerENS1_16block_id_wrapperIjLb1EEEEE10hipError_tT1_PNSt15iterator_traitsISK_E10value_typeET2_T3_PNSL_ISQ_E10value_typeET4_T5_PSV_SW_PNS1_23onesweep_lookback_stateEbbT6_jjT7_P12ihipStream_tbENKUlT_T0_SK_SP_E_clIPfSE_SF_SF_EEDaS13_S14_SK_SP_EUlS13_E_NS1_11comp_targetILNS1_3genE6ELNS1_11target_archE950ELNS1_3gpuE13ELNS1_3repE0EEENS1_47radix_sort_onesweep_sort_config_static_selectorELNS0_4arch9wavefront6targetE1EEEvSK_,comdat
	.protected	_ZN7rocprim17ROCPRIM_400000_NS6detail17trampoline_kernelINS0_14default_configENS1_35radix_sort_onesweep_config_selectorIfNS0_10empty_typeEEEZZNS1_29radix_sort_onesweep_iterationIS3_Lb0EN6thrust23THRUST_200600_302600_NS6detail15normal_iteratorINS9_10device_ptrIfEEEESE_PS5_SF_jNS0_19identity_decomposerENS1_16block_id_wrapperIjLb1EEEEE10hipError_tT1_PNSt15iterator_traitsISK_E10value_typeET2_T3_PNSL_ISQ_E10value_typeET4_T5_PSV_SW_PNS1_23onesweep_lookback_stateEbbT6_jjT7_P12ihipStream_tbENKUlT_T0_SK_SP_E_clIPfSE_SF_SF_EEDaS13_S14_SK_SP_EUlS13_E_NS1_11comp_targetILNS1_3genE6ELNS1_11target_archE950ELNS1_3gpuE13ELNS1_3repE0EEENS1_47radix_sort_onesweep_sort_config_static_selectorELNS0_4arch9wavefront6targetE1EEEvSK_ ; -- Begin function _ZN7rocprim17ROCPRIM_400000_NS6detail17trampoline_kernelINS0_14default_configENS1_35radix_sort_onesweep_config_selectorIfNS0_10empty_typeEEEZZNS1_29radix_sort_onesweep_iterationIS3_Lb0EN6thrust23THRUST_200600_302600_NS6detail15normal_iteratorINS9_10device_ptrIfEEEESE_PS5_SF_jNS0_19identity_decomposerENS1_16block_id_wrapperIjLb1EEEEE10hipError_tT1_PNSt15iterator_traitsISK_E10value_typeET2_T3_PNSL_ISQ_E10value_typeET4_T5_PSV_SW_PNS1_23onesweep_lookback_stateEbbT6_jjT7_P12ihipStream_tbENKUlT_T0_SK_SP_E_clIPfSE_SF_SF_EEDaS13_S14_SK_SP_EUlS13_E_NS1_11comp_targetILNS1_3genE6ELNS1_11target_archE950ELNS1_3gpuE13ELNS1_3repE0EEENS1_47radix_sort_onesweep_sort_config_static_selectorELNS0_4arch9wavefront6targetE1EEEvSK_
	.globl	_ZN7rocprim17ROCPRIM_400000_NS6detail17trampoline_kernelINS0_14default_configENS1_35radix_sort_onesweep_config_selectorIfNS0_10empty_typeEEEZZNS1_29radix_sort_onesweep_iterationIS3_Lb0EN6thrust23THRUST_200600_302600_NS6detail15normal_iteratorINS9_10device_ptrIfEEEESE_PS5_SF_jNS0_19identity_decomposerENS1_16block_id_wrapperIjLb1EEEEE10hipError_tT1_PNSt15iterator_traitsISK_E10value_typeET2_T3_PNSL_ISQ_E10value_typeET4_T5_PSV_SW_PNS1_23onesweep_lookback_stateEbbT6_jjT7_P12ihipStream_tbENKUlT_T0_SK_SP_E_clIPfSE_SF_SF_EEDaS13_S14_SK_SP_EUlS13_E_NS1_11comp_targetILNS1_3genE6ELNS1_11target_archE950ELNS1_3gpuE13ELNS1_3repE0EEENS1_47radix_sort_onesweep_sort_config_static_selectorELNS0_4arch9wavefront6targetE1EEEvSK_
	.p2align	8
	.type	_ZN7rocprim17ROCPRIM_400000_NS6detail17trampoline_kernelINS0_14default_configENS1_35radix_sort_onesweep_config_selectorIfNS0_10empty_typeEEEZZNS1_29radix_sort_onesweep_iterationIS3_Lb0EN6thrust23THRUST_200600_302600_NS6detail15normal_iteratorINS9_10device_ptrIfEEEESE_PS5_SF_jNS0_19identity_decomposerENS1_16block_id_wrapperIjLb1EEEEE10hipError_tT1_PNSt15iterator_traitsISK_E10value_typeET2_T3_PNSL_ISQ_E10value_typeET4_T5_PSV_SW_PNS1_23onesweep_lookback_stateEbbT6_jjT7_P12ihipStream_tbENKUlT_T0_SK_SP_E_clIPfSE_SF_SF_EEDaS13_S14_SK_SP_EUlS13_E_NS1_11comp_targetILNS1_3genE6ELNS1_11target_archE950ELNS1_3gpuE13ELNS1_3repE0EEENS1_47radix_sort_onesweep_sort_config_static_selectorELNS0_4arch9wavefront6targetE1EEEvSK_,@function
_ZN7rocprim17ROCPRIM_400000_NS6detail17trampoline_kernelINS0_14default_configENS1_35radix_sort_onesweep_config_selectorIfNS0_10empty_typeEEEZZNS1_29radix_sort_onesweep_iterationIS3_Lb0EN6thrust23THRUST_200600_302600_NS6detail15normal_iteratorINS9_10device_ptrIfEEEESE_PS5_SF_jNS0_19identity_decomposerENS1_16block_id_wrapperIjLb1EEEEE10hipError_tT1_PNSt15iterator_traitsISK_E10value_typeET2_T3_PNSL_ISQ_E10value_typeET4_T5_PSV_SW_PNS1_23onesweep_lookback_stateEbbT6_jjT7_P12ihipStream_tbENKUlT_T0_SK_SP_E_clIPfSE_SF_SF_EEDaS13_S14_SK_SP_EUlS13_E_NS1_11comp_targetILNS1_3genE6ELNS1_11target_archE950ELNS1_3gpuE13ELNS1_3repE0EEENS1_47radix_sort_onesweep_sort_config_static_selectorELNS0_4arch9wavefront6targetE1EEEvSK_: ; @_ZN7rocprim17ROCPRIM_400000_NS6detail17trampoline_kernelINS0_14default_configENS1_35radix_sort_onesweep_config_selectorIfNS0_10empty_typeEEEZZNS1_29radix_sort_onesweep_iterationIS3_Lb0EN6thrust23THRUST_200600_302600_NS6detail15normal_iteratorINS9_10device_ptrIfEEEESE_PS5_SF_jNS0_19identity_decomposerENS1_16block_id_wrapperIjLb1EEEEE10hipError_tT1_PNSt15iterator_traitsISK_E10value_typeET2_T3_PNSL_ISQ_E10value_typeET4_T5_PSV_SW_PNS1_23onesweep_lookback_stateEbbT6_jjT7_P12ihipStream_tbENKUlT_T0_SK_SP_E_clIPfSE_SF_SF_EEDaS13_S14_SK_SP_EUlS13_E_NS1_11comp_targetILNS1_3genE6ELNS1_11target_archE950ELNS1_3gpuE13ELNS1_3repE0EEENS1_47radix_sort_onesweep_sort_config_static_selectorELNS0_4arch9wavefront6targetE1EEEvSK_
; %bb.0:
	s_load_dwordx4 s[20:23], s[0:1], 0x28
	s_load_dwordx2 s[18:19], s[0:1], 0x38
	s_load_dwordx4 s[24:27], s[0:1], 0x44
	v_and_b32_e32 v10, 0x3ff, v0
	v_cmp_eq_u32_e64 s[10:11], 0, v10
	s_and_saveexec_b64 s[4:5], s[10:11]
	s_cbranch_execz .LBB578_4
; %bb.1:
	s_mov_b64 s[8:9], exec
	v_mbcnt_lo_u32_b32 v1, s8, 0
	v_mbcnt_hi_u32_b32 v1, s9, v1
	v_cmp_eq_u32_e32 vcc, 0, v1
                                        ; implicit-def: $vgpr2
	s_and_saveexec_b64 s[6:7], vcc
	s_cbranch_execz .LBB578_3
; %bb.2:
	s_load_dwordx2 s[12:13], s[0:1], 0x50
	s_bcnt1_i32_b64 s3, s[8:9]
	v_mov_b32_e32 v2, 0
	v_mov_b32_e32 v3, s3
	s_waitcnt lgkmcnt(0)
	global_atomic_add v2, v2, v3, s[12:13] sc0
.LBB578_3:
	s_or_b64 exec, exec, s[6:7]
	s_waitcnt vmcnt(0)
	v_readfirstlane_b32 s3, v2
	v_mov_b32_e32 v2, 0
	s_nop 0
	v_add_u32_e32 v1, s3, v1
	ds_write_b32 v2, v1 offset:20544
.LBB578_4:
	s_or_b64 exec, exec, s[4:5]
	v_mov_b32_e32 v3, 0
	s_load_dwordx4 s[28:31], s[0:1], 0x0
	s_load_dword s3, s[0:1], 0x20
	s_waitcnt lgkmcnt(0)
	s_barrier
	ds_read_b32 v1, v3 offset:20544
	s_mov_b64 s[4:5], -1
	s_waitcnt lgkmcnt(0)
	s_barrier
	v_cmp_le_u32_e32 vcc, s26, v1
	v_readfirstlane_b32 s27, v1
	v_mbcnt_lo_u32_b32 v1, -1, 0
	s_cbranch_vccz .LBB578_86
; %bb.5:
	s_lshl_b32 s4, s26, 13
	s_sub_i32 s3, s3, s4
	s_lshl_b32 s4, s27, 13
	s_mov_b32 s5, 0
	s_lshl_b64 s[4:5], s[4:5], 2
	v_mbcnt_hi_u32_b32 v16, -1, v1
	s_add_u32 s4, s28, s4
	v_and_b32_e32 v6, 63, v16
	v_lshlrev_b32_e32 v2, 3, v10
	s_addc_u32 s5, s29, s5
	v_and_b32_e32 v7, 0x1e00, v2
	v_lshlrev_b32_e32 v2, 2, v6
	v_lshl_add_u64 v[4:5], s[4:5], 0, v[2:3]
	v_lshlrev_b32_e32 v2, 2, v7
	v_lshl_add_u64 v[12:13], v[4:5], 0, v[2:3]
	v_or_b32_e32 v11, v6, v7
	v_bfrev_b32_e32 v2, -2
	v_cmp_gt_u32_e32 vcc, s3, v11
	v_mov_b32_e32 v3, v2
	v_mov_b32_e32 v4, v2
	;; [unrolled: 1-line block ×7, first 2 shown]
	s_and_saveexec_b64 s[4:5], vcc
	s_cbranch_execz .LBB578_7
; %bb.6:
	global_load_dword v18, v[12:13], off
	v_mov_b32_e32 v19, v2
	v_mov_b32_e32 v20, v2
	;; [unrolled: 1-line block ×7, first 2 shown]
	s_waitcnt vmcnt(0)
	v_mov_b64_e32 v[2:3], v[18:19]
	v_mov_b64_e32 v[4:5], v[20:21]
	;; [unrolled: 1-line block ×4, first 2 shown]
.LBB578_7:
	s_or_b64 exec, exec, s[4:5]
	v_or_b32_e32 v14, 64, v11
	v_cmp_gt_u32_e32 vcc, s3, v14
	s_and_saveexec_b64 s[4:5], vcc
	s_cbranch_execz .LBB578_9
; %bb.8:
	global_load_dword v3, v[12:13], off offset:256
.LBB578_9:
	s_or_b64 exec, exec, s[4:5]
	v_or_b32_e32 v14, 0x80, v11
	v_cmp_gt_u32_e32 vcc, s3, v14
	s_and_saveexec_b64 s[4:5], vcc
	s_cbranch_execz .LBB578_11
; %bb.10:
	global_load_dword v4, v[12:13], off offset:512
.LBB578_11:
	;; [unrolled: 8-line block ×7, first 2 shown]
	s_or_b64 exec, exec, s[4:5]
	s_load_dword s4, s[0:1], 0x64
	s_load_dword s26, s[0:1], 0x58
	s_add_u32 s5, s0, 0x58
	s_addc_u32 s6, s1, 0
	v_mov_b32_e32 v13, 0
	s_waitcnt lgkmcnt(0)
	s_lshr_b32 s7, s4, 16
	s_cmp_lt_u32 s2, s26
	s_cselect_b32 s4, 12, 18
	s_add_u32 s4, s5, s4
	s_addc_u32 s5, s6, 0
	global_load_ushort v18, v13, s[4:5]
	v_bfrev_b32_e32 v19, 1
	v_cmp_lt_i32_e32 vcc, -1, v2
	s_brev_b32 s34, -2
	s_lshl_b32 s4, -1, s25
	v_cndmask_b32_e32 v11, -1, v19, vcc
	v_xor_b32_e32 v11, v11, v2
	v_cmp_ne_u32_e32 vcc, s34, v11
	v_bfe_u32 v12, v0, 10, 10
	v_bfe_u32 v15, v0, 20, 10
	v_cndmask_b32_e32 v2, v19, v11, vcc
	v_lshrrev_b32_e32 v2, s24, v2
	v_bitop3_b32 v2, v2, s4, v2 bitop3:0x30
	v_mad_u32_u24 v32, v15, s7, v12
	v_and_b32_e32 v12, 1, v2
	v_lshlrev_b32_e32 v15, 30, v2
	v_mov_b32_e32 v14, v13
	v_mov_b32_e32 v22, v13
	v_lshlrev_b32_e32 v21, 29, v2
	v_lshlrev_b32_e32 v23, 28, v2
	v_lshl_add_u64 v[28:29], v[12:13], 0, -1
	v_cmp_ne_u32_e32 vcc, 0, v12
	v_not_b32_e32 v12, v15
	v_mov_b32_e32 v20, v13
	v_mov_b32_e32 v24, v13
	s_not_b32 s33, s4
	v_lshlrev_b32_e32 v25, 27, v2
	v_cmp_gt_i64_e64 s[4:5], 0, v[14:15]
	v_not_b32_e32 v14, v21
	v_cmp_gt_i64_e64 s[8:9], 0, v[22:23]
	v_xor_b32_e32 v22, vcc_hi, v29
	v_ashrrev_i32_e32 v12, 31, v12
	v_cmp_gt_i64_e64 s[6:7], 0, v[20:21]
	v_not_b32_e32 v15, v23
	v_cmp_gt_i64_e64 s[12:13], 0, v[24:25]
	v_xor_b32_e32 v23, vcc_lo, v28
	v_ashrrev_i32_e32 v14, 31, v14
	v_and_b32_e32 v22, exec_hi, v22
	v_xor_b32_e32 v24, s5, v12
	v_mov_b32_e32 v26, v13
	v_lshlrev_b32_e32 v27, 26, v2
	v_not_b32_e32 v20, v25
	v_ashrrev_i32_e32 v15, 31, v15
	v_and_b32_e32 v23, exec_lo, v23
	v_xor_b32_e32 v12, s4, v12
	v_xor_b32_e32 v25, s7, v14
	v_and_b32_e32 v22, v22, v24
	v_cmp_gt_i64_e64 s[14:15], 0, v[26:27]
	v_not_b32_e32 v21, v27
	v_ashrrev_i32_e32 v20, 31, v20
	v_xor_b32_e32 v14, s6, v14
	v_xor_b32_e32 v26, s9, v15
	v_and_b32_e32 v12, v23, v12
	v_and_b32_e32 v22, v22, v25
	v_ashrrev_i32_e32 v21, 31, v21
	v_xor_b32_e32 v15, s8, v15
	v_xor_b32_e32 v27, s13, v20
	v_and_b32_e32 v12, v12, v14
	v_and_b32_e32 v14, v22, v26
	v_xor_b32_e32 v20, s12, v20
	v_xor_b32_e32 v28, s15, v21
	v_and_b32_e32 v12, v12, v15
	v_and_b32_e32 v14, v14, v27
	;; [unrolled: 1-line block ×4, first 2 shown]
	v_lshlrev_b32_e32 v31, 25, v2
	v_mov_b32_e32 v30, v13
	v_cmp_gt_i64_e64 s[16:17], 0, v[30:31]
	v_xor_b32_e32 v21, s14, v21
	s_movk_i32 s35, 0x44
	v_and_b32_e32 v12, v12, v21
	v_mul_lo_u32 v33, v2, s35
	v_mul_u32_u24_e32 v17, 20, v10
	ds_write2_b32 v17, v13, v13 offset0:16 offset1:17
	ds_write2_b32 v17, v13, v13 offset0:18 offset1:19
	ds_write_b32 v17, v13 offset:80
	s_waitcnt lgkmcnt(0)
	s_barrier
	s_waitcnt vmcnt(0)
	; wave barrier
	v_mad_u64_u32 v[14:15], s[4:5], v32, v18, v[10:11]
	v_lshrrev_b32_e32 v14, 4, v14
	v_and_b32_e32 v29, 0xffffffc, v14
	v_not_b32_e32 v14, v31
	v_ashrrev_i32_e32 v14, 31, v14
	v_xor_b32_e32 v15, s17, v14
	v_xor_b32_e32 v14, s16, v14
	v_and_b32_e32 v18, v20, v15
	v_lshlrev_b32_e32 v15, 24, v2
	v_and_b32_e32 v12, v12, v14
	v_mov_b32_e32 v14, v13
	v_not_b32_e32 v2, v15
	v_cmp_gt_i64_e32 vcc, 0, v[14:15]
	v_ashrrev_i32_e32 v2, 31, v2
	v_add_u32_e32 v22, v29, v33
	v_xor_b32_e32 v14, vcc_hi, v2
	v_xor_b32_e32 v2, vcc_lo, v2
	v_and_b32_e32 v15, v18, v14
	v_and_b32_e32 v14, v12, v2
	v_mbcnt_lo_u32_b32 v2, v14, 0
	v_mbcnt_hi_u32_b32 v18, v15, v2
	v_cmp_eq_u32_e32 vcc, 0, v18
	v_cmp_ne_u64_e64 s[4:5], 0, v[14:15]
	s_and_b64 s[6:7], s[4:5], vcc
	s_and_saveexec_b64 s[4:5], s[6:7]
; %bb.22:
	v_bcnt_u32_b32 v2, v14, 0
	v_bcnt_u32_b32 v2, v15, v2
	ds_write_b32 v22, v2 offset:64
; %bb.23:
	s_or_b64 exec, exec, s[4:5]
	v_cmp_lt_i32_e32 vcc, -1, v3
	; wave barrier
	s_nop 1
	v_cndmask_b32_e32 v2, -1, v19, vcc
	v_xor_b32_e32 v14, v2, v3
	v_cmp_ne_u32_e32 vcc, s34, v14
	s_nop 1
	v_cndmask_b32_e32 v2, v19, v14, vcc
	v_lshrrev_b32_e32 v2, s24, v2
	v_and_b32_e32 v15, s33, v2
	v_mul_lo_u32 v2, v15, s35
	v_and_b32_e32 v12, 1, v15
	v_add_u32_e32 v23, v29, v2
	v_lshl_add_u64 v[2:3], v[12:13], 0, -1
	v_cmp_ne_u32_e32 vcc, 0, v12
	ds_read_b32 v19, v23 offset:64
	s_nop 0
	v_xor_b32_e32 v3, vcc_hi, v3
	v_xor_b32_e32 v2, vcc_lo, v2
	v_and_b32_e32 v12, exec_hi, v3
	v_and_b32_e32 v20, exec_lo, v2
	v_lshlrev_b32_e32 v3, 30, v15
	v_mov_b32_e32 v2, v13
	v_cmp_gt_i64_e32 vcc, 0, v[2:3]
	v_not_b32_e32 v2, v3
	v_ashrrev_i32_e32 v2, 31, v2
	v_xor_b32_e32 v3, vcc_hi, v2
	v_xor_b32_e32 v2, vcc_lo, v2
	v_and_b32_e32 v12, v12, v3
	v_and_b32_e32 v20, v20, v2
	v_lshlrev_b32_e32 v3, 29, v15
	v_mov_b32_e32 v2, v13
	v_cmp_gt_i64_e32 vcc, 0, v[2:3]
	v_not_b32_e32 v2, v3
	v_ashrrev_i32_e32 v2, 31, v2
	v_xor_b32_e32 v3, vcc_hi, v2
	v_xor_b32_e32 v2, vcc_lo, v2
	v_and_b32_e32 v12, v12, v3
	v_and_b32_e32 v20, v20, v2
	;; [unrolled: 9-line block ×7, first 2 shown]
	v_mbcnt_lo_u32_b32 v12, v2, 0
	v_mbcnt_hi_u32_b32 v20, v3, v12
	v_cmp_eq_u32_e32 vcc, 0, v20
	v_cmp_ne_u64_e64 s[4:5], 0, v[2:3]
	s_and_b64 s[6:7], s[4:5], vcc
	; wave barrier
	s_and_saveexec_b64 s[4:5], s[6:7]
	s_cbranch_execz .LBB578_25
; %bb.24:
	v_bcnt_u32_b32 v2, v2, 0
	v_bcnt_u32_b32 v2, v3, v2
	s_waitcnt lgkmcnt(0)
	v_add_u32_e32 v2, v19, v2
	ds_write_b32 v23, v2 offset:64
.LBB578_25:
	s_or_b64 exec, exec, s[4:5]
	v_bfrev_b32_e32 v24, 1
	v_cmp_lt_i32_e32 vcc, -1, v4
	s_brev_b32 s6, -2
	s_movk_i32 s7, 0x44
	v_cndmask_b32_e32 v2, -1, v24, vcc
	v_xor_b32_e32 v15, v2, v4
	v_cmp_ne_u32_e32 vcc, s6, v15
	v_mov_b32_e32 v3, 0
	s_nop 0
	v_cndmask_b32_e32 v2, v24, v15, vcc
	v_lshrrev_b32_e32 v2, s24, v2
	v_and_b32_e32 v4, s33, v2
	v_mul_lo_u32 v2, v4, s7
	v_add_u32_e32 v27, v29, v2
	v_and_b32_e32 v2, 1, v4
	v_lshl_add_u64 v[12:13], v[2:3], 0, -1
	v_cmp_ne_u32_e32 vcc, 0, v2
	; wave barrier
	ds_read_b32 v21, v27 offset:64
	s_nop 0
	v_xor_b32_e32 v12, vcc_lo, v12
	v_xor_b32_e32 v2, vcc_hi, v13
	v_and_b32_e32 v25, exec_lo, v12
	v_lshlrev_b32_e32 v13, 30, v4
	v_mov_b32_e32 v12, v3
	v_cmp_gt_i64_e32 vcc, 0, v[12:13]
	v_not_b32_e32 v12, v13
	v_ashrrev_i32_e32 v12, 31, v12
	v_and_b32_e32 v2, exec_hi, v2
	v_xor_b32_e32 v13, vcc_hi, v12
	v_xor_b32_e32 v12, vcc_lo, v12
	v_and_b32_e32 v2, v2, v13
	v_and_b32_e32 v25, v25, v12
	v_lshlrev_b32_e32 v13, 29, v4
	v_mov_b32_e32 v12, v3
	v_cmp_gt_i64_e32 vcc, 0, v[12:13]
	v_not_b32_e32 v12, v13
	v_ashrrev_i32_e32 v12, 31, v12
	v_xor_b32_e32 v13, vcc_hi, v12
	v_xor_b32_e32 v12, vcc_lo, v12
	v_and_b32_e32 v2, v2, v13
	v_and_b32_e32 v25, v25, v12
	v_lshlrev_b32_e32 v13, 28, v4
	v_mov_b32_e32 v12, v3
	v_cmp_gt_i64_e32 vcc, 0, v[12:13]
	v_not_b32_e32 v12, v13
	v_ashrrev_i32_e32 v12, 31, v12
	v_xor_b32_e32 v13, vcc_hi, v12
	v_xor_b32_e32 v12, vcc_lo, v12
	v_and_b32_e32 v2, v2, v13
	v_and_b32_e32 v25, v25, v12
	v_lshlrev_b32_e32 v13, 27, v4
	v_mov_b32_e32 v12, v3
	v_cmp_gt_i64_e32 vcc, 0, v[12:13]
	v_not_b32_e32 v12, v13
	v_ashrrev_i32_e32 v12, 31, v12
	v_xor_b32_e32 v13, vcc_hi, v12
	v_xor_b32_e32 v12, vcc_lo, v12
	v_and_b32_e32 v2, v2, v13
	v_and_b32_e32 v25, v25, v12
	v_lshlrev_b32_e32 v13, 26, v4
	v_mov_b32_e32 v12, v3
	v_cmp_gt_i64_e32 vcc, 0, v[12:13]
	v_not_b32_e32 v12, v13
	v_ashrrev_i32_e32 v12, 31, v12
	v_xor_b32_e32 v13, vcc_hi, v12
	v_xor_b32_e32 v12, vcc_lo, v12
	v_and_b32_e32 v2, v2, v13
	v_and_b32_e32 v25, v25, v12
	v_lshlrev_b32_e32 v13, 25, v4
	v_mov_b32_e32 v12, v3
	v_cmp_gt_i64_e32 vcc, 0, v[12:13]
	v_not_b32_e32 v12, v13
	v_ashrrev_i32_e32 v12, 31, v12
	v_xor_b32_e32 v13, vcc_hi, v12
	v_xor_b32_e32 v12, vcc_lo, v12
	v_and_b32_e32 v2, v2, v13
	v_lshlrev_b32_e32 v13, 24, v4
	v_and_b32_e32 v25, v25, v12
	v_mov_b32_e32 v12, v3
	v_not_b32_e32 v4, v13
	v_cmp_gt_i64_e32 vcc, 0, v[12:13]
	v_ashrrev_i32_e32 v4, 31, v4
	s_nop 0
	v_xor_b32_e32 v12, vcc_hi, v4
	v_xor_b32_e32 v4, vcc_lo, v4
	v_and_b32_e32 v13, v2, v12
	v_and_b32_e32 v12, v25, v4
	v_mbcnt_lo_u32_b32 v2, v12, 0
	v_mbcnt_hi_u32_b32 v25, v13, v2
	v_cmp_eq_u32_e32 vcc, 0, v25
	v_cmp_ne_u64_e64 s[4:5], 0, v[12:13]
	s_and_b64 s[8:9], s[4:5], vcc
	; wave barrier
	s_and_saveexec_b64 s[4:5], s[8:9]
	s_cbranch_execz .LBB578_27
; %bb.26:
	v_bcnt_u32_b32 v2, v12, 0
	v_bcnt_u32_b32 v2, v13, v2
	s_waitcnt lgkmcnt(0)
	v_add_u32_e32 v2, v21, v2
	ds_write_b32 v27, v2 offset:64
.LBB578_27:
	s_or_b64 exec, exec, s[4:5]
	v_cmp_lt_i32_e32 vcc, -1, v5
	; wave barrier
	s_nop 1
	v_cndmask_b32_e32 v2, -1, v24, vcc
	v_xor_b32_e32 v12, v2, v5
	v_cmp_ne_u32_e32 vcc, s6, v12
	s_nop 1
	v_cndmask_b32_e32 v2, v24, v12, vcc
	v_lshrrev_b32_e32 v2, s24, v2
	v_and_b32_e32 v13, s33, v2
	v_mul_lo_u32 v2, v13, s7
	v_add_u32_e32 v31, v29, v2
	v_and_b32_e32 v2, 1, v13
	v_lshl_add_u64 v[4:5], v[2:3], 0, -1
	v_cmp_ne_u32_e32 vcc, 0, v2
	ds_read_b32 v26, v31 offset:64
	s_nop 0
	v_xor_b32_e32 v4, vcc_lo, v4
	v_xor_b32_e32 v2, vcc_hi, v5
	v_and_b32_e32 v24, exec_lo, v4
	v_lshlrev_b32_e32 v5, 30, v13
	v_mov_b32_e32 v4, v3
	v_cmp_gt_i64_e32 vcc, 0, v[4:5]
	v_not_b32_e32 v4, v5
	v_ashrrev_i32_e32 v4, 31, v4
	v_and_b32_e32 v2, exec_hi, v2
	v_xor_b32_e32 v5, vcc_hi, v4
	v_xor_b32_e32 v4, vcc_lo, v4
	v_and_b32_e32 v2, v2, v5
	v_and_b32_e32 v24, v24, v4
	v_lshlrev_b32_e32 v5, 29, v13
	v_mov_b32_e32 v4, v3
	v_cmp_gt_i64_e32 vcc, 0, v[4:5]
	v_not_b32_e32 v4, v5
	v_ashrrev_i32_e32 v4, 31, v4
	v_xor_b32_e32 v5, vcc_hi, v4
	v_xor_b32_e32 v4, vcc_lo, v4
	v_and_b32_e32 v2, v2, v5
	v_and_b32_e32 v24, v24, v4
	v_lshlrev_b32_e32 v5, 28, v13
	v_mov_b32_e32 v4, v3
	v_cmp_gt_i64_e32 vcc, 0, v[4:5]
	v_not_b32_e32 v4, v5
	v_ashrrev_i32_e32 v4, 31, v4
	;; [unrolled: 9-line block ×5, first 2 shown]
	v_xor_b32_e32 v5, vcc_hi, v4
	v_xor_b32_e32 v4, vcc_lo, v4
	v_and_b32_e32 v2, v2, v5
	v_lshlrev_b32_e32 v5, 24, v13
	v_and_b32_e32 v24, v24, v4
	v_mov_b32_e32 v4, v3
	v_not_b32_e32 v3, v5
	v_cmp_gt_i64_e32 vcc, 0, v[4:5]
	v_ashrrev_i32_e32 v3, 31, v3
	; wave barrier
	s_nop 0
	v_xor_b32_e32 v4, vcc_hi, v3
	v_xor_b32_e32 v5, vcc_lo, v3
	v_and_b32_e32 v3, v2, v4
	v_and_b32_e32 v2, v24, v5
	v_mbcnt_lo_u32_b32 v4, v2, 0
	v_mbcnt_hi_u32_b32 v28, v3, v4
	v_cmp_eq_u32_e32 vcc, 0, v28
	v_cmp_ne_u64_e64 s[4:5], 0, v[2:3]
	s_and_b64 s[6:7], s[4:5], vcc
	s_and_saveexec_b64 s[4:5], s[6:7]
	s_cbranch_execz .LBB578_29
; %bb.28:
	v_bcnt_u32_b32 v2, v2, 0
	v_bcnt_u32_b32 v2, v3, v2
	s_waitcnt lgkmcnt(0)
	v_add_u32_e32 v2, v26, v2
	ds_write_b32 v31, v2 offset:64
.LBB578_29:
	s_or_b64 exec, exec, s[4:5]
	v_bfrev_b32_e32 v33, 1
	v_cmp_lt_i32_e32 vcc, -1, v6
	s_brev_b32 s6, -2
	s_movk_i32 s7, 0x44
	v_cndmask_b32_e32 v2, -1, v33, vcc
	v_xor_b32_e32 v13, v2, v6
	v_cmp_ne_u32_e32 vcc, s6, v13
	v_mov_b32_e32 v3, 0
	s_nop 0
	v_cndmask_b32_e32 v2, v33, v13, vcc
	v_lshrrev_b32_e32 v2, s24, v2
	v_and_b32_e32 v24, s33, v2
	v_mul_lo_u32 v2, v24, s7
	v_add_u32_e32 v6, v29, v2
	v_and_b32_e32 v2, 1, v24
	v_lshl_add_u64 v[4:5], v[2:3], 0, -1
	v_cmp_ne_u32_e32 vcc, 0, v2
	; wave barrier
	ds_read_b32 v30, v6 offset:64
	s_nop 0
	v_xor_b32_e32 v4, vcc_lo, v4
	v_xor_b32_e32 v2, vcc_hi, v5
	v_and_b32_e32 v32, exec_lo, v4
	v_lshlrev_b32_e32 v5, 30, v24
	v_mov_b32_e32 v4, v3
	v_cmp_gt_i64_e32 vcc, 0, v[4:5]
	v_not_b32_e32 v4, v5
	v_ashrrev_i32_e32 v4, 31, v4
	v_and_b32_e32 v2, exec_hi, v2
	v_xor_b32_e32 v5, vcc_hi, v4
	v_xor_b32_e32 v4, vcc_lo, v4
	v_and_b32_e32 v2, v2, v5
	v_and_b32_e32 v32, v32, v4
	v_lshlrev_b32_e32 v5, 29, v24
	v_mov_b32_e32 v4, v3
	v_cmp_gt_i64_e32 vcc, 0, v[4:5]
	v_not_b32_e32 v4, v5
	v_ashrrev_i32_e32 v4, 31, v4
	v_xor_b32_e32 v5, vcc_hi, v4
	v_xor_b32_e32 v4, vcc_lo, v4
	v_and_b32_e32 v2, v2, v5
	v_and_b32_e32 v32, v32, v4
	v_lshlrev_b32_e32 v5, 28, v24
	v_mov_b32_e32 v4, v3
	v_cmp_gt_i64_e32 vcc, 0, v[4:5]
	v_not_b32_e32 v4, v5
	v_ashrrev_i32_e32 v4, 31, v4
	;; [unrolled: 9-line block ×6, first 2 shown]
	v_xor_b32_e32 v5, vcc_hi, v4
	v_xor_b32_e32 v4, vcc_lo, v4
	v_and_b32_e32 v4, v32, v4
	v_and_b32_e32 v5, v2, v5
	v_mbcnt_lo_u32_b32 v2, v4, 0
	v_mbcnt_hi_u32_b32 v32, v5, v2
	v_cmp_eq_u32_e32 vcc, 0, v32
	v_cmp_ne_u64_e64 s[4:5], 0, v[4:5]
	s_and_b64 s[8:9], s[4:5], vcc
	; wave barrier
	s_and_saveexec_b64 s[4:5], s[8:9]
	s_cbranch_execz .LBB578_31
; %bb.30:
	v_bcnt_u32_b32 v2, v4, 0
	v_bcnt_u32_b32 v2, v5, v2
	s_waitcnt lgkmcnt(0)
	v_add_u32_e32 v2, v30, v2
	ds_write_b32 v6, v2 offset:64
.LBB578_31:
	s_or_b64 exec, exec, s[4:5]
	v_cmp_lt_i32_e32 vcc, -1, v7
	; wave barrier
	s_nop 1
	v_cndmask_b32_e32 v2, -1, v33, vcc
	v_xor_b32_e32 v24, v2, v7
	v_cmp_ne_u32_e32 vcc, s6, v24
	s_nop 1
	v_cndmask_b32_e32 v2, v33, v24, vcc
	v_lshrrev_b32_e32 v2, s24, v2
	v_and_b32_e32 v34, s33, v2
	v_mul_lo_u32 v2, v34, s7
	v_add_u32_e32 v7, v29, v2
	v_and_b32_e32 v2, 1, v34
	v_lshl_add_u64 v[4:5], v[2:3], 0, -1
	v_cmp_ne_u32_e32 vcc, 0, v2
	ds_read_b32 v33, v7 offset:64
	s_nop 0
	v_xor_b32_e32 v4, vcc_lo, v4
	v_xor_b32_e32 v2, vcc_hi, v5
	v_and_b32_e32 v35, exec_lo, v4
	v_lshlrev_b32_e32 v5, 30, v34
	v_mov_b32_e32 v4, v3
	v_cmp_gt_i64_e32 vcc, 0, v[4:5]
	v_not_b32_e32 v4, v5
	v_ashrrev_i32_e32 v4, 31, v4
	v_and_b32_e32 v2, exec_hi, v2
	v_xor_b32_e32 v5, vcc_hi, v4
	v_xor_b32_e32 v4, vcc_lo, v4
	v_and_b32_e32 v2, v2, v5
	v_and_b32_e32 v35, v35, v4
	v_lshlrev_b32_e32 v5, 29, v34
	v_mov_b32_e32 v4, v3
	v_cmp_gt_i64_e32 vcc, 0, v[4:5]
	v_not_b32_e32 v4, v5
	v_ashrrev_i32_e32 v4, 31, v4
	v_xor_b32_e32 v5, vcc_hi, v4
	v_xor_b32_e32 v4, vcc_lo, v4
	v_and_b32_e32 v2, v2, v5
	v_and_b32_e32 v35, v35, v4
	v_lshlrev_b32_e32 v5, 28, v34
	v_mov_b32_e32 v4, v3
	v_cmp_gt_i64_e32 vcc, 0, v[4:5]
	v_not_b32_e32 v4, v5
	v_ashrrev_i32_e32 v4, 31, v4
	;; [unrolled: 9-line block ×5, first 2 shown]
	v_xor_b32_e32 v5, vcc_hi, v4
	v_xor_b32_e32 v4, vcc_lo, v4
	v_and_b32_e32 v2, v2, v5
	v_lshlrev_b32_e32 v5, 24, v34
	v_and_b32_e32 v35, v35, v4
	v_mov_b32_e32 v4, v3
	v_not_b32_e32 v3, v5
	v_cmp_gt_i64_e32 vcc, 0, v[4:5]
	v_ashrrev_i32_e32 v3, 31, v3
	; wave barrier
	s_nop 0
	v_xor_b32_e32 v4, vcc_hi, v3
	v_xor_b32_e32 v5, vcc_lo, v3
	v_and_b32_e32 v3, v2, v4
	v_and_b32_e32 v2, v35, v5
	v_mbcnt_lo_u32_b32 v4, v2, 0
	v_mbcnt_hi_u32_b32 v34, v3, v4
	v_cmp_eq_u32_e32 vcc, 0, v34
	v_cmp_ne_u64_e64 s[4:5], 0, v[2:3]
	s_and_b64 s[6:7], s[4:5], vcc
	s_and_saveexec_b64 s[4:5], s[6:7]
	s_cbranch_execz .LBB578_33
; %bb.32:
	v_bcnt_u32_b32 v2, v2, 0
	v_bcnt_u32_b32 v2, v3, v2
	s_waitcnt lgkmcnt(0)
	v_add_u32_e32 v2, v33, v2
	ds_write_b32 v7, v2 offset:64
.LBB578_33:
	s_or_b64 exec, exec, s[4:5]
	v_bfrev_b32_e32 v38, 1
	v_cmp_lt_i32_e32 vcc, -1, v8
	s_brev_b32 s6, -2
	s_movk_i32 s7, 0x44
	v_cndmask_b32_e32 v2, -1, v38, vcc
	v_xor_b32_e32 v8, v2, v8
	v_cmp_ne_u32_e32 vcc, s6, v8
	v_mov_b32_e32 v3, 0
	s_nop 0
	v_cndmask_b32_e32 v2, v38, v8, vcc
	v_lshrrev_b32_e32 v2, s24, v2
	v_and_b32_e32 v36, s33, v2
	v_mul_lo_u32 v2, v36, s7
	v_add_u32_e32 v37, v29, v2
	v_and_b32_e32 v2, 1, v36
	v_lshl_add_u64 v[4:5], v[2:3], 0, -1
	v_cmp_ne_u32_e32 vcc, 0, v2
	; wave barrier
	ds_read_b32 v35, v37 offset:64
	s_nop 0
	v_xor_b32_e32 v4, vcc_lo, v4
	v_xor_b32_e32 v2, vcc_hi, v5
	v_and_b32_e32 v39, exec_lo, v4
	v_lshlrev_b32_e32 v5, 30, v36
	v_mov_b32_e32 v4, v3
	v_cmp_gt_i64_e32 vcc, 0, v[4:5]
	v_not_b32_e32 v4, v5
	v_ashrrev_i32_e32 v4, 31, v4
	v_and_b32_e32 v2, exec_hi, v2
	v_xor_b32_e32 v5, vcc_hi, v4
	v_xor_b32_e32 v4, vcc_lo, v4
	v_and_b32_e32 v2, v2, v5
	v_and_b32_e32 v39, v39, v4
	v_lshlrev_b32_e32 v5, 29, v36
	v_mov_b32_e32 v4, v3
	v_cmp_gt_i64_e32 vcc, 0, v[4:5]
	v_not_b32_e32 v4, v5
	v_ashrrev_i32_e32 v4, 31, v4
	v_xor_b32_e32 v5, vcc_hi, v4
	v_xor_b32_e32 v4, vcc_lo, v4
	v_and_b32_e32 v2, v2, v5
	v_and_b32_e32 v39, v39, v4
	v_lshlrev_b32_e32 v5, 28, v36
	v_mov_b32_e32 v4, v3
	v_cmp_gt_i64_e32 vcc, 0, v[4:5]
	v_not_b32_e32 v4, v5
	v_ashrrev_i32_e32 v4, 31, v4
	;; [unrolled: 9-line block ×6, first 2 shown]
	v_xor_b32_e32 v5, vcc_hi, v4
	v_xor_b32_e32 v4, vcc_lo, v4
	v_and_b32_e32 v4, v39, v4
	v_and_b32_e32 v5, v2, v5
	v_mbcnt_lo_u32_b32 v2, v4, 0
	v_mbcnt_hi_u32_b32 v36, v5, v2
	v_cmp_eq_u32_e32 vcc, 0, v36
	v_cmp_ne_u64_e64 s[4:5], 0, v[4:5]
	s_and_b64 s[8:9], s[4:5], vcc
	; wave barrier
	s_and_saveexec_b64 s[4:5], s[8:9]
	s_cbranch_execz .LBB578_35
; %bb.34:
	v_bcnt_u32_b32 v2, v4, 0
	v_bcnt_u32_b32 v2, v5, v2
	s_waitcnt lgkmcnt(0)
	v_add_u32_e32 v2, v35, v2
	ds_write_b32 v37, v2 offset:64
.LBB578_35:
	s_or_b64 exec, exec, s[4:5]
	v_cmp_lt_i32_e32 vcc, -1, v9
	; wave barrier
	s_nop 1
	v_cndmask_b32_e32 v2, -1, v38, vcc
	v_xor_b32_e32 v9, v2, v9
	v_cmp_ne_u32_e32 vcc, s6, v9
	s_nop 1
	v_cndmask_b32_e32 v2, v38, v9, vcc
	v_lshrrev_b32_e32 v2, s24, v2
	v_and_b32_e32 v38, s33, v2
	v_mul_lo_u32 v2, v38, s7
	v_add_u32_e32 v39, v29, v2
	v_and_b32_e32 v2, 1, v38
	v_lshl_add_u64 v[4:5], v[2:3], 0, -1
	v_cmp_ne_u32_e32 vcc, 0, v2
	ds_read_b32 v29, v39 offset:64
	s_nop 0
	v_xor_b32_e32 v4, vcc_lo, v4
	v_xor_b32_e32 v2, vcc_hi, v5
	v_and_b32_e32 v40, exec_lo, v4
	v_lshlrev_b32_e32 v5, 30, v38
	v_mov_b32_e32 v4, v3
	v_cmp_gt_i64_e32 vcc, 0, v[4:5]
	v_not_b32_e32 v4, v5
	v_ashrrev_i32_e32 v4, 31, v4
	v_and_b32_e32 v2, exec_hi, v2
	v_xor_b32_e32 v5, vcc_hi, v4
	v_xor_b32_e32 v4, vcc_lo, v4
	v_and_b32_e32 v2, v2, v5
	v_and_b32_e32 v40, v40, v4
	v_lshlrev_b32_e32 v5, 29, v38
	v_mov_b32_e32 v4, v3
	v_cmp_gt_i64_e32 vcc, 0, v[4:5]
	v_not_b32_e32 v4, v5
	v_ashrrev_i32_e32 v4, 31, v4
	v_xor_b32_e32 v5, vcc_hi, v4
	v_xor_b32_e32 v4, vcc_lo, v4
	v_and_b32_e32 v2, v2, v5
	v_and_b32_e32 v40, v40, v4
	v_lshlrev_b32_e32 v5, 28, v38
	v_mov_b32_e32 v4, v3
	v_cmp_gt_i64_e32 vcc, 0, v[4:5]
	v_not_b32_e32 v4, v5
	v_ashrrev_i32_e32 v4, 31, v4
	;; [unrolled: 9-line block ×5, first 2 shown]
	v_xor_b32_e32 v5, vcc_hi, v4
	v_xor_b32_e32 v4, vcc_lo, v4
	v_and_b32_e32 v2, v2, v5
	v_lshlrev_b32_e32 v5, 24, v38
	v_and_b32_e32 v40, v40, v4
	v_mov_b32_e32 v4, v3
	v_not_b32_e32 v3, v5
	v_cmp_gt_i64_e32 vcc, 0, v[4:5]
	v_ashrrev_i32_e32 v3, 31, v3
	; wave barrier
	s_nop 0
	v_xor_b32_e32 v4, vcc_hi, v3
	v_xor_b32_e32 v5, vcc_lo, v3
	v_and_b32_e32 v3, v2, v4
	v_and_b32_e32 v2, v40, v5
	v_mbcnt_lo_u32_b32 v4, v2, 0
	v_mbcnt_hi_u32_b32 v38, v3, v4
	v_cmp_eq_u32_e32 vcc, 0, v38
	v_cmp_ne_u64_e64 s[4:5], 0, v[2:3]
	s_and_b64 s[6:7], s[4:5], vcc
	s_and_saveexec_b64 s[4:5], s[6:7]
	s_cbranch_execz .LBB578_37
; %bb.36:
	v_bcnt_u32_b32 v2, v2, 0
	v_bcnt_u32_b32 v2, v3, v2
	s_waitcnt lgkmcnt(0)
	v_add_u32_e32 v2, v29, v2
	ds_write_b32 v39, v2 offset:64
.LBB578_37:
	s_or_b64 exec, exec, s[4:5]
	; wave barrier
	s_waitcnt lgkmcnt(0)
	s_barrier
	ds_read2_b32 v[4:5], v17 offset0:16 offset1:17
	ds_read2_b32 v[2:3], v17 offset0:18 offset1:19
	ds_read_b32 v40, v17 offset:80
	v_cmp_lt_u32_e64 s[12:13], 31, v16
	s_waitcnt lgkmcnt(1)
	v_add3_u32 v41, v5, v4, v2
	s_waitcnt lgkmcnt(0)
	v_add3_u32 v40, v41, v3, v40
	v_and_b32_e32 v41, 15, v16
	v_cmp_eq_u32_e32 vcc, 0, v41
	v_mov_b32_dpp v42, v40 row_shr:1 row_mask:0xf bank_mask:0xf
	v_cmp_lt_u32_e64 s[4:5], 1, v41
	v_cndmask_b32_e64 v42, v42, 0, vcc
	v_add_u32_e32 v40, v42, v40
	v_cmp_lt_u32_e64 s[6:7], 3, v41
	v_cmp_lt_u32_e64 s[8:9], 7, v41
	v_mov_b32_dpp v42, v40 row_shr:2 row_mask:0xf bank_mask:0xf
	v_cndmask_b32_e64 v42, 0, v42, s[4:5]
	v_add_u32_e32 v40, v40, v42
	s_nop 1
	v_mov_b32_dpp v42, v40 row_shr:4 row_mask:0xf bank_mask:0xf
	v_cndmask_b32_e64 v42, 0, v42, s[6:7]
	v_add_u32_e32 v40, v40, v42
	s_nop 1
	v_mov_b32_dpp v42, v40 row_shr:8 row_mask:0xf bank_mask:0xf
	v_cndmask_b32_e64 v41, 0, v42, s[8:9]
	v_add_u32_e32 v40, v40, v41
	v_bfe_i32 v42, v16, 4, 1
	s_nop 0
	v_mov_b32_dpp v41, v40 row_bcast:15 row_mask:0xf bank_mask:0xf
	v_and_b32_e32 v41, v42, v41
	v_add_u32_e32 v40, v40, v41
	v_and_b32_e32 v42, 63, v10
	s_nop 0
	v_mov_b32_dpp v41, v40 row_bcast:31 row_mask:0xf bank_mask:0xf
	v_cndmask_b32_e64 v41, 0, v41, s[12:13]
	v_add_u32_e32 v40, v40, v41
	v_lshrrev_b32_e32 v41, 6, v10
	v_cmp_eq_u32_e64 s[12:13], 63, v42
	s_and_saveexec_b64 s[14:15], s[12:13]
; %bb.38:
	v_lshlrev_b32_e32 v42, 2, v41
	ds_write_b32 v42, v40
; %bb.39:
	s_or_b64 exec, exec, s[14:15]
	v_cmp_gt_u32_e64 s[12:13], 16, v10
	s_waitcnt lgkmcnt(0)
	s_barrier
	s_and_saveexec_b64 s[14:15], s[12:13]
	s_cbranch_execz .LBB578_41
; %bb.40:
	v_lshlrev_b32_e32 v42, 2, v10
	ds_read_b32 v43, v42
	s_waitcnt lgkmcnt(0)
	s_nop 0
	v_mov_b32_dpp v44, v43 row_shr:1 row_mask:0xf bank_mask:0xf
	v_cndmask_b32_e64 v44, v44, 0, vcc
	v_add_u32_e32 v43, v44, v43
	s_nop 1
	v_mov_b32_dpp v44, v43 row_shr:2 row_mask:0xf bank_mask:0xf
	v_cndmask_b32_e64 v44, 0, v44, s[4:5]
	v_add_u32_e32 v43, v43, v44
	s_nop 1
	v_mov_b32_dpp v44, v43 row_shr:4 row_mask:0xf bank_mask:0xf
	v_cndmask_b32_e64 v44, 0, v44, s[6:7]
	;; [unrolled: 4-line block ×3, first 2 shown]
	v_add_u32_e32 v43, v43, v44
	ds_write_b32 v42, v43
.LBB578_41:
	s_or_b64 exec, exec, s[14:15]
	v_cmp_lt_u32_e32 vcc, 63, v10
	v_mov_b32_e32 v42, 0
	s_waitcnt lgkmcnt(0)
	s_barrier
	s_and_saveexec_b64 s[4:5], vcc
; %bb.42:
	v_lshl_add_u32 v41, v41, 2, -4
	ds_read_b32 v42, v41
; %bb.43:
	s_or_b64 exec, exec, s[4:5]
	v_subrev_co_u32_e32 v41, vcc, 1, v16
	v_and_b32_e32 v43, 64, v16
	v_cmp_lt_i32_e64 s[4:5], v41, v43
	s_waitcnt lgkmcnt(0)
	v_add_u32_e32 v40, v42, v40
	s_movk_i32 s6, 0x100
	v_cndmask_b32_e64 v16, v41, v16, s[4:5]
	v_lshlrev_b32_e32 v16, 2, v16
	ds_bpermute_b32 v16, v16, v40
	s_movk_i32 s4, 0xff
	v_cmp_lt_u32_e64 s[4:5], s4, v10
	s_waitcnt lgkmcnt(0)
	v_cndmask_b32_e32 v16, v16, v42, vcc
	v_cndmask_b32_e64 v16, v16, 0, s[10:11]
	v_add_u32_e32 v4, v16, v4
	v_add_u32_e32 v5, v4, v5
	;; [unrolled: 1-line block ×4, first 2 shown]
	ds_write2_b32 v17, v16, v4 offset0:16 offset1:17
	ds_write2_b32 v17, v5, v2 offset0:18 offset1:19
	ds_write_b32 v17, v3 offset:80
	s_waitcnt lgkmcnt(0)
	s_barrier
	ds_read_b32 v40, v22 offset:64
	ds_read_b32 v23, v23 offset:64
	;; [unrolled: 1-line block ×8, first 2 shown]
	v_cmp_gt_u32_e32 vcc, s6, v10
                                        ; implicit-def: $vgpr16
                                        ; implicit-def: $vgpr17
	s_and_saveexec_b64 s[8:9], vcc
	s_cbranch_execz .LBB578_47
; %bb.44:
	v_mul_u32_u24_e32 v2, 0x44, v10
	ds_read_b32 v16, v2 offset:64
	v_add_u32_e32 v3, 1, v10
	v_cmp_ne_u32_e64 s[6:7], s6, v3
	v_mov_b32_e32 v2, 0x2000
	s_and_saveexec_b64 s[12:13], s[6:7]
; %bb.45:
	v_mul_u32_u24_e32 v2, 0x44, v3
	ds_read_b32 v2, v2 offset:64
; %bb.46:
	s_or_b64 exec, exec, s[12:13]
	s_waitcnt lgkmcnt(0)
	v_sub_u32_e32 v17, v2, v16
.LBB578_47:
	s_or_b64 exec, exec, s[8:9]
	v_mov_b32_e32 v3, 0
	v_lshlrev_b32_e32 v22, 2, v10
	s_waitcnt lgkmcnt(0)
	s_barrier
	s_and_saveexec_b64 s[6:7], vcc
	s_cbranch_execz .LBB578_57
; %bb.48:
	v_lshl_add_u32 v2, s27, 8, v10
	v_lshl_add_u64 v[4:5], v[2:3], 2, s[18:19]
	v_or_b32_e32 v2, 2.0, v17
	s_mov_b64 s[8:9], 0
	s_brev_b32 s16, -4
	s_mov_b32 s17, s27
	v_mov_b32_e32 v43, 0
	global_store_dword v[4:5], v2, off sc1
                                        ; implicit-def: $sgpr12_sgpr13
	s_branch .LBB578_51
.LBB578_49:                             ;   in Loop: Header=BB578_51 Depth=1
	s_or_b64 exec, exec, s[14:15]
.LBB578_50:                             ;   in Loop: Header=BB578_51 Depth=1
	s_or_b64 exec, exec, s[12:13]
	v_and_b32_e32 v6, 0x3fffffff, v2
	v_add_u32_e32 v43, v6, v43
	v_cmp_gt_i32_e64 s[12:13], -2.0, v2
	s_and_b64 s[14:15], exec, s[12:13]
	s_or_b64 s[8:9], s[14:15], s[8:9]
	s_andn2_b64 exec, exec, s[8:9]
	s_cbranch_execz .LBB578_56
.LBB578_51:                             ; =>This Loop Header: Depth=1
                                        ;     Child Loop BB578_54 Depth 2
	s_or_b64 s[12:13], s[12:13], exec
	s_cmp_eq_u32 s17, 0
	s_cbranch_scc1 .LBB578_55
; %bb.52:                               ;   in Loop: Header=BB578_51 Depth=1
	s_add_i32 s17, s17, -1
	v_lshl_or_b32 v2, s17, 8, v10
	v_lshl_add_u64 v[6:7], v[2:3], 2, s[18:19]
	global_load_dword v2, v[6:7], off sc1
	s_waitcnt vmcnt(0)
	v_cmp_gt_u32_e32 vcc, 2.0, v2
	s_and_saveexec_b64 s[12:13], vcc
	s_cbranch_execz .LBB578_50
; %bb.53:                               ;   in Loop: Header=BB578_51 Depth=1
	s_mov_b64 s[14:15], 0
.LBB578_54:                             ;   Parent Loop BB578_51 Depth=1
                                        ; =>  This Inner Loop Header: Depth=2
	global_load_dword v2, v[6:7], off sc1
	s_waitcnt vmcnt(0)
	v_cmp_lt_u32_e32 vcc, s16, v2
	s_or_b64 s[14:15], vcc, s[14:15]
	s_andn2_b64 exec, exec, s[14:15]
	s_cbranch_execnz .LBB578_54
	s_branch .LBB578_49
.LBB578_55:                             ;   in Loop: Header=BB578_51 Depth=1
                                        ; implicit-def: $sgpr17
	s_and_b64 s[14:15], exec, s[12:13]
	s_or_b64 s[8:9], s[14:15], s[8:9]
	s_andn2_b64 exec, exec, s[8:9]
	s_cbranch_execnz .LBB578_51
.LBB578_56:
	s_or_b64 exec, exec, s[8:9]
	v_add_u32_e32 v2, v43, v17
	v_or_b32_e32 v2, 0x80000000, v2
	global_store_dword v[4:5], v2, off sc1
	global_load_dword v2, v22, s[20:21]
	v_sub_u32_e32 v3, v43, v16
	s_waitcnt vmcnt(0)
	v_add_u32_e32 v2, v3, v2
	ds_write_b32 v22, v2
.LBB578_57:
	s_or_b64 exec, exec, s[6:7]
	v_add_u32_e32 v4, v40, v18
	v_add3_u32 v5, v20, v19, v23
	v_add3_u32 v6, v25, v21, v27
	v_add3_u32 v7, v28, v26, v31
	v_add3_u32 v18, v32, v30, v41
	v_add3_u32 v19, v34, v33, v42
	v_add3_u32 v20, v36, v35, v37
	v_add3_u32 v21, v38, v29, v39
	v_lshlrev_b32_e32 v23, 2, v21
	v_lshlrev_b32_e32 v25, 2, v20
	;; [unrolled: 1-line block ×8, first 2 shown]
	s_mov_b64 s[6:7], -1
	s_mov_b32 s12, 0
	s_brev_b32 s13, -2
	v_mov_b32_e32 v3, 0
	s_movk_i32 s14, 0x400
	s_movk_i32 s15, 0x800
	;; [unrolled: 1-line block ×3, first 2 shown]
	v_bfrev_b32_e32 v32, 1
	v_mov_b32_e32 v33, v10
	s_branch .LBB578_59
.LBB578_58:                             ;   in Loop: Header=BB578_59 Depth=1
	s_or_b64 exec, exec, s[8:9]
	s_xor_b64 s[8:9], s[6:7], -1
	s_addk_i32 s12, 0xc000
	v_add_u32_e32 v33, 0x1000, v33
	s_mov_b64 s[6:7], 0
	s_and_b64 vcc, exec, s[8:9]
	s_barrier
	s_cbranch_vccnz .LBB578_83
.LBB578_59:                             ; =>This Inner Loop Header: Depth=1
	v_subrev_co_u32_e32 v4, vcc, 0x1000, v4
	s_and_saveexec_b64 s[8:9], vcc
	s_cbranch_execz .LBB578_67
; %bb.60:                               ;   in Loop: Header=BB578_59 Depth=1
	v_add_u32_e32 v2, s12, v31
	ds_write_b32 v2, v11 offset:1024
	s_or_b64 exec, exec, s[8:9]
	v_subrev_co_u32_e32 v5, vcc, 0x1000, v5
	s_and_saveexec_b64 s[8:9], vcc
	s_cbranch_execnz .LBB578_68
.LBB578_61:                             ;   in Loop: Header=BB578_59 Depth=1
	s_or_b64 exec, exec, s[8:9]
	v_subrev_co_u32_e32 v6, vcc, 0x1000, v6
	s_and_saveexec_b64 s[8:9], vcc
	s_cbranch_execz .LBB578_69
.LBB578_62:                             ;   in Loop: Header=BB578_59 Depth=1
	v_add_u32_e32 v2, s12, v29
	ds_write_b32 v2, v15 offset:1024
	s_or_b64 exec, exec, s[8:9]
	v_subrev_co_u32_e32 v7, vcc, 0x1000, v7
	s_and_saveexec_b64 s[8:9], vcc
	s_cbranch_execnz .LBB578_70
.LBB578_63:                             ;   in Loop: Header=BB578_59 Depth=1
	s_or_b64 exec, exec, s[8:9]
	v_subrev_co_u32_e32 v18, vcc, 0x1000, v18
	s_and_saveexec_b64 s[8:9], vcc
	s_cbranch_execz .LBB578_71
.LBB578_64:                             ;   in Loop: Header=BB578_59 Depth=1
	v_add_u32_e32 v2, s12, v27
	ds_write_b32 v2, v13 offset:1024
	s_or_b64 exec, exec, s[8:9]
	v_subrev_co_u32_e32 v19, vcc, 0x1000, v19
	s_and_saveexec_b64 s[8:9], vcc
	s_cbranch_execnz .LBB578_72
.LBB578_65:                             ;   in Loop: Header=BB578_59 Depth=1
	s_or_b64 exec, exec, s[8:9]
	v_subrev_co_u32_e32 v20, vcc, 0x1000, v20
	s_and_saveexec_b64 s[8:9], vcc
	s_cbranch_execz .LBB578_73
.LBB578_66:                             ;   in Loop: Header=BB578_59 Depth=1
	v_add_u32_e32 v2, s12, v25
	ds_write_b32 v2, v8 offset:1024
	s_or_b64 exec, exec, s[8:9]
	v_subrev_co_u32_e32 v21, vcc, 0x1000, v21
	s_and_saveexec_b64 s[8:9], vcc
	s_cbranch_execnz .LBB578_74
	s_branch .LBB578_75
.LBB578_67:                             ;   in Loop: Header=BB578_59 Depth=1
	s_or_b64 exec, exec, s[8:9]
	v_subrev_co_u32_e32 v5, vcc, 0x1000, v5
	s_and_saveexec_b64 s[8:9], vcc
	s_cbranch_execz .LBB578_61
.LBB578_68:                             ;   in Loop: Header=BB578_59 Depth=1
	v_add_u32_e32 v2, s12, v30
	ds_write_b32 v2, v14 offset:1024
	s_or_b64 exec, exec, s[8:9]
	v_subrev_co_u32_e32 v6, vcc, 0x1000, v6
	s_and_saveexec_b64 s[8:9], vcc
	s_cbranch_execnz .LBB578_62
.LBB578_69:                             ;   in Loop: Header=BB578_59 Depth=1
	s_or_b64 exec, exec, s[8:9]
	v_subrev_co_u32_e32 v7, vcc, 0x1000, v7
	s_and_saveexec_b64 s[8:9], vcc
	s_cbranch_execz .LBB578_63
.LBB578_70:                             ;   in Loop: Header=BB578_59 Depth=1
	v_add_u32_e32 v2, s12, v28
	ds_write_b32 v2, v12 offset:1024
	s_or_b64 exec, exec, s[8:9]
	v_subrev_co_u32_e32 v18, vcc, 0x1000, v18
	s_and_saveexec_b64 s[8:9], vcc
	s_cbranch_execnz .LBB578_64
.LBB578_71:                             ;   in Loop: Header=BB578_59 Depth=1
	s_or_b64 exec, exec, s[8:9]
	v_subrev_co_u32_e32 v19, vcc, 0x1000, v19
	s_and_saveexec_b64 s[8:9], vcc
	s_cbranch_execz .LBB578_65
.LBB578_72:                             ;   in Loop: Header=BB578_59 Depth=1
	v_add_u32_e32 v2, s12, v26
	ds_write_b32 v2, v24 offset:1024
	s_or_b64 exec, exec, s[8:9]
	v_subrev_co_u32_e32 v20, vcc, 0x1000, v20
	s_and_saveexec_b64 s[8:9], vcc
	s_cbranch_execnz .LBB578_66
.LBB578_73:                             ;   in Loop: Header=BB578_59 Depth=1
	s_or_b64 exec, exec, s[8:9]
	v_subrev_co_u32_e32 v21, vcc, 0x1000, v21
	s_and_saveexec_b64 s[8:9], vcc
.LBB578_74:                             ;   in Loop: Header=BB578_59 Depth=1
	v_add_u32_e32 v2, s12, v23
	ds_write_b32 v2, v9 offset:1024
.LBB578_75:                             ;   in Loop: Header=BB578_59 Depth=1
	s_or_b64 exec, exec, s[8:9]
	v_cmp_gt_u32_e32 vcc, s3, v33
	s_waitcnt lgkmcnt(0)
	s_barrier
	s_and_saveexec_b64 s[8:9], vcc
	s_cbranch_execz .LBB578_77
; %bb.76:                               ;   in Loop: Header=BB578_59 Depth=1
	ds_read_b32 v2, v22 offset:1024
	s_waitcnt lgkmcnt(0)
	v_cmp_ne_u32_e32 vcc, s13, v2
	s_nop 1
	v_cndmask_b32_e32 v34, v32, v2, vcc
	v_lshrrev_b32_e32 v34, s24, v34
	v_and_b32_e32 v34, s33, v34
	v_lshlrev_b32_e32 v34, 2, v34
	ds_read_b32 v34, v34
	v_cmp_lt_i32_e32 vcc, -1, v2
	s_nop 1
	v_cndmask_b32_e64 v35, v32, -1, vcc
	v_xor_b32_e32 v36, v35, v2
	s_waitcnt lgkmcnt(0)
	v_add_u32_e32 v2, v33, v34
	v_lshl_add_u64 v[34:35], v[2:3], 2, s[30:31]
	global_store_dword v[34:35], v36, off
.LBB578_77:                             ;   in Loop: Header=BB578_59 Depth=1
	s_or_b64 exec, exec, s[8:9]
	v_add_u32_e32 v2, 0x400, v33
	v_cmp_gt_u32_e32 vcc, s3, v2
	s_and_saveexec_b64 s[8:9], vcc
	s_cbranch_execz .LBB578_79
; %bb.78:                               ;   in Loop: Header=BB578_59 Depth=1
	ds_read_b32 v2, v22 offset:5120
	s_waitcnt lgkmcnt(0)
	v_cmp_ne_u32_e32 vcc, s13, v2
	s_nop 1
	v_cndmask_b32_e32 v34, v32, v2, vcc
	v_lshrrev_b32_e32 v34, s24, v34
	v_and_b32_e32 v34, s33, v34
	v_lshlrev_b32_e32 v34, 2, v34
	ds_read_b32 v34, v34
	v_cmp_lt_i32_e32 vcc, -1, v2
	s_nop 1
	v_cndmask_b32_e64 v35, v32, -1, vcc
	v_xor_b32_e32 v36, v35, v2
	s_waitcnt lgkmcnt(0)
	v_add3_u32 v2, v33, v34, s14
	v_lshl_add_u64 v[34:35], v[2:3], 2, s[30:31]
	global_store_dword v[34:35], v36, off
.LBB578_79:                             ;   in Loop: Header=BB578_59 Depth=1
	s_or_b64 exec, exec, s[8:9]
	v_add_u32_e32 v2, 0x800, v33
	v_cmp_gt_u32_e32 vcc, s3, v2
	s_and_saveexec_b64 s[8:9], vcc
	s_cbranch_execz .LBB578_81
; %bb.80:                               ;   in Loop: Header=BB578_59 Depth=1
	ds_read_b32 v2, v22 offset:9216
	s_waitcnt lgkmcnt(0)
	v_cmp_ne_u32_e32 vcc, s13, v2
	s_nop 1
	v_cndmask_b32_e32 v34, v32, v2, vcc
	v_lshrrev_b32_e32 v34, s24, v34
	v_and_b32_e32 v34, s33, v34
	v_lshlrev_b32_e32 v34, 2, v34
	ds_read_b32 v34, v34
	v_cmp_lt_i32_e32 vcc, -1, v2
	s_nop 1
	v_cndmask_b32_e64 v35, v32, -1, vcc
	v_xor_b32_e32 v36, v35, v2
	s_waitcnt lgkmcnt(0)
	v_add3_u32 v2, v33, v34, s15
	v_lshl_add_u64 v[34:35], v[2:3], 2, s[30:31]
	global_store_dword v[34:35], v36, off
.LBB578_81:                             ;   in Loop: Header=BB578_59 Depth=1
	s_or_b64 exec, exec, s[8:9]
	v_add_u32_e32 v2, 0xc00, v33
	v_cmp_gt_u32_e32 vcc, s3, v2
	s_and_saveexec_b64 s[8:9], vcc
	s_cbranch_execz .LBB578_58
; %bb.82:                               ;   in Loop: Header=BB578_59 Depth=1
	ds_read_b32 v2, v22 offset:13312
	s_waitcnt lgkmcnt(0)
	v_cmp_ne_u32_e32 vcc, s13, v2
	s_nop 1
	v_cndmask_b32_e32 v34, v32, v2, vcc
	v_lshrrev_b32_e32 v34, s24, v34
	v_and_b32_e32 v34, s33, v34
	v_lshlrev_b32_e32 v34, 2, v34
	ds_read_b32 v34, v34
	v_cmp_lt_i32_e32 vcc, -1, v2
	s_nop 1
	v_cndmask_b32_e64 v35, v32, -1, vcc
	v_xor_b32_e32 v36, v35, v2
	s_waitcnt lgkmcnt(0)
	v_add3_u32 v2, v33, v34, s16
	v_lshl_add_u64 v[34:35], v[2:3], 2, s[30:31]
	global_store_dword v[34:35], v36, off
	s_branch .LBB578_58
.LBB578_83:
	s_add_i32 s26, s26, -1
	s_cmp_eq_u32 s27, s26
	s_cselect_b64 s[6:7], -1, 0
	s_xor_b64 s[4:5], s[4:5], -1
	s_and_b64 s[6:7], s[4:5], s[6:7]
	s_and_saveexec_b64 s[4:5], s[6:7]
	s_cbranch_execz .LBB578_85
; %bb.84:
	ds_read_b32 v2, v22
	s_waitcnt lgkmcnt(0)
	v_add3_u32 v2, v16, v17, v2
	global_store_dword v22, v2, s[22:23]
.LBB578_85:
	s_or_b64 exec, exec, s[4:5]
	s_mov_b64 s[4:5], 0
.LBB578_86:
	s_and_b64 vcc, exec, s[4:5]
	s_cbranch_vccz .LBB578_143
; %bb.87:
	s_lshl_b32 s4, s27, 13
	s_mov_b32 s5, 0
	s_lshl_b64 s[4:5], s[4:5], 2
	v_mbcnt_hi_u32_b32 v4, -1, v1
	s_add_u32 s4, s28, s4
	v_and_b32_e32 v1, 63, v4
	s_load_dword s12, s[0:1], 0x58
	s_load_dword s3, s[0:1], 0x64
	s_addc_u32 s5, s29, s5
	v_lshlrev_b32_e32 v2, 2, v1
	v_mov_b32_e32 v3, 0
	v_lshlrev_b32_e32 v1, 5, v10
	v_lshl_add_u64 v[6:7], s[4:5], 0, v[2:3]
	v_and_b32_e32 v2, 0x7800, v1
	v_lshl_add_u64 v[16:17], v[6:7], 0, v[2:3]
	global_load_dword v1, v[16:17], off
	s_add_u32 s0, s0, 0x58
	s_addc_u32 s1, s1, 0
	s_waitcnt lgkmcnt(0)
	s_lshr_b32 s3, s3, 16
	s_cmp_lt_u32 s2, s12
	s_cselect_b32 s2, 12, 18
	s_add_u32 s0, s0, s2
	s_addc_u32 s1, s1, 0
	global_load_ushort v2, v3, s[0:1]
	v_mul_u32_u24_e32 v5, 20, v10
	ds_write2_b32 v5, v3, v3 offset0:16 offset1:17
	ds_write2_b32 v5, v3, v3 offset0:18 offset1:19
	ds_write_b32 v5, v3 offset:80
	global_load_dword v7, v[16:17], off offset:256
	global_load_dword v8, v[16:17], off offset:512
	global_load_dword v12, v[16:17], off offset:768
	global_load_dword v15, v[16:17], off offset:1024
	global_load_dword v20, v[16:17], off offset:1280
	global_load_dword v25, v[16:17], off offset:1536
	global_load_dword v21, v[16:17], off offset:1792
	v_bfrev_b32_e32 v11, 1
	v_bfe_u32 v6, v0, 10, 10
	v_bfe_u32 v9, v0, 20, 10
	v_mad_u32_u24 v9, v9, s3, v6
	s_brev_b32 s8, -2
	s_lshl_b32 s2, -1, s25
	v_mov_b32_e32 v0, v3
	v_mov_b32_e32 v18, v3
	;; [unrolled: 1-line block ×3, first 2 shown]
	s_not_b32 s13, s2
	v_mov_b32_e32 v28, v3
	s_movk_i32 s9, 0x44
	s_waitcnt lgkmcnt(0)
	s_barrier
	s_waitcnt vmcnt(8)
	; wave barrier
	v_cmp_lt_i32_e32 vcc, -1, v1
	s_nop 1
	v_cndmask_b32_e32 v6, -1, v11, vcc
	v_xor_b32_e32 v6, v6, v1
	v_cmp_ne_u32_e32 vcc, s8, v6
	s_waitcnt vmcnt(7)
	v_mad_u64_u32 v[16:17], s[0:1], v9, v2, v[10:11]
	v_cndmask_b32_e32 v1, v11, v6, vcc
	v_lshrrev_b32_e32 v1, s24, v1
	v_bitop3_b32 v9, v1, s2, v1 bitop3:0x30
	v_and_b32_e32 v2, 1, v9
	v_lshlrev_b32_e32 v1, 30, v9
	v_lshrrev_b32_e32 v13, 4, v16
	v_lshlrev_b32_e32 v19, 29, v9
	v_lshl_add_u64 v[16:17], v[2:3], 0, -1
	v_cmp_ne_u32_e32 vcc, 0, v2
	v_cmp_gt_i64_e64 s[0:1], 0, v[0:1]
	v_not_b32_e32 v0, v1
	v_lshlrev_b32_e32 v27, 28, v9
	v_not_b32_e32 v1, v19
	v_xor_b32_e32 v17, vcc_hi, v17
	v_xor_b32_e32 v16, vcc_lo, v16
	v_ashrrev_i32_e32 v0, 31, v0
	v_lshlrev_b32_e32 v29, 27, v9
	v_cmp_gt_i64_e64 s[2:3], 0, v[18:19]
	v_not_b32_e32 v2, v27
	v_ashrrev_i32_e32 v1, 31, v1
	v_and_b32_e32 v17, exec_hi, v17
	v_and_b32_e32 v16, exec_lo, v16
	v_xor_b32_e32 v18, s1, v0
	v_xor_b32_e32 v0, s0, v0
	v_and_b32_e32 v22, 0xffffffc, v13
	v_cmp_gt_i64_e64 s[4:5], 0, v[26:27]
	v_not_b32_e32 v13, v29
	v_ashrrev_i32_e32 v2, 31, v2
	v_xor_b32_e32 v19, s3, v1
	v_xor_b32_e32 v1, s2, v1
	v_and_b32_e32 v17, v17, v18
	v_and_b32_e32 v0, v16, v0
	v_cmp_gt_i64_e64 s[6:7], 0, v[28:29]
	v_ashrrev_i32_e32 v13, 31, v13
	v_xor_b32_e32 v23, s5, v2
	v_xor_b32_e32 v2, s4, v2
	v_and_b32_e32 v16, v17, v19
	v_and_b32_e32 v0, v0, v1
	v_xor_b32_e32 v24, s7, v13
	v_and_b32_e32 v1, v16, v23
	v_and_b32_e32 v0, v0, v2
	;; [unrolled: 3-line block ×3, first 2 shown]
	v_lshlrev_b32_e32 v1, 26, v9
	v_mov_b32_e32 v0, v3
	v_cmp_gt_i64_e32 vcc, 0, v[0:1]
	v_not_b32_e32 v0, v1
	v_ashrrev_i32_e32 v0, 31, v0
	v_xor_b32_e32 v1, vcc_hi, v0
	v_xor_b32_e32 v0, vcc_lo, v0
	v_and_b32_e32 v13, v13, v1
	v_and_b32_e32 v2, v2, v0
	v_lshlrev_b32_e32 v1, 25, v9
	v_mov_b32_e32 v0, v3
	v_cmp_gt_i64_e32 vcc, 0, v[0:1]
	v_not_b32_e32 v0, v1
	v_ashrrev_i32_e32 v0, 31, v0
	v_xor_b32_e32 v1, vcc_hi, v0
	v_xor_b32_e32 v0, vcc_lo, v0
	v_and_b32_e32 v13, v13, v1
	v_and_b32_e32 v2, v2, v0
	;; [unrolled: 9-line block ×3, first 2 shown]
	v_mbcnt_lo_u32_b32 v2, v0, 0
	v_mul_lo_u32 v14, v9, s9
	v_mbcnt_hi_u32_b32 v9, v1, v2
	v_cmp_eq_u32_e32 vcc, 0, v9
	v_cmp_ne_u64_e64 s[0:1], 0, v[0:1]
	s_and_b64 s[2:3], s[0:1], vcc
	v_add_u32_e32 v16, v22, v14
	s_and_saveexec_b64 s[0:1], s[2:3]
; %bb.88:
	v_bcnt_u32_b32 v0, v0, 0
	v_bcnt_u32_b32 v0, v1, v0
	ds_write_b32 v16, v0 offset:64
; %bb.89:
	s_or_b64 exec, exec, s[0:1]
	s_waitcnt vmcnt(6)
	v_cmp_lt_i32_e32 vcc, -1, v7
	; wave barrier
	s_nop 1
	v_cndmask_b32_e32 v0, -1, v11, vcc
	v_xor_b32_e32 v7, v0, v7
	v_cmp_ne_u32_e32 vcc, s8, v7
	s_nop 1
	v_cndmask_b32_e32 v0, v11, v7, vcc
	v_lshrrev_b32_e32 v0, s24, v0
	v_and_b32_e32 v13, s13, v0
	v_mul_lo_u32 v0, v13, s9
	v_and_b32_e32 v2, 1, v13
	v_add_u32_e32 v17, v22, v0
	v_lshl_add_u64 v[0:1], v[2:3], 0, -1
	v_cmp_ne_u32_e32 vcc, 0, v2
	ds_read_b32 v11, v17 offset:64
	s_nop 0
	v_xor_b32_e32 v1, vcc_hi, v1
	v_xor_b32_e32 v0, vcc_lo, v0
	v_and_b32_e32 v2, exec_hi, v1
	v_and_b32_e32 v14, exec_lo, v0
	v_lshlrev_b32_e32 v1, 30, v13
	v_mov_b32_e32 v0, v3
	v_cmp_gt_i64_e32 vcc, 0, v[0:1]
	v_not_b32_e32 v0, v1
	v_ashrrev_i32_e32 v0, 31, v0
	v_xor_b32_e32 v1, vcc_hi, v0
	v_xor_b32_e32 v0, vcc_lo, v0
	v_and_b32_e32 v2, v2, v1
	v_and_b32_e32 v14, v14, v0
	v_lshlrev_b32_e32 v1, 29, v13
	v_mov_b32_e32 v0, v3
	v_cmp_gt_i64_e32 vcc, 0, v[0:1]
	v_not_b32_e32 v0, v1
	v_ashrrev_i32_e32 v0, 31, v0
	v_xor_b32_e32 v1, vcc_hi, v0
	v_xor_b32_e32 v0, vcc_lo, v0
	v_and_b32_e32 v2, v2, v1
	v_and_b32_e32 v14, v14, v0
	;; [unrolled: 9-line block ×7, first 2 shown]
	v_mbcnt_lo_u32_b32 v2, v0, 0
	v_mbcnt_hi_u32_b32 v13, v1, v2
	v_cmp_eq_u32_e32 vcc, 0, v13
	v_cmp_ne_u64_e64 s[0:1], 0, v[0:1]
	s_and_b64 s[2:3], s[0:1], vcc
	; wave barrier
	s_and_saveexec_b64 s[0:1], s[2:3]
	s_cbranch_execz .LBB578_91
; %bb.90:
	v_bcnt_u32_b32 v0, v0, 0
	v_bcnt_u32_b32 v0, v1, v0
	s_waitcnt lgkmcnt(0)
	v_add_u32_e32 v0, v11, v0
	ds_write_b32 v17, v0 offset:64
.LBB578_91:
	s_or_b64 exec, exec, s[0:1]
	v_bfrev_b32_e32 v19, 1
	s_waitcnt vmcnt(5)
	v_cmp_lt_i32_e32 vcc, -1, v8
	s_brev_b32 s2, -2
	s_movk_i32 s3, 0x44
	v_cndmask_b32_e32 v0, -1, v19, vcc
	v_xor_b32_e32 v8, v0, v8
	v_cmp_ne_u32_e32 vcc, s2, v8
	v_mov_b32_e32 v1, 0
	s_nop 0
	v_cndmask_b32_e32 v0, v19, v8, vcc
	v_lshrrev_b32_e32 v0, s24, v0
	v_and_b32_e32 v18, s13, v0
	v_mul_lo_u32 v0, v18, s3
	v_add_u32_e32 v23, v22, v0
	v_and_b32_e32 v0, 1, v18
	v_lshl_add_u64 v[2:3], v[0:1], 0, -1
	v_cmp_ne_u32_e32 vcc, 0, v0
	; wave barrier
	ds_read_b32 v14, v23 offset:64
	s_nop 0
	v_xor_b32_e32 v2, vcc_lo, v2
	v_xor_b32_e32 v0, vcc_hi, v3
	v_and_b32_e32 v24, exec_lo, v2
	v_lshlrev_b32_e32 v3, 30, v18
	v_mov_b32_e32 v2, v1
	v_cmp_gt_i64_e32 vcc, 0, v[2:3]
	v_not_b32_e32 v2, v3
	v_ashrrev_i32_e32 v2, 31, v2
	v_and_b32_e32 v0, exec_hi, v0
	v_xor_b32_e32 v3, vcc_hi, v2
	v_xor_b32_e32 v2, vcc_lo, v2
	v_and_b32_e32 v0, v0, v3
	v_and_b32_e32 v24, v24, v2
	v_lshlrev_b32_e32 v3, 29, v18
	v_mov_b32_e32 v2, v1
	v_cmp_gt_i64_e32 vcc, 0, v[2:3]
	v_not_b32_e32 v2, v3
	v_ashrrev_i32_e32 v2, 31, v2
	v_xor_b32_e32 v3, vcc_hi, v2
	v_xor_b32_e32 v2, vcc_lo, v2
	v_and_b32_e32 v0, v0, v3
	v_and_b32_e32 v24, v24, v2
	v_lshlrev_b32_e32 v3, 28, v18
	v_mov_b32_e32 v2, v1
	v_cmp_gt_i64_e32 vcc, 0, v[2:3]
	v_not_b32_e32 v2, v3
	v_ashrrev_i32_e32 v2, 31, v2
	;; [unrolled: 9-line block ×6, first 2 shown]
	v_xor_b32_e32 v3, vcc_hi, v2
	v_xor_b32_e32 v2, vcc_lo, v2
	v_and_b32_e32 v2, v24, v2
	v_and_b32_e32 v3, v0, v3
	v_mbcnt_lo_u32_b32 v0, v2, 0
	v_mbcnt_hi_u32_b32 v18, v3, v0
	v_cmp_eq_u32_e32 vcc, 0, v18
	v_cmp_ne_u64_e64 s[0:1], 0, v[2:3]
	s_and_b64 s[4:5], s[0:1], vcc
	; wave barrier
	s_and_saveexec_b64 s[0:1], s[4:5]
	s_cbranch_execz .LBB578_93
; %bb.92:
	v_bcnt_u32_b32 v0, v2, 0
	v_bcnt_u32_b32 v0, v3, v0
	s_waitcnt lgkmcnt(0)
	v_add_u32_e32 v0, v14, v0
	ds_write_b32 v23, v0 offset:64
.LBB578_93:
	s_or_b64 exec, exec, s[0:1]
	s_waitcnt vmcnt(4)
	v_cmp_lt_i32_e32 vcc, -1, v12
	; wave barrier
	s_nop 1
	v_cndmask_b32_e32 v0, -1, v19, vcc
	v_xor_b32_e32 v12, v0, v12
	v_cmp_ne_u32_e32 vcc, s2, v12
	s_nop 1
	v_cndmask_b32_e32 v0, v19, v12, vcc
	v_lshrrev_b32_e32 v0, s24, v0
	v_and_b32_e32 v24, s13, v0
	v_mul_lo_u32 v0, v24, s3
	v_add_u32_e32 v27, v22, v0
	v_and_b32_e32 v0, 1, v24
	v_lshl_add_u64 v[2:3], v[0:1], 0, -1
	v_cmp_ne_u32_e32 vcc, 0, v0
	ds_read_b32 v19, v27 offset:64
	s_nop 0
	v_xor_b32_e32 v2, vcc_lo, v2
	v_xor_b32_e32 v0, vcc_hi, v3
	v_and_b32_e32 v26, exec_lo, v2
	v_lshlrev_b32_e32 v3, 30, v24
	v_mov_b32_e32 v2, v1
	v_cmp_gt_i64_e32 vcc, 0, v[2:3]
	v_not_b32_e32 v2, v3
	v_ashrrev_i32_e32 v2, 31, v2
	v_and_b32_e32 v0, exec_hi, v0
	v_xor_b32_e32 v3, vcc_hi, v2
	v_xor_b32_e32 v2, vcc_lo, v2
	v_and_b32_e32 v0, v0, v3
	v_and_b32_e32 v26, v26, v2
	v_lshlrev_b32_e32 v3, 29, v24
	v_mov_b32_e32 v2, v1
	v_cmp_gt_i64_e32 vcc, 0, v[2:3]
	v_not_b32_e32 v2, v3
	v_ashrrev_i32_e32 v2, 31, v2
	v_xor_b32_e32 v3, vcc_hi, v2
	v_xor_b32_e32 v2, vcc_lo, v2
	v_and_b32_e32 v0, v0, v3
	v_and_b32_e32 v26, v26, v2
	v_lshlrev_b32_e32 v3, 28, v24
	v_mov_b32_e32 v2, v1
	v_cmp_gt_i64_e32 vcc, 0, v[2:3]
	v_not_b32_e32 v2, v3
	v_ashrrev_i32_e32 v2, 31, v2
	;; [unrolled: 9-line block ×5, first 2 shown]
	v_xor_b32_e32 v3, vcc_hi, v2
	v_xor_b32_e32 v2, vcc_lo, v2
	v_and_b32_e32 v0, v0, v3
	v_lshlrev_b32_e32 v3, 24, v24
	v_and_b32_e32 v26, v26, v2
	v_mov_b32_e32 v2, v1
	v_not_b32_e32 v1, v3
	v_cmp_gt_i64_e32 vcc, 0, v[2:3]
	v_ashrrev_i32_e32 v1, 31, v1
	; wave barrier
	s_nop 0
	v_xor_b32_e32 v2, vcc_hi, v1
	v_xor_b32_e32 v3, vcc_lo, v1
	v_and_b32_e32 v1, v0, v2
	v_and_b32_e32 v0, v26, v3
	v_mbcnt_lo_u32_b32 v2, v0, 0
	v_mbcnt_hi_u32_b32 v24, v1, v2
	v_cmp_eq_u32_e32 vcc, 0, v24
	v_cmp_ne_u64_e64 s[0:1], 0, v[0:1]
	s_and_b64 s[2:3], s[0:1], vcc
	s_and_saveexec_b64 s[0:1], s[2:3]
	s_cbranch_execz .LBB578_95
; %bb.94:
	v_bcnt_u32_b32 v0, v0, 0
	v_bcnt_u32_b32 v0, v1, v0
	s_waitcnt lgkmcnt(0)
	v_add_u32_e32 v0, v19, v0
	ds_write_b32 v27, v0 offset:64
.LBB578_95:
	s_or_b64 exec, exec, s[0:1]
	v_bfrev_b32_e32 v29, 1
	s_waitcnt vmcnt(3)
	v_cmp_lt_i32_e32 vcc, -1, v15
	s_brev_b32 s2, -2
	s_movk_i32 s3, 0x44
	v_cndmask_b32_e32 v0, -1, v29, vcc
	v_xor_b32_e32 v15, v0, v15
	v_cmp_ne_u32_e32 vcc, s2, v15
	v_mov_b32_e32 v1, 0
	s_nop 0
	v_cndmask_b32_e32 v0, v29, v15, vcc
	v_lshrrev_b32_e32 v0, s24, v0
	v_and_b32_e32 v28, s13, v0
	v_mul_lo_u32 v0, v28, s3
	v_add_u32_e32 v30, v22, v0
	v_and_b32_e32 v0, 1, v28
	v_lshl_add_u64 v[2:3], v[0:1], 0, -1
	v_cmp_ne_u32_e32 vcc, 0, v0
	; wave barrier
	ds_read_b32 v26, v30 offset:64
	s_nop 0
	v_xor_b32_e32 v2, vcc_lo, v2
	v_xor_b32_e32 v0, vcc_hi, v3
	v_and_b32_e32 v31, exec_lo, v2
	v_lshlrev_b32_e32 v3, 30, v28
	v_mov_b32_e32 v2, v1
	v_cmp_gt_i64_e32 vcc, 0, v[2:3]
	v_not_b32_e32 v2, v3
	v_ashrrev_i32_e32 v2, 31, v2
	v_and_b32_e32 v0, exec_hi, v0
	v_xor_b32_e32 v3, vcc_hi, v2
	v_xor_b32_e32 v2, vcc_lo, v2
	v_and_b32_e32 v0, v0, v3
	v_and_b32_e32 v31, v31, v2
	v_lshlrev_b32_e32 v3, 29, v28
	v_mov_b32_e32 v2, v1
	v_cmp_gt_i64_e32 vcc, 0, v[2:3]
	v_not_b32_e32 v2, v3
	v_ashrrev_i32_e32 v2, 31, v2
	v_xor_b32_e32 v3, vcc_hi, v2
	v_xor_b32_e32 v2, vcc_lo, v2
	v_and_b32_e32 v0, v0, v3
	v_and_b32_e32 v31, v31, v2
	v_lshlrev_b32_e32 v3, 28, v28
	v_mov_b32_e32 v2, v1
	v_cmp_gt_i64_e32 vcc, 0, v[2:3]
	v_not_b32_e32 v2, v3
	v_ashrrev_i32_e32 v2, 31, v2
	;; [unrolled: 9-line block ×6, first 2 shown]
	v_xor_b32_e32 v3, vcc_hi, v2
	v_xor_b32_e32 v2, vcc_lo, v2
	v_and_b32_e32 v2, v31, v2
	v_and_b32_e32 v3, v0, v3
	v_mbcnt_lo_u32_b32 v0, v2, 0
	v_mbcnt_hi_u32_b32 v28, v3, v0
	v_cmp_eq_u32_e32 vcc, 0, v28
	v_cmp_ne_u64_e64 s[0:1], 0, v[2:3]
	s_and_b64 s[4:5], s[0:1], vcc
	; wave barrier
	s_and_saveexec_b64 s[0:1], s[4:5]
	s_cbranch_execz .LBB578_97
; %bb.96:
	v_bcnt_u32_b32 v0, v2, 0
	v_bcnt_u32_b32 v0, v3, v0
	s_waitcnt lgkmcnt(0)
	v_add_u32_e32 v0, v26, v0
	ds_write_b32 v30, v0 offset:64
.LBB578_97:
	s_or_b64 exec, exec, s[0:1]
	s_waitcnt vmcnt(2)
	v_cmp_lt_i32_e32 vcc, -1, v20
	; wave barrier
	s_nop 1
	v_cndmask_b32_e32 v0, -1, v29, vcc
	v_xor_b32_e32 v20, v0, v20
	v_cmp_ne_u32_e32 vcc, s2, v20
	s_nop 1
	v_cndmask_b32_e32 v0, v29, v20, vcc
	v_lshrrev_b32_e32 v0, s24, v0
	v_and_b32_e32 v31, s13, v0
	v_mul_lo_u32 v0, v31, s3
	v_add_u32_e32 v33, v22, v0
	v_and_b32_e32 v0, 1, v31
	v_lshl_add_u64 v[2:3], v[0:1], 0, -1
	v_cmp_ne_u32_e32 vcc, 0, v0
	ds_read_b32 v29, v33 offset:64
	s_nop 0
	v_xor_b32_e32 v2, vcc_lo, v2
	v_xor_b32_e32 v0, vcc_hi, v3
	v_and_b32_e32 v32, exec_lo, v2
	v_lshlrev_b32_e32 v3, 30, v31
	v_mov_b32_e32 v2, v1
	v_cmp_gt_i64_e32 vcc, 0, v[2:3]
	v_not_b32_e32 v2, v3
	v_ashrrev_i32_e32 v2, 31, v2
	v_and_b32_e32 v0, exec_hi, v0
	v_xor_b32_e32 v3, vcc_hi, v2
	v_xor_b32_e32 v2, vcc_lo, v2
	v_and_b32_e32 v0, v0, v3
	v_and_b32_e32 v32, v32, v2
	v_lshlrev_b32_e32 v3, 29, v31
	v_mov_b32_e32 v2, v1
	v_cmp_gt_i64_e32 vcc, 0, v[2:3]
	v_not_b32_e32 v2, v3
	v_ashrrev_i32_e32 v2, 31, v2
	v_xor_b32_e32 v3, vcc_hi, v2
	v_xor_b32_e32 v2, vcc_lo, v2
	v_and_b32_e32 v0, v0, v3
	v_and_b32_e32 v32, v32, v2
	v_lshlrev_b32_e32 v3, 28, v31
	v_mov_b32_e32 v2, v1
	v_cmp_gt_i64_e32 vcc, 0, v[2:3]
	v_not_b32_e32 v2, v3
	v_ashrrev_i32_e32 v2, 31, v2
	;; [unrolled: 9-line block ×5, first 2 shown]
	v_xor_b32_e32 v3, vcc_hi, v2
	v_xor_b32_e32 v2, vcc_lo, v2
	v_and_b32_e32 v0, v0, v3
	v_lshlrev_b32_e32 v3, 24, v31
	v_and_b32_e32 v32, v32, v2
	v_mov_b32_e32 v2, v1
	v_not_b32_e32 v1, v3
	v_cmp_gt_i64_e32 vcc, 0, v[2:3]
	v_ashrrev_i32_e32 v1, 31, v1
	; wave barrier
	s_nop 0
	v_xor_b32_e32 v2, vcc_hi, v1
	v_xor_b32_e32 v3, vcc_lo, v1
	v_and_b32_e32 v1, v0, v2
	v_and_b32_e32 v0, v32, v3
	v_mbcnt_lo_u32_b32 v2, v0, 0
	v_mbcnt_hi_u32_b32 v31, v1, v2
	v_cmp_eq_u32_e32 vcc, 0, v31
	v_cmp_ne_u64_e64 s[0:1], 0, v[0:1]
	s_and_b64 s[2:3], s[0:1], vcc
	s_and_saveexec_b64 s[0:1], s[2:3]
	s_cbranch_execz .LBB578_99
; %bb.98:
	v_bcnt_u32_b32 v0, v0, 0
	v_bcnt_u32_b32 v0, v1, v0
	s_waitcnt lgkmcnt(0)
	v_add_u32_e32 v0, v29, v0
	ds_write_b32 v33, v0 offset:64
.LBB578_99:
	s_or_b64 exec, exec, s[0:1]
	v_bfrev_b32_e32 v35, 1
	s_waitcnt vmcnt(1)
	v_cmp_lt_i32_e32 vcc, -1, v25
	s_brev_b32 s2, -2
	s_movk_i32 s3, 0x44
	v_cndmask_b32_e32 v0, -1, v35, vcc
	v_xor_b32_e32 v25, v0, v25
	v_cmp_ne_u32_e32 vcc, s2, v25
	v_mov_b32_e32 v1, 0
	s_nop 0
	v_cndmask_b32_e32 v0, v35, v25, vcc
	v_lshrrev_b32_e32 v0, s24, v0
	v_and_b32_e32 v34, s13, v0
	v_mul_lo_u32 v0, v34, s3
	v_add_u32_e32 v36, v22, v0
	v_and_b32_e32 v0, 1, v34
	v_lshl_add_u64 v[2:3], v[0:1], 0, -1
	v_cmp_ne_u32_e32 vcc, 0, v0
	; wave barrier
	ds_read_b32 v32, v36 offset:64
	s_nop 0
	v_xor_b32_e32 v2, vcc_lo, v2
	v_xor_b32_e32 v0, vcc_hi, v3
	v_and_b32_e32 v37, exec_lo, v2
	v_lshlrev_b32_e32 v3, 30, v34
	v_mov_b32_e32 v2, v1
	v_cmp_gt_i64_e32 vcc, 0, v[2:3]
	v_not_b32_e32 v2, v3
	v_ashrrev_i32_e32 v2, 31, v2
	v_and_b32_e32 v0, exec_hi, v0
	v_xor_b32_e32 v3, vcc_hi, v2
	v_xor_b32_e32 v2, vcc_lo, v2
	v_and_b32_e32 v0, v0, v3
	v_and_b32_e32 v37, v37, v2
	v_lshlrev_b32_e32 v3, 29, v34
	v_mov_b32_e32 v2, v1
	v_cmp_gt_i64_e32 vcc, 0, v[2:3]
	v_not_b32_e32 v2, v3
	v_ashrrev_i32_e32 v2, 31, v2
	v_xor_b32_e32 v3, vcc_hi, v2
	v_xor_b32_e32 v2, vcc_lo, v2
	v_and_b32_e32 v0, v0, v3
	v_and_b32_e32 v37, v37, v2
	v_lshlrev_b32_e32 v3, 28, v34
	v_mov_b32_e32 v2, v1
	v_cmp_gt_i64_e32 vcc, 0, v[2:3]
	v_not_b32_e32 v2, v3
	v_ashrrev_i32_e32 v2, 31, v2
	;; [unrolled: 9-line block ×6, first 2 shown]
	v_xor_b32_e32 v3, vcc_hi, v2
	v_xor_b32_e32 v2, vcc_lo, v2
	v_and_b32_e32 v2, v37, v2
	v_and_b32_e32 v3, v0, v3
	v_mbcnt_lo_u32_b32 v0, v2, 0
	v_mbcnt_hi_u32_b32 v34, v3, v0
	v_cmp_eq_u32_e32 vcc, 0, v34
	v_cmp_ne_u64_e64 s[0:1], 0, v[2:3]
	s_and_b64 s[4:5], s[0:1], vcc
	; wave barrier
	s_and_saveexec_b64 s[0:1], s[4:5]
	s_cbranch_execz .LBB578_101
; %bb.100:
	v_bcnt_u32_b32 v0, v2, 0
	v_bcnt_u32_b32 v0, v3, v0
	s_waitcnt lgkmcnt(0)
	v_add_u32_e32 v0, v32, v0
	ds_write_b32 v36, v0 offset:64
.LBB578_101:
	s_or_b64 exec, exec, s[0:1]
	s_waitcnt vmcnt(0)
	v_cmp_lt_i32_e32 vcc, -1, v21
	; wave barrier
	s_nop 1
	v_cndmask_b32_e32 v0, -1, v35, vcc
	v_xor_b32_e32 v21, v0, v21
	v_cmp_ne_u32_e32 vcc, s2, v21
	s_nop 1
	v_cndmask_b32_e32 v0, v35, v21, vcc
	v_lshrrev_b32_e32 v0, s24, v0
	v_and_b32_e32 v37, s13, v0
	v_mul_lo_u32 v0, v37, s3
	v_add_u32_e32 v38, v22, v0
	v_and_b32_e32 v0, 1, v37
	v_lshl_add_u64 v[2:3], v[0:1], 0, -1
	v_cmp_ne_u32_e32 vcc, 0, v0
	ds_read_b32 v35, v38 offset:64
	s_nop 0
	v_xor_b32_e32 v2, vcc_lo, v2
	v_xor_b32_e32 v0, vcc_hi, v3
	v_and_b32_e32 v22, exec_lo, v2
	v_lshlrev_b32_e32 v3, 30, v37
	v_mov_b32_e32 v2, v1
	v_cmp_gt_i64_e32 vcc, 0, v[2:3]
	v_not_b32_e32 v2, v3
	v_ashrrev_i32_e32 v2, 31, v2
	v_and_b32_e32 v0, exec_hi, v0
	v_xor_b32_e32 v3, vcc_hi, v2
	v_xor_b32_e32 v2, vcc_lo, v2
	v_and_b32_e32 v0, v0, v3
	v_and_b32_e32 v22, v22, v2
	v_lshlrev_b32_e32 v3, 29, v37
	v_mov_b32_e32 v2, v1
	v_cmp_gt_i64_e32 vcc, 0, v[2:3]
	v_not_b32_e32 v2, v3
	v_ashrrev_i32_e32 v2, 31, v2
	v_xor_b32_e32 v3, vcc_hi, v2
	v_xor_b32_e32 v2, vcc_lo, v2
	v_and_b32_e32 v0, v0, v3
	v_and_b32_e32 v22, v22, v2
	v_lshlrev_b32_e32 v3, 28, v37
	v_mov_b32_e32 v2, v1
	v_cmp_gt_i64_e32 vcc, 0, v[2:3]
	v_not_b32_e32 v2, v3
	v_ashrrev_i32_e32 v2, 31, v2
	v_xor_b32_e32 v3, vcc_hi, v2
	v_xor_b32_e32 v2, vcc_lo, v2
	v_and_b32_e32 v0, v0, v3
	v_and_b32_e32 v22, v22, v2
	v_lshlrev_b32_e32 v3, 27, v37
	v_mov_b32_e32 v2, v1
	v_cmp_gt_i64_e32 vcc, 0, v[2:3]
	v_not_b32_e32 v2, v3
	v_ashrrev_i32_e32 v2, 31, v2
	v_xor_b32_e32 v3, vcc_hi, v2
	v_xor_b32_e32 v2, vcc_lo, v2
	v_and_b32_e32 v0, v0, v3
	v_and_b32_e32 v22, v22, v2
	v_lshlrev_b32_e32 v3, 26, v37
	v_mov_b32_e32 v2, v1
	v_cmp_gt_i64_e32 vcc, 0, v[2:3]
	v_not_b32_e32 v2, v3
	v_ashrrev_i32_e32 v2, 31, v2
	v_xor_b32_e32 v3, vcc_hi, v2
	v_xor_b32_e32 v2, vcc_lo, v2
	v_and_b32_e32 v0, v0, v3
	v_and_b32_e32 v22, v22, v2
	v_lshlrev_b32_e32 v3, 25, v37
	v_mov_b32_e32 v2, v1
	v_cmp_gt_i64_e32 vcc, 0, v[2:3]
	v_not_b32_e32 v2, v3
	v_ashrrev_i32_e32 v2, 31, v2
	v_xor_b32_e32 v3, vcc_hi, v2
	v_xor_b32_e32 v2, vcc_lo, v2
	v_and_b32_e32 v0, v0, v3
	v_lshlrev_b32_e32 v3, 24, v37
	v_and_b32_e32 v22, v22, v2
	v_mov_b32_e32 v2, v1
	v_not_b32_e32 v1, v3
	v_cmp_gt_i64_e32 vcc, 0, v[2:3]
	v_ashrrev_i32_e32 v1, 31, v1
	; wave barrier
	s_nop 0
	v_xor_b32_e32 v2, vcc_hi, v1
	v_xor_b32_e32 v3, vcc_lo, v1
	v_and_b32_e32 v1, v0, v2
	v_and_b32_e32 v0, v22, v3
	v_mbcnt_lo_u32_b32 v2, v0, 0
	v_mbcnt_hi_u32_b32 v37, v1, v2
	v_cmp_eq_u32_e32 vcc, 0, v37
	v_cmp_ne_u64_e64 s[0:1], 0, v[0:1]
	s_and_b64 s[2:3], s[0:1], vcc
	s_and_saveexec_b64 s[0:1], s[2:3]
	s_cbranch_execz .LBB578_103
; %bb.102:
	v_bcnt_u32_b32 v0, v0, 0
	v_bcnt_u32_b32 v0, v1, v0
	s_waitcnt lgkmcnt(0)
	v_add_u32_e32 v0, v35, v0
	ds_write_b32 v38, v0 offset:64
.LBB578_103:
	s_or_b64 exec, exec, s[0:1]
	; wave barrier
	s_waitcnt lgkmcnt(0)
	s_barrier
	ds_read2_b32 v[2:3], v5 offset0:16 offset1:17
	ds_read2_b32 v[0:1], v5 offset0:18 offset1:19
	ds_read_b32 v22, v5 offset:80
	v_cmp_lt_u32_e64 s[2:3], 31, v4
	s_waitcnt lgkmcnt(1)
	v_add3_u32 v39, v3, v2, v0
	s_waitcnt lgkmcnt(0)
	v_add3_u32 v22, v39, v1, v22
	v_and_b32_e32 v39, 15, v4
	v_cmp_eq_u32_e32 vcc, 0, v39
	v_mov_b32_dpp v40, v22 row_shr:1 row_mask:0xf bank_mask:0xf
	v_cmp_lt_u32_e64 s[0:1], 1, v39
	v_cndmask_b32_e64 v40, v40, 0, vcc
	v_add_u32_e32 v22, v40, v22
	v_cmp_lt_u32_e64 s[4:5], 3, v39
	v_cmp_lt_u32_e64 s[6:7], 7, v39
	v_mov_b32_dpp v40, v22 row_shr:2 row_mask:0xf bank_mask:0xf
	v_cndmask_b32_e64 v40, 0, v40, s[0:1]
	v_add_u32_e32 v22, v22, v40
	s_nop 1
	v_mov_b32_dpp v40, v22 row_shr:4 row_mask:0xf bank_mask:0xf
	v_cndmask_b32_e64 v40, 0, v40, s[4:5]
	v_add_u32_e32 v22, v22, v40
	s_nop 1
	v_mov_b32_dpp v40, v22 row_shr:8 row_mask:0xf bank_mask:0xf
	v_cndmask_b32_e64 v39, 0, v40, s[6:7]
	v_add_u32_e32 v22, v22, v39
	v_bfe_i32 v40, v4, 4, 1
	s_nop 0
	v_mov_b32_dpp v39, v22 row_bcast:15 row_mask:0xf bank_mask:0xf
	v_and_b32_e32 v39, v40, v39
	v_add_u32_e32 v22, v22, v39
	v_lshrrev_b32_e32 v40, 6, v10
	s_nop 0
	v_mov_b32_dpp v39, v22 row_bcast:31 row_mask:0xf bank_mask:0xf
	v_cndmask_b32_e64 v39, 0, v39, s[2:3]
	v_add_u32_e32 v39, v22, v39
	v_and_b32_e32 v22, 63, v10
	v_cmp_eq_u32_e64 s[2:3], 63, v22
	s_and_saveexec_b64 s[8:9], s[2:3]
; %bb.104:
	v_lshlrev_b32_e32 v22, 2, v40
	ds_write_b32 v22, v39
; %bb.105:
	s_or_b64 exec, exec, s[8:9]
	v_cmp_gt_u32_e64 s[2:3], 16, v10
	v_lshlrev_b32_e32 v22, 2, v10
	s_waitcnt lgkmcnt(0)
	s_barrier
	s_and_saveexec_b64 s[8:9], s[2:3]
	s_cbranch_execz .LBB578_107
; %bb.106:
	ds_read_b32 v41, v22
	s_waitcnt lgkmcnt(0)
	s_nop 0
	v_mov_b32_dpp v42, v41 row_shr:1 row_mask:0xf bank_mask:0xf
	v_cndmask_b32_e64 v42, v42, 0, vcc
	v_add_u32_e32 v41, v42, v41
	s_nop 1
	v_mov_b32_dpp v42, v41 row_shr:2 row_mask:0xf bank_mask:0xf
	v_cndmask_b32_e64 v42, 0, v42, s[0:1]
	v_add_u32_e32 v41, v41, v42
	s_nop 1
	v_mov_b32_dpp v42, v41 row_shr:4 row_mask:0xf bank_mask:0xf
	v_cndmask_b32_e64 v42, 0, v42, s[4:5]
	;; [unrolled: 4-line block ×3, first 2 shown]
	v_add_u32_e32 v41, v41, v42
	ds_write_b32 v22, v41
.LBB578_107:
	s_or_b64 exec, exec, s[8:9]
	v_cmp_lt_u32_e32 vcc, 63, v10
	v_mov_b32_e32 v41, 0
	s_waitcnt lgkmcnt(0)
	s_barrier
	s_and_saveexec_b64 s[0:1], vcc
; %bb.108:
	v_lshl_add_u32 v40, v40, 2, -4
	ds_read_b32 v41, v40
; %bb.109:
	s_or_b64 exec, exec, s[0:1]
	v_subrev_co_u32_e32 v40, vcc, 1, v4
	v_and_b32_e32 v42, 64, v4
	v_cmp_lt_i32_e64 s[0:1], v40, v42
	s_waitcnt lgkmcnt(0)
	v_add_u32_e32 v39, v41, v39
	s_movk_i32 s2, 0x100
	v_cndmask_b32_e64 v4, v40, v4, s[0:1]
	v_lshlrev_b32_e32 v4, 2, v4
	ds_bpermute_b32 v4, v4, v39
	s_movk_i32 s0, 0xff
	v_cmp_lt_u32_e64 s[0:1], s0, v10
	s_waitcnt lgkmcnt(0)
	v_cndmask_b32_e32 v4, v4, v41, vcc
	v_cndmask_b32_e64 v4, v4, 0, s[10:11]
	v_add_u32_e32 v2, v4, v2
	v_add_u32_e32 v3, v2, v3
	;; [unrolled: 1-line block ×4, first 2 shown]
	ds_write2_b32 v5, v4, v2 offset0:16 offset1:17
	ds_write2_b32 v5, v3, v0 offset0:18 offset1:19
	ds_write_b32 v5, v1 offset:80
	s_waitcnt lgkmcnt(0)
	s_barrier
	ds_read_b32 v42, v16 offset:64
	ds_read_b32 v39, v17 offset:64
	;; [unrolled: 1-line block ×8, first 2 shown]
	v_cmp_gt_u32_e32 vcc, s2, v10
                                        ; implicit-def: $vgpr16
                                        ; implicit-def: $vgpr17
	s_and_saveexec_b64 s[4:5], vcc
	s_cbranch_execz .LBB578_113
; %bb.110:
	v_mul_u32_u24_e32 v0, 0x44, v10
	ds_read_b32 v16, v0 offset:64
	v_add_u32_e32 v1, 1, v10
	v_cmp_ne_u32_e64 s[2:3], s2, v1
	v_mov_b32_e32 v0, 0x2000
	s_and_saveexec_b64 s[6:7], s[2:3]
; %bb.111:
	v_mul_u32_u24_e32 v0, 0x44, v1
	ds_read_b32 v0, v0 offset:64
; %bb.112:
	s_or_b64 exec, exec, s[6:7]
	s_waitcnt lgkmcnt(0)
	v_sub_u32_e32 v17, v0, v16
.LBB578_113:
	s_or_b64 exec, exec, s[4:5]
	v_mov_b32_e32 v1, 0
	s_waitcnt lgkmcnt(0)
	s_barrier
	s_and_saveexec_b64 s[2:3], vcc
	s_cbranch_execz .LBB578_123
; %bb.114:
	v_lshl_add_u32 v0, s27, 8, v10
	v_lshl_add_u64 v[2:3], v[0:1], 2, s[18:19]
	v_or_b32_e32 v0, 2.0, v17
	s_mov_b64 s[4:5], 0
	s_brev_b32 s10, -4
	s_mov_b32 s11, s27
	v_mov_b32_e32 v36, 0
	global_store_dword v[2:3], v0, off sc1
                                        ; implicit-def: $sgpr6_sgpr7
	s_branch .LBB578_117
.LBB578_115:                            ;   in Loop: Header=BB578_117 Depth=1
	s_or_b64 exec, exec, s[8:9]
.LBB578_116:                            ;   in Loop: Header=BB578_117 Depth=1
	s_or_b64 exec, exec, s[6:7]
	v_and_b32_e32 v4, 0x3fffffff, v0
	v_add_u32_e32 v36, v4, v36
	v_cmp_gt_i32_e64 s[6:7], -2.0, v0
	s_and_b64 s[8:9], exec, s[6:7]
	s_or_b64 s[4:5], s[8:9], s[4:5]
	s_andn2_b64 exec, exec, s[4:5]
	s_cbranch_execz .LBB578_122
.LBB578_117:                            ; =>This Loop Header: Depth=1
                                        ;     Child Loop BB578_120 Depth 2
	s_or_b64 s[6:7], s[6:7], exec
	s_cmp_eq_u32 s11, 0
	s_cbranch_scc1 .LBB578_121
; %bb.118:                              ;   in Loop: Header=BB578_117 Depth=1
	s_add_i32 s11, s11, -1
	v_lshl_or_b32 v0, s11, 8, v10
	v_lshl_add_u64 v[4:5], v[0:1], 2, s[18:19]
	global_load_dword v0, v[4:5], off sc1
	s_waitcnt vmcnt(0)
	v_cmp_gt_u32_e32 vcc, 2.0, v0
	s_and_saveexec_b64 s[6:7], vcc
	s_cbranch_execz .LBB578_116
; %bb.119:                              ;   in Loop: Header=BB578_117 Depth=1
	s_mov_b64 s[8:9], 0
.LBB578_120:                            ;   Parent Loop BB578_117 Depth=1
                                        ; =>  This Inner Loop Header: Depth=2
	global_load_dword v0, v[4:5], off sc1
	s_waitcnt vmcnt(0)
	v_cmp_lt_u32_e32 vcc, s10, v0
	s_or_b64 s[8:9], vcc, s[8:9]
	s_andn2_b64 exec, exec, s[8:9]
	s_cbranch_execnz .LBB578_120
	s_branch .LBB578_115
.LBB578_121:                            ;   in Loop: Header=BB578_117 Depth=1
                                        ; implicit-def: $sgpr11
	s_and_b64 s[8:9], exec, s[6:7]
	s_or_b64 s[4:5], s[8:9], s[4:5]
	s_andn2_b64 exec, exec, s[4:5]
	s_cbranch_execnz .LBB578_117
.LBB578_122:
	s_or_b64 exec, exec, s[4:5]
	v_add_u32_e32 v0, v36, v17
	v_or_b32_e32 v0, 0x80000000, v0
	global_store_dword v[2:3], v0, off sc1
	global_load_dword v0, v22, s[20:21]
	v_sub_u32_e32 v1, v36, v16
	s_waitcnt vmcnt(0)
	v_add_u32_e32 v0, v1, v0
	ds_write_b32 v22, v0
.LBB578_123:
	s_or_b64 exec, exec, s[2:3]
	v_add_u32_e32 v0, v37, v35
	v_add_u32_e32 v1, v34, v32
	;; [unrolled: 1-line block ×8, first 2 shown]
	v_add_lshl_u32 v3, v0, v33, 2
	v_add3_u32 v4, v37, v33, v35
	v_add_lshl_u32 v5, v1, v23, 2
	v_add3_u32 v9, v34, v23, v32
	;; [unrolled: 2-line block ×7, first 2 shown]
	v_lshlrev_b32_e32 v13, 2, v2
	s_mov_b64 s[2:3], -1
	s_mov_b32 s6, 0
	s_movk_i32 s7, 0x1000
	s_brev_b32 s8, -2
	v_bfrev_b32_e32 v30, 1
	v_mov_b32_e32 v1, 0
	s_movk_i32 s9, 0x400
	s_movk_i32 s10, 0x800
	;; [unrolled: 1-line block ×3, first 2 shown]
	s_mov_b32 s14, 0
	s_branch .LBB578_125
.LBB578_124:                            ;   in Loop: Header=BB578_125 Depth=1
	s_or_b64 exec, exec, s[4:5]
	s_waitcnt lgkmcnt(0)
	s_barrier
	ds_read2st64_b32 v[32:33], v22 offset0:4 offset1:20
	s_xor_b64 s[4:5], s[2:3], -1
	s_addk_i32 s14, 0xc000
	s_addk_i32 s6, 0xf000
	s_mov_b64 s[2:3], 0
	s_waitcnt lgkmcnt(0)
	v_cmp_ne_u32_e32 vcc, s8, v32
	s_nop 1
	v_cndmask_b32_e32 v0, v30, v32, vcc
	v_lshrrev_b32_e32 v0, s24, v0
	v_and_b32_e32 v0, s13, v0
	v_lshlrev_b32_e32 v0, 2, v0
	ds_read_b32 v0, v0
	ds_read2st64_b32 v[34:35], v22 offset0:36 offset1:52
	v_cmp_lt_i32_e32 vcc, -1, v32
	s_waitcnt lgkmcnt(1)
	v_add_u32_e32 v0, v10, v0
	v_cndmask_b32_e64 v31, v30, -1, vcc
	v_cmp_ne_u32_e32 vcc, s8, v33
	v_xor_b32_e32 v31, v31, v32
	s_nop 0
	v_cndmask_b32_e32 v32, v30, v33, vcc
	s_waitcnt lgkmcnt(0)
	v_cmp_ne_u32_e32 vcc, s8, v34
	v_lshrrev_b32_e32 v32, s24, v32
	v_and_b32_e32 v32, s13, v32
	v_cndmask_b32_e32 v36, v30, v34, vcc
	v_cmp_ne_u32_e32 vcc, s8, v35
	v_lshrrev_b32_e32 v36, s24, v36
	v_lshlrev_b32_e32 v32, 2, v32
	v_cndmask_b32_e32 v37, v30, v35, vcc
	v_lshrrev_b32_e32 v37, s24, v37
	v_and_b32_e32 v36, s13, v36
	v_and_b32_e32 v37, s13, v37
	v_lshlrev_b32_e32 v36, 2, v36
	v_lshlrev_b32_e32 v37, 2, v37
	ds_read_b32 v32, v32
	ds_read_b32 v38, v36
	;; [unrolled: 1-line block ×3, first 2 shown]
	v_cmp_lt_i32_e32 vcc, -1, v33
	v_lshl_add_u64 v[36:37], v[0:1], 2, s[30:31]
	global_store_dword v[36:37], v31, off
	v_cndmask_b32_e64 v0, v30, -1, vcc
	v_xor_b32_e32 v31, v0, v33
	s_waitcnt lgkmcnt(2)
	v_add3_u32 v0, v10, v32, s9
	v_cmp_lt_i32_e32 vcc, -1, v34
	v_lshl_add_u64 v[32:33], v[0:1], 2, s[30:31]
	global_store_dword v[32:33], v31, off
	v_cndmask_b32_e64 v0, v30, -1, vcc
	v_xor_b32_e32 v31, v0, v34
	s_waitcnt lgkmcnt(1)
	v_add3_u32 v0, v10, v38, s10
	;; [unrolled: 7-line block ×3, first 2 shown]
	v_lshl_add_u64 v[32:33], v[0:1], 2, s[30:31]
	v_add_u32_e32 v10, 0x1000, v10
	s_and_b64 vcc, exec, s[4:5]
	global_store_dword v[32:33], v31, off
	s_barrier
	s_cbranch_vccnz .LBB578_141
.LBB578_125:                            ; =>This Inner Loop Header: Depth=1
	v_add_u32_e32 v0, s6, v2
	v_cmp_gt_u32_e32 vcc, s7, v0
	s_and_saveexec_b64 s[4:5], vcc
; %bb.126:                              ;   in Loop: Header=BB578_125 Depth=1
	v_add_u32_e32 v0, s14, v13
	ds_write_b32 v0, v6 offset:1024
; %bb.127:                              ;   in Loop: Header=BB578_125 Depth=1
	s_or_b64 exec, exec, s[4:5]
	v_add_u32_e32 v0, s6, v11
	v_cmp_gt_u32_e32 vcc, s7, v0
	s_and_saveexec_b64 s[4:5], vcc
; %bb.128:                              ;   in Loop: Header=BB578_125 Depth=1
	v_add_u32_e32 v0, s14, v18
	ds_write_b32 v0, v7 offset:1024
; %bb.129:                              ;   in Loop: Header=BB578_125 Depth=1
	s_or_b64 exec, exec, s[4:5]
	;; [unrolled: 8-line block ×7, first 2 shown]
	v_add_u32_e32 v0, s6, v4
	v_cmp_gt_u32_e32 vcc, s7, v0
	s_and_saveexec_b64 s[4:5], vcc
	s_cbranch_execz .LBB578_124
; %bb.140:                              ;   in Loop: Header=BB578_125 Depth=1
	v_add_u32_e32 v0, s14, v3
	ds_write_b32 v0, v21 offset:1024
	s_branch .LBB578_124
.LBB578_141:
	s_add_i32 s12, s12, -1
	s_cmp_eq_u32 s27, s12
	s_cselect_b64 s[2:3], -1, 0
	s_xor_b64 s[0:1], s[0:1], -1
	s_and_b64 s[0:1], s[0:1], s[2:3]
	s_and_saveexec_b64 s[2:3], s[0:1]
	s_cbranch_execz .LBB578_143
; %bb.142:
	ds_read_b32 v0, v22
	s_waitcnt lgkmcnt(0)
	v_add3_u32 v0, v16, v17, v0
	global_store_dword v22, v0, s[22:23]
.LBB578_143:
	s_endpgm
	.section	.rodata,"a",@progbits
	.p2align	6, 0x0
	.amdhsa_kernel _ZN7rocprim17ROCPRIM_400000_NS6detail17trampoline_kernelINS0_14default_configENS1_35radix_sort_onesweep_config_selectorIfNS0_10empty_typeEEEZZNS1_29radix_sort_onesweep_iterationIS3_Lb0EN6thrust23THRUST_200600_302600_NS6detail15normal_iteratorINS9_10device_ptrIfEEEESE_PS5_SF_jNS0_19identity_decomposerENS1_16block_id_wrapperIjLb1EEEEE10hipError_tT1_PNSt15iterator_traitsISK_E10value_typeET2_T3_PNSL_ISQ_E10value_typeET4_T5_PSV_SW_PNS1_23onesweep_lookback_stateEbbT6_jjT7_P12ihipStream_tbENKUlT_T0_SK_SP_E_clIPfSE_SF_SF_EEDaS13_S14_SK_SP_EUlS13_E_NS1_11comp_targetILNS1_3genE6ELNS1_11target_archE950ELNS1_3gpuE13ELNS1_3repE0EEENS1_47radix_sort_onesweep_sort_config_static_selectorELNS0_4arch9wavefront6targetE1EEEvSK_
		.amdhsa_group_segment_fixed_size 20552
		.amdhsa_private_segment_fixed_size 0
		.amdhsa_kernarg_size 344
		.amdhsa_user_sgpr_count 2
		.amdhsa_user_sgpr_dispatch_ptr 0
		.amdhsa_user_sgpr_queue_ptr 0
		.amdhsa_user_sgpr_kernarg_segment_ptr 1
		.amdhsa_user_sgpr_dispatch_id 0
		.amdhsa_user_sgpr_kernarg_preload_length 0
		.amdhsa_user_sgpr_kernarg_preload_offset 0
		.amdhsa_user_sgpr_private_segment_size 0
		.amdhsa_uses_dynamic_stack 0
		.amdhsa_enable_private_segment 0
		.amdhsa_system_sgpr_workgroup_id_x 1
		.amdhsa_system_sgpr_workgroup_id_y 0
		.amdhsa_system_sgpr_workgroup_id_z 0
		.amdhsa_system_sgpr_workgroup_info 0
		.amdhsa_system_vgpr_workitem_id 2
		.amdhsa_next_free_vgpr 46
		.amdhsa_next_free_sgpr 36
		.amdhsa_accum_offset 48
		.amdhsa_reserve_vcc 1
		.amdhsa_float_round_mode_32 0
		.amdhsa_float_round_mode_16_64 0
		.amdhsa_float_denorm_mode_32 3
		.amdhsa_float_denorm_mode_16_64 3
		.amdhsa_dx10_clamp 1
		.amdhsa_ieee_mode 1
		.amdhsa_fp16_overflow 0
		.amdhsa_tg_split 0
		.amdhsa_exception_fp_ieee_invalid_op 0
		.amdhsa_exception_fp_denorm_src 0
		.amdhsa_exception_fp_ieee_div_zero 0
		.amdhsa_exception_fp_ieee_overflow 0
		.amdhsa_exception_fp_ieee_underflow 0
		.amdhsa_exception_fp_ieee_inexact 0
		.amdhsa_exception_int_div_zero 0
	.end_amdhsa_kernel
	.section	.text._ZN7rocprim17ROCPRIM_400000_NS6detail17trampoline_kernelINS0_14default_configENS1_35radix_sort_onesweep_config_selectorIfNS0_10empty_typeEEEZZNS1_29radix_sort_onesweep_iterationIS3_Lb0EN6thrust23THRUST_200600_302600_NS6detail15normal_iteratorINS9_10device_ptrIfEEEESE_PS5_SF_jNS0_19identity_decomposerENS1_16block_id_wrapperIjLb1EEEEE10hipError_tT1_PNSt15iterator_traitsISK_E10value_typeET2_T3_PNSL_ISQ_E10value_typeET4_T5_PSV_SW_PNS1_23onesweep_lookback_stateEbbT6_jjT7_P12ihipStream_tbENKUlT_T0_SK_SP_E_clIPfSE_SF_SF_EEDaS13_S14_SK_SP_EUlS13_E_NS1_11comp_targetILNS1_3genE6ELNS1_11target_archE950ELNS1_3gpuE13ELNS1_3repE0EEENS1_47radix_sort_onesweep_sort_config_static_selectorELNS0_4arch9wavefront6targetE1EEEvSK_,"axG",@progbits,_ZN7rocprim17ROCPRIM_400000_NS6detail17trampoline_kernelINS0_14default_configENS1_35radix_sort_onesweep_config_selectorIfNS0_10empty_typeEEEZZNS1_29radix_sort_onesweep_iterationIS3_Lb0EN6thrust23THRUST_200600_302600_NS6detail15normal_iteratorINS9_10device_ptrIfEEEESE_PS5_SF_jNS0_19identity_decomposerENS1_16block_id_wrapperIjLb1EEEEE10hipError_tT1_PNSt15iterator_traitsISK_E10value_typeET2_T3_PNSL_ISQ_E10value_typeET4_T5_PSV_SW_PNS1_23onesweep_lookback_stateEbbT6_jjT7_P12ihipStream_tbENKUlT_T0_SK_SP_E_clIPfSE_SF_SF_EEDaS13_S14_SK_SP_EUlS13_E_NS1_11comp_targetILNS1_3genE6ELNS1_11target_archE950ELNS1_3gpuE13ELNS1_3repE0EEENS1_47radix_sort_onesweep_sort_config_static_selectorELNS0_4arch9wavefront6targetE1EEEvSK_,comdat
.Lfunc_end578:
	.size	_ZN7rocprim17ROCPRIM_400000_NS6detail17trampoline_kernelINS0_14default_configENS1_35radix_sort_onesweep_config_selectorIfNS0_10empty_typeEEEZZNS1_29radix_sort_onesweep_iterationIS3_Lb0EN6thrust23THRUST_200600_302600_NS6detail15normal_iteratorINS9_10device_ptrIfEEEESE_PS5_SF_jNS0_19identity_decomposerENS1_16block_id_wrapperIjLb1EEEEE10hipError_tT1_PNSt15iterator_traitsISK_E10value_typeET2_T3_PNSL_ISQ_E10value_typeET4_T5_PSV_SW_PNS1_23onesweep_lookback_stateEbbT6_jjT7_P12ihipStream_tbENKUlT_T0_SK_SP_E_clIPfSE_SF_SF_EEDaS13_S14_SK_SP_EUlS13_E_NS1_11comp_targetILNS1_3genE6ELNS1_11target_archE950ELNS1_3gpuE13ELNS1_3repE0EEENS1_47radix_sort_onesweep_sort_config_static_selectorELNS0_4arch9wavefront6targetE1EEEvSK_, .Lfunc_end578-_ZN7rocprim17ROCPRIM_400000_NS6detail17trampoline_kernelINS0_14default_configENS1_35radix_sort_onesweep_config_selectorIfNS0_10empty_typeEEEZZNS1_29radix_sort_onesweep_iterationIS3_Lb0EN6thrust23THRUST_200600_302600_NS6detail15normal_iteratorINS9_10device_ptrIfEEEESE_PS5_SF_jNS0_19identity_decomposerENS1_16block_id_wrapperIjLb1EEEEE10hipError_tT1_PNSt15iterator_traitsISK_E10value_typeET2_T3_PNSL_ISQ_E10value_typeET4_T5_PSV_SW_PNS1_23onesweep_lookback_stateEbbT6_jjT7_P12ihipStream_tbENKUlT_T0_SK_SP_E_clIPfSE_SF_SF_EEDaS13_S14_SK_SP_EUlS13_E_NS1_11comp_targetILNS1_3genE6ELNS1_11target_archE950ELNS1_3gpuE13ELNS1_3repE0EEENS1_47radix_sort_onesweep_sort_config_static_selectorELNS0_4arch9wavefront6targetE1EEEvSK_
                                        ; -- End function
	.set _ZN7rocprim17ROCPRIM_400000_NS6detail17trampoline_kernelINS0_14default_configENS1_35radix_sort_onesweep_config_selectorIfNS0_10empty_typeEEEZZNS1_29radix_sort_onesweep_iterationIS3_Lb0EN6thrust23THRUST_200600_302600_NS6detail15normal_iteratorINS9_10device_ptrIfEEEESE_PS5_SF_jNS0_19identity_decomposerENS1_16block_id_wrapperIjLb1EEEEE10hipError_tT1_PNSt15iterator_traitsISK_E10value_typeET2_T3_PNSL_ISQ_E10value_typeET4_T5_PSV_SW_PNS1_23onesweep_lookback_stateEbbT6_jjT7_P12ihipStream_tbENKUlT_T0_SK_SP_E_clIPfSE_SF_SF_EEDaS13_S14_SK_SP_EUlS13_E_NS1_11comp_targetILNS1_3genE6ELNS1_11target_archE950ELNS1_3gpuE13ELNS1_3repE0EEENS1_47radix_sort_onesweep_sort_config_static_selectorELNS0_4arch9wavefront6targetE1EEEvSK_.num_vgpr, 46
	.set _ZN7rocprim17ROCPRIM_400000_NS6detail17trampoline_kernelINS0_14default_configENS1_35radix_sort_onesweep_config_selectorIfNS0_10empty_typeEEEZZNS1_29radix_sort_onesweep_iterationIS3_Lb0EN6thrust23THRUST_200600_302600_NS6detail15normal_iteratorINS9_10device_ptrIfEEEESE_PS5_SF_jNS0_19identity_decomposerENS1_16block_id_wrapperIjLb1EEEEE10hipError_tT1_PNSt15iterator_traitsISK_E10value_typeET2_T3_PNSL_ISQ_E10value_typeET4_T5_PSV_SW_PNS1_23onesweep_lookback_stateEbbT6_jjT7_P12ihipStream_tbENKUlT_T0_SK_SP_E_clIPfSE_SF_SF_EEDaS13_S14_SK_SP_EUlS13_E_NS1_11comp_targetILNS1_3genE6ELNS1_11target_archE950ELNS1_3gpuE13ELNS1_3repE0EEENS1_47radix_sort_onesweep_sort_config_static_selectorELNS0_4arch9wavefront6targetE1EEEvSK_.num_agpr, 0
	.set _ZN7rocprim17ROCPRIM_400000_NS6detail17trampoline_kernelINS0_14default_configENS1_35radix_sort_onesweep_config_selectorIfNS0_10empty_typeEEEZZNS1_29radix_sort_onesweep_iterationIS3_Lb0EN6thrust23THRUST_200600_302600_NS6detail15normal_iteratorINS9_10device_ptrIfEEEESE_PS5_SF_jNS0_19identity_decomposerENS1_16block_id_wrapperIjLb1EEEEE10hipError_tT1_PNSt15iterator_traitsISK_E10value_typeET2_T3_PNSL_ISQ_E10value_typeET4_T5_PSV_SW_PNS1_23onesweep_lookback_stateEbbT6_jjT7_P12ihipStream_tbENKUlT_T0_SK_SP_E_clIPfSE_SF_SF_EEDaS13_S14_SK_SP_EUlS13_E_NS1_11comp_targetILNS1_3genE6ELNS1_11target_archE950ELNS1_3gpuE13ELNS1_3repE0EEENS1_47radix_sort_onesweep_sort_config_static_selectorELNS0_4arch9wavefront6targetE1EEEvSK_.numbered_sgpr, 36
	.set _ZN7rocprim17ROCPRIM_400000_NS6detail17trampoline_kernelINS0_14default_configENS1_35radix_sort_onesweep_config_selectorIfNS0_10empty_typeEEEZZNS1_29radix_sort_onesweep_iterationIS3_Lb0EN6thrust23THRUST_200600_302600_NS6detail15normal_iteratorINS9_10device_ptrIfEEEESE_PS5_SF_jNS0_19identity_decomposerENS1_16block_id_wrapperIjLb1EEEEE10hipError_tT1_PNSt15iterator_traitsISK_E10value_typeET2_T3_PNSL_ISQ_E10value_typeET4_T5_PSV_SW_PNS1_23onesweep_lookback_stateEbbT6_jjT7_P12ihipStream_tbENKUlT_T0_SK_SP_E_clIPfSE_SF_SF_EEDaS13_S14_SK_SP_EUlS13_E_NS1_11comp_targetILNS1_3genE6ELNS1_11target_archE950ELNS1_3gpuE13ELNS1_3repE0EEENS1_47radix_sort_onesweep_sort_config_static_selectorELNS0_4arch9wavefront6targetE1EEEvSK_.num_named_barrier, 0
	.set _ZN7rocprim17ROCPRIM_400000_NS6detail17trampoline_kernelINS0_14default_configENS1_35radix_sort_onesweep_config_selectorIfNS0_10empty_typeEEEZZNS1_29radix_sort_onesweep_iterationIS3_Lb0EN6thrust23THRUST_200600_302600_NS6detail15normal_iteratorINS9_10device_ptrIfEEEESE_PS5_SF_jNS0_19identity_decomposerENS1_16block_id_wrapperIjLb1EEEEE10hipError_tT1_PNSt15iterator_traitsISK_E10value_typeET2_T3_PNSL_ISQ_E10value_typeET4_T5_PSV_SW_PNS1_23onesweep_lookback_stateEbbT6_jjT7_P12ihipStream_tbENKUlT_T0_SK_SP_E_clIPfSE_SF_SF_EEDaS13_S14_SK_SP_EUlS13_E_NS1_11comp_targetILNS1_3genE6ELNS1_11target_archE950ELNS1_3gpuE13ELNS1_3repE0EEENS1_47radix_sort_onesweep_sort_config_static_selectorELNS0_4arch9wavefront6targetE1EEEvSK_.private_seg_size, 0
	.set _ZN7rocprim17ROCPRIM_400000_NS6detail17trampoline_kernelINS0_14default_configENS1_35radix_sort_onesweep_config_selectorIfNS0_10empty_typeEEEZZNS1_29radix_sort_onesweep_iterationIS3_Lb0EN6thrust23THRUST_200600_302600_NS6detail15normal_iteratorINS9_10device_ptrIfEEEESE_PS5_SF_jNS0_19identity_decomposerENS1_16block_id_wrapperIjLb1EEEEE10hipError_tT1_PNSt15iterator_traitsISK_E10value_typeET2_T3_PNSL_ISQ_E10value_typeET4_T5_PSV_SW_PNS1_23onesweep_lookback_stateEbbT6_jjT7_P12ihipStream_tbENKUlT_T0_SK_SP_E_clIPfSE_SF_SF_EEDaS13_S14_SK_SP_EUlS13_E_NS1_11comp_targetILNS1_3genE6ELNS1_11target_archE950ELNS1_3gpuE13ELNS1_3repE0EEENS1_47radix_sort_onesweep_sort_config_static_selectorELNS0_4arch9wavefront6targetE1EEEvSK_.uses_vcc, 1
	.set _ZN7rocprim17ROCPRIM_400000_NS6detail17trampoline_kernelINS0_14default_configENS1_35radix_sort_onesweep_config_selectorIfNS0_10empty_typeEEEZZNS1_29radix_sort_onesweep_iterationIS3_Lb0EN6thrust23THRUST_200600_302600_NS6detail15normal_iteratorINS9_10device_ptrIfEEEESE_PS5_SF_jNS0_19identity_decomposerENS1_16block_id_wrapperIjLb1EEEEE10hipError_tT1_PNSt15iterator_traitsISK_E10value_typeET2_T3_PNSL_ISQ_E10value_typeET4_T5_PSV_SW_PNS1_23onesweep_lookback_stateEbbT6_jjT7_P12ihipStream_tbENKUlT_T0_SK_SP_E_clIPfSE_SF_SF_EEDaS13_S14_SK_SP_EUlS13_E_NS1_11comp_targetILNS1_3genE6ELNS1_11target_archE950ELNS1_3gpuE13ELNS1_3repE0EEENS1_47radix_sort_onesweep_sort_config_static_selectorELNS0_4arch9wavefront6targetE1EEEvSK_.uses_flat_scratch, 0
	.set _ZN7rocprim17ROCPRIM_400000_NS6detail17trampoline_kernelINS0_14default_configENS1_35radix_sort_onesweep_config_selectorIfNS0_10empty_typeEEEZZNS1_29radix_sort_onesweep_iterationIS3_Lb0EN6thrust23THRUST_200600_302600_NS6detail15normal_iteratorINS9_10device_ptrIfEEEESE_PS5_SF_jNS0_19identity_decomposerENS1_16block_id_wrapperIjLb1EEEEE10hipError_tT1_PNSt15iterator_traitsISK_E10value_typeET2_T3_PNSL_ISQ_E10value_typeET4_T5_PSV_SW_PNS1_23onesweep_lookback_stateEbbT6_jjT7_P12ihipStream_tbENKUlT_T0_SK_SP_E_clIPfSE_SF_SF_EEDaS13_S14_SK_SP_EUlS13_E_NS1_11comp_targetILNS1_3genE6ELNS1_11target_archE950ELNS1_3gpuE13ELNS1_3repE0EEENS1_47radix_sort_onesweep_sort_config_static_selectorELNS0_4arch9wavefront6targetE1EEEvSK_.has_dyn_sized_stack, 0
	.set _ZN7rocprim17ROCPRIM_400000_NS6detail17trampoline_kernelINS0_14default_configENS1_35radix_sort_onesweep_config_selectorIfNS0_10empty_typeEEEZZNS1_29radix_sort_onesweep_iterationIS3_Lb0EN6thrust23THRUST_200600_302600_NS6detail15normal_iteratorINS9_10device_ptrIfEEEESE_PS5_SF_jNS0_19identity_decomposerENS1_16block_id_wrapperIjLb1EEEEE10hipError_tT1_PNSt15iterator_traitsISK_E10value_typeET2_T3_PNSL_ISQ_E10value_typeET4_T5_PSV_SW_PNS1_23onesweep_lookback_stateEbbT6_jjT7_P12ihipStream_tbENKUlT_T0_SK_SP_E_clIPfSE_SF_SF_EEDaS13_S14_SK_SP_EUlS13_E_NS1_11comp_targetILNS1_3genE6ELNS1_11target_archE950ELNS1_3gpuE13ELNS1_3repE0EEENS1_47radix_sort_onesweep_sort_config_static_selectorELNS0_4arch9wavefront6targetE1EEEvSK_.has_recursion, 0
	.set _ZN7rocprim17ROCPRIM_400000_NS6detail17trampoline_kernelINS0_14default_configENS1_35radix_sort_onesweep_config_selectorIfNS0_10empty_typeEEEZZNS1_29radix_sort_onesweep_iterationIS3_Lb0EN6thrust23THRUST_200600_302600_NS6detail15normal_iteratorINS9_10device_ptrIfEEEESE_PS5_SF_jNS0_19identity_decomposerENS1_16block_id_wrapperIjLb1EEEEE10hipError_tT1_PNSt15iterator_traitsISK_E10value_typeET2_T3_PNSL_ISQ_E10value_typeET4_T5_PSV_SW_PNS1_23onesweep_lookback_stateEbbT6_jjT7_P12ihipStream_tbENKUlT_T0_SK_SP_E_clIPfSE_SF_SF_EEDaS13_S14_SK_SP_EUlS13_E_NS1_11comp_targetILNS1_3genE6ELNS1_11target_archE950ELNS1_3gpuE13ELNS1_3repE0EEENS1_47radix_sort_onesweep_sort_config_static_selectorELNS0_4arch9wavefront6targetE1EEEvSK_.has_indirect_call, 0
	.section	.AMDGPU.csdata,"",@progbits
; Kernel info:
; codeLenInByte = 11884
; TotalNumSgprs: 42
; NumVgprs: 46
; NumAgprs: 0
; TotalNumVgprs: 46
; ScratchSize: 0
; MemoryBound: 0
; FloatMode: 240
; IeeeMode: 1
; LDSByteSize: 20552 bytes/workgroup (compile time only)
; SGPRBlocks: 5
; VGPRBlocks: 5
; NumSGPRsForWavesPerEU: 42
; NumVGPRsForWavesPerEU: 46
; AccumOffset: 48
; Occupancy: 8
; WaveLimiterHint : 1
; COMPUTE_PGM_RSRC2:SCRATCH_EN: 0
; COMPUTE_PGM_RSRC2:USER_SGPR: 2
; COMPUTE_PGM_RSRC2:TRAP_HANDLER: 0
; COMPUTE_PGM_RSRC2:TGID_X_EN: 1
; COMPUTE_PGM_RSRC2:TGID_Y_EN: 0
; COMPUTE_PGM_RSRC2:TGID_Z_EN: 0
; COMPUTE_PGM_RSRC2:TIDIG_COMP_CNT: 2
; COMPUTE_PGM_RSRC3_GFX90A:ACCUM_OFFSET: 11
; COMPUTE_PGM_RSRC3_GFX90A:TG_SPLIT: 0
	.section	.text._ZN7rocprim17ROCPRIM_400000_NS6detail17trampoline_kernelINS0_14default_configENS1_35radix_sort_onesweep_config_selectorIfNS0_10empty_typeEEEZZNS1_29radix_sort_onesweep_iterationIS3_Lb0EN6thrust23THRUST_200600_302600_NS6detail15normal_iteratorINS9_10device_ptrIfEEEESE_PS5_SF_jNS0_19identity_decomposerENS1_16block_id_wrapperIjLb1EEEEE10hipError_tT1_PNSt15iterator_traitsISK_E10value_typeET2_T3_PNSL_ISQ_E10value_typeET4_T5_PSV_SW_PNS1_23onesweep_lookback_stateEbbT6_jjT7_P12ihipStream_tbENKUlT_T0_SK_SP_E_clIPfSE_SF_SF_EEDaS13_S14_SK_SP_EUlS13_E_NS1_11comp_targetILNS1_3genE5ELNS1_11target_archE942ELNS1_3gpuE9ELNS1_3repE0EEENS1_47radix_sort_onesweep_sort_config_static_selectorELNS0_4arch9wavefront6targetE1EEEvSK_,"axG",@progbits,_ZN7rocprim17ROCPRIM_400000_NS6detail17trampoline_kernelINS0_14default_configENS1_35radix_sort_onesweep_config_selectorIfNS0_10empty_typeEEEZZNS1_29radix_sort_onesweep_iterationIS3_Lb0EN6thrust23THRUST_200600_302600_NS6detail15normal_iteratorINS9_10device_ptrIfEEEESE_PS5_SF_jNS0_19identity_decomposerENS1_16block_id_wrapperIjLb1EEEEE10hipError_tT1_PNSt15iterator_traitsISK_E10value_typeET2_T3_PNSL_ISQ_E10value_typeET4_T5_PSV_SW_PNS1_23onesweep_lookback_stateEbbT6_jjT7_P12ihipStream_tbENKUlT_T0_SK_SP_E_clIPfSE_SF_SF_EEDaS13_S14_SK_SP_EUlS13_E_NS1_11comp_targetILNS1_3genE5ELNS1_11target_archE942ELNS1_3gpuE9ELNS1_3repE0EEENS1_47radix_sort_onesweep_sort_config_static_selectorELNS0_4arch9wavefront6targetE1EEEvSK_,comdat
	.protected	_ZN7rocprim17ROCPRIM_400000_NS6detail17trampoline_kernelINS0_14default_configENS1_35radix_sort_onesweep_config_selectorIfNS0_10empty_typeEEEZZNS1_29radix_sort_onesweep_iterationIS3_Lb0EN6thrust23THRUST_200600_302600_NS6detail15normal_iteratorINS9_10device_ptrIfEEEESE_PS5_SF_jNS0_19identity_decomposerENS1_16block_id_wrapperIjLb1EEEEE10hipError_tT1_PNSt15iterator_traitsISK_E10value_typeET2_T3_PNSL_ISQ_E10value_typeET4_T5_PSV_SW_PNS1_23onesweep_lookback_stateEbbT6_jjT7_P12ihipStream_tbENKUlT_T0_SK_SP_E_clIPfSE_SF_SF_EEDaS13_S14_SK_SP_EUlS13_E_NS1_11comp_targetILNS1_3genE5ELNS1_11target_archE942ELNS1_3gpuE9ELNS1_3repE0EEENS1_47radix_sort_onesweep_sort_config_static_selectorELNS0_4arch9wavefront6targetE1EEEvSK_ ; -- Begin function _ZN7rocprim17ROCPRIM_400000_NS6detail17trampoline_kernelINS0_14default_configENS1_35radix_sort_onesweep_config_selectorIfNS0_10empty_typeEEEZZNS1_29radix_sort_onesweep_iterationIS3_Lb0EN6thrust23THRUST_200600_302600_NS6detail15normal_iteratorINS9_10device_ptrIfEEEESE_PS5_SF_jNS0_19identity_decomposerENS1_16block_id_wrapperIjLb1EEEEE10hipError_tT1_PNSt15iterator_traitsISK_E10value_typeET2_T3_PNSL_ISQ_E10value_typeET4_T5_PSV_SW_PNS1_23onesweep_lookback_stateEbbT6_jjT7_P12ihipStream_tbENKUlT_T0_SK_SP_E_clIPfSE_SF_SF_EEDaS13_S14_SK_SP_EUlS13_E_NS1_11comp_targetILNS1_3genE5ELNS1_11target_archE942ELNS1_3gpuE9ELNS1_3repE0EEENS1_47radix_sort_onesweep_sort_config_static_selectorELNS0_4arch9wavefront6targetE1EEEvSK_
	.globl	_ZN7rocprim17ROCPRIM_400000_NS6detail17trampoline_kernelINS0_14default_configENS1_35radix_sort_onesweep_config_selectorIfNS0_10empty_typeEEEZZNS1_29radix_sort_onesweep_iterationIS3_Lb0EN6thrust23THRUST_200600_302600_NS6detail15normal_iteratorINS9_10device_ptrIfEEEESE_PS5_SF_jNS0_19identity_decomposerENS1_16block_id_wrapperIjLb1EEEEE10hipError_tT1_PNSt15iterator_traitsISK_E10value_typeET2_T3_PNSL_ISQ_E10value_typeET4_T5_PSV_SW_PNS1_23onesweep_lookback_stateEbbT6_jjT7_P12ihipStream_tbENKUlT_T0_SK_SP_E_clIPfSE_SF_SF_EEDaS13_S14_SK_SP_EUlS13_E_NS1_11comp_targetILNS1_3genE5ELNS1_11target_archE942ELNS1_3gpuE9ELNS1_3repE0EEENS1_47radix_sort_onesweep_sort_config_static_selectorELNS0_4arch9wavefront6targetE1EEEvSK_
	.p2align	8
	.type	_ZN7rocprim17ROCPRIM_400000_NS6detail17trampoline_kernelINS0_14default_configENS1_35radix_sort_onesweep_config_selectorIfNS0_10empty_typeEEEZZNS1_29radix_sort_onesweep_iterationIS3_Lb0EN6thrust23THRUST_200600_302600_NS6detail15normal_iteratorINS9_10device_ptrIfEEEESE_PS5_SF_jNS0_19identity_decomposerENS1_16block_id_wrapperIjLb1EEEEE10hipError_tT1_PNSt15iterator_traitsISK_E10value_typeET2_T3_PNSL_ISQ_E10value_typeET4_T5_PSV_SW_PNS1_23onesweep_lookback_stateEbbT6_jjT7_P12ihipStream_tbENKUlT_T0_SK_SP_E_clIPfSE_SF_SF_EEDaS13_S14_SK_SP_EUlS13_E_NS1_11comp_targetILNS1_3genE5ELNS1_11target_archE942ELNS1_3gpuE9ELNS1_3repE0EEENS1_47radix_sort_onesweep_sort_config_static_selectorELNS0_4arch9wavefront6targetE1EEEvSK_,@function
_ZN7rocprim17ROCPRIM_400000_NS6detail17trampoline_kernelINS0_14default_configENS1_35radix_sort_onesweep_config_selectorIfNS0_10empty_typeEEEZZNS1_29radix_sort_onesweep_iterationIS3_Lb0EN6thrust23THRUST_200600_302600_NS6detail15normal_iteratorINS9_10device_ptrIfEEEESE_PS5_SF_jNS0_19identity_decomposerENS1_16block_id_wrapperIjLb1EEEEE10hipError_tT1_PNSt15iterator_traitsISK_E10value_typeET2_T3_PNSL_ISQ_E10value_typeET4_T5_PSV_SW_PNS1_23onesweep_lookback_stateEbbT6_jjT7_P12ihipStream_tbENKUlT_T0_SK_SP_E_clIPfSE_SF_SF_EEDaS13_S14_SK_SP_EUlS13_E_NS1_11comp_targetILNS1_3genE5ELNS1_11target_archE942ELNS1_3gpuE9ELNS1_3repE0EEENS1_47radix_sort_onesweep_sort_config_static_selectorELNS0_4arch9wavefront6targetE1EEEvSK_: ; @_ZN7rocprim17ROCPRIM_400000_NS6detail17trampoline_kernelINS0_14default_configENS1_35radix_sort_onesweep_config_selectorIfNS0_10empty_typeEEEZZNS1_29radix_sort_onesweep_iterationIS3_Lb0EN6thrust23THRUST_200600_302600_NS6detail15normal_iteratorINS9_10device_ptrIfEEEESE_PS5_SF_jNS0_19identity_decomposerENS1_16block_id_wrapperIjLb1EEEEE10hipError_tT1_PNSt15iterator_traitsISK_E10value_typeET2_T3_PNSL_ISQ_E10value_typeET4_T5_PSV_SW_PNS1_23onesweep_lookback_stateEbbT6_jjT7_P12ihipStream_tbENKUlT_T0_SK_SP_E_clIPfSE_SF_SF_EEDaS13_S14_SK_SP_EUlS13_E_NS1_11comp_targetILNS1_3genE5ELNS1_11target_archE942ELNS1_3gpuE9ELNS1_3repE0EEENS1_47radix_sort_onesweep_sort_config_static_selectorELNS0_4arch9wavefront6targetE1EEEvSK_
; %bb.0:
	.section	.rodata,"a",@progbits
	.p2align	6, 0x0
	.amdhsa_kernel _ZN7rocprim17ROCPRIM_400000_NS6detail17trampoline_kernelINS0_14default_configENS1_35radix_sort_onesweep_config_selectorIfNS0_10empty_typeEEEZZNS1_29radix_sort_onesweep_iterationIS3_Lb0EN6thrust23THRUST_200600_302600_NS6detail15normal_iteratorINS9_10device_ptrIfEEEESE_PS5_SF_jNS0_19identity_decomposerENS1_16block_id_wrapperIjLb1EEEEE10hipError_tT1_PNSt15iterator_traitsISK_E10value_typeET2_T3_PNSL_ISQ_E10value_typeET4_T5_PSV_SW_PNS1_23onesweep_lookback_stateEbbT6_jjT7_P12ihipStream_tbENKUlT_T0_SK_SP_E_clIPfSE_SF_SF_EEDaS13_S14_SK_SP_EUlS13_E_NS1_11comp_targetILNS1_3genE5ELNS1_11target_archE942ELNS1_3gpuE9ELNS1_3repE0EEENS1_47radix_sort_onesweep_sort_config_static_selectorELNS0_4arch9wavefront6targetE1EEEvSK_
		.amdhsa_group_segment_fixed_size 0
		.amdhsa_private_segment_fixed_size 0
		.amdhsa_kernarg_size 88
		.amdhsa_user_sgpr_count 2
		.amdhsa_user_sgpr_dispatch_ptr 0
		.amdhsa_user_sgpr_queue_ptr 0
		.amdhsa_user_sgpr_kernarg_segment_ptr 1
		.amdhsa_user_sgpr_dispatch_id 0
		.amdhsa_user_sgpr_kernarg_preload_length 0
		.amdhsa_user_sgpr_kernarg_preload_offset 0
		.amdhsa_user_sgpr_private_segment_size 0
		.amdhsa_uses_dynamic_stack 0
		.amdhsa_enable_private_segment 0
		.amdhsa_system_sgpr_workgroup_id_x 1
		.amdhsa_system_sgpr_workgroup_id_y 0
		.amdhsa_system_sgpr_workgroup_id_z 0
		.amdhsa_system_sgpr_workgroup_info 0
		.amdhsa_system_vgpr_workitem_id 0
		.amdhsa_next_free_vgpr 1
		.amdhsa_next_free_sgpr 0
		.amdhsa_accum_offset 4
		.amdhsa_reserve_vcc 0
		.amdhsa_float_round_mode_32 0
		.amdhsa_float_round_mode_16_64 0
		.amdhsa_float_denorm_mode_32 3
		.amdhsa_float_denorm_mode_16_64 3
		.amdhsa_dx10_clamp 1
		.amdhsa_ieee_mode 1
		.amdhsa_fp16_overflow 0
		.amdhsa_tg_split 0
		.amdhsa_exception_fp_ieee_invalid_op 0
		.amdhsa_exception_fp_denorm_src 0
		.amdhsa_exception_fp_ieee_div_zero 0
		.amdhsa_exception_fp_ieee_overflow 0
		.amdhsa_exception_fp_ieee_underflow 0
		.amdhsa_exception_fp_ieee_inexact 0
		.amdhsa_exception_int_div_zero 0
	.end_amdhsa_kernel
	.section	.text._ZN7rocprim17ROCPRIM_400000_NS6detail17trampoline_kernelINS0_14default_configENS1_35radix_sort_onesweep_config_selectorIfNS0_10empty_typeEEEZZNS1_29radix_sort_onesweep_iterationIS3_Lb0EN6thrust23THRUST_200600_302600_NS6detail15normal_iteratorINS9_10device_ptrIfEEEESE_PS5_SF_jNS0_19identity_decomposerENS1_16block_id_wrapperIjLb1EEEEE10hipError_tT1_PNSt15iterator_traitsISK_E10value_typeET2_T3_PNSL_ISQ_E10value_typeET4_T5_PSV_SW_PNS1_23onesweep_lookback_stateEbbT6_jjT7_P12ihipStream_tbENKUlT_T0_SK_SP_E_clIPfSE_SF_SF_EEDaS13_S14_SK_SP_EUlS13_E_NS1_11comp_targetILNS1_3genE5ELNS1_11target_archE942ELNS1_3gpuE9ELNS1_3repE0EEENS1_47radix_sort_onesweep_sort_config_static_selectorELNS0_4arch9wavefront6targetE1EEEvSK_,"axG",@progbits,_ZN7rocprim17ROCPRIM_400000_NS6detail17trampoline_kernelINS0_14default_configENS1_35radix_sort_onesweep_config_selectorIfNS0_10empty_typeEEEZZNS1_29radix_sort_onesweep_iterationIS3_Lb0EN6thrust23THRUST_200600_302600_NS6detail15normal_iteratorINS9_10device_ptrIfEEEESE_PS5_SF_jNS0_19identity_decomposerENS1_16block_id_wrapperIjLb1EEEEE10hipError_tT1_PNSt15iterator_traitsISK_E10value_typeET2_T3_PNSL_ISQ_E10value_typeET4_T5_PSV_SW_PNS1_23onesweep_lookback_stateEbbT6_jjT7_P12ihipStream_tbENKUlT_T0_SK_SP_E_clIPfSE_SF_SF_EEDaS13_S14_SK_SP_EUlS13_E_NS1_11comp_targetILNS1_3genE5ELNS1_11target_archE942ELNS1_3gpuE9ELNS1_3repE0EEENS1_47radix_sort_onesweep_sort_config_static_selectorELNS0_4arch9wavefront6targetE1EEEvSK_,comdat
.Lfunc_end579:
	.size	_ZN7rocprim17ROCPRIM_400000_NS6detail17trampoline_kernelINS0_14default_configENS1_35radix_sort_onesweep_config_selectorIfNS0_10empty_typeEEEZZNS1_29radix_sort_onesweep_iterationIS3_Lb0EN6thrust23THRUST_200600_302600_NS6detail15normal_iteratorINS9_10device_ptrIfEEEESE_PS5_SF_jNS0_19identity_decomposerENS1_16block_id_wrapperIjLb1EEEEE10hipError_tT1_PNSt15iterator_traitsISK_E10value_typeET2_T3_PNSL_ISQ_E10value_typeET4_T5_PSV_SW_PNS1_23onesweep_lookback_stateEbbT6_jjT7_P12ihipStream_tbENKUlT_T0_SK_SP_E_clIPfSE_SF_SF_EEDaS13_S14_SK_SP_EUlS13_E_NS1_11comp_targetILNS1_3genE5ELNS1_11target_archE942ELNS1_3gpuE9ELNS1_3repE0EEENS1_47radix_sort_onesweep_sort_config_static_selectorELNS0_4arch9wavefront6targetE1EEEvSK_, .Lfunc_end579-_ZN7rocprim17ROCPRIM_400000_NS6detail17trampoline_kernelINS0_14default_configENS1_35radix_sort_onesweep_config_selectorIfNS0_10empty_typeEEEZZNS1_29radix_sort_onesweep_iterationIS3_Lb0EN6thrust23THRUST_200600_302600_NS6detail15normal_iteratorINS9_10device_ptrIfEEEESE_PS5_SF_jNS0_19identity_decomposerENS1_16block_id_wrapperIjLb1EEEEE10hipError_tT1_PNSt15iterator_traitsISK_E10value_typeET2_T3_PNSL_ISQ_E10value_typeET4_T5_PSV_SW_PNS1_23onesweep_lookback_stateEbbT6_jjT7_P12ihipStream_tbENKUlT_T0_SK_SP_E_clIPfSE_SF_SF_EEDaS13_S14_SK_SP_EUlS13_E_NS1_11comp_targetILNS1_3genE5ELNS1_11target_archE942ELNS1_3gpuE9ELNS1_3repE0EEENS1_47radix_sort_onesweep_sort_config_static_selectorELNS0_4arch9wavefront6targetE1EEEvSK_
                                        ; -- End function
	.set _ZN7rocprim17ROCPRIM_400000_NS6detail17trampoline_kernelINS0_14default_configENS1_35radix_sort_onesweep_config_selectorIfNS0_10empty_typeEEEZZNS1_29radix_sort_onesweep_iterationIS3_Lb0EN6thrust23THRUST_200600_302600_NS6detail15normal_iteratorINS9_10device_ptrIfEEEESE_PS5_SF_jNS0_19identity_decomposerENS1_16block_id_wrapperIjLb1EEEEE10hipError_tT1_PNSt15iterator_traitsISK_E10value_typeET2_T3_PNSL_ISQ_E10value_typeET4_T5_PSV_SW_PNS1_23onesweep_lookback_stateEbbT6_jjT7_P12ihipStream_tbENKUlT_T0_SK_SP_E_clIPfSE_SF_SF_EEDaS13_S14_SK_SP_EUlS13_E_NS1_11comp_targetILNS1_3genE5ELNS1_11target_archE942ELNS1_3gpuE9ELNS1_3repE0EEENS1_47radix_sort_onesweep_sort_config_static_selectorELNS0_4arch9wavefront6targetE1EEEvSK_.num_vgpr, 0
	.set _ZN7rocprim17ROCPRIM_400000_NS6detail17trampoline_kernelINS0_14default_configENS1_35radix_sort_onesweep_config_selectorIfNS0_10empty_typeEEEZZNS1_29radix_sort_onesweep_iterationIS3_Lb0EN6thrust23THRUST_200600_302600_NS6detail15normal_iteratorINS9_10device_ptrIfEEEESE_PS5_SF_jNS0_19identity_decomposerENS1_16block_id_wrapperIjLb1EEEEE10hipError_tT1_PNSt15iterator_traitsISK_E10value_typeET2_T3_PNSL_ISQ_E10value_typeET4_T5_PSV_SW_PNS1_23onesweep_lookback_stateEbbT6_jjT7_P12ihipStream_tbENKUlT_T0_SK_SP_E_clIPfSE_SF_SF_EEDaS13_S14_SK_SP_EUlS13_E_NS1_11comp_targetILNS1_3genE5ELNS1_11target_archE942ELNS1_3gpuE9ELNS1_3repE0EEENS1_47radix_sort_onesweep_sort_config_static_selectorELNS0_4arch9wavefront6targetE1EEEvSK_.num_agpr, 0
	.set _ZN7rocprim17ROCPRIM_400000_NS6detail17trampoline_kernelINS0_14default_configENS1_35radix_sort_onesweep_config_selectorIfNS0_10empty_typeEEEZZNS1_29radix_sort_onesweep_iterationIS3_Lb0EN6thrust23THRUST_200600_302600_NS6detail15normal_iteratorINS9_10device_ptrIfEEEESE_PS5_SF_jNS0_19identity_decomposerENS1_16block_id_wrapperIjLb1EEEEE10hipError_tT1_PNSt15iterator_traitsISK_E10value_typeET2_T3_PNSL_ISQ_E10value_typeET4_T5_PSV_SW_PNS1_23onesweep_lookback_stateEbbT6_jjT7_P12ihipStream_tbENKUlT_T0_SK_SP_E_clIPfSE_SF_SF_EEDaS13_S14_SK_SP_EUlS13_E_NS1_11comp_targetILNS1_3genE5ELNS1_11target_archE942ELNS1_3gpuE9ELNS1_3repE0EEENS1_47radix_sort_onesweep_sort_config_static_selectorELNS0_4arch9wavefront6targetE1EEEvSK_.numbered_sgpr, 0
	.set _ZN7rocprim17ROCPRIM_400000_NS6detail17trampoline_kernelINS0_14default_configENS1_35radix_sort_onesweep_config_selectorIfNS0_10empty_typeEEEZZNS1_29radix_sort_onesweep_iterationIS3_Lb0EN6thrust23THRUST_200600_302600_NS6detail15normal_iteratorINS9_10device_ptrIfEEEESE_PS5_SF_jNS0_19identity_decomposerENS1_16block_id_wrapperIjLb1EEEEE10hipError_tT1_PNSt15iterator_traitsISK_E10value_typeET2_T3_PNSL_ISQ_E10value_typeET4_T5_PSV_SW_PNS1_23onesweep_lookback_stateEbbT6_jjT7_P12ihipStream_tbENKUlT_T0_SK_SP_E_clIPfSE_SF_SF_EEDaS13_S14_SK_SP_EUlS13_E_NS1_11comp_targetILNS1_3genE5ELNS1_11target_archE942ELNS1_3gpuE9ELNS1_3repE0EEENS1_47radix_sort_onesweep_sort_config_static_selectorELNS0_4arch9wavefront6targetE1EEEvSK_.num_named_barrier, 0
	.set _ZN7rocprim17ROCPRIM_400000_NS6detail17trampoline_kernelINS0_14default_configENS1_35radix_sort_onesweep_config_selectorIfNS0_10empty_typeEEEZZNS1_29radix_sort_onesweep_iterationIS3_Lb0EN6thrust23THRUST_200600_302600_NS6detail15normal_iteratorINS9_10device_ptrIfEEEESE_PS5_SF_jNS0_19identity_decomposerENS1_16block_id_wrapperIjLb1EEEEE10hipError_tT1_PNSt15iterator_traitsISK_E10value_typeET2_T3_PNSL_ISQ_E10value_typeET4_T5_PSV_SW_PNS1_23onesweep_lookback_stateEbbT6_jjT7_P12ihipStream_tbENKUlT_T0_SK_SP_E_clIPfSE_SF_SF_EEDaS13_S14_SK_SP_EUlS13_E_NS1_11comp_targetILNS1_3genE5ELNS1_11target_archE942ELNS1_3gpuE9ELNS1_3repE0EEENS1_47radix_sort_onesweep_sort_config_static_selectorELNS0_4arch9wavefront6targetE1EEEvSK_.private_seg_size, 0
	.set _ZN7rocprim17ROCPRIM_400000_NS6detail17trampoline_kernelINS0_14default_configENS1_35radix_sort_onesweep_config_selectorIfNS0_10empty_typeEEEZZNS1_29radix_sort_onesweep_iterationIS3_Lb0EN6thrust23THRUST_200600_302600_NS6detail15normal_iteratorINS9_10device_ptrIfEEEESE_PS5_SF_jNS0_19identity_decomposerENS1_16block_id_wrapperIjLb1EEEEE10hipError_tT1_PNSt15iterator_traitsISK_E10value_typeET2_T3_PNSL_ISQ_E10value_typeET4_T5_PSV_SW_PNS1_23onesweep_lookback_stateEbbT6_jjT7_P12ihipStream_tbENKUlT_T0_SK_SP_E_clIPfSE_SF_SF_EEDaS13_S14_SK_SP_EUlS13_E_NS1_11comp_targetILNS1_3genE5ELNS1_11target_archE942ELNS1_3gpuE9ELNS1_3repE0EEENS1_47radix_sort_onesweep_sort_config_static_selectorELNS0_4arch9wavefront6targetE1EEEvSK_.uses_vcc, 0
	.set _ZN7rocprim17ROCPRIM_400000_NS6detail17trampoline_kernelINS0_14default_configENS1_35radix_sort_onesweep_config_selectorIfNS0_10empty_typeEEEZZNS1_29radix_sort_onesweep_iterationIS3_Lb0EN6thrust23THRUST_200600_302600_NS6detail15normal_iteratorINS9_10device_ptrIfEEEESE_PS5_SF_jNS0_19identity_decomposerENS1_16block_id_wrapperIjLb1EEEEE10hipError_tT1_PNSt15iterator_traitsISK_E10value_typeET2_T3_PNSL_ISQ_E10value_typeET4_T5_PSV_SW_PNS1_23onesweep_lookback_stateEbbT6_jjT7_P12ihipStream_tbENKUlT_T0_SK_SP_E_clIPfSE_SF_SF_EEDaS13_S14_SK_SP_EUlS13_E_NS1_11comp_targetILNS1_3genE5ELNS1_11target_archE942ELNS1_3gpuE9ELNS1_3repE0EEENS1_47radix_sort_onesweep_sort_config_static_selectorELNS0_4arch9wavefront6targetE1EEEvSK_.uses_flat_scratch, 0
	.set _ZN7rocprim17ROCPRIM_400000_NS6detail17trampoline_kernelINS0_14default_configENS1_35radix_sort_onesweep_config_selectorIfNS0_10empty_typeEEEZZNS1_29radix_sort_onesweep_iterationIS3_Lb0EN6thrust23THRUST_200600_302600_NS6detail15normal_iteratorINS9_10device_ptrIfEEEESE_PS5_SF_jNS0_19identity_decomposerENS1_16block_id_wrapperIjLb1EEEEE10hipError_tT1_PNSt15iterator_traitsISK_E10value_typeET2_T3_PNSL_ISQ_E10value_typeET4_T5_PSV_SW_PNS1_23onesweep_lookback_stateEbbT6_jjT7_P12ihipStream_tbENKUlT_T0_SK_SP_E_clIPfSE_SF_SF_EEDaS13_S14_SK_SP_EUlS13_E_NS1_11comp_targetILNS1_3genE5ELNS1_11target_archE942ELNS1_3gpuE9ELNS1_3repE0EEENS1_47radix_sort_onesweep_sort_config_static_selectorELNS0_4arch9wavefront6targetE1EEEvSK_.has_dyn_sized_stack, 0
	.set _ZN7rocprim17ROCPRIM_400000_NS6detail17trampoline_kernelINS0_14default_configENS1_35radix_sort_onesweep_config_selectorIfNS0_10empty_typeEEEZZNS1_29radix_sort_onesweep_iterationIS3_Lb0EN6thrust23THRUST_200600_302600_NS6detail15normal_iteratorINS9_10device_ptrIfEEEESE_PS5_SF_jNS0_19identity_decomposerENS1_16block_id_wrapperIjLb1EEEEE10hipError_tT1_PNSt15iterator_traitsISK_E10value_typeET2_T3_PNSL_ISQ_E10value_typeET4_T5_PSV_SW_PNS1_23onesweep_lookback_stateEbbT6_jjT7_P12ihipStream_tbENKUlT_T0_SK_SP_E_clIPfSE_SF_SF_EEDaS13_S14_SK_SP_EUlS13_E_NS1_11comp_targetILNS1_3genE5ELNS1_11target_archE942ELNS1_3gpuE9ELNS1_3repE0EEENS1_47radix_sort_onesweep_sort_config_static_selectorELNS0_4arch9wavefront6targetE1EEEvSK_.has_recursion, 0
	.set _ZN7rocprim17ROCPRIM_400000_NS6detail17trampoline_kernelINS0_14default_configENS1_35radix_sort_onesweep_config_selectorIfNS0_10empty_typeEEEZZNS1_29radix_sort_onesweep_iterationIS3_Lb0EN6thrust23THRUST_200600_302600_NS6detail15normal_iteratorINS9_10device_ptrIfEEEESE_PS5_SF_jNS0_19identity_decomposerENS1_16block_id_wrapperIjLb1EEEEE10hipError_tT1_PNSt15iterator_traitsISK_E10value_typeET2_T3_PNSL_ISQ_E10value_typeET4_T5_PSV_SW_PNS1_23onesweep_lookback_stateEbbT6_jjT7_P12ihipStream_tbENKUlT_T0_SK_SP_E_clIPfSE_SF_SF_EEDaS13_S14_SK_SP_EUlS13_E_NS1_11comp_targetILNS1_3genE5ELNS1_11target_archE942ELNS1_3gpuE9ELNS1_3repE0EEENS1_47radix_sort_onesweep_sort_config_static_selectorELNS0_4arch9wavefront6targetE1EEEvSK_.has_indirect_call, 0
	.section	.AMDGPU.csdata,"",@progbits
; Kernel info:
; codeLenInByte = 0
; TotalNumSgprs: 6
; NumVgprs: 0
; NumAgprs: 0
; TotalNumVgprs: 0
; ScratchSize: 0
; MemoryBound: 0
; FloatMode: 240
; IeeeMode: 1
; LDSByteSize: 0 bytes/workgroup (compile time only)
; SGPRBlocks: 0
; VGPRBlocks: 0
; NumSGPRsForWavesPerEU: 6
; NumVGPRsForWavesPerEU: 1
; AccumOffset: 4
; Occupancy: 8
; WaveLimiterHint : 0
; COMPUTE_PGM_RSRC2:SCRATCH_EN: 0
; COMPUTE_PGM_RSRC2:USER_SGPR: 2
; COMPUTE_PGM_RSRC2:TRAP_HANDLER: 0
; COMPUTE_PGM_RSRC2:TGID_X_EN: 1
; COMPUTE_PGM_RSRC2:TGID_Y_EN: 0
; COMPUTE_PGM_RSRC2:TGID_Z_EN: 0
; COMPUTE_PGM_RSRC2:TIDIG_COMP_CNT: 0
; COMPUTE_PGM_RSRC3_GFX90A:ACCUM_OFFSET: 0
; COMPUTE_PGM_RSRC3_GFX90A:TG_SPLIT: 0
	.section	.text._ZN7rocprim17ROCPRIM_400000_NS6detail17trampoline_kernelINS0_14default_configENS1_35radix_sort_onesweep_config_selectorIfNS0_10empty_typeEEEZZNS1_29radix_sort_onesweep_iterationIS3_Lb0EN6thrust23THRUST_200600_302600_NS6detail15normal_iteratorINS9_10device_ptrIfEEEESE_PS5_SF_jNS0_19identity_decomposerENS1_16block_id_wrapperIjLb1EEEEE10hipError_tT1_PNSt15iterator_traitsISK_E10value_typeET2_T3_PNSL_ISQ_E10value_typeET4_T5_PSV_SW_PNS1_23onesweep_lookback_stateEbbT6_jjT7_P12ihipStream_tbENKUlT_T0_SK_SP_E_clIPfSE_SF_SF_EEDaS13_S14_SK_SP_EUlS13_E_NS1_11comp_targetILNS1_3genE2ELNS1_11target_archE906ELNS1_3gpuE6ELNS1_3repE0EEENS1_47radix_sort_onesweep_sort_config_static_selectorELNS0_4arch9wavefront6targetE1EEEvSK_,"axG",@progbits,_ZN7rocprim17ROCPRIM_400000_NS6detail17trampoline_kernelINS0_14default_configENS1_35radix_sort_onesweep_config_selectorIfNS0_10empty_typeEEEZZNS1_29radix_sort_onesweep_iterationIS3_Lb0EN6thrust23THRUST_200600_302600_NS6detail15normal_iteratorINS9_10device_ptrIfEEEESE_PS5_SF_jNS0_19identity_decomposerENS1_16block_id_wrapperIjLb1EEEEE10hipError_tT1_PNSt15iterator_traitsISK_E10value_typeET2_T3_PNSL_ISQ_E10value_typeET4_T5_PSV_SW_PNS1_23onesweep_lookback_stateEbbT6_jjT7_P12ihipStream_tbENKUlT_T0_SK_SP_E_clIPfSE_SF_SF_EEDaS13_S14_SK_SP_EUlS13_E_NS1_11comp_targetILNS1_3genE2ELNS1_11target_archE906ELNS1_3gpuE6ELNS1_3repE0EEENS1_47radix_sort_onesweep_sort_config_static_selectorELNS0_4arch9wavefront6targetE1EEEvSK_,comdat
	.protected	_ZN7rocprim17ROCPRIM_400000_NS6detail17trampoline_kernelINS0_14default_configENS1_35radix_sort_onesweep_config_selectorIfNS0_10empty_typeEEEZZNS1_29radix_sort_onesweep_iterationIS3_Lb0EN6thrust23THRUST_200600_302600_NS6detail15normal_iteratorINS9_10device_ptrIfEEEESE_PS5_SF_jNS0_19identity_decomposerENS1_16block_id_wrapperIjLb1EEEEE10hipError_tT1_PNSt15iterator_traitsISK_E10value_typeET2_T3_PNSL_ISQ_E10value_typeET4_T5_PSV_SW_PNS1_23onesweep_lookback_stateEbbT6_jjT7_P12ihipStream_tbENKUlT_T0_SK_SP_E_clIPfSE_SF_SF_EEDaS13_S14_SK_SP_EUlS13_E_NS1_11comp_targetILNS1_3genE2ELNS1_11target_archE906ELNS1_3gpuE6ELNS1_3repE0EEENS1_47radix_sort_onesweep_sort_config_static_selectorELNS0_4arch9wavefront6targetE1EEEvSK_ ; -- Begin function _ZN7rocprim17ROCPRIM_400000_NS6detail17trampoline_kernelINS0_14default_configENS1_35radix_sort_onesweep_config_selectorIfNS0_10empty_typeEEEZZNS1_29radix_sort_onesweep_iterationIS3_Lb0EN6thrust23THRUST_200600_302600_NS6detail15normal_iteratorINS9_10device_ptrIfEEEESE_PS5_SF_jNS0_19identity_decomposerENS1_16block_id_wrapperIjLb1EEEEE10hipError_tT1_PNSt15iterator_traitsISK_E10value_typeET2_T3_PNSL_ISQ_E10value_typeET4_T5_PSV_SW_PNS1_23onesweep_lookback_stateEbbT6_jjT7_P12ihipStream_tbENKUlT_T0_SK_SP_E_clIPfSE_SF_SF_EEDaS13_S14_SK_SP_EUlS13_E_NS1_11comp_targetILNS1_3genE2ELNS1_11target_archE906ELNS1_3gpuE6ELNS1_3repE0EEENS1_47radix_sort_onesweep_sort_config_static_selectorELNS0_4arch9wavefront6targetE1EEEvSK_
	.globl	_ZN7rocprim17ROCPRIM_400000_NS6detail17trampoline_kernelINS0_14default_configENS1_35radix_sort_onesweep_config_selectorIfNS0_10empty_typeEEEZZNS1_29radix_sort_onesweep_iterationIS3_Lb0EN6thrust23THRUST_200600_302600_NS6detail15normal_iteratorINS9_10device_ptrIfEEEESE_PS5_SF_jNS0_19identity_decomposerENS1_16block_id_wrapperIjLb1EEEEE10hipError_tT1_PNSt15iterator_traitsISK_E10value_typeET2_T3_PNSL_ISQ_E10value_typeET4_T5_PSV_SW_PNS1_23onesweep_lookback_stateEbbT6_jjT7_P12ihipStream_tbENKUlT_T0_SK_SP_E_clIPfSE_SF_SF_EEDaS13_S14_SK_SP_EUlS13_E_NS1_11comp_targetILNS1_3genE2ELNS1_11target_archE906ELNS1_3gpuE6ELNS1_3repE0EEENS1_47radix_sort_onesweep_sort_config_static_selectorELNS0_4arch9wavefront6targetE1EEEvSK_
	.p2align	8
	.type	_ZN7rocprim17ROCPRIM_400000_NS6detail17trampoline_kernelINS0_14default_configENS1_35radix_sort_onesweep_config_selectorIfNS0_10empty_typeEEEZZNS1_29radix_sort_onesweep_iterationIS3_Lb0EN6thrust23THRUST_200600_302600_NS6detail15normal_iteratorINS9_10device_ptrIfEEEESE_PS5_SF_jNS0_19identity_decomposerENS1_16block_id_wrapperIjLb1EEEEE10hipError_tT1_PNSt15iterator_traitsISK_E10value_typeET2_T3_PNSL_ISQ_E10value_typeET4_T5_PSV_SW_PNS1_23onesweep_lookback_stateEbbT6_jjT7_P12ihipStream_tbENKUlT_T0_SK_SP_E_clIPfSE_SF_SF_EEDaS13_S14_SK_SP_EUlS13_E_NS1_11comp_targetILNS1_3genE2ELNS1_11target_archE906ELNS1_3gpuE6ELNS1_3repE0EEENS1_47radix_sort_onesweep_sort_config_static_selectorELNS0_4arch9wavefront6targetE1EEEvSK_,@function
_ZN7rocprim17ROCPRIM_400000_NS6detail17trampoline_kernelINS0_14default_configENS1_35radix_sort_onesweep_config_selectorIfNS0_10empty_typeEEEZZNS1_29radix_sort_onesweep_iterationIS3_Lb0EN6thrust23THRUST_200600_302600_NS6detail15normal_iteratorINS9_10device_ptrIfEEEESE_PS5_SF_jNS0_19identity_decomposerENS1_16block_id_wrapperIjLb1EEEEE10hipError_tT1_PNSt15iterator_traitsISK_E10value_typeET2_T3_PNSL_ISQ_E10value_typeET4_T5_PSV_SW_PNS1_23onesweep_lookback_stateEbbT6_jjT7_P12ihipStream_tbENKUlT_T0_SK_SP_E_clIPfSE_SF_SF_EEDaS13_S14_SK_SP_EUlS13_E_NS1_11comp_targetILNS1_3genE2ELNS1_11target_archE906ELNS1_3gpuE6ELNS1_3repE0EEENS1_47radix_sort_onesweep_sort_config_static_selectorELNS0_4arch9wavefront6targetE1EEEvSK_: ; @_ZN7rocprim17ROCPRIM_400000_NS6detail17trampoline_kernelINS0_14default_configENS1_35radix_sort_onesweep_config_selectorIfNS0_10empty_typeEEEZZNS1_29radix_sort_onesweep_iterationIS3_Lb0EN6thrust23THRUST_200600_302600_NS6detail15normal_iteratorINS9_10device_ptrIfEEEESE_PS5_SF_jNS0_19identity_decomposerENS1_16block_id_wrapperIjLb1EEEEE10hipError_tT1_PNSt15iterator_traitsISK_E10value_typeET2_T3_PNSL_ISQ_E10value_typeET4_T5_PSV_SW_PNS1_23onesweep_lookback_stateEbbT6_jjT7_P12ihipStream_tbENKUlT_T0_SK_SP_E_clIPfSE_SF_SF_EEDaS13_S14_SK_SP_EUlS13_E_NS1_11comp_targetILNS1_3genE2ELNS1_11target_archE906ELNS1_3gpuE6ELNS1_3repE0EEENS1_47radix_sort_onesweep_sort_config_static_selectorELNS0_4arch9wavefront6targetE1EEEvSK_
; %bb.0:
	.section	.rodata,"a",@progbits
	.p2align	6, 0x0
	.amdhsa_kernel _ZN7rocprim17ROCPRIM_400000_NS6detail17trampoline_kernelINS0_14default_configENS1_35radix_sort_onesweep_config_selectorIfNS0_10empty_typeEEEZZNS1_29radix_sort_onesweep_iterationIS3_Lb0EN6thrust23THRUST_200600_302600_NS6detail15normal_iteratorINS9_10device_ptrIfEEEESE_PS5_SF_jNS0_19identity_decomposerENS1_16block_id_wrapperIjLb1EEEEE10hipError_tT1_PNSt15iterator_traitsISK_E10value_typeET2_T3_PNSL_ISQ_E10value_typeET4_T5_PSV_SW_PNS1_23onesweep_lookback_stateEbbT6_jjT7_P12ihipStream_tbENKUlT_T0_SK_SP_E_clIPfSE_SF_SF_EEDaS13_S14_SK_SP_EUlS13_E_NS1_11comp_targetILNS1_3genE2ELNS1_11target_archE906ELNS1_3gpuE6ELNS1_3repE0EEENS1_47radix_sort_onesweep_sort_config_static_selectorELNS0_4arch9wavefront6targetE1EEEvSK_
		.amdhsa_group_segment_fixed_size 0
		.amdhsa_private_segment_fixed_size 0
		.amdhsa_kernarg_size 88
		.amdhsa_user_sgpr_count 2
		.amdhsa_user_sgpr_dispatch_ptr 0
		.amdhsa_user_sgpr_queue_ptr 0
		.amdhsa_user_sgpr_kernarg_segment_ptr 1
		.amdhsa_user_sgpr_dispatch_id 0
		.amdhsa_user_sgpr_kernarg_preload_length 0
		.amdhsa_user_sgpr_kernarg_preload_offset 0
		.amdhsa_user_sgpr_private_segment_size 0
		.amdhsa_uses_dynamic_stack 0
		.amdhsa_enable_private_segment 0
		.amdhsa_system_sgpr_workgroup_id_x 1
		.amdhsa_system_sgpr_workgroup_id_y 0
		.amdhsa_system_sgpr_workgroup_id_z 0
		.amdhsa_system_sgpr_workgroup_info 0
		.amdhsa_system_vgpr_workitem_id 0
		.amdhsa_next_free_vgpr 1
		.amdhsa_next_free_sgpr 0
		.amdhsa_accum_offset 4
		.amdhsa_reserve_vcc 0
		.amdhsa_float_round_mode_32 0
		.amdhsa_float_round_mode_16_64 0
		.amdhsa_float_denorm_mode_32 3
		.amdhsa_float_denorm_mode_16_64 3
		.amdhsa_dx10_clamp 1
		.amdhsa_ieee_mode 1
		.amdhsa_fp16_overflow 0
		.amdhsa_tg_split 0
		.amdhsa_exception_fp_ieee_invalid_op 0
		.amdhsa_exception_fp_denorm_src 0
		.amdhsa_exception_fp_ieee_div_zero 0
		.amdhsa_exception_fp_ieee_overflow 0
		.amdhsa_exception_fp_ieee_underflow 0
		.amdhsa_exception_fp_ieee_inexact 0
		.amdhsa_exception_int_div_zero 0
	.end_amdhsa_kernel
	.section	.text._ZN7rocprim17ROCPRIM_400000_NS6detail17trampoline_kernelINS0_14default_configENS1_35radix_sort_onesweep_config_selectorIfNS0_10empty_typeEEEZZNS1_29radix_sort_onesweep_iterationIS3_Lb0EN6thrust23THRUST_200600_302600_NS6detail15normal_iteratorINS9_10device_ptrIfEEEESE_PS5_SF_jNS0_19identity_decomposerENS1_16block_id_wrapperIjLb1EEEEE10hipError_tT1_PNSt15iterator_traitsISK_E10value_typeET2_T3_PNSL_ISQ_E10value_typeET4_T5_PSV_SW_PNS1_23onesweep_lookback_stateEbbT6_jjT7_P12ihipStream_tbENKUlT_T0_SK_SP_E_clIPfSE_SF_SF_EEDaS13_S14_SK_SP_EUlS13_E_NS1_11comp_targetILNS1_3genE2ELNS1_11target_archE906ELNS1_3gpuE6ELNS1_3repE0EEENS1_47radix_sort_onesweep_sort_config_static_selectorELNS0_4arch9wavefront6targetE1EEEvSK_,"axG",@progbits,_ZN7rocprim17ROCPRIM_400000_NS6detail17trampoline_kernelINS0_14default_configENS1_35radix_sort_onesweep_config_selectorIfNS0_10empty_typeEEEZZNS1_29radix_sort_onesweep_iterationIS3_Lb0EN6thrust23THRUST_200600_302600_NS6detail15normal_iteratorINS9_10device_ptrIfEEEESE_PS5_SF_jNS0_19identity_decomposerENS1_16block_id_wrapperIjLb1EEEEE10hipError_tT1_PNSt15iterator_traitsISK_E10value_typeET2_T3_PNSL_ISQ_E10value_typeET4_T5_PSV_SW_PNS1_23onesweep_lookback_stateEbbT6_jjT7_P12ihipStream_tbENKUlT_T0_SK_SP_E_clIPfSE_SF_SF_EEDaS13_S14_SK_SP_EUlS13_E_NS1_11comp_targetILNS1_3genE2ELNS1_11target_archE906ELNS1_3gpuE6ELNS1_3repE0EEENS1_47radix_sort_onesweep_sort_config_static_selectorELNS0_4arch9wavefront6targetE1EEEvSK_,comdat
.Lfunc_end580:
	.size	_ZN7rocprim17ROCPRIM_400000_NS6detail17trampoline_kernelINS0_14default_configENS1_35radix_sort_onesweep_config_selectorIfNS0_10empty_typeEEEZZNS1_29radix_sort_onesweep_iterationIS3_Lb0EN6thrust23THRUST_200600_302600_NS6detail15normal_iteratorINS9_10device_ptrIfEEEESE_PS5_SF_jNS0_19identity_decomposerENS1_16block_id_wrapperIjLb1EEEEE10hipError_tT1_PNSt15iterator_traitsISK_E10value_typeET2_T3_PNSL_ISQ_E10value_typeET4_T5_PSV_SW_PNS1_23onesweep_lookback_stateEbbT6_jjT7_P12ihipStream_tbENKUlT_T0_SK_SP_E_clIPfSE_SF_SF_EEDaS13_S14_SK_SP_EUlS13_E_NS1_11comp_targetILNS1_3genE2ELNS1_11target_archE906ELNS1_3gpuE6ELNS1_3repE0EEENS1_47radix_sort_onesweep_sort_config_static_selectorELNS0_4arch9wavefront6targetE1EEEvSK_, .Lfunc_end580-_ZN7rocprim17ROCPRIM_400000_NS6detail17trampoline_kernelINS0_14default_configENS1_35radix_sort_onesweep_config_selectorIfNS0_10empty_typeEEEZZNS1_29radix_sort_onesweep_iterationIS3_Lb0EN6thrust23THRUST_200600_302600_NS6detail15normal_iteratorINS9_10device_ptrIfEEEESE_PS5_SF_jNS0_19identity_decomposerENS1_16block_id_wrapperIjLb1EEEEE10hipError_tT1_PNSt15iterator_traitsISK_E10value_typeET2_T3_PNSL_ISQ_E10value_typeET4_T5_PSV_SW_PNS1_23onesweep_lookback_stateEbbT6_jjT7_P12ihipStream_tbENKUlT_T0_SK_SP_E_clIPfSE_SF_SF_EEDaS13_S14_SK_SP_EUlS13_E_NS1_11comp_targetILNS1_3genE2ELNS1_11target_archE906ELNS1_3gpuE6ELNS1_3repE0EEENS1_47radix_sort_onesweep_sort_config_static_selectorELNS0_4arch9wavefront6targetE1EEEvSK_
                                        ; -- End function
	.set _ZN7rocprim17ROCPRIM_400000_NS6detail17trampoline_kernelINS0_14default_configENS1_35radix_sort_onesweep_config_selectorIfNS0_10empty_typeEEEZZNS1_29radix_sort_onesweep_iterationIS3_Lb0EN6thrust23THRUST_200600_302600_NS6detail15normal_iteratorINS9_10device_ptrIfEEEESE_PS5_SF_jNS0_19identity_decomposerENS1_16block_id_wrapperIjLb1EEEEE10hipError_tT1_PNSt15iterator_traitsISK_E10value_typeET2_T3_PNSL_ISQ_E10value_typeET4_T5_PSV_SW_PNS1_23onesweep_lookback_stateEbbT6_jjT7_P12ihipStream_tbENKUlT_T0_SK_SP_E_clIPfSE_SF_SF_EEDaS13_S14_SK_SP_EUlS13_E_NS1_11comp_targetILNS1_3genE2ELNS1_11target_archE906ELNS1_3gpuE6ELNS1_3repE0EEENS1_47radix_sort_onesweep_sort_config_static_selectorELNS0_4arch9wavefront6targetE1EEEvSK_.num_vgpr, 0
	.set _ZN7rocprim17ROCPRIM_400000_NS6detail17trampoline_kernelINS0_14default_configENS1_35radix_sort_onesweep_config_selectorIfNS0_10empty_typeEEEZZNS1_29radix_sort_onesweep_iterationIS3_Lb0EN6thrust23THRUST_200600_302600_NS6detail15normal_iteratorINS9_10device_ptrIfEEEESE_PS5_SF_jNS0_19identity_decomposerENS1_16block_id_wrapperIjLb1EEEEE10hipError_tT1_PNSt15iterator_traitsISK_E10value_typeET2_T3_PNSL_ISQ_E10value_typeET4_T5_PSV_SW_PNS1_23onesweep_lookback_stateEbbT6_jjT7_P12ihipStream_tbENKUlT_T0_SK_SP_E_clIPfSE_SF_SF_EEDaS13_S14_SK_SP_EUlS13_E_NS1_11comp_targetILNS1_3genE2ELNS1_11target_archE906ELNS1_3gpuE6ELNS1_3repE0EEENS1_47radix_sort_onesweep_sort_config_static_selectorELNS0_4arch9wavefront6targetE1EEEvSK_.num_agpr, 0
	.set _ZN7rocprim17ROCPRIM_400000_NS6detail17trampoline_kernelINS0_14default_configENS1_35radix_sort_onesweep_config_selectorIfNS0_10empty_typeEEEZZNS1_29radix_sort_onesweep_iterationIS3_Lb0EN6thrust23THRUST_200600_302600_NS6detail15normal_iteratorINS9_10device_ptrIfEEEESE_PS5_SF_jNS0_19identity_decomposerENS1_16block_id_wrapperIjLb1EEEEE10hipError_tT1_PNSt15iterator_traitsISK_E10value_typeET2_T3_PNSL_ISQ_E10value_typeET4_T5_PSV_SW_PNS1_23onesweep_lookback_stateEbbT6_jjT7_P12ihipStream_tbENKUlT_T0_SK_SP_E_clIPfSE_SF_SF_EEDaS13_S14_SK_SP_EUlS13_E_NS1_11comp_targetILNS1_3genE2ELNS1_11target_archE906ELNS1_3gpuE6ELNS1_3repE0EEENS1_47radix_sort_onesweep_sort_config_static_selectorELNS0_4arch9wavefront6targetE1EEEvSK_.numbered_sgpr, 0
	.set _ZN7rocprim17ROCPRIM_400000_NS6detail17trampoline_kernelINS0_14default_configENS1_35radix_sort_onesweep_config_selectorIfNS0_10empty_typeEEEZZNS1_29radix_sort_onesweep_iterationIS3_Lb0EN6thrust23THRUST_200600_302600_NS6detail15normal_iteratorINS9_10device_ptrIfEEEESE_PS5_SF_jNS0_19identity_decomposerENS1_16block_id_wrapperIjLb1EEEEE10hipError_tT1_PNSt15iterator_traitsISK_E10value_typeET2_T3_PNSL_ISQ_E10value_typeET4_T5_PSV_SW_PNS1_23onesweep_lookback_stateEbbT6_jjT7_P12ihipStream_tbENKUlT_T0_SK_SP_E_clIPfSE_SF_SF_EEDaS13_S14_SK_SP_EUlS13_E_NS1_11comp_targetILNS1_3genE2ELNS1_11target_archE906ELNS1_3gpuE6ELNS1_3repE0EEENS1_47radix_sort_onesweep_sort_config_static_selectorELNS0_4arch9wavefront6targetE1EEEvSK_.num_named_barrier, 0
	.set _ZN7rocprim17ROCPRIM_400000_NS6detail17trampoline_kernelINS0_14default_configENS1_35radix_sort_onesweep_config_selectorIfNS0_10empty_typeEEEZZNS1_29radix_sort_onesweep_iterationIS3_Lb0EN6thrust23THRUST_200600_302600_NS6detail15normal_iteratorINS9_10device_ptrIfEEEESE_PS5_SF_jNS0_19identity_decomposerENS1_16block_id_wrapperIjLb1EEEEE10hipError_tT1_PNSt15iterator_traitsISK_E10value_typeET2_T3_PNSL_ISQ_E10value_typeET4_T5_PSV_SW_PNS1_23onesweep_lookback_stateEbbT6_jjT7_P12ihipStream_tbENKUlT_T0_SK_SP_E_clIPfSE_SF_SF_EEDaS13_S14_SK_SP_EUlS13_E_NS1_11comp_targetILNS1_3genE2ELNS1_11target_archE906ELNS1_3gpuE6ELNS1_3repE0EEENS1_47radix_sort_onesweep_sort_config_static_selectorELNS0_4arch9wavefront6targetE1EEEvSK_.private_seg_size, 0
	.set _ZN7rocprim17ROCPRIM_400000_NS6detail17trampoline_kernelINS0_14default_configENS1_35radix_sort_onesweep_config_selectorIfNS0_10empty_typeEEEZZNS1_29radix_sort_onesweep_iterationIS3_Lb0EN6thrust23THRUST_200600_302600_NS6detail15normal_iteratorINS9_10device_ptrIfEEEESE_PS5_SF_jNS0_19identity_decomposerENS1_16block_id_wrapperIjLb1EEEEE10hipError_tT1_PNSt15iterator_traitsISK_E10value_typeET2_T3_PNSL_ISQ_E10value_typeET4_T5_PSV_SW_PNS1_23onesweep_lookback_stateEbbT6_jjT7_P12ihipStream_tbENKUlT_T0_SK_SP_E_clIPfSE_SF_SF_EEDaS13_S14_SK_SP_EUlS13_E_NS1_11comp_targetILNS1_3genE2ELNS1_11target_archE906ELNS1_3gpuE6ELNS1_3repE0EEENS1_47radix_sort_onesweep_sort_config_static_selectorELNS0_4arch9wavefront6targetE1EEEvSK_.uses_vcc, 0
	.set _ZN7rocprim17ROCPRIM_400000_NS6detail17trampoline_kernelINS0_14default_configENS1_35radix_sort_onesweep_config_selectorIfNS0_10empty_typeEEEZZNS1_29radix_sort_onesweep_iterationIS3_Lb0EN6thrust23THRUST_200600_302600_NS6detail15normal_iteratorINS9_10device_ptrIfEEEESE_PS5_SF_jNS0_19identity_decomposerENS1_16block_id_wrapperIjLb1EEEEE10hipError_tT1_PNSt15iterator_traitsISK_E10value_typeET2_T3_PNSL_ISQ_E10value_typeET4_T5_PSV_SW_PNS1_23onesweep_lookback_stateEbbT6_jjT7_P12ihipStream_tbENKUlT_T0_SK_SP_E_clIPfSE_SF_SF_EEDaS13_S14_SK_SP_EUlS13_E_NS1_11comp_targetILNS1_3genE2ELNS1_11target_archE906ELNS1_3gpuE6ELNS1_3repE0EEENS1_47radix_sort_onesweep_sort_config_static_selectorELNS0_4arch9wavefront6targetE1EEEvSK_.uses_flat_scratch, 0
	.set _ZN7rocprim17ROCPRIM_400000_NS6detail17trampoline_kernelINS0_14default_configENS1_35radix_sort_onesweep_config_selectorIfNS0_10empty_typeEEEZZNS1_29radix_sort_onesweep_iterationIS3_Lb0EN6thrust23THRUST_200600_302600_NS6detail15normal_iteratorINS9_10device_ptrIfEEEESE_PS5_SF_jNS0_19identity_decomposerENS1_16block_id_wrapperIjLb1EEEEE10hipError_tT1_PNSt15iterator_traitsISK_E10value_typeET2_T3_PNSL_ISQ_E10value_typeET4_T5_PSV_SW_PNS1_23onesweep_lookback_stateEbbT6_jjT7_P12ihipStream_tbENKUlT_T0_SK_SP_E_clIPfSE_SF_SF_EEDaS13_S14_SK_SP_EUlS13_E_NS1_11comp_targetILNS1_3genE2ELNS1_11target_archE906ELNS1_3gpuE6ELNS1_3repE0EEENS1_47radix_sort_onesweep_sort_config_static_selectorELNS0_4arch9wavefront6targetE1EEEvSK_.has_dyn_sized_stack, 0
	.set _ZN7rocprim17ROCPRIM_400000_NS6detail17trampoline_kernelINS0_14default_configENS1_35radix_sort_onesweep_config_selectorIfNS0_10empty_typeEEEZZNS1_29radix_sort_onesweep_iterationIS3_Lb0EN6thrust23THRUST_200600_302600_NS6detail15normal_iteratorINS9_10device_ptrIfEEEESE_PS5_SF_jNS0_19identity_decomposerENS1_16block_id_wrapperIjLb1EEEEE10hipError_tT1_PNSt15iterator_traitsISK_E10value_typeET2_T3_PNSL_ISQ_E10value_typeET4_T5_PSV_SW_PNS1_23onesweep_lookback_stateEbbT6_jjT7_P12ihipStream_tbENKUlT_T0_SK_SP_E_clIPfSE_SF_SF_EEDaS13_S14_SK_SP_EUlS13_E_NS1_11comp_targetILNS1_3genE2ELNS1_11target_archE906ELNS1_3gpuE6ELNS1_3repE0EEENS1_47radix_sort_onesweep_sort_config_static_selectorELNS0_4arch9wavefront6targetE1EEEvSK_.has_recursion, 0
	.set _ZN7rocprim17ROCPRIM_400000_NS6detail17trampoline_kernelINS0_14default_configENS1_35radix_sort_onesweep_config_selectorIfNS0_10empty_typeEEEZZNS1_29radix_sort_onesweep_iterationIS3_Lb0EN6thrust23THRUST_200600_302600_NS6detail15normal_iteratorINS9_10device_ptrIfEEEESE_PS5_SF_jNS0_19identity_decomposerENS1_16block_id_wrapperIjLb1EEEEE10hipError_tT1_PNSt15iterator_traitsISK_E10value_typeET2_T3_PNSL_ISQ_E10value_typeET4_T5_PSV_SW_PNS1_23onesweep_lookback_stateEbbT6_jjT7_P12ihipStream_tbENKUlT_T0_SK_SP_E_clIPfSE_SF_SF_EEDaS13_S14_SK_SP_EUlS13_E_NS1_11comp_targetILNS1_3genE2ELNS1_11target_archE906ELNS1_3gpuE6ELNS1_3repE0EEENS1_47radix_sort_onesweep_sort_config_static_selectorELNS0_4arch9wavefront6targetE1EEEvSK_.has_indirect_call, 0
	.section	.AMDGPU.csdata,"",@progbits
; Kernel info:
; codeLenInByte = 0
; TotalNumSgprs: 6
; NumVgprs: 0
; NumAgprs: 0
; TotalNumVgprs: 0
; ScratchSize: 0
; MemoryBound: 0
; FloatMode: 240
; IeeeMode: 1
; LDSByteSize: 0 bytes/workgroup (compile time only)
; SGPRBlocks: 0
; VGPRBlocks: 0
; NumSGPRsForWavesPerEU: 6
; NumVGPRsForWavesPerEU: 1
; AccumOffset: 4
; Occupancy: 8
; WaveLimiterHint : 0
; COMPUTE_PGM_RSRC2:SCRATCH_EN: 0
; COMPUTE_PGM_RSRC2:USER_SGPR: 2
; COMPUTE_PGM_RSRC2:TRAP_HANDLER: 0
; COMPUTE_PGM_RSRC2:TGID_X_EN: 1
; COMPUTE_PGM_RSRC2:TGID_Y_EN: 0
; COMPUTE_PGM_RSRC2:TGID_Z_EN: 0
; COMPUTE_PGM_RSRC2:TIDIG_COMP_CNT: 0
; COMPUTE_PGM_RSRC3_GFX90A:ACCUM_OFFSET: 0
; COMPUTE_PGM_RSRC3_GFX90A:TG_SPLIT: 0
	.section	.text._ZN7rocprim17ROCPRIM_400000_NS6detail17trampoline_kernelINS0_14default_configENS1_35radix_sort_onesweep_config_selectorIfNS0_10empty_typeEEEZZNS1_29radix_sort_onesweep_iterationIS3_Lb0EN6thrust23THRUST_200600_302600_NS6detail15normal_iteratorINS9_10device_ptrIfEEEESE_PS5_SF_jNS0_19identity_decomposerENS1_16block_id_wrapperIjLb1EEEEE10hipError_tT1_PNSt15iterator_traitsISK_E10value_typeET2_T3_PNSL_ISQ_E10value_typeET4_T5_PSV_SW_PNS1_23onesweep_lookback_stateEbbT6_jjT7_P12ihipStream_tbENKUlT_T0_SK_SP_E_clIPfSE_SF_SF_EEDaS13_S14_SK_SP_EUlS13_E_NS1_11comp_targetILNS1_3genE4ELNS1_11target_archE910ELNS1_3gpuE8ELNS1_3repE0EEENS1_47radix_sort_onesweep_sort_config_static_selectorELNS0_4arch9wavefront6targetE1EEEvSK_,"axG",@progbits,_ZN7rocprim17ROCPRIM_400000_NS6detail17trampoline_kernelINS0_14default_configENS1_35radix_sort_onesweep_config_selectorIfNS0_10empty_typeEEEZZNS1_29radix_sort_onesweep_iterationIS3_Lb0EN6thrust23THRUST_200600_302600_NS6detail15normal_iteratorINS9_10device_ptrIfEEEESE_PS5_SF_jNS0_19identity_decomposerENS1_16block_id_wrapperIjLb1EEEEE10hipError_tT1_PNSt15iterator_traitsISK_E10value_typeET2_T3_PNSL_ISQ_E10value_typeET4_T5_PSV_SW_PNS1_23onesweep_lookback_stateEbbT6_jjT7_P12ihipStream_tbENKUlT_T0_SK_SP_E_clIPfSE_SF_SF_EEDaS13_S14_SK_SP_EUlS13_E_NS1_11comp_targetILNS1_3genE4ELNS1_11target_archE910ELNS1_3gpuE8ELNS1_3repE0EEENS1_47radix_sort_onesweep_sort_config_static_selectorELNS0_4arch9wavefront6targetE1EEEvSK_,comdat
	.protected	_ZN7rocprim17ROCPRIM_400000_NS6detail17trampoline_kernelINS0_14default_configENS1_35radix_sort_onesweep_config_selectorIfNS0_10empty_typeEEEZZNS1_29radix_sort_onesweep_iterationIS3_Lb0EN6thrust23THRUST_200600_302600_NS6detail15normal_iteratorINS9_10device_ptrIfEEEESE_PS5_SF_jNS0_19identity_decomposerENS1_16block_id_wrapperIjLb1EEEEE10hipError_tT1_PNSt15iterator_traitsISK_E10value_typeET2_T3_PNSL_ISQ_E10value_typeET4_T5_PSV_SW_PNS1_23onesweep_lookback_stateEbbT6_jjT7_P12ihipStream_tbENKUlT_T0_SK_SP_E_clIPfSE_SF_SF_EEDaS13_S14_SK_SP_EUlS13_E_NS1_11comp_targetILNS1_3genE4ELNS1_11target_archE910ELNS1_3gpuE8ELNS1_3repE0EEENS1_47radix_sort_onesweep_sort_config_static_selectorELNS0_4arch9wavefront6targetE1EEEvSK_ ; -- Begin function _ZN7rocprim17ROCPRIM_400000_NS6detail17trampoline_kernelINS0_14default_configENS1_35radix_sort_onesweep_config_selectorIfNS0_10empty_typeEEEZZNS1_29radix_sort_onesweep_iterationIS3_Lb0EN6thrust23THRUST_200600_302600_NS6detail15normal_iteratorINS9_10device_ptrIfEEEESE_PS5_SF_jNS0_19identity_decomposerENS1_16block_id_wrapperIjLb1EEEEE10hipError_tT1_PNSt15iterator_traitsISK_E10value_typeET2_T3_PNSL_ISQ_E10value_typeET4_T5_PSV_SW_PNS1_23onesweep_lookback_stateEbbT6_jjT7_P12ihipStream_tbENKUlT_T0_SK_SP_E_clIPfSE_SF_SF_EEDaS13_S14_SK_SP_EUlS13_E_NS1_11comp_targetILNS1_3genE4ELNS1_11target_archE910ELNS1_3gpuE8ELNS1_3repE0EEENS1_47radix_sort_onesweep_sort_config_static_selectorELNS0_4arch9wavefront6targetE1EEEvSK_
	.globl	_ZN7rocprim17ROCPRIM_400000_NS6detail17trampoline_kernelINS0_14default_configENS1_35radix_sort_onesweep_config_selectorIfNS0_10empty_typeEEEZZNS1_29radix_sort_onesweep_iterationIS3_Lb0EN6thrust23THRUST_200600_302600_NS6detail15normal_iteratorINS9_10device_ptrIfEEEESE_PS5_SF_jNS0_19identity_decomposerENS1_16block_id_wrapperIjLb1EEEEE10hipError_tT1_PNSt15iterator_traitsISK_E10value_typeET2_T3_PNSL_ISQ_E10value_typeET4_T5_PSV_SW_PNS1_23onesweep_lookback_stateEbbT6_jjT7_P12ihipStream_tbENKUlT_T0_SK_SP_E_clIPfSE_SF_SF_EEDaS13_S14_SK_SP_EUlS13_E_NS1_11comp_targetILNS1_3genE4ELNS1_11target_archE910ELNS1_3gpuE8ELNS1_3repE0EEENS1_47radix_sort_onesweep_sort_config_static_selectorELNS0_4arch9wavefront6targetE1EEEvSK_
	.p2align	8
	.type	_ZN7rocprim17ROCPRIM_400000_NS6detail17trampoline_kernelINS0_14default_configENS1_35radix_sort_onesweep_config_selectorIfNS0_10empty_typeEEEZZNS1_29radix_sort_onesweep_iterationIS3_Lb0EN6thrust23THRUST_200600_302600_NS6detail15normal_iteratorINS9_10device_ptrIfEEEESE_PS5_SF_jNS0_19identity_decomposerENS1_16block_id_wrapperIjLb1EEEEE10hipError_tT1_PNSt15iterator_traitsISK_E10value_typeET2_T3_PNSL_ISQ_E10value_typeET4_T5_PSV_SW_PNS1_23onesweep_lookback_stateEbbT6_jjT7_P12ihipStream_tbENKUlT_T0_SK_SP_E_clIPfSE_SF_SF_EEDaS13_S14_SK_SP_EUlS13_E_NS1_11comp_targetILNS1_3genE4ELNS1_11target_archE910ELNS1_3gpuE8ELNS1_3repE0EEENS1_47radix_sort_onesweep_sort_config_static_selectorELNS0_4arch9wavefront6targetE1EEEvSK_,@function
_ZN7rocprim17ROCPRIM_400000_NS6detail17trampoline_kernelINS0_14default_configENS1_35radix_sort_onesweep_config_selectorIfNS0_10empty_typeEEEZZNS1_29radix_sort_onesweep_iterationIS3_Lb0EN6thrust23THRUST_200600_302600_NS6detail15normal_iteratorINS9_10device_ptrIfEEEESE_PS5_SF_jNS0_19identity_decomposerENS1_16block_id_wrapperIjLb1EEEEE10hipError_tT1_PNSt15iterator_traitsISK_E10value_typeET2_T3_PNSL_ISQ_E10value_typeET4_T5_PSV_SW_PNS1_23onesweep_lookback_stateEbbT6_jjT7_P12ihipStream_tbENKUlT_T0_SK_SP_E_clIPfSE_SF_SF_EEDaS13_S14_SK_SP_EUlS13_E_NS1_11comp_targetILNS1_3genE4ELNS1_11target_archE910ELNS1_3gpuE8ELNS1_3repE0EEENS1_47radix_sort_onesweep_sort_config_static_selectorELNS0_4arch9wavefront6targetE1EEEvSK_: ; @_ZN7rocprim17ROCPRIM_400000_NS6detail17trampoline_kernelINS0_14default_configENS1_35radix_sort_onesweep_config_selectorIfNS0_10empty_typeEEEZZNS1_29radix_sort_onesweep_iterationIS3_Lb0EN6thrust23THRUST_200600_302600_NS6detail15normal_iteratorINS9_10device_ptrIfEEEESE_PS5_SF_jNS0_19identity_decomposerENS1_16block_id_wrapperIjLb1EEEEE10hipError_tT1_PNSt15iterator_traitsISK_E10value_typeET2_T3_PNSL_ISQ_E10value_typeET4_T5_PSV_SW_PNS1_23onesweep_lookback_stateEbbT6_jjT7_P12ihipStream_tbENKUlT_T0_SK_SP_E_clIPfSE_SF_SF_EEDaS13_S14_SK_SP_EUlS13_E_NS1_11comp_targetILNS1_3genE4ELNS1_11target_archE910ELNS1_3gpuE8ELNS1_3repE0EEENS1_47radix_sort_onesweep_sort_config_static_selectorELNS0_4arch9wavefront6targetE1EEEvSK_
; %bb.0:
	.section	.rodata,"a",@progbits
	.p2align	6, 0x0
	.amdhsa_kernel _ZN7rocprim17ROCPRIM_400000_NS6detail17trampoline_kernelINS0_14default_configENS1_35radix_sort_onesweep_config_selectorIfNS0_10empty_typeEEEZZNS1_29radix_sort_onesweep_iterationIS3_Lb0EN6thrust23THRUST_200600_302600_NS6detail15normal_iteratorINS9_10device_ptrIfEEEESE_PS5_SF_jNS0_19identity_decomposerENS1_16block_id_wrapperIjLb1EEEEE10hipError_tT1_PNSt15iterator_traitsISK_E10value_typeET2_T3_PNSL_ISQ_E10value_typeET4_T5_PSV_SW_PNS1_23onesweep_lookback_stateEbbT6_jjT7_P12ihipStream_tbENKUlT_T0_SK_SP_E_clIPfSE_SF_SF_EEDaS13_S14_SK_SP_EUlS13_E_NS1_11comp_targetILNS1_3genE4ELNS1_11target_archE910ELNS1_3gpuE8ELNS1_3repE0EEENS1_47radix_sort_onesweep_sort_config_static_selectorELNS0_4arch9wavefront6targetE1EEEvSK_
		.amdhsa_group_segment_fixed_size 0
		.amdhsa_private_segment_fixed_size 0
		.amdhsa_kernarg_size 88
		.amdhsa_user_sgpr_count 2
		.amdhsa_user_sgpr_dispatch_ptr 0
		.amdhsa_user_sgpr_queue_ptr 0
		.amdhsa_user_sgpr_kernarg_segment_ptr 1
		.amdhsa_user_sgpr_dispatch_id 0
		.amdhsa_user_sgpr_kernarg_preload_length 0
		.amdhsa_user_sgpr_kernarg_preload_offset 0
		.amdhsa_user_sgpr_private_segment_size 0
		.amdhsa_uses_dynamic_stack 0
		.amdhsa_enable_private_segment 0
		.amdhsa_system_sgpr_workgroup_id_x 1
		.amdhsa_system_sgpr_workgroup_id_y 0
		.amdhsa_system_sgpr_workgroup_id_z 0
		.amdhsa_system_sgpr_workgroup_info 0
		.amdhsa_system_vgpr_workitem_id 0
		.amdhsa_next_free_vgpr 1
		.amdhsa_next_free_sgpr 0
		.amdhsa_accum_offset 4
		.amdhsa_reserve_vcc 0
		.amdhsa_float_round_mode_32 0
		.amdhsa_float_round_mode_16_64 0
		.amdhsa_float_denorm_mode_32 3
		.amdhsa_float_denorm_mode_16_64 3
		.amdhsa_dx10_clamp 1
		.amdhsa_ieee_mode 1
		.amdhsa_fp16_overflow 0
		.amdhsa_tg_split 0
		.amdhsa_exception_fp_ieee_invalid_op 0
		.amdhsa_exception_fp_denorm_src 0
		.amdhsa_exception_fp_ieee_div_zero 0
		.amdhsa_exception_fp_ieee_overflow 0
		.amdhsa_exception_fp_ieee_underflow 0
		.amdhsa_exception_fp_ieee_inexact 0
		.amdhsa_exception_int_div_zero 0
	.end_amdhsa_kernel
	.section	.text._ZN7rocprim17ROCPRIM_400000_NS6detail17trampoline_kernelINS0_14default_configENS1_35radix_sort_onesweep_config_selectorIfNS0_10empty_typeEEEZZNS1_29radix_sort_onesweep_iterationIS3_Lb0EN6thrust23THRUST_200600_302600_NS6detail15normal_iteratorINS9_10device_ptrIfEEEESE_PS5_SF_jNS0_19identity_decomposerENS1_16block_id_wrapperIjLb1EEEEE10hipError_tT1_PNSt15iterator_traitsISK_E10value_typeET2_T3_PNSL_ISQ_E10value_typeET4_T5_PSV_SW_PNS1_23onesweep_lookback_stateEbbT6_jjT7_P12ihipStream_tbENKUlT_T0_SK_SP_E_clIPfSE_SF_SF_EEDaS13_S14_SK_SP_EUlS13_E_NS1_11comp_targetILNS1_3genE4ELNS1_11target_archE910ELNS1_3gpuE8ELNS1_3repE0EEENS1_47radix_sort_onesweep_sort_config_static_selectorELNS0_4arch9wavefront6targetE1EEEvSK_,"axG",@progbits,_ZN7rocprim17ROCPRIM_400000_NS6detail17trampoline_kernelINS0_14default_configENS1_35radix_sort_onesweep_config_selectorIfNS0_10empty_typeEEEZZNS1_29radix_sort_onesweep_iterationIS3_Lb0EN6thrust23THRUST_200600_302600_NS6detail15normal_iteratorINS9_10device_ptrIfEEEESE_PS5_SF_jNS0_19identity_decomposerENS1_16block_id_wrapperIjLb1EEEEE10hipError_tT1_PNSt15iterator_traitsISK_E10value_typeET2_T3_PNSL_ISQ_E10value_typeET4_T5_PSV_SW_PNS1_23onesweep_lookback_stateEbbT6_jjT7_P12ihipStream_tbENKUlT_T0_SK_SP_E_clIPfSE_SF_SF_EEDaS13_S14_SK_SP_EUlS13_E_NS1_11comp_targetILNS1_3genE4ELNS1_11target_archE910ELNS1_3gpuE8ELNS1_3repE0EEENS1_47radix_sort_onesweep_sort_config_static_selectorELNS0_4arch9wavefront6targetE1EEEvSK_,comdat
.Lfunc_end581:
	.size	_ZN7rocprim17ROCPRIM_400000_NS6detail17trampoline_kernelINS0_14default_configENS1_35radix_sort_onesweep_config_selectorIfNS0_10empty_typeEEEZZNS1_29radix_sort_onesweep_iterationIS3_Lb0EN6thrust23THRUST_200600_302600_NS6detail15normal_iteratorINS9_10device_ptrIfEEEESE_PS5_SF_jNS0_19identity_decomposerENS1_16block_id_wrapperIjLb1EEEEE10hipError_tT1_PNSt15iterator_traitsISK_E10value_typeET2_T3_PNSL_ISQ_E10value_typeET4_T5_PSV_SW_PNS1_23onesweep_lookback_stateEbbT6_jjT7_P12ihipStream_tbENKUlT_T0_SK_SP_E_clIPfSE_SF_SF_EEDaS13_S14_SK_SP_EUlS13_E_NS1_11comp_targetILNS1_3genE4ELNS1_11target_archE910ELNS1_3gpuE8ELNS1_3repE0EEENS1_47radix_sort_onesweep_sort_config_static_selectorELNS0_4arch9wavefront6targetE1EEEvSK_, .Lfunc_end581-_ZN7rocprim17ROCPRIM_400000_NS6detail17trampoline_kernelINS0_14default_configENS1_35radix_sort_onesweep_config_selectorIfNS0_10empty_typeEEEZZNS1_29radix_sort_onesweep_iterationIS3_Lb0EN6thrust23THRUST_200600_302600_NS6detail15normal_iteratorINS9_10device_ptrIfEEEESE_PS5_SF_jNS0_19identity_decomposerENS1_16block_id_wrapperIjLb1EEEEE10hipError_tT1_PNSt15iterator_traitsISK_E10value_typeET2_T3_PNSL_ISQ_E10value_typeET4_T5_PSV_SW_PNS1_23onesweep_lookback_stateEbbT6_jjT7_P12ihipStream_tbENKUlT_T0_SK_SP_E_clIPfSE_SF_SF_EEDaS13_S14_SK_SP_EUlS13_E_NS1_11comp_targetILNS1_3genE4ELNS1_11target_archE910ELNS1_3gpuE8ELNS1_3repE0EEENS1_47radix_sort_onesweep_sort_config_static_selectorELNS0_4arch9wavefront6targetE1EEEvSK_
                                        ; -- End function
	.set _ZN7rocprim17ROCPRIM_400000_NS6detail17trampoline_kernelINS0_14default_configENS1_35radix_sort_onesweep_config_selectorIfNS0_10empty_typeEEEZZNS1_29radix_sort_onesweep_iterationIS3_Lb0EN6thrust23THRUST_200600_302600_NS6detail15normal_iteratorINS9_10device_ptrIfEEEESE_PS5_SF_jNS0_19identity_decomposerENS1_16block_id_wrapperIjLb1EEEEE10hipError_tT1_PNSt15iterator_traitsISK_E10value_typeET2_T3_PNSL_ISQ_E10value_typeET4_T5_PSV_SW_PNS1_23onesweep_lookback_stateEbbT6_jjT7_P12ihipStream_tbENKUlT_T0_SK_SP_E_clIPfSE_SF_SF_EEDaS13_S14_SK_SP_EUlS13_E_NS1_11comp_targetILNS1_3genE4ELNS1_11target_archE910ELNS1_3gpuE8ELNS1_3repE0EEENS1_47radix_sort_onesweep_sort_config_static_selectorELNS0_4arch9wavefront6targetE1EEEvSK_.num_vgpr, 0
	.set _ZN7rocprim17ROCPRIM_400000_NS6detail17trampoline_kernelINS0_14default_configENS1_35radix_sort_onesweep_config_selectorIfNS0_10empty_typeEEEZZNS1_29radix_sort_onesweep_iterationIS3_Lb0EN6thrust23THRUST_200600_302600_NS6detail15normal_iteratorINS9_10device_ptrIfEEEESE_PS5_SF_jNS0_19identity_decomposerENS1_16block_id_wrapperIjLb1EEEEE10hipError_tT1_PNSt15iterator_traitsISK_E10value_typeET2_T3_PNSL_ISQ_E10value_typeET4_T5_PSV_SW_PNS1_23onesweep_lookback_stateEbbT6_jjT7_P12ihipStream_tbENKUlT_T0_SK_SP_E_clIPfSE_SF_SF_EEDaS13_S14_SK_SP_EUlS13_E_NS1_11comp_targetILNS1_3genE4ELNS1_11target_archE910ELNS1_3gpuE8ELNS1_3repE0EEENS1_47radix_sort_onesweep_sort_config_static_selectorELNS0_4arch9wavefront6targetE1EEEvSK_.num_agpr, 0
	.set _ZN7rocprim17ROCPRIM_400000_NS6detail17trampoline_kernelINS0_14default_configENS1_35radix_sort_onesweep_config_selectorIfNS0_10empty_typeEEEZZNS1_29radix_sort_onesweep_iterationIS3_Lb0EN6thrust23THRUST_200600_302600_NS6detail15normal_iteratorINS9_10device_ptrIfEEEESE_PS5_SF_jNS0_19identity_decomposerENS1_16block_id_wrapperIjLb1EEEEE10hipError_tT1_PNSt15iterator_traitsISK_E10value_typeET2_T3_PNSL_ISQ_E10value_typeET4_T5_PSV_SW_PNS1_23onesweep_lookback_stateEbbT6_jjT7_P12ihipStream_tbENKUlT_T0_SK_SP_E_clIPfSE_SF_SF_EEDaS13_S14_SK_SP_EUlS13_E_NS1_11comp_targetILNS1_3genE4ELNS1_11target_archE910ELNS1_3gpuE8ELNS1_3repE0EEENS1_47radix_sort_onesweep_sort_config_static_selectorELNS0_4arch9wavefront6targetE1EEEvSK_.numbered_sgpr, 0
	.set _ZN7rocprim17ROCPRIM_400000_NS6detail17trampoline_kernelINS0_14default_configENS1_35radix_sort_onesweep_config_selectorIfNS0_10empty_typeEEEZZNS1_29radix_sort_onesweep_iterationIS3_Lb0EN6thrust23THRUST_200600_302600_NS6detail15normal_iteratorINS9_10device_ptrIfEEEESE_PS5_SF_jNS0_19identity_decomposerENS1_16block_id_wrapperIjLb1EEEEE10hipError_tT1_PNSt15iterator_traitsISK_E10value_typeET2_T3_PNSL_ISQ_E10value_typeET4_T5_PSV_SW_PNS1_23onesweep_lookback_stateEbbT6_jjT7_P12ihipStream_tbENKUlT_T0_SK_SP_E_clIPfSE_SF_SF_EEDaS13_S14_SK_SP_EUlS13_E_NS1_11comp_targetILNS1_3genE4ELNS1_11target_archE910ELNS1_3gpuE8ELNS1_3repE0EEENS1_47radix_sort_onesweep_sort_config_static_selectorELNS0_4arch9wavefront6targetE1EEEvSK_.num_named_barrier, 0
	.set _ZN7rocprim17ROCPRIM_400000_NS6detail17trampoline_kernelINS0_14default_configENS1_35radix_sort_onesweep_config_selectorIfNS0_10empty_typeEEEZZNS1_29radix_sort_onesweep_iterationIS3_Lb0EN6thrust23THRUST_200600_302600_NS6detail15normal_iteratorINS9_10device_ptrIfEEEESE_PS5_SF_jNS0_19identity_decomposerENS1_16block_id_wrapperIjLb1EEEEE10hipError_tT1_PNSt15iterator_traitsISK_E10value_typeET2_T3_PNSL_ISQ_E10value_typeET4_T5_PSV_SW_PNS1_23onesweep_lookback_stateEbbT6_jjT7_P12ihipStream_tbENKUlT_T0_SK_SP_E_clIPfSE_SF_SF_EEDaS13_S14_SK_SP_EUlS13_E_NS1_11comp_targetILNS1_3genE4ELNS1_11target_archE910ELNS1_3gpuE8ELNS1_3repE0EEENS1_47radix_sort_onesweep_sort_config_static_selectorELNS0_4arch9wavefront6targetE1EEEvSK_.private_seg_size, 0
	.set _ZN7rocprim17ROCPRIM_400000_NS6detail17trampoline_kernelINS0_14default_configENS1_35radix_sort_onesweep_config_selectorIfNS0_10empty_typeEEEZZNS1_29radix_sort_onesweep_iterationIS3_Lb0EN6thrust23THRUST_200600_302600_NS6detail15normal_iteratorINS9_10device_ptrIfEEEESE_PS5_SF_jNS0_19identity_decomposerENS1_16block_id_wrapperIjLb1EEEEE10hipError_tT1_PNSt15iterator_traitsISK_E10value_typeET2_T3_PNSL_ISQ_E10value_typeET4_T5_PSV_SW_PNS1_23onesweep_lookback_stateEbbT6_jjT7_P12ihipStream_tbENKUlT_T0_SK_SP_E_clIPfSE_SF_SF_EEDaS13_S14_SK_SP_EUlS13_E_NS1_11comp_targetILNS1_3genE4ELNS1_11target_archE910ELNS1_3gpuE8ELNS1_3repE0EEENS1_47radix_sort_onesweep_sort_config_static_selectorELNS0_4arch9wavefront6targetE1EEEvSK_.uses_vcc, 0
	.set _ZN7rocprim17ROCPRIM_400000_NS6detail17trampoline_kernelINS0_14default_configENS1_35radix_sort_onesweep_config_selectorIfNS0_10empty_typeEEEZZNS1_29radix_sort_onesweep_iterationIS3_Lb0EN6thrust23THRUST_200600_302600_NS6detail15normal_iteratorINS9_10device_ptrIfEEEESE_PS5_SF_jNS0_19identity_decomposerENS1_16block_id_wrapperIjLb1EEEEE10hipError_tT1_PNSt15iterator_traitsISK_E10value_typeET2_T3_PNSL_ISQ_E10value_typeET4_T5_PSV_SW_PNS1_23onesweep_lookback_stateEbbT6_jjT7_P12ihipStream_tbENKUlT_T0_SK_SP_E_clIPfSE_SF_SF_EEDaS13_S14_SK_SP_EUlS13_E_NS1_11comp_targetILNS1_3genE4ELNS1_11target_archE910ELNS1_3gpuE8ELNS1_3repE0EEENS1_47radix_sort_onesweep_sort_config_static_selectorELNS0_4arch9wavefront6targetE1EEEvSK_.uses_flat_scratch, 0
	.set _ZN7rocprim17ROCPRIM_400000_NS6detail17trampoline_kernelINS0_14default_configENS1_35radix_sort_onesweep_config_selectorIfNS0_10empty_typeEEEZZNS1_29radix_sort_onesweep_iterationIS3_Lb0EN6thrust23THRUST_200600_302600_NS6detail15normal_iteratorINS9_10device_ptrIfEEEESE_PS5_SF_jNS0_19identity_decomposerENS1_16block_id_wrapperIjLb1EEEEE10hipError_tT1_PNSt15iterator_traitsISK_E10value_typeET2_T3_PNSL_ISQ_E10value_typeET4_T5_PSV_SW_PNS1_23onesweep_lookback_stateEbbT6_jjT7_P12ihipStream_tbENKUlT_T0_SK_SP_E_clIPfSE_SF_SF_EEDaS13_S14_SK_SP_EUlS13_E_NS1_11comp_targetILNS1_3genE4ELNS1_11target_archE910ELNS1_3gpuE8ELNS1_3repE0EEENS1_47radix_sort_onesweep_sort_config_static_selectorELNS0_4arch9wavefront6targetE1EEEvSK_.has_dyn_sized_stack, 0
	.set _ZN7rocprim17ROCPRIM_400000_NS6detail17trampoline_kernelINS0_14default_configENS1_35radix_sort_onesweep_config_selectorIfNS0_10empty_typeEEEZZNS1_29radix_sort_onesweep_iterationIS3_Lb0EN6thrust23THRUST_200600_302600_NS6detail15normal_iteratorINS9_10device_ptrIfEEEESE_PS5_SF_jNS0_19identity_decomposerENS1_16block_id_wrapperIjLb1EEEEE10hipError_tT1_PNSt15iterator_traitsISK_E10value_typeET2_T3_PNSL_ISQ_E10value_typeET4_T5_PSV_SW_PNS1_23onesweep_lookback_stateEbbT6_jjT7_P12ihipStream_tbENKUlT_T0_SK_SP_E_clIPfSE_SF_SF_EEDaS13_S14_SK_SP_EUlS13_E_NS1_11comp_targetILNS1_3genE4ELNS1_11target_archE910ELNS1_3gpuE8ELNS1_3repE0EEENS1_47radix_sort_onesweep_sort_config_static_selectorELNS0_4arch9wavefront6targetE1EEEvSK_.has_recursion, 0
	.set _ZN7rocprim17ROCPRIM_400000_NS6detail17trampoline_kernelINS0_14default_configENS1_35radix_sort_onesweep_config_selectorIfNS0_10empty_typeEEEZZNS1_29radix_sort_onesweep_iterationIS3_Lb0EN6thrust23THRUST_200600_302600_NS6detail15normal_iteratorINS9_10device_ptrIfEEEESE_PS5_SF_jNS0_19identity_decomposerENS1_16block_id_wrapperIjLb1EEEEE10hipError_tT1_PNSt15iterator_traitsISK_E10value_typeET2_T3_PNSL_ISQ_E10value_typeET4_T5_PSV_SW_PNS1_23onesweep_lookback_stateEbbT6_jjT7_P12ihipStream_tbENKUlT_T0_SK_SP_E_clIPfSE_SF_SF_EEDaS13_S14_SK_SP_EUlS13_E_NS1_11comp_targetILNS1_3genE4ELNS1_11target_archE910ELNS1_3gpuE8ELNS1_3repE0EEENS1_47radix_sort_onesweep_sort_config_static_selectorELNS0_4arch9wavefront6targetE1EEEvSK_.has_indirect_call, 0
	.section	.AMDGPU.csdata,"",@progbits
; Kernel info:
; codeLenInByte = 0
; TotalNumSgprs: 6
; NumVgprs: 0
; NumAgprs: 0
; TotalNumVgprs: 0
; ScratchSize: 0
; MemoryBound: 0
; FloatMode: 240
; IeeeMode: 1
; LDSByteSize: 0 bytes/workgroup (compile time only)
; SGPRBlocks: 0
; VGPRBlocks: 0
; NumSGPRsForWavesPerEU: 6
; NumVGPRsForWavesPerEU: 1
; AccumOffset: 4
; Occupancy: 8
; WaveLimiterHint : 0
; COMPUTE_PGM_RSRC2:SCRATCH_EN: 0
; COMPUTE_PGM_RSRC2:USER_SGPR: 2
; COMPUTE_PGM_RSRC2:TRAP_HANDLER: 0
; COMPUTE_PGM_RSRC2:TGID_X_EN: 1
; COMPUTE_PGM_RSRC2:TGID_Y_EN: 0
; COMPUTE_PGM_RSRC2:TGID_Z_EN: 0
; COMPUTE_PGM_RSRC2:TIDIG_COMP_CNT: 0
; COMPUTE_PGM_RSRC3_GFX90A:ACCUM_OFFSET: 0
; COMPUTE_PGM_RSRC3_GFX90A:TG_SPLIT: 0
	.section	.text._ZN7rocprim17ROCPRIM_400000_NS6detail17trampoline_kernelINS0_14default_configENS1_35radix_sort_onesweep_config_selectorIfNS0_10empty_typeEEEZZNS1_29radix_sort_onesweep_iterationIS3_Lb0EN6thrust23THRUST_200600_302600_NS6detail15normal_iteratorINS9_10device_ptrIfEEEESE_PS5_SF_jNS0_19identity_decomposerENS1_16block_id_wrapperIjLb1EEEEE10hipError_tT1_PNSt15iterator_traitsISK_E10value_typeET2_T3_PNSL_ISQ_E10value_typeET4_T5_PSV_SW_PNS1_23onesweep_lookback_stateEbbT6_jjT7_P12ihipStream_tbENKUlT_T0_SK_SP_E_clIPfSE_SF_SF_EEDaS13_S14_SK_SP_EUlS13_E_NS1_11comp_targetILNS1_3genE3ELNS1_11target_archE908ELNS1_3gpuE7ELNS1_3repE0EEENS1_47radix_sort_onesweep_sort_config_static_selectorELNS0_4arch9wavefront6targetE1EEEvSK_,"axG",@progbits,_ZN7rocprim17ROCPRIM_400000_NS6detail17trampoline_kernelINS0_14default_configENS1_35radix_sort_onesweep_config_selectorIfNS0_10empty_typeEEEZZNS1_29radix_sort_onesweep_iterationIS3_Lb0EN6thrust23THRUST_200600_302600_NS6detail15normal_iteratorINS9_10device_ptrIfEEEESE_PS5_SF_jNS0_19identity_decomposerENS1_16block_id_wrapperIjLb1EEEEE10hipError_tT1_PNSt15iterator_traitsISK_E10value_typeET2_T3_PNSL_ISQ_E10value_typeET4_T5_PSV_SW_PNS1_23onesweep_lookback_stateEbbT6_jjT7_P12ihipStream_tbENKUlT_T0_SK_SP_E_clIPfSE_SF_SF_EEDaS13_S14_SK_SP_EUlS13_E_NS1_11comp_targetILNS1_3genE3ELNS1_11target_archE908ELNS1_3gpuE7ELNS1_3repE0EEENS1_47radix_sort_onesweep_sort_config_static_selectorELNS0_4arch9wavefront6targetE1EEEvSK_,comdat
	.protected	_ZN7rocprim17ROCPRIM_400000_NS6detail17trampoline_kernelINS0_14default_configENS1_35radix_sort_onesweep_config_selectorIfNS0_10empty_typeEEEZZNS1_29radix_sort_onesweep_iterationIS3_Lb0EN6thrust23THRUST_200600_302600_NS6detail15normal_iteratorINS9_10device_ptrIfEEEESE_PS5_SF_jNS0_19identity_decomposerENS1_16block_id_wrapperIjLb1EEEEE10hipError_tT1_PNSt15iterator_traitsISK_E10value_typeET2_T3_PNSL_ISQ_E10value_typeET4_T5_PSV_SW_PNS1_23onesweep_lookback_stateEbbT6_jjT7_P12ihipStream_tbENKUlT_T0_SK_SP_E_clIPfSE_SF_SF_EEDaS13_S14_SK_SP_EUlS13_E_NS1_11comp_targetILNS1_3genE3ELNS1_11target_archE908ELNS1_3gpuE7ELNS1_3repE0EEENS1_47radix_sort_onesweep_sort_config_static_selectorELNS0_4arch9wavefront6targetE1EEEvSK_ ; -- Begin function _ZN7rocprim17ROCPRIM_400000_NS6detail17trampoline_kernelINS0_14default_configENS1_35radix_sort_onesweep_config_selectorIfNS0_10empty_typeEEEZZNS1_29radix_sort_onesweep_iterationIS3_Lb0EN6thrust23THRUST_200600_302600_NS6detail15normal_iteratorINS9_10device_ptrIfEEEESE_PS5_SF_jNS0_19identity_decomposerENS1_16block_id_wrapperIjLb1EEEEE10hipError_tT1_PNSt15iterator_traitsISK_E10value_typeET2_T3_PNSL_ISQ_E10value_typeET4_T5_PSV_SW_PNS1_23onesweep_lookback_stateEbbT6_jjT7_P12ihipStream_tbENKUlT_T0_SK_SP_E_clIPfSE_SF_SF_EEDaS13_S14_SK_SP_EUlS13_E_NS1_11comp_targetILNS1_3genE3ELNS1_11target_archE908ELNS1_3gpuE7ELNS1_3repE0EEENS1_47radix_sort_onesweep_sort_config_static_selectorELNS0_4arch9wavefront6targetE1EEEvSK_
	.globl	_ZN7rocprim17ROCPRIM_400000_NS6detail17trampoline_kernelINS0_14default_configENS1_35radix_sort_onesweep_config_selectorIfNS0_10empty_typeEEEZZNS1_29radix_sort_onesweep_iterationIS3_Lb0EN6thrust23THRUST_200600_302600_NS6detail15normal_iteratorINS9_10device_ptrIfEEEESE_PS5_SF_jNS0_19identity_decomposerENS1_16block_id_wrapperIjLb1EEEEE10hipError_tT1_PNSt15iterator_traitsISK_E10value_typeET2_T3_PNSL_ISQ_E10value_typeET4_T5_PSV_SW_PNS1_23onesweep_lookback_stateEbbT6_jjT7_P12ihipStream_tbENKUlT_T0_SK_SP_E_clIPfSE_SF_SF_EEDaS13_S14_SK_SP_EUlS13_E_NS1_11comp_targetILNS1_3genE3ELNS1_11target_archE908ELNS1_3gpuE7ELNS1_3repE0EEENS1_47radix_sort_onesweep_sort_config_static_selectorELNS0_4arch9wavefront6targetE1EEEvSK_
	.p2align	8
	.type	_ZN7rocprim17ROCPRIM_400000_NS6detail17trampoline_kernelINS0_14default_configENS1_35radix_sort_onesweep_config_selectorIfNS0_10empty_typeEEEZZNS1_29radix_sort_onesweep_iterationIS3_Lb0EN6thrust23THRUST_200600_302600_NS6detail15normal_iteratorINS9_10device_ptrIfEEEESE_PS5_SF_jNS0_19identity_decomposerENS1_16block_id_wrapperIjLb1EEEEE10hipError_tT1_PNSt15iterator_traitsISK_E10value_typeET2_T3_PNSL_ISQ_E10value_typeET4_T5_PSV_SW_PNS1_23onesweep_lookback_stateEbbT6_jjT7_P12ihipStream_tbENKUlT_T0_SK_SP_E_clIPfSE_SF_SF_EEDaS13_S14_SK_SP_EUlS13_E_NS1_11comp_targetILNS1_3genE3ELNS1_11target_archE908ELNS1_3gpuE7ELNS1_3repE0EEENS1_47radix_sort_onesweep_sort_config_static_selectorELNS0_4arch9wavefront6targetE1EEEvSK_,@function
_ZN7rocprim17ROCPRIM_400000_NS6detail17trampoline_kernelINS0_14default_configENS1_35radix_sort_onesweep_config_selectorIfNS0_10empty_typeEEEZZNS1_29radix_sort_onesweep_iterationIS3_Lb0EN6thrust23THRUST_200600_302600_NS6detail15normal_iteratorINS9_10device_ptrIfEEEESE_PS5_SF_jNS0_19identity_decomposerENS1_16block_id_wrapperIjLb1EEEEE10hipError_tT1_PNSt15iterator_traitsISK_E10value_typeET2_T3_PNSL_ISQ_E10value_typeET4_T5_PSV_SW_PNS1_23onesweep_lookback_stateEbbT6_jjT7_P12ihipStream_tbENKUlT_T0_SK_SP_E_clIPfSE_SF_SF_EEDaS13_S14_SK_SP_EUlS13_E_NS1_11comp_targetILNS1_3genE3ELNS1_11target_archE908ELNS1_3gpuE7ELNS1_3repE0EEENS1_47radix_sort_onesweep_sort_config_static_selectorELNS0_4arch9wavefront6targetE1EEEvSK_: ; @_ZN7rocprim17ROCPRIM_400000_NS6detail17trampoline_kernelINS0_14default_configENS1_35radix_sort_onesweep_config_selectorIfNS0_10empty_typeEEEZZNS1_29radix_sort_onesweep_iterationIS3_Lb0EN6thrust23THRUST_200600_302600_NS6detail15normal_iteratorINS9_10device_ptrIfEEEESE_PS5_SF_jNS0_19identity_decomposerENS1_16block_id_wrapperIjLb1EEEEE10hipError_tT1_PNSt15iterator_traitsISK_E10value_typeET2_T3_PNSL_ISQ_E10value_typeET4_T5_PSV_SW_PNS1_23onesweep_lookback_stateEbbT6_jjT7_P12ihipStream_tbENKUlT_T0_SK_SP_E_clIPfSE_SF_SF_EEDaS13_S14_SK_SP_EUlS13_E_NS1_11comp_targetILNS1_3genE3ELNS1_11target_archE908ELNS1_3gpuE7ELNS1_3repE0EEENS1_47radix_sort_onesweep_sort_config_static_selectorELNS0_4arch9wavefront6targetE1EEEvSK_
; %bb.0:
	.section	.rodata,"a",@progbits
	.p2align	6, 0x0
	.amdhsa_kernel _ZN7rocprim17ROCPRIM_400000_NS6detail17trampoline_kernelINS0_14default_configENS1_35radix_sort_onesweep_config_selectorIfNS0_10empty_typeEEEZZNS1_29radix_sort_onesweep_iterationIS3_Lb0EN6thrust23THRUST_200600_302600_NS6detail15normal_iteratorINS9_10device_ptrIfEEEESE_PS5_SF_jNS0_19identity_decomposerENS1_16block_id_wrapperIjLb1EEEEE10hipError_tT1_PNSt15iterator_traitsISK_E10value_typeET2_T3_PNSL_ISQ_E10value_typeET4_T5_PSV_SW_PNS1_23onesweep_lookback_stateEbbT6_jjT7_P12ihipStream_tbENKUlT_T0_SK_SP_E_clIPfSE_SF_SF_EEDaS13_S14_SK_SP_EUlS13_E_NS1_11comp_targetILNS1_3genE3ELNS1_11target_archE908ELNS1_3gpuE7ELNS1_3repE0EEENS1_47radix_sort_onesweep_sort_config_static_selectorELNS0_4arch9wavefront6targetE1EEEvSK_
		.amdhsa_group_segment_fixed_size 0
		.amdhsa_private_segment_fixed_size 0
		.amdhsa_kernarg_size 88
		.amdhsa_user_sgpr_count 2
		.amdhsa_user_sgpr_dispatch_ptr 0
		.amdhsa_user_sgpr_queue_ptr 0
		.amdhsa_user_sgpr_kernarg_segment_ptr 1
		.amdhsa_user_sgpr_dispatch_id 0
		.amdhsa_user_sgpr_kernarg_preload_length 0
		.amdhsa_user_sgpr_kernarg_preload_offset 0
		.amdhsa_user_sgpr_private_segment_size 0
		.amdhsa_uses_dynamic_stack 0
		.amdhsa_enable_private_segment 0
		.amdhsa_system_sgpr_workgroup_id_x 1
		.amdhsa_system_sgpr_workgroup_id_y 0
		.amdhsa_system_sgpr_workgroup_id_z 0
		.amdhsa_system_sgpr_workgroup_info 0
		.amdhsa_system_vgpr_workitem_id 0
		.amdhsa_next_free_vgpr 1
		.amdhsa_next_free_sgpr 0
		.amdhsa_accum_offset 4
		.amdhsa_reserve_vcc 0
		.amdhsa_float_round_mode_32 0
		.amdhsa_float_round_mode_16_64 0
		.amdhsa_float_denorm_mode_32 3
		.amdhsa_float_denorm_mode_16_64 3
		.amdhsa_dx10_clamp 1
		.amdhsa_ieee_mode 1
		.amdhsa_fp16_overflow 0
		.amdhsa_tg_split 0
		.amdhsa_exception_fp_ieee_invalid_op 0
		.amdhsa_exception_fp_denorm_src 0
		.amdhsa_exception_fp_ieee_div_zero 0
		.amdhsa_exception_fp_ieee_overflow 0
		.amdhsa_exception_fp_ieee_underflow 0
		.amdhsa_exception_fp_ieee_inexact 0
		.amdhsa_exception_int_div_zero 0
	.end_amdhsa_kernel
	.section	.text._ZN7rocprim17ROCPRIM_400000_NS6detail17trampoline_kernelINS0_14default_configENS1_35radix_sort_onesweep_config_selectorIfNS0_10empty_typeEEEZZNS1_29radix_sort_onesweep_iterationIS3_Lb0EN6thrust23THRUST_200600_302600_NS6detail15normal_iteratorINS9_10device_ptrIfEEEESE_PS5_SF_jNS0_19identity_decomposerENS1_16block_id_wrapperIjLb1EEEEE10hipError_tT1_PNSt15iterator_traitsISK_E10value_typeET2_T3_PNSL_ISQ_E10value_typeET4_T5_PSV_SW_PNS1_23onesweep_lookback_stateEbbT6_jjT7_P12ihipStream_tbENKUlT_T0_SK_SP_E_clIPfSE_SF_SF_EEDaS13_S14_SK_SP_EUlS13_E_NS1_11comp_targetILNS1_3genE3ELNS1_11target_archE908ELNS1_3gpuE7ELNS1_3repE0EEENS1_47radix_sort_onesweep_sort_config_static_selectorELNS0_4arch9wavefront6targetE1EEEvSK_,"axG",@progbits,_ZN7rocprim17ROCPRIM_400000_NS6detail17trampoline_kernelINS0_14default_configENS1_35radix_sort_onesweep_config_selectorIfNS0_10empty_typeEEEZZNS1_29radix_sort_onesweep_iterationIS3_Lb0EN6thrust23THRUST_200600_302600_NS6detail15normal_iteratorINS9_10device_ptrIfEEEESE_PS5_SF_jNS0_19identity_decomposerENS1_16block_id_wrapperIjLb1EEEEE10hipError_tT1_PNSt15iterator_traitsISK_E10value_typeET2_T3_PNSL_ISQ_E10value_typeET4_T5_PSV_SW_PNS1_23onesweep_lookback_stateEbbT6_jjT7_P12ihipStream_tbENKUlT_T0_SK_SP_E_clIPfSE_SF_SF_EEDaS13_S14_SK_SP_EUlS13_E_NS1_11comp_targetILNS1_3genE3ELNS1_11target_archE908ELNS1_3gpuE7ELNS1_3repE0EEENS1_47radix_sort_onesweep_sort_config_static_selectorELNS0_4arch9wavefront6targetE1EEEvSK_,comdat
.Lfunc_end582:
	.size	_ZN7rocprim17ROCPRIM_400000_NS6detail17trampoline_kernelINS0_14default_configENS1_35radix_sort_onesweep_config_selectorIfNS0_10empty_typeEEEZZNS1_29radix_sort_onesweep_iterationIS3_Lb0EN6thrust23THRUST_200600_302600_NS6detail15normal_iteratorINS9_10device_ptrIfEEEESE_PS5_SF_jNS0_19identity_decomposerENS1_16block_id_wrapperIjLb1EEEEE10hipError_tT1_PNSt15iterator_traitsISK_E10value_typeET2_T3_PNSL_ISQ_E10value_typeET4_T5_PSV_SW_PNS1_23onesweep_lookback_stateEbbT6_jjT7_P12ihipStream_tbENKUlT_T0_SK_SP_E_clIPfSE_SF_SF_EEDaS13_S14_SK_SP_EUlS13_E_NS1_11comp_targetILNS1_3genE3ELNS1_11target_archE908ELNS1_3gpuE7ELNS1_3repE0EEENS1_47radix_sort_onesweep_sort_config_static_selectorELNS0_4arch9wavefront6targetE1EEEvSK_, .Lfunc_end582-_ZN7rocprim17ROCPRIM_400000_NS6detail17trampoline_kernelINS0_14default_configENS1_35radix_sort_onesweep_config_selectorIfNS0_10empty_typeEEEZZNS1_29radix_sort_onesweep_iterationIS3_Lb0EN6thrust23THRUST_200600_302600_NS6detail15normal_iteratorINS9_10device_ptrIfEEEESE_PS5_SF_jNS0_19identity_decomposerENS1_16block_id_wrapperIjLb1EEEEE10hipError_tT1_PNSt15iterator_traitsISK_E10value_typeET2_T3_PNSL_ISQ_E10value_typeET4_T5_PSV_SW_PNS1_23onesweep_lookback_stateEbbT6_jjT7_P12ihipStream_tbENKUlT_T0_SK_SP_E_clIPfSE_SF_SF_EEDaS13_S14_SK_SP_EUlS13_E_NS1_11comp_targetILNS1_3genE3ELNS1_11target_archE908ELNS1_3gpuE7ELNS1_3repE0EEENS1_47radix_sort_onesweep_sort_config_static_selectorELNS0_4arch9wavefront6targetE1EEEvSK_
                                        ; -- End function
	.set _ZN7rocprim17ROCPRIM_400000_NS6detail17trampoline_kernelINS0_14default_configENS1_35radix_sort_onesweep_config_selectorIfNS0_10empty_typeEEEZZNS1_29radix_sort_onesweep_iterationIS3_Lb0EN6thrust23THRUST_200600_302600_NS6detail15normal_iteratorINS9_10device_ptrIfEEEESE_PS5_SF_jNS0_19identity_decomposerENS1_16block_id_wrapperIjLb1EEEEE10hipError_tT1_PNSt15iterator_traitsISK_E10value_typeET2_T3_PNSL_ISQ_E10value_typeET4_T5_PSV_SW_PNS1_23onesweep_lookback_stateEbbT6_jjT7_P12ihipStream_tbENKUlT_T0_SK_SP_E_clIPfSE_SF_SF_EEDaS13_S14_SK_SP_EUlS13_E_NS1_11comp_targetILNS1_3genE3ELNS1_11target_archE908ELNS1_3gpuE7ELNS1_3repE0EEENS1_47radix_sort_onesweep_sort_config_static_selectorELNS0_4arch9wavefront6targetE1EEEvSK_.num_vgpr, 0
	.set _ZN7rocprim17ROCPRIM_400000_NS6detail17trampoline_kernelINS0_14default_configENS1_35radix_sort_onesweep_config_selectorIfNS0_10empty_typeEEEZZNS1_29radix_sort_onesweep_iterationIS3_Lb0EN6thrust23THRUST_200600_302600_NS6detail15normal_iteratorINS9_10device_ptrIfEEEESE_PS5_SF_jNS0_19identity_decomposerENS1_16block_id_wrapperIjLb1EEEEE10hipError_tT1_PNSt15iterator_traitsISK_E10value_typeET2_T3_PNSL_ISQ_E10value_typeET4_T5_PSV_SW_PNS1_23onesweep_lookback_stateEbbT6_jjT7_P12ihipStream_tbENKUlT_T0_SK_SP_E_clIPfSE_SF_SF_EEDaS13_S14_SK_SP_EUlS13_E_NS1_11comp_targetILNS1_3genE3ELNS1_11target_archE908ELNS1_3gpuE7ELNS1_3repE0EEENS1_47radix_sort_onesweep_sort_config_static_selectorELNS0_4arch9wavefront6targetE1EEEvSK_.num_agpr, 0
	.set _ZN7rocprim17ROCPRIM_400000_NS6detail17trampoline_kernelINS0_14default_configENS1_35radix_sort_onesweep_config_selectorIfNS0_10empty_typeEEEZZNS1_29radix_sort_onesweep_iterationIS3_Lb0EN6thrust23THRUST_200600_302600_NS6detail15normal_iteratorINS9_10device_ptrIfEEEESE_PS5_SF_jNS0_19identity_decomposerENS1_16block_id_wrapperIjLb1EEEEE10hipError_tT1_PNSt15iterator_traitsISK_E10value_typeET2_T3_PNSL_ISQ_E10value_typeET4_T5_PSV_SW_PNS1_23onesweep_lookback_stateEbbT6_jjT7_P12ihipStream_tbENKUlT_T0_SK_SP_E_clIPfSE_SF_SF_EEDaS13_S14_SK_SP_EUlS13_E_NS1_11comp_targetILNS1_3genE3ELNS1_11target_archE908ELNS1_3gpuE7ELNS1_3repE0EEENS1_47radix_sort_onesweep_sort_config_static_selectorELNS0_4arch9wavefront6targetE1EEEvSK_.numbered_sgpr, 0
	.set _ZN7rocprim17ROCPRIM_400000_NS6detail17trampoline_kernelINS0_14default_configENS1_35radix_sort_onesweep_config_selectorIfNS0_10empty_typeEEEZZNS1_29radix_sort_onesweep_iterationIS3_Lb0EN6thrust23THRUST_200600_302600_NS6detail15normal_iteratorINS9_10device_ptrIfEEEESE_PS5_SF_jNS0_19identity_decomposerENS1_16block_id_wrapperIjLb1EEEEE10hipError_tT1_PNSt15iterator_traitsISK_E10value_typeET2_T3_PNSL_ISQ_E10value_typeET4_T5_PSV_SW_PNS1_23onesweep_lookback_stateEbbT6_jjT7_P12ihipStream_tbENKUlT_T0_SK_SP_E_clIPfSE_SF_SF_EEDaS13_S14_SK_SP_EUlS13_E_NS1_11comp_targetILNS1_3genE3ELNS1_11target_archE908ELNS1_3gpuE7ELNS1_3repE0EEENS1_47radix_sort_onesweep_sort_config_static_selectorELNS0_4arch9wavefront6targetE1EEEvSK_.num_named_barrier, 0
	.set _ZN7rocprim17ROCPRIM_400000_NS6detail17trampoline_kernelINS0_14default_configENS1_35radix_sort_onesweep_config_selectorIfNS0_10empty_typeEEEZZNS1_29radix_sort_onesweep_iterationIS3_Lb0EN6thrust23THRUST_200600_302600_NS6detail15normal_iteratorINS9_10device_ptrIfEEEESE_PS5_SF_jNS0_19identity_decomposerENS1_16block_id_wrapperIjLb1EEEEE10hipError_tT1_PNSt15iterator_traitsISK_E10value_typeET2_T3_PNSL_ISQ_E10value_typeET4_T5_PSV_SW_PNS1_23onesweep_lookback_stateEbbT6_jjT7_P12ihipStream_tbENKUlT_T0_SK_SP_E_clIPfSE_SF_SF_EEDaS13_S14_SK_SP_EUlS13_E_NS1_11comp_targetILNS1_3genE3ELNS1_11target_archE908ELNS1_3gpuE7ELNS1_3repE0EEENS1_47radix_sort_onesweep_sort_config_static_selectorELNS0_4arch9wavefront6targetE1EEEvSK_.private_seg_size, 0
	.set _ZN7rocprim17ROCPRIM_400000_NS6detail17trampoline_kernelINS0_14default_configENS1_35radix_sort_onesweep_config_selectorIfNS0_10empty_typeEEEZZNS1_29radix_sort_onesweep_iterationIS3_Lb0EN6thrust23THRUST_200600_302600_NS6detail15normal_iteratorINS9_10device_ptrIfEEEESE_PS5_SF_jNS0_19identity_decomposerENS1_16block_id_wrapperIjLb1EEEEE10hipError_tT1_PNSt15iterator_traitsISK_E10value_typeET2_T3_PNSL_ISQ_E10value_typeET4_T5_PSV_SW_PNS1_23onesweep_lookback_stateEbbT6_jjT7_P12ihipStream_tbENKUlT_T0_SK_SP_E_clIPfSE_SF_SF_EEDaS13_S14_SK_SP_EUlS13_E_NS1_11comp_targetILNS1_3genE3ELNS1_11target_archE908ELNS1_3gpuE7ELNS1_3repE0EEENS1_47radix_sort_onesweep_sort_config_static_selectorELNS0_4arch9wavefront6targetE1EEEvSK_.uses_vcc, 0
	.set _ZN7rocprim17ROCPRIM_400000_NS6detail17trampoline_kernelINS0_14default_configENS1_35radix_sort_onesweep_config_selectorIfNS0_10empty_typeEEEZZNS1_29radix_sort_onesweep_iterationIS3_Lb0EN6thrust23THRUST_200600_302600_NS6detail15normal_iteratorINS9_10device_ptrIfEEEESE_PS5_SF_jNS0_19identity_decomposerENS1_16block_id_wrapperIjLb1EEEEE10hipError_tT1_PNSt15iterator_traitsISK_E10value_typeET2_T3_PNSL_ISQ_E10value_typeET4_T5_PSV_SW_PNS1_23onesweep_lookback_stateEbbT6_jjT7_P12ihipStream_tbENKUlT_T0_SK_SP_E_clIPfSE_SF_SF_EEDaS13_S14_SK_SP_EUlS13_E_NS1_11comp_targetILNS1_3genE3ELNS1_11target_archE908ELNS1_3gpuE7ELNS1_3repE0EEENS1_47radix_sort_onesweep_sort_config_static_selectorELNS0_4arch9wavefront6targetE1EEEvSK_.uses_flat_scratch, 0
	.set _ZN7rocprim17ROCPRIM_400000_NS6detail17trampoline_kernelINS0_14default_configENS1_35radix_sort_onesweep_config_selectorIfNS0_10empty_typeEEEZZNS1_29radix_sort_onesweep_iterationIS3_Lb0EN6thrust23THRUST_200600_302600_NS6detail15normal_iteratorINS9_10device_ptrIfEEEESE_PS5_SF_jNS0_19identity_decomposerENS1_16block_id_wrapperIjLb1EEEEE10hipError_tT1_PNSt15iterator_traitsISK_E10value_typeET2_T3_PNSL_ISQ_E10value_typeET4_T5_PSV_SW_PNS1_23onesweep_lookback_stateEbbT6_jjT7_P12ihipStream_tbENKUlT_T0_SK_SP_E_clIPfSE_SF_SF_EEDaS13_S14_SK_SP_EUlS13_E_NS1_11comp_targetILNS1_3genE3ELNS1_11target_archE908ELNS1_3gpuE7ELNS1_3repE0EEENS1_47radix_sort_onesweep_sort_config_static_selectorELNS0_4arch9wavefront6targetE1EEEvSK_.has_dyn_sized_stack, 0
	.set _ZN7rocprim17ROCPRIM_400000_NS6detail17trampoline_kernelINS0_14default_configENS1_35radix_sort_onesweep_config_selectorIfNS0_10empty_typeEEEZZNS1_29radix_sort_onesweep_iterationIS3_Lb0EN6thrust23THRUST_200600_302600_NS6detail15normal_iteratorINS9_10device_ptrIfEEEESE_PS5_SF_jNS0_19identity_decomposerENS1_16block_id_wrapperIjLb1EEEEE10hipError_tT1_PNSt15iterator_traitsISK_E10value_typeET2_T3_PNSL_ISQ_E10value_typeET4_T5_PSV_SW_PNS1_23onesweep_lookback_stateEbbT6_jjT7_P12ihipStream_tbENKUlT_T0_SK_SP_E_clIPfSE_SF_SF_EEDaS13_S14_SK_SP_EUlS13_E_NS1_11comp_targetILNS1_3genE3ELNS1_11target_archE908ELNS1_3gpuE7ELNS1_3repE0EEENS1_47radix_sort_onesweep_sort_config_static_selectorELNS0_4arch9wavefront6targetE1EEEvSK_.has_recursion, 0
	.set _ZN7rocprim17ROCPRIM_400000_NS6detail17trampoline_kernelINS0_14default_configENS1_35radix_sort_onesweep_config_selectorIfNS0_10empty_typeEEEZZNS1_29radix_sort_onesweep_iterationIS3_Lb0EN6thrust23THRUST_200600_302600_NS6detail15normal_iteratorINS9_10device_ptrIfEEEESE_PS5_SF_jNS0_19identity_decomposerENS1_16block_id_wrapperIjLb1EEEEE10hipError_tT1_PNSt15iterator_traitsISK_E10value_typeET2_T3_PNSL_ISQ_E10value_typeET4_T5_PSV_SW_PNS1_23onesweep_lookback_stateEbbT6_jjT7_P12ihipStream_tbENKUlT_T0_SK_SP_E_clIPfSE_SF_SF_EEDaS13_S14_SK_SP_EUlS13_E_NS1_11comp_targetILNS1_3genE3ELNS1_11target_archE908ELNS1_3gpuE7ELNS1_3repE0EEENS1_47radix_sort_onesweep_sort_config_static_selectorELNS0_4arch9wavefront6targetE1EEEvSK_.has_indirect_call, 0
	.section	.AMDGPU.csdata,"",@progbits
; Kernel info:
; codeLenInByte = 0
; TotalNumSgprs: 6
; NumVgprs: 0
; NumAgprs: 0
; TotalNumVgprs: 0
; ScratchSize: 0
; MemoryBound: 0
; FloatMode: 240
; IeeeMode: 1
; LDSByteSize: 0 bytes/workgroup (compile time only)
; SGPRBlocks: 0
; VGPRBlocks: 0
; NumSGPRsForWavesPerEU: 6
; NumVGPRsForWavesPerEU: 1
; AccumOffset: 4
; Occupancy: 8
; WaveLimiterHint : 0
; COMPUTE_PGM_RSRC2:SCRATCH_EN: 0
; COMPUTE_PGM_RSRC2:USER_SGPR: 2
; COMPUTE_PGM_RSRC2:TRAP_HANDLER: 0
; COMPUTE_PGM_RSRC2:TGID_X_EN: 1
; COMPUTE_PGM_RSRC2:TGID_Y_EN: 0
; COMPUTE_PGM_RSRC2:TGID_Z_EN: 0
; COMPUTE_PGM_RSRC2:TIDIG_COMP_CNT: 0
; COMPUTE_PGM_RSRC3_GFX90A:ACCUM_OFFSET: 0
; COMPUTE_PGM_RSRC3_GFX90A:TG_SPLIT: 0
	.section	.text._ZN7rocprim17ROCPRIM_400000_NS6detail17trampoline_kernelINS0_14default_configENS1_35radix_sort_onesweep_config_selectorIfNS0_10empty_typeEEEZZNS1_29radix_sort_onesweep_iterationIS3_Lb0EN6thrust23THRUST_200600_302600_NS6detail15normal_iteratorINS9_10device_ptrIfEEEESE_PS5_SF_jNS0_19identity_decomposerENS1_16block_id_wrapperIjLb1EEEEE10hipError_tT1_PNSt15iterator_traitsISK_E10value_typeET2_T3_PNSL_ISQ_E10value_typeET4_T5_PSV_SW_PNS1_23onesweep_lookback_stateEbbT6_jjT7_P12ihipStream_tbENKUlT_T0_SK_SP_E_clIPfSE_SF_SF_EEDaS13_S14_SK_SP_EUlS13_E_NS1_11comp_targetILNS1_3genE10ELNS1_11target_archE1201ELNS1_3gpuE5ELNS1_3repE0EEENS1_47radix_sort_onesweep_sort_config_static_selectorELNS0_4arch9wavefront6targetE1EEEvSK_,"axG",@progbits,_ZN7rocprim17ROCPRIM_400000_NS6detail17trampoline_kernelINS0_14default_configENS1_35radix_sort_onesweep_config_selectorIfNS0_10empty_typeEEEZZNS1_29radix_sort_onesweep_iterationIS3_Lb0EN6thrust23THRUST_200600_302600_NS6detail15normal_iteratorINS9_10device_ptrIfEEEESE_PS5_SF_jNS0_19identity_decomposerENS1_16block_id_wrapperIjLb1EEEEE10hipError_tT1_PNSt15iterator_traitsISK_E10value_typeET2_T3_PNSL_ISQ_E10value_typeET4_T5_PSV_SW_PNS1_23onesweep_lookback_stateEbbT6_jjT7_P12ihipStream_tbENKUlT_T0_SK_SP_E_clIPfSE_SF_SF_EEDaS13_S14_SK_SP_EUlS13_E_NS1_11comp_targetILNS1_3genE10ELNS1_11target_archE1201ELNS1_3gpuE5ELNS1_3repE0EEENS1_47radix_sort_onesweep_sort_config_static_selectorELNS0_4arch9wavefront6targetE1EEEvSK_,comdat
	.protected	_ZN7rocprim17ROCPRIM_400000_NS6detail17trampoline_kernelINS0_14default_configENS1_35radix_sort_onesweep_config_selectorIfNS0_10empty_typeEEEZZNS1_29radix_sort_onesweep_iterationIS3_Lb0EN6thrust23THRUST_200600_302600_NS6detail15normal_iteratorINS9_10device_ptrIfEEEESE_PS5_SF_jNS0_19identity_decomposerENS1_16block_id_wrapperIjLb1EEEEE10hipError_tT1_PNSt15iterator_traitsISK_E10value_typeET2_T3_PNSL_ISQ_E10value_typeET4_T5_PSV_SW_PNS1_23onesweep_lookback_stateEbbT6_jjT7_P12ihipStream_tbENKUlT_T0_SK_SP_E_clIPfSE_SF_SF_EEDaS13_S14_SK_SP_EUlS13_E_NS1_11comp_targetILNS1_3genE10ELNS1_11target_archE1201ELNS1_3gpuE5ELNS1_3repE0EEENS1_47radix_sort_onesweep_sort_config_static_selectorELNS0_4arch9wavefront6targetE1EEEvSK_ ; -- Begin function _ZN7rocprim17ROCPRIM_400000_NS6detail17trampoline_kernelINS0_14default_configENS1_35radix_sort_onesweep_config_selectorIfNS0_10empty_typeEEEZZNS1_29radix_sort_onesweep_iterationIS3_Lb0EN6thrust23THRUST_200600_302600_NS6detail15normal_iteratorINS9_10device_ptrIfEEEESE_PS5_SF_jNS0_19identity_decomposerENS1_16block_id_wrapperIjLb1EEEEE10hipError_tT1_PNSt15iterator_traitsISK_E10value_typeET2_T3_PNSL_ISQ_E10value_typeET4_T5_PSV_SW_PNS1_23onesweep_lookback_stateEbbT6_jjT7_P12ihipStream_tbENKUlT_T0_SK_SP_E_clIPfSE_SF_SF_EEDaS13_S14_SK_SP_EUlS13_E_NS1_11comp_targetILNS1_3genE10ELNS1_11target_archE1201ELNS1_3gpuE5ELNS1_3repE0EEENS1_47radix_sort_onesweep_sort_config_static_selectorELNS0_4arch9wavefront6targetE1EEEvSK_
	.globl	_ZN7rocprim17ROCPRIM_400000_NS6detail17trampoline_kernelINS0_14default_configENS1_35radix_sort_onesweep_config_selectorIfNS0_10empty_typeEEEZZNS1_29radix_sort_onesweep_iterationIS3_Lb0EN6thrust23THRUST_200600_302600_NS6detail15normal_iteratorINS9_10device_ptrIfEEEESE_PS5_SF_jNS0_19identity_decomposerENS1_16block_id_wrapperIjLb1EEEEE10hipError_tT1_PNSt15iterator_traitsISK_E10value_typeET2_T3_PNSL_ISQ_E10value_typeET4_T5_PSV_SW_PNS1_23onesweep_lookback_stateEbbT6_jjT7_P12ihipStream_tbENKUlT_T0_SK_SP_E_clIPfSE_SF_SF_EEDaS13_S14_SK_SP_EUlS13_E_NS1_11comp_targetILNS1_3genE10ELNS1_11target_archE1201ELNS1_3gpuE5ELNS1_3repE0EEENS1_47radix_sort_onesweep_sort_config_static_selectorELNS0_4arch9wavefront6targetE1EEEvSK_
	.p2align	8
	.type	_ZN7rocprim17ROCPRIM_400000_NS6detail17trampoline_kernelINS0_14default_configENS1_35radix_sort_onesweep_config_selectorIfNS0_10empty_typeEEEZZNS1_29radix_sort_onesweep_iterationIS3_Lb0EN6thrust23THRUST_200600_302600_NS6detail15normal_iteratorINS9_10device_ptrIfEEEESE_PS5_SF_jNS0_19identity_decomposerENS1_16block_id_wrapperIjLb1EEEEE10hipError_tT1_PNSt15iterator_traitsISK_E10value_typeET2_T3_PNSL_ISQ_E10value_typeET4_T5_PSV_SW_PNS1_23onesweep_lookback_stateEbbT6_jjT7_P12ihipStream_tbENKUlT_T0_SK_SP_E_clIPfSE_SF_SF_EEDaS13_S14_SK_SP_EUlS13_E_NS1_11comp_targetILNS1_3genE10ELNS1_11target_archE1201ELNS1_3gpuE5ELNS1_3repE0EEENS1_47radix_sort_onesweep_sort_config_static_selectorELNS0_4arch9wavefront6targetE1EEEvSK_,@function
_ZN7rocprim17ROCPRIM_400000_NS6detail17trampoline_kernelINS0_14default_configENS1_35radix_sort_onesweep_config_selectorIfNS0_10empty_typeEEEZZNS1_29radix_sort_onesweep_iterationIS3_Lb0EN6thrust23THRUST_200600_302600_NS6detail15normal_iteratorINS9_10device_ptrIfEEEESE_PS5_SF_jNS0_19identity_decomposerENS1_16block_id_wrapperIjLb1EEEEE10hipError_tT1_PNSt15iterator_traitsISK_E10value_typeET2_T3_PNSL_ISQ_E10value_typeET4_T5_PSV_SW_PNS1_23onesweep_lookback_stateEbbT6_jjT7_P12ihipStream_tbENKUlT_T0_SK_SP_E_clIPfSE_SF_SF_EEDaS13_S14_SK_SP_EUlS13_E_NS1_11comp_targetILNS1_3genE10ELNS1_11target_archE1201ELNS1_3gpuE5ELNS1_3repE0EEENS1_47radix_sort_onesweep_sort_config_static_selectorELNS0_4arch9wavefront6targetE1EEEvSK_: ; @_ZN7rocprim17ROCPRIM_400000_NS6detail17trampoline_kernelINS0_14default_configENS1_35radix_sort_onesweep_config_selectorIfNS0_10empty_typeEEEZZNS1_29radix_sort_onesweep_iterationIS3_Lb0EN6thrust23THRUST_200600_302600_NS6detail15normal_iteratorINS9_10device_ptrIfEEEESE_PS5_SF_jNS0_19identity_decomposerENS1_16block_id_wrapperIjLb1EEEEE10hipError_tT1_PNSt15iterator_traitsISK_E10value_typeET2_T3_PNSL_ISQ_E10value_typeET4_T5_PSV_SW_PNS1_23onesweep_lookback_stateEbbT6_jjT7_P12ihipStream_tbENKUlT_T0_SK_SP_E_clIPfSE_SF_SF_EEDaS13_S14_SK_SP_EUlS13_E_NS1_11comp_targetILNS1_3genE10ELNS1_11target_archE1201ELNS1_3gpuE5ELNS1_3repE0EEENS1_47radix_sort_onesweep_sort_config_static_selectorELNS0_4arch9wavefront6targetE1EEEvSK_
; %bb.0:
	.section	.rodata,"a",@progbits
	.p2align	6, 0x0
	.amdhsa_kernel _ZN7rocprim17ROCPRIM_400000_NS6detail17trampoline_kernelINS0_14default_configENS1_35radix_sort_onesweep_config_selectorIfNS0_10empty_typeEEEZZNS1_29radix_sort_onesweep_iterationIS3_Lb0EN6thrust23THRUST_200600_302600_NS6detail15normal_iteratorINS9_10device_ptrIfEEEESE_PS5_SF_jNS0_19identity_decomposerENS1_16block_id_wrapperIjLb1EEEEE10hipError_tT1_PNSt15iterator_traitsISK_E10value_typeET2_T3_PNSL_ISQ_E10value_typeET4_T5_PSV_SW_PNS1_23onesweep_lookback_stateEbbT6_jjT7_P12ihipStream_tbENKUlT_T0_SK_SP_E_clIPfSE_SF_SF_EEDaS13_S14_SK_SP_EUlS13_E_NS1_11comp_targetILNS1_3genE10ELNS1_11target_archE1201ELNS1_3gpuE5ELNS1_3repE0EEENS1_47radix_sort_onesweep_sort_config_static_selectorELNS0_4arch9wavefront6targetE1EEEvSK_
		.amdhsa_group_segment_fixed_size 0
		.amdhsa_private_segment_fixed_size 0
		.amdhsa_kernarg_size 88
		.amdhsa_user_sgpr_count 2
		.amdhsa_user_sgpr_dispatch_ptr 0
		.amdhsa_user_sgpr_queue_ptr 0
		.amdhsa_user_sgpr_kernarg_segment_ptr 1
		.amdhsa_user_sgpr_dispatch_id 0
		.amdhsa_user_sgpr_kernarg_preload_length 0
		.amdhsa_user_sgpr_kernarg_preload_offset 0
		.amdhsa_user_sgpr_private_segment_size 0
		.amdhsa_uses_dynamic_stack 0
		.amdhsa_enable_private_segment 0
		.amdhsa_system_sgpr_workgroup_id_x 1
		.amdhsa_system_sgpr_workgroup_id_y 0
		.amdhsa_system_sgpr_workgroup_id_z 0
		.amdhsa_system_sgpr_workgroup_info 0
		.amdhsa_system_vgpr_workitem_id 0
		.amdhsa_next_free_vgpr 1
		.amdhsa_next_free_sgpr 0
		.amdhsa_accum_offset 4
		.amdhsa_reserve_vcc 0
		.amdhsa_float_round_mode_32 0
		.amdhsa_float_round_mode_16_64 0
		.amdhsa_float_denorm_mode_32 3
		.amdhsa_float_denorm_mode_16_64 3
		.amdhsa_dx10_clamp 1
		.amdhsa_ieee_mode 1
		.amdhsa_fp16_overflow 0
		.amdhsa_tg_split 0
		.amdhsa_exception_fp_ieee_invalid_op 0
		.amdhsa_exception_fp_denorm_src 0
		.amdhsa_exception_fp_ieee_div_zero 0
		.amdhsa_exception_fp_ieee_overflow 0
		.amdhsa_exception_fp_ieee_underflow 0
		.amdhsa_exception_fp_ieee_inexact 0
		.amdhsa_exception_int_div_zero 0
	.end_amdhsa_kernel
	.section	.text._ZN7rocprim17ROCPRIM_400000_NS6detail17trampoline_kernelINS0_14default_configENS1_35radix_sort_onesweep_config_selectorIfNS0_10empty_typeEEEZZNS1_29radix_sort_onesweep_iterationIS3_Lb0EN6thrust23THRUST_200600_302600_NS6detail15normal_iteratorINS9_10device_ptrIfEEEESE_PS5_SF_jNS0_19identity_decomposerENS1_16block_id_wrapperIjLb1EEEEE10hipError_tT1_PNSt15iterator_traitsISK_E10value_typeET2_T3_PNSL_ISQ_E10value_typeET4_T5_PSV_SW_PNS1_23onesweep_lookback_stateEbbT6_jjT7_P12ihipStream_tbENKUlT_T0_SK_SP_E_clIPfSE_SF_SF_EEDaS13_S14_SK_SP_EUlS13_E_NS1_11comp_targetILNS1_3genE10ELNS1_11target_archE1201ELNS1_3gpuE5ELNS1_3repE0EEENS1_47radix_sort_onesweep_sort_config_static_selectorELNS0_4arch9wavefront6targetE1EEEvSK_,"axG",@progbits,_ZN7rocprim17ROCPRIM_400000_NS6detail17trampoline_kernelINS0_14default_configENS1_35radix_sort_onesweep_config_selectorIfNS0_10empty_typeEEEZZNS1_29radix_sort_onesweep_iterationIS3_Lb0EN6thrust23THRUST_200600_302600_NS6detail15normal_iteratorINS9_10device_ptrIfEEEESE_PS5_SF_jNS0_19identity_decomposerENS1_16block_id_wrapperIjLb1EEEEE10hipError_tT1_PNSt15iterator_traitsISK_E10value_typeET2_T3_PNSL_ISQ_E10value_typeET4_T5_PSV_SW_PNS1_23onesweep_lookback_stateEbbT6_jjT7_P12ihipStream_tbENKUlT_T0_SK_SP_E_clIPfSE_SF_SF_EEDaS13_S14_SK_SP_EUlS13_E_NS1_11comp_targetILNS1_3genE10ELNS1_11target_archE1201ELNS1_3gpuE5ELNS1_3repE0EEENS1_47radix_sort_onesweep_sort_config_static_selectorELNS0_4arch9wavefront6targetE1EEEvSK_,comdat
.Lfunc_end583:
	.size	_ZN7rocprim17ROCPRIM_400000_NS6detail17trampoline_kernelINS0_14default_configENS1_35radix_sort_onesweep_config_selectorIfNS0_10empty_typeEEEZZNS1_29radix_sort_onesweep_iterationIS3_Lb0EN6thrust23THRUST_200600_302600_NS6detail15normal_iteratorINS9_10device_ptrIfEEEESE_PS5_SF_jNS0_19identity_decomposerENS1_16block_id_wrapperIjLb1EEEEE10hipError_tT1_PNSt15iterator_traitsISK_E10value_typeET2_T3_PNSL_ISQ_E10value_typeET4_T5_PSV_SW_PNS1_23onesweep_lookback_stateEbbT6_jjT7_P12ihipStream_tbENKUlT_T0_SK_SP_E_clIPfSE_SF_SF_EEDaS13_S14_SK_SP_EUlS13_E_NS1_11comp_targetILNS1_3genE10ELNS1_11target_archE1201ELNS1_3gpuE5ELNS1_3repE0EEENS1_47radix_sort_onesweep_sort_config_static_selectorELNS0_4arch9wavefront6targetE1EEEvSK_, .Lfunc_end583-_ZN7rocprim17ROCPRIM_400000_NS6detail17trampoline_kernelINS0_14default_configENS1_35radix_sort_onesweep_config_selectorIfNS0_10empty_typeEEEZZNS1_29radix_sort_onesweep_iterationIS3_Lb0EN6thrust23THRUST_200600_302600_NS6detail15normal_iteratorINS9_10device_ptrIfEEEESE_PS5_SF_jNS0_19identity_decomposerENS1_16block_id_wrapperIjLb1EEEEE10hipError_tT1_PNSt15iterator_traitsISK_E10value_typeET2_T3_PNSL_ISQ_E10value_typeET4_T5_PSV_SW_PNS1_23onesweep_lookback_stateEbbT6_jjT7_P12ihipStream_tbENKUlT_T0_SK_SP_E_clIPfSE_SF_SF_EEDaS13_S14_SK_SP_EUlS13_E_NS1_11comp_targetILNS1_3genE10ELNS1_11target_archE1201ELNS1_3gpuE5ELNS1_3repE0EEENS1_47radix_sort_onesweep_sort_config_static_selectorELNS0_4arch9wavefront6targetE1EEEvSK_
                                        ; -- End function
	.set _ZN7rocprim17ROCPRIM_400000_NS6detail17trampoline_kernelINS0_14default_configENS1_35radix_sort_onesweep_config_selectorIfNS0_10empty_typeEEEZZNS1_29radix_sort_onesweep_iterationIS3_Lb0EN6thrust23THRUST_200600_302600_NS6detail15normal_iteratorINS9_10device_ptrIfEEEESE_PS5_SF_jNS0_19identity_decomposerENS1_16block_id_wrapperIjLb1EEEEE10hipError_tT1_PNSt15iterator_traitsISK_E10value_typeET2_T3_PNSL_ISQ_E10value_typeET4_T5_PSV_SW_PNS1_23onesweep_lookback_stateEbbT6_jjT7_P12ihipStream_tbENKUlT_T0_SK_SP_E_clIPfSE_SF_SF_EEDaS13_S14_SK_SP_EUlS13_E_NS1_11comp_targetILNS1_3genE10ELNS1_11target_archE1201ELNS1_3gpuE5ELNS1_3repE0EEENS1_47radix_sort_onesweep_sort_config_static_selectorELNS0_4arch9wavefront6targetE1EEEvSK_.num_vgpr, 0
	.set _ZN7rocprim17ROCPRIM_400000_NS6detail17trampoline_kernelINS0_14default_configENS1_35radix_sort_onesweep_config_selectorIfNS0_10empty_typeEEEZZNS1_29radix_sort_onesweep_iterationIS3_Lb0EN6thrust23THRUST_200600_302600_NS6detail15normal_iteratorINS9_10device_ptrIfEEEESE_PS5_SF_jNS0_19identity_decomposerENS1_16block_id_wrapperIjLb1EEEEE10hipError_tT1_PNSt15iterator_traitsISK_E10value_typeET2_T3_PNSL_ISQ_E10value_typeET4_T5_PSV_SW_PNS1_23onesweep_lookback_stateEbbT6_jjT7_P12ihipStream_tbENKUlT_T0_SK_SP_E_clIPfSE_SF_SF_EEDaS13_S14_SK_SP_EUlS13_E_NS1_11comp_targetILNS1_3genE10ELNS1_11target_archE1201ELNS1_3gpuE5ELNS1_3repE0EEENS1_47radix_sort_onesweep_sort_config_static_selectorELNS0_4arch9wavefront6targetE1EEEvSK_.num_agpr, 0
	.set _ZN7rocprim17ROCPRIM_400000_NS6detail17trampoline_kernelINS0_14default_configENS1_35radix_sort_onesweep_config_selectorIfNS0_10empty_typeEEEZZNS1_29radix_sort_onesweep_iterationIS3_Lb0EN6thrust23THRUST_200600_302600_NS6detail15normal_iteratorINS9_10device_ptrIfEEEESE_PS5_SF_jNS0_19identity_decomposerENS1_16block_id_wrapperIjLb1EEEEE10hipError_tT1_PNSt15iterator_traitsISK_E10value_typeET2_T3_PNSL_ISQ_E10value_typeET4_T5_PSV_SW_PNS1_23onesweep_lookback_stateEbbT6_jjT7_P12ihipStream_tbENKUlT_T0_SK_SP_E_clIPfSE_SF_SF_EEDaS13_S14_SK_SP_EUlS13_E_NS1_11comp_targetILNS1_3genE10ELNS1_11target_archE1201ELNS1_3gpuE5ELNS1_3repE0EEENS1_47radix_sort_onesweep_sort_config_static_selectorELNS0_4arch9wavefront6targetE1EEEvSK_.numbered_sgpr, 0
	.set _ZN7rocprim17ROCPRIM_400000_NS6detail17trampoline_kernelINS0_14default_configENS1_35radix_sort_onesweep_config_selectorIfNS0_10empty_typeEEEZZNS1_29radix_sort_onesweep_iterationIS3_Lb0EN6thrust23THRUST_200600_302600_NS6detail15normal_iteratorINS9_10device_ptrIfEEEESE_PS5_SF_jNS0_19identity_decomposerENS1_16block_id_wrapperIjLb1EEEEE10hipError_tT1_PNSt15iterator_traitsISK_E10value_typeET2_T3_PNSL_ISQ_E10value_typeET4_T5_PSV_SW_PNS1_23onesweep_lookback_stateEbbT6_jjT7_P12ihipStream_tbENKUlT_T0_SK_SP_E_clIPfSE_SF_SF_EEDaS13_S14_SK_SP_EUlS13_E_NS1_11comp_targetILNS1_3genE10ELNS1_11target_archE1201ELNS1_3gpuE5ELNS1_3repE0EEENS1_47radix_sort_onesweep_sort_config_static_selectorELNS0_4arch9wavefront6targetE1EEEvSK_.num_named_barrier, 0
	.set _ZN7rocprim17ROCPRIM_400000_NS6detail17trampoline_kernelINS0_14default_configENS1_35radix_sort_onesweep_config_selectorIfNS0_10empty_typeEEEZZNS1_29radix_sort_onesweep_iterationIS3_Lb0EN6thrust23THRUST_200600_302600_NS6detail15normal_iteratorINS9_10device_ptrIfEEEESE_PS5_SF_jNS0_19identity_decomposerENS1_16block_id_wrapperIjLb1EEEEE10hipError_tT1_PNSt15iterator_traitsISK_E10value_typeET2_T3_PNSL_ISQ_E10value_typeET4_T5_PSV_SW_PNS1_23onesweep_lookback_stateEbbT6_jjT7_P12ihipStream_tbENKUlT_T0_SK_SP_E_clIPfSE_SF_SF_EEDaS13_S14_SK_SP_EUlS13_E_NS1_11comp_targetILNS1_3genE10ELNS1_11target_archE1201ELNS1_3gpuE5ELNS1_3repE0EEENS1_47radix_sort_onesweep_sort_config_static_selectorELNS0_4arch9wavefront6targetE1EEEvSK_.private_seg_size, 0
	.set _ZN7rocprim17ROCPRIM_400000_NS6detail17trampoline_kernelINS0_14default_configENS1_35radix_sort_onesweep_config_selectorIfNS0_10empty_typeEEEZZNS1_29radix_sort_onesweep_iterationIS3_Lb0EN6thrust23THRUST_200600_302600_NS6detail15normal_iteratorINS9_10device_ptrIfEEEESE_PS5_SF_jNS0_19identity_decomposerENS1_16block_id_wrapperIjLb1EEEEE10hipError_tT1_PNSt15iterator_traitsISK_E10value_typeET2_T3_PNSL_ISQ_E10value_typeET4_T5_PSV_SW_PNS1_23onesweep_lookback_stateEbbT6_jjT7_P12ihipStream_tbENKUlT_T0_SK_SP_E_clIPfSE_SF_SF_EEDaS13_S14_SK_SP_EUlS13_E_NS1_11comp_targetILNS1_3genE10ELNS1_11target_archE1201ELNS1_3gpuE5ELNS1_3repE0EEENS1_47radix_sort_onesweep_sort_config_static_selectorELNS0_4arch9wavefront6targetE1EEEvSK_.uses_vcc, 0
	.set _ZN7rocprim17ROCPRIM_400000_NS6detail17trampoline_kernelINS0_14default_configENS1_35radix_sort_onesweep_config_selectorIfNS0_10empty_typeEEEZZNS1_29radix_sort_onesweep_iterationIS3_Lb0EN6thrust23THRUST_200600_302600_NS6detail15normal_iteratorINS9_10device_ptrIfEEEESE_PS5_SF_jNS0_19identity_decomposerENS1_16block_id_wrapperIjLb1EEEEE10hipError_tT1_PNSt15iterator_traitsISK_E10value_typeET2_T3_PNSL_ISQ_E10value_typeET4_T5_PSV_SW_PNS1_23onesweep_lookback_stateEbbT6_jjT7_P12ihipStream_tbENKUlT_T0_SK_SP_E_clIPfSE_SF_SF_EEDaS13_S14_SK_SP_EUlS13_E_NS1_11comp_targetILNS1_3genE10ELNS1_11target_archE1201ELNS1_3gpuE5ELNS1_3repE0EEENS1_47radix_sort_onesweep_sort_config_static_selectorELNS0_4arch9wavefront6targetE1EEEvSK_.uses_flat_scratch, 0
	.set _ZN7rocprim17ROCPRIM_400000_NS6detail17trampoline_kernelINS0_14default_configENS1_35radix_sort_onesweep_config_selectorIfNS0_10empty_typeEEEZZNS1_29radix_sort_onesweep_iterationIS3_Lb0EN6thrust23THRUST_200600_302600_NS6detail15normal_iteratorINS9_10device_ptrIfEEEESE_PS5_SF_jNS0_19identity_decomposerENS1_16block_id_wrapperIjLb1EEEEE10hipError_tT1_PNSt15iterator_traitsISK_E10value_typeET2_T3_PNSL_ISQ_E10value_typeET4_T5_PSV_SW_PNS1_23onesweep_lookback_stateEbbT6_jjT7_P12ihipStream_tbENKUlT_T0_SK_SP_E_clIPfSE_SF_SF_EEDaS13_S14_SK_SP_EUlS13_E_NS1_11comp_targetILNS1_3genE10ELNS1_11target_archE1201ELNS1_3gpuE5ELNS1_3repE0EEENS1_47radix_sort_onesweep_sort_config_static_selectorELNS0_4arch9wavefront6targetE1EEEvSK_.has_dyn_sized_stack, 0
	.set _ZN7rocprim17ROCPRIM_400000_NS6detail17trampoline_kernelINS0_14default_configENS1_35radix_sort_onesweep_config_selectorIfNS0_10empty_typeEEEZZNS1_29radix_sort_onesweep_iterationIS3_Lb0EN6thrust23THRUST_200600_302600_NS6detail15normal_iteratorINS9_10device_ptrIfEEEESE_PS5_SF_jNS0_19identity_decomposerENS1_16block_id_wrapperIjLb1EEEEE10hipError_tT1_PNSt15iterator_traitsISK_E10value_typeET2_T3_PNSL_ISQ_E10value_typeET4_T5_PSV_SW_PNS1_23onesweep_lookback_stateEbbT6_jjT7_P12ihipStream_tbENKUlT_T0_SK_SP_E_clIPfSE_SF_SF_EEDaS13_S14_SK_SP_EUlS13_E_NS1_11comp_targetILNS1_3genE10ELNS1_11target_archE1201ELNS1_3gpuE5ELNS1_3repE0EEENS1_47radix_sort_onesweep_sort_config_static_selectorELNS0_4arch9wavefront6targetE1EEEvSK_.has_recursion, 0
	.set _ZN7rocprim17ROCPRIM_400000_NS6detail17trampoline_kernelINS0_14default_configENS1_35radix_sort_onesweep_config_selectorIfNS0_10empty_typeEEEZZNS1_29radix_sort_onesweep_iterationIS3_Lb0EN6thrust23THRUST_200600_302600_NS6detail15normal_iteratorINS9_10device_ptrIfEEEESE_PS5_SF_jNS0_19identity_decomposerENS1_16block_id_wrapperIjLb1EEEEE10hipError_tT1_PNSt15iterator_traitsISK_E10value_typeET2_T3_PNSL_ISQ_E10value_typeET4_T5_PSV_SW_PNS1_23onesweep_lookback_stateEbbT6_jjT7_P12ihipStream_tbENKUlT_T0_SK_SP_E_clIPfSE_SF_SF_EEDaS13_S14_SK_SP_EUlS13_E_NS1_11comp_targetILNS1_3genE10ELNS1_11target_archE1201ELNS1_3gpuE5ELNS1_3repE0EEENS1_47radix_sort_onesweep_sort_config_static_selectorELNS0_4arch9wavefront6targetE1EEEvSK_.has_indirect_call, 0
	.section	.AMDGPU.csdata,"",@progbits
; Kernel info:
; codeLenInByte = 0
; TotalNumSgprs: 6
; NumVgprs: 0
; NumAgprs: 0
; TotalNumVgprs: 0
; ScratchSize: 0
; MemoryBound: 0
; FloatMode: 240
; IeeeMode: 1
; LDSByteSize: 0 bytes/workgroup (compile time only)
; SGPRBlocks: 0
; VGPRBlocks: 0
; NumSGPRsForWavesPerEU: 6
; NumVGPRsForWavesPerEU: 1
; AccumOffset: 4
; Occupancy: 8
; WaveLimiterHint : 0
; COMPUTE_PGM_RSRC2:SCRATCH_EN: 0
; COMPUTE_PGM_RSRC2:USER_SGPR: 2
; COMPUTE_PGM_RSRC2:TRAP_HANDLER: 0
; COMPUTE_PGM_RSRC2:TGID_X_EN: 1
; COMPUTE_PGM_RSRC2:TGID_Y_EN: 0
; COMPUTE_PGM_RSRC2:TGID_Z_EN: 0
; COMPUTE_PGM_RSRC2:TIDIG_COMP_CNT: 0
; COMPUTE_PGM_RSRC3_GFX90A:ACCUM_OFFSET: 0
; COMPUTE_PGM_RSRC3_GFX90A:TG_SPLIT: 0
	.section	.text._ZN7rocprim17ROCPRIM_400000_NS6detail17trampoline_kernelINS0_14default_configENS1_35radix_sort_onesweep_config_selectorIfNS0_10empty_typeEEEZZNS1_29radix_sort_onesweep_iterationIS3_Lb0EN6thrust23THRUST_200600_302600_NS6detail15normal_iteratorINS9_10device_ptrIfEEEESE_PS5_SF_jNS0_19identity_decomposerENS1_16block_id_wrapperIjLb1EEEEE10hipError_tT1_PNSt15iterator_traitsISK_E10value_typeET2_T3_PNSL_ISQ_E10value_typeET4_T5_PSV_SW_PNS1_23onesweep_lookback_stateEbbT6_jjT7_P12ihipStream_tbENKUlT_T0_SK_SP_E_clIPfSE_SF_SF_EEDaS13_S14_SK_SP_EUlS13_E_NS1_11comp_targetILNS1_3genE9ELNS1_11target_archE1100ELNS1_3gpuE3ELNS1_3repE0EEENS1_47radix_sort_onesweep_sort_config_static_selectorELNS0_4arch9wavefront6targetE1EEEvSK_,"axG",@progbits,_ZN7rocprim17ROCPRIM_400000_NS6detail17trampoline_kernelINS0_14default_configENS1_35radix_sort_onesweep_config_selectorIfNS0_10empty_typeEEEZZNS1_29radix_sort_onesweep_iterationIS3_Lb0EN6thrust23THRUST_200600_302600_NS6detail15normal_iteratorINS9_10device_ptrIfEEEESE_PS5_SF_jNS0_19identity_decomposerENS1_16block_id_wrapperIjLb1EEEEE10hipError_tT1_PNSt15iterator_traitsISK_E10value_typeET2_T3_PNSL_ISQ_E10value_typeET4_T5_PSV_SW_PNS1_23onesweep_lookback_stateEbbT6_jjT7_P12ihipStream_tbENKUlT_T0_SK_SP_E_clIPfSE_SF_SF_EEDaS13_S14_SK_SP_EUlS13_E_NS1_11comp_targetILNS1_3genE9ELNS1_11target_archE1100ELNS1_3gpuE3ELNS1_3repE0EEENS1_47radix_sort_onesweep_sort_config_static_selectorELNS0_4arch9wavefront6targetE1EEEvSK_,comdat
	.protected	_ZN7rocprim17ROCPRIM_400000_NS6detail17trampoline_kernelINS0_14default_configENS1_35radix_sort_onesweep_config_selectorIfNS0_10empty_typeEEEZZNS1_29radix_sort_onesweep_iterationIS3_Lb0EN6thrust23THRUST_200600_302600_NS6detail15normal_iteratorINS9_10device_ptrIfEEEESE_PS5_SF_jNS0_19identity_decomposerENS1_16block_id_wrapperIjLb1EEEEE10hipError_tT1_PNSt15iterator_traitsISK_E10value_typeET2_T3_PNSL_ISQ_E10value_typeET4_T5_PSV_SW_PNS1_23onesweep_lookback_stateEbbT6_jjT7_P12ihipStream_tbENKUlT_T0_SK_SP_E_clIPfSE_SF_SF_EEDaS13_S14_SK_SP_EUlS13_E_NS1_11comp_targetILNS1_3genE9ELNS1_11target_archE1100ELNS1_3gpuE3ELNS1_3repE0EEENS1_47radix_sort_onesweep_sort_config_static_selectorELNS0_4arch9wavefront6targetE1EEEvSK_ ; -- Begin function _ZN7rocprim17ROCPRIM_400000_NS6detail17trampoline_kernelINS0_14default_configENS1_35radix_sort_onesweep_config_selectorIfNS0_10empty_typeEEEZZNS1_29radix_sort_onesweep_iterationIS3_Lb0EN6thrust23THRUST_200600_302600_NS6detail15normal_iteratorINS9_10device_ptrIfEEEESE_PS5_SF_jNS0_19identity_decomposerENS1_16block_id_wrapperIjLb1EEEEE10hipError_tT1_PNSt15iterator_traitsISK_E10value_typeET2_T3_PNSL_ISQ_E10value_typeET4_T5_PSV_SW_PNS1_23onesweep_lookback_stateEbbT6_jjT7_P12ihipStream_tbENKUlT_T0_SK_SP_E_clIPfSE_SF_SF_EEDaS13_S14_SK_SP_EUlS13_E_NS1_11comp_targetILNS1_3genE9ELNS1_11target_archE1100ELNS1_3gpuE3ELNS1_3repE0EEENS1_47radix_sort_onesweep_sort_config_static_selectorELNS0_4arch9wavefront6targetE1EEEvSK_
	.globl	_ZN7rocprim17ROCPRIM_400000_NS6detail17trampoline_kernelINS0_14default_configENS1_35radix_sort_onesweep_config_selectorIfNS0_10empty_typeEEEZZNS1_29radix_sort_onesweep_iterationIS3_Lb0EN6thrust23THRUST_200600_302600_NS6detail15normal_iteratorINS9_10device_ptrIfEEEESE_PS5_SF_jNS0_19identity_decomposerENS1_16block_id_wrapperIjLb1EEEEE10hipError_tT1_PNSt15iterator_traitsISK_E10value_typeET2_T3_PNSL_ISQ_E10value_typeET4_T5_PSV_SW_PNS1_23onesweep_lookback_stateEbbT6_jjT7_P12ihipStream_tbENKUlT_T0_SK_SP_E_clIPfSE_SF_SF_EEDaS13_S14_SK_SP_EUlS13_E_NS1_11comp_targetILNS1_3genE9ELNS1_11target_archE1100ELNS1_3gpuE3ELNS1_3repE0EEENS1_47radix_sort_onesweep_sort_config_static_selectorELNS0_4arch9wavefront6targetE1EEEvSK_
	.p2align	8
	.type	_ZN7rocprim17ROCPRIM_400000_NS6detail17trampoline_kernelINS0_14default_configENS1_35radix_sort_onesweep_config_selectorIfNS0_10empty_typeEEEZZNS1_29radix_sort_onesweep_iterationIS3_Lb0EN6thrust23THRUST_200600_302600_NS6detail15normal_iteratorINS9_10device_ptrIfEEEESE_PS5_SF_jNS0_19identity_decomposerENS1_16block_id_wrapperIjLb1EEEEE10hipError_tT1_PNSt15iterator_traitsISK_E10value_typeET2_T3_PNSL_ISQ_E10value_typeET4_T5_PSV_SW_PNS1_23onesweep_lookback_stateEbbT6_jjT7_P12ihipStream_tbENKUlT_T0_SK_SP_E_clIPfSE_SF_SF_EEDaS13_S14_SK_SP_EUlS13_E_NS1_11comp_targetILNS1_3genE9ELNS1_11target_archE1100ELNS1_3gpuE3ELNS1_3repE0EEENS1_47radix_sort_onesweep_sort_config_static_selectorELNS0_4arch9wavefront6targetE1EEEvSK_,@function
_ZN7rocprim17ROCPRIM_400000_NS6detail17trampoline_kernelINS0_14default_configENS1_35radix_sort_onesweep_config_selectorIfNS0_10empty_typeEEEZZNS1_29radix_sort_onesweep_iterationIS3_Lb0EN6thrust23THRUST_200600_302600_NS6detail15normal_iteratorINS9_10device_ptrIfEEEESE_PS5_SF_jNS0_19identity_decomposerENS1_16block_id_wrapperIjLb1EEEEE10hipError_tT1_PNSt15iterator_traitsISK_E10value_typeET2_T3_PNSL_ISQ_E10value_typeET4_T5_PSV_SW_PNS1_23onesweep_lookback_stateEbbT6_jjT7_P12ihipStream_tbENKUlT_T0_SK_SP_E_clIPfSE_SF_SF_EEDaS13_S14_SK_SP_EUlS13_E_NS1_11comp_targetILNS1_3genE9ELNS1_11target_archE1100ELNS1_3gpuE3ELNS1_3repE0EEENS1_47radix_sort_onesweep_sort_config_static_selectorELNS0_4arch9wavefront6targetE1EEEvSK_: ; @_ZN7rocprim17ROCPRIM_400000_NS6detail17trampoline_kernelINS0_14default_configENS1_35radix_sort_onesweep_config_selectorIfNS0_10empty_typeEEEZZNS1_29radix_sort_onesweep_iterationIS3_Lb0EN6thrust23THRUST_200600_302600_NS6detail15normal_iteratorINS9_10device_ptrIfEEEESE_PS5_SF_jNS0_19identity_decomposerENS1_16block_id_wrapperIjLb1EEEEE10hipError_tT1_PNSt15iterator_traitsISK_E10value_typeET2_T3_PNSL_ISQ_E10value_typeET4_T5_PSV_SW_PNS1_23onesweep_lookback_stateEbbT6_jjT7_P12ihipStream_tbENKUlT_T0_SK_SP_E_clIPfSE_SF_SF_EEDaS13_S14_SK_SP_EUlS13_E_NS1_11comp_targetILNS1_3genE9ELNS1_11target_archE1100ELNS1_3gpuE3ELNS1_3repE0EEENS1_47radix_sort_onesweep_sort_config_static_selectorELNS0_4arch9wavefront6targetE1EEEvSK_
; %bb.0:
	.section	.rodata,"a",@progbits
	.p2align	6, 0x0
	.amdhsa_kernel _ZN7rocprim17ROCPRIM_400000_NS6detail17trampoline_kernelINS0_14default_configENS1_35radix_sort_onesweep_config_selectorIfNS0_10empty_typeEEEZZNS1_29radix_sort_onesweep_iterationIS3_Lb0EN6thrust23THRUST_200600_302600_NS6detail15normal_iteratorINS9_10device_ptrIfEEEESE_PS5_SF_jNS0_19identity_decomposerENS1_16block_id_wrapperIjLb1EEEEE10hipError_tT1_PNSt15iterator_traitsISK_E10value_typeET2_T3_PNSL_ISQ_E10value_typeET4_T5_PSV_SW_PNS1_23onesweep_lookback_stateEbbT6_jjT7_P12ihipStream_tbENKUlT_T0_SK_SP_E_clIPfSE_SF_SF_EEDaS13_S14_SK_SP_EUlS13_E_NS1_11comp_targetILNS1_3genE9ELNS1_11target_archE1100ELNS1_3gpuE3ELNS1_3repE0EEENS1_47radix_sort_onesweep_sort_config_static_selectorELNS0_4arch9wavefront6targetE1EEEvSK_
		.amdhsa_group_segment_fixed_size 0
		.amdhsa_private_segment_fixed_size 0
		.amdhsa_kernarg_size 88
		.amdhsa_user_sgpr_count 2
		.amdhsa_user_sgpr_dispatch_ptr 0
		.amdhsa_user_sgpr_queue_ptr 0
		.amdhsa_user_sgpr_kernarg_segment_ptr 1
		.amdhsa_user_sgpr_dispatch_id 0
		.amdhsa_user_sgpr_kernarg_preload_length 0
		.amdhsa_user_sgpr_kernarg_preload_offset 0
		.amdhsa_user_sgpr_private_segment_size 0
		.amdhsa_uses_dynamic_stack 0
		.amdhsa_enable_private_segment 0
		.amdhsa_system_sgpr_workgroup_id_x 1
		.amdhsa_system_sgpr_workgroup_id_y 0
		.amdhsa_system_sgpr_workgroup_id_z 0
		.amdhsa_system_sgpr_workgroup_info 0
		.amdhsa_system_vgpr_workitem_id 0
		.amdhsa_next_free_vgpr 1
		.amdhsa_next_free_sgpr 0
		.amdhsa_accum_offset 4
		.amdhsa_reserve_vcc 0
		.amdhsa_float_round_mode_32 0
		.amdhsa_float_round_mode_16_64 0
		.amdhsa_float_denorm_mode_32 3
		.amdhsa_float_denorm_mode_16_64 3
		.amdhsa_dx10_clamp 1
		.amdhsa_ieee_mode 1
		.amdhsa_fp16_overflow 0
		.amdhsa_tg_split 0
		.amdhsa_exception_fp_ieee_invalid_op 0
		.amdhsa_exception_fp_denorm_src 0
		.amdhsa_exception_fp_ieee_div_zero 0
		.amdhsa_exception_fp_ieee_overflow 0
		.amdhsa_exception_fp_ieee_underflow 0
		.amdhsa_exception_fp_ieee_inexact 0
		.amdhsa_exception_int_div_zero 0
	.end_amdhsa_kernel
	.section	.text._ZN7rocprim17ROCPRIM_400000_NS6detail17trampoline_kernelINS0_14default_configENS1_35radix_sort_onesweep_config_selectorIfNS0_10empty_typeEEEZZNS1_29radix_sort_onesweep_iterationIS3_Lb0EN6thrust23THRUST_200600_302600_NS6detail15normal_iteratorINS9_10device_ptrIfEEEESE_PS5_SF_jNS0_19identity_decomposerENS1_16block_id_wrapperIjLb1EEEEE10hipError_tT1_PNSt15iterator_traitsISK_E10value_typeET2_T3_PNSL_ISQ_E10value_typeET4_T5_PSV_SW_PNS1_23onesweep_lookback_stateEbbT6_jjT7_P12ihipStream_tbENKUlT_T0_SK_SP_E_clIPfSE_SF_SF_EEDaS13_S14_SK_SP_EUlS13_E_NS1_11comp_targetILNS1_3genE9ELNS1_11target_archE1100ELNS1_3gpuE3ELNS1_3repE0EEENS1_47radix_sort_onesweep_sort_config_static_selectorELNS0_4arch9wavefront6targetE1EEEvSK_,"axG",@progbits,_ZN7rocprim17ROCPRIM_400000_NS6detail17trampoline_kernelINS0_14default_configENS1_35radix_sort_onesweep_config_selectorIfNS0_10empty_typeEEEZZNS1_29radix_sort_onesweep_iterationIS3_Lb0EN6thrust23THRUST_200600_302600_NS6detail15normal_iteratorINS9_10device_ptrIfEEEESE_PS5_SF_jNS0_19identity_decomposerENS1_16block_id_wrapperIjLb1EEEEE10hipError_tT1_PNSt15iterator_traitsISK_E10value_typeET2_T3_PNSL_ISQ_E10value_typeET4_T5_PSV_SW_PNS1_23onesweep_lookback_stateEbbT6_jjT7_P12ihipStream_tbENKUlT_T0_SK_SP_E_clIPfSE_SF_SF_EEDaS13_S14_SK_SP_EUlS13_E_NS1_11comp_targetILNS1_3genE9ELNS1_11target_archE1100ELNS1_3gpuE3ELNS1_3repE0EEENS1_47radix_sort_onesweep_sort_config_static_selectorELNS0_4arch9wavefront6targetE1EEEvSK_,comdat
.Lfunc_end584:
	.size	_ZN7rocprim17ROCPRIM_400000_NS6detail17trampoline_kernelINS0_14default_configENS1_35radix_sort_onesweep_config_selectorIfNS0_10empty_typeEEEZZNS1_29radix_sort_onesweep_iterationIS3_Lb0EN6thrust23THRUST_200600_302600_NS6detail15normal_iteratorINS9_10device_ptrIfEEEESE_PS5_SF_jNS0_19identity_decomposerENS1_16block_id_wrapperIjLb1EEEEE10hipError_tT1_PNSt15iterator_traitsISK_E10value_typeET2_T3_PNSL_ISQ_E10value_typeET4_T5_PSV_SW_PNS1_23onesweep_lookback_stateEbbT6_jjT7_P12ihipStream_tbENKUlT_T0_SK_SP_E_clIPfSE_SF_SF_EEDaS13_S14_SK_SP_EUlS13_E_NS1_11comp_targetILNS1_3genE9ELNS1_11target_archE1100ELNS1_3gpuE3ELNS1_3repE0EEENS1_47radix_sort_onesweep_sort_config_static_selectorELNS0_4arch9wavefront6targetE1EEEvSK_, .Lfunc_end584-_ZN7rocprim17ROCPRIM_400000_NS6detail17trampoline_kernelINS0_14default_configENS1_35radix_sort_onesweep_config_selectorIfNS0_10empty_typeEEEZZNS1_29radix_sort_onesweep_iterationIS3_Lb0EN6thrust23THRUST_200600_302600_NS6detail15normal_iteratorINS9_10device_ptrIfEEEESE_PS5_SF_jNS0_19identity_decomposerENS1_16block_id_wrapperIjLb1EEEEE10hipError_tT1_PNSt15iterator_traitsISK_E10value_typeET2_T3_PNSL_ISQ_E10value_typeET4_T5_PSV_SW_PNS1_23onesweep_lookback_stateEbbT6_jjT7_P12ihipStream_tbENKUlT_T0_SK_SP_E_clIPfSE_SF_SF_EEDaS13_S14_SK_SP_EUlS13_E_NS1_11comp_targetILNS1_3genE9ELNS1_11target_archE1100ELNS1_3gpuE3ELNS1_3repE0EEENS1_47radix_sort_onesweep_sort_config_static_selectorELNS0_4arch9wavefront6targetE1EEEvSK_
                                        ; -- End function
	.set _ZN7rocprim17ROCPRIM_400000_NS6detail17trampoline_kernelINS0_14default_configENS1_35radix_sort_onesweep_config_selectorIfNS0_10empty_typeEEEZZNS1_29radix_sort_onesweep_iterationIS3_Lb0EN6thrust23THRUST_200600_302600_NS6detail15normal_iteratorINS9_10device_ptrIfEEEESE_PS5_SF_jNS0_19identity_decomposerENS1_16block_id_wrapperIjLb1EEEEE10hipError_tT1_PNSt15iterator_traitsISK_E10value_typeET2_T3_PNSL_ISQ_E10value_typeET4_T5_PSV_SW_PNS1_23onesweep_lookback_stateEbbT6_jjT7_P12ihipStream_tbENKUlT_T0_SK_SP_E_clIPfSE_SF_SF_EEDaS13_S14_SK_SP_EUlS13_E_NS1_11comp_targetILNS1_3genE9ELNS1_11target_archE1100ELNS1_3gpuE3ELNS1_3repE0EEENS1_47radix_sort_onesweep_sort_config_static_selectorELNS0_4arch9wavefront6targetE1EEEvSK_.num_vgpr, 0
	.set _ZN7rocprim17ROCPRIM_400000_NS6detail17trampoline_kernelINS0_14default_configENS1_35radix_sort_onesweep_config_selectorIfNS0_10empty_typeEEEZZNS1_29radix_sort_onesweep_iterationIS3_Lb0EN6thrust23THRUST_200600_302600_NS6detail15normal_iteratorINS9_10device_ptrIfEEEESE_PS5_SF_jNS0_19identity_decomposerENS1_16block_id_wrapperIjLb1EEEEE10hipError_tT1_PNSt15iterator_traitsISK_E10value_typeET2_T3_PNSL_ISQ_E10value_typeET4_T5_PSV_SW_PNS1_23onesweep_lookback_stateEbbT6_jjT7_P12ihipStream_tbENKUlT_T0_SK_SP_E_clIPfSE_SF_SF_EEDaS13_S14_SK_SP_EUlS13_E_NS1_11comp_targetILNS1_3genE9ELNS1_11target_archE1100ELNS1_3gpuE3ELNS1_3repE0EEENS1_47radix_sort_onesweep_sort_config_static_selectorELNS0_4arch9wavefront6targetE1EEEvSK_.num_agpr, 0
	.set _ZN7rocprim17ROCPRIM_400000_NS6detail17trampoline_kernelINS0_14default_configENS1_35radix_sort_onesweep_config_selectorIfNS0_10empty_typeEEEZZNS1_29radix_sort_onesweep_iterationIS3_Lb0EN6thrust23THRUST_200600_302600_NS6detail15normal_iteratorINS9_10device_ptrIfEEEESE_PS5_SF_jNS0_19identity_decomposerENS1_16block_id_wrapperIjLb1EEEEE10hipError_tT1_PNSt15iterator_traitsISK_E10value_typeET2_T3_PNSL_ISQ_E10value_typeET4_T5_PSV_SW_PNS1_23onesweep_lookback_stateEbbT6_jjT7_P12ihipStream_tbENKUlT_T0_SK_SP_E_clIPfSE_SF_SF_EEDaS13_S14_SK_SP_EUlS13_E_NS1_11comp_targetILNS1_3genE9ELNS1_11target_archE1100ELNS1_3gpuE3ELNS1_3repE0EEENS1_47radix_sort_onesweep_sort_config_static_selectorELNS0_4arch9wavefront6targetE1EEEvSK_.numbered_sgpr, 0
	.set _ZN7rocprim17ROCPRIM_400000_NS6detail17trampoline_kernelINS0_14default_configENS1_35radix_sort_onesweep_config_selectorIfNS0_10empty_typeEEEZZNS1_29radix_sort_onesweep_iterationIS3_Lb0EN6thrust23THRUST_200600_302600_NS6detail15normal_iteratorINS9_10device_ptrIfEEEESE_PS5_SF_jNS0_19identity_decomposerENS1_16block_id_wrapperIjLb1EEEEE10hipError_tT1_PNSt15iterator_traitsISK_E10value_typeET2_T3_PNSL_ISQ_E10value_typeET4_T5_PSV_SW_PNS1_23onesweep_lookback_stateEbbT6_jjT7_P12ihipStream_tbENKUlT_T0_SK_SP_E_clIPfSE_SF_SF_EEDaS13_S14_SK_SP_EUlS13_E_NS1_11comp_targetILNS1_3genE9ELNS1_11target_archE1100ELNS1_3gpuE3ELNS1_3repE0EEENS1_47radix_sort_onesweep_sort_config_static_selectorELNS0_4arch9wavefront6targetE1EEEvSK_.num_named_barrier, 0
	.set _ZN7rocprim17ROCPRIM_400000_NS6detail17trampoline_kernelINS0_14default_configENS1_35radix_sort_onesweep_config_selectorIfNS0_10empty_typeEEEZZNS1_29radix_sort_onesweep_iterationIS3_Lb0EN6thrust23THRUST_200600_302600_NS6detail15normal_iteratorINS9_10device_ptrIfEEEESE_PS5_SF_jNS0_19identity_decomposerENS1_16block_id_wrapperIjLb1EEEEE10hipError_tT1_PNSt15iterator_traitsISK_E10value_typeET2_T3_PNSL_ISQ_E10value_typeET4_T5_PSV_SW_PNS1_23onesweep_lookback_stateEbbT6_jjT7_P12ihipStream_tbENKUlT_T0_SK_SP_E_clIPfSE_SF_SF_EEDaS13_S14_SK_SP_EUlS13_E_NS1_11comp_targetILNS1_3genE9ELNS1_11target_archE1100ELNS1_3gpuE3ELNS1_3repE0EEENS1_47radix_sort_onesweep_sort_config_static_selectorELNS0_4arch9wavefront6targetE1EEEvSK_.private_seg_size, 0
	.set _ZN7rocprim17ROCPRIM_400000_NS6detail17trampoline_kernelINS0_14default_configENS1_35radix_sort_onesweep_config_selectorIfNS0_10empty_typeEEEZZNS1_29radix_sort_onesweep_iterationIS3_Lb0EN6thrust23THRUST_200600_302600_NS6detail15normal_iteratorINS9_10device_ptrIfEEEESE_PS5_SF_jNS0_19identity_decomposerENS1_16block_id_wrapperIjLb1EEEEE10hipError_tT1_PNSt15iterator_traitsISK_E10value_typeET2_T3_PNSL_ISQ_E10value_typeET4_T5_PSV_SW_PNS1_23onesweep_lookback_stateEbbT6_jjT7_P12ihipStream_tbENKUlT_T0_SK_SP_E_clIPfSE_SF_SF_EEDaS13_S14_SK_SP_EUlS13_E_NS1_11comp_targetILNS1_3genE9ELNS1_11target_archE1100ELNS1_3gpuE3ELNS1_3repE0EEENS1_47radix_sort_onesweep_sort_config_static_selectorELNS0_4arch9wavefront6targetE1EEEvSK_.uses_vcc, 0
	.set _ZN7rocprim17ROCPRIM_400000_NS6detail17trampoline_kernelINS0_14default_configENS1_35radix_sort_onesweep_config_selectorIfNS0_10empty_typeEEEZZNS1_29radix_sort_onesweep_iterationIS3_Lb0EN6thrust23THRUST_200600_302600_NS6detail15normal_iteratorINS9_10device_ptrIfEEEESE_PS5_SF_jNS0_19identity_decomposerENS1_16block_id_wrapperIjLb1EEEEE10hipError_tT1_PNSt15iterator_traitsISK_E10value_typeET2_T3_PNSL_ISQ_E10value_typeET4_T5_PSV_SW_PNS1_23onesweep_lookback_stateEbbT6_jjT7_P12ihipStream_tbENKUlT_T0_SK_SP_E_clIPfSE_SF_SF_EEDaS13_S14_SK_SP_EUlS13_E_NS1_11comp_targetILNS1_3genE9ELNS1_11target_archE1100ELNS1_3gpuE3ELNS1_3repE0EEENS1_47radix_sort_onesweep_sort_config_static_selectorELNS0_4arch9wavefront6targetE1EEEvSK_.uses_flat_scratch, 0
	.set _ZN7rocprim17ROCPRIM_400000_NS6detail17trampoline_kernelINS0_14default_configENS1_35radix_sort_onesweep_config_selectorIfNS0_10empty_typeEEEZZNS1_29radix_sort_onesweep_iterationIS3_Lb0EN6thrust23THRUST_200600_302600_NS6detail15normal_iteratorINS9_10device_ptrIfEEEESE_PS5_SF_jNS0_19identity_decomposerENS1_16block_id_wrapperIjLb1EEEEE10hipError_tT1_PNSt15iterator_traitsISK_E10value_typeET2_T3_PNSL_ISQ_E10value_typeET4_T5_PSV_SW_PNS1_23onesweep_lookback_stateEbbT6_jjT7_P12ihipStream_tbENKUlT_T0_SK_SP_E_clIPfSE_SF_SF_EEDaS13_S14_SK_SP_EUlS13_E_NS1_11comp_targetILNS1_3genE9ELNS1_11target_archE1100ELNS1_3gpuE3ELNS1_3repE0EEENS1_47radix_sort_onesweep_sort_config_static_selectorELNS0_4arch9wavefront6targetE1EEEvSK_.has_dyn_sized_stack, 0
	.set _ZN7rocprim17ROCPRIM_400000_NS6detail17trampoline_kernelINS0_14default_configENS1_35radix_sort_onesweep_config_selectorIfNS0_10empty_typeEEEZZNS1_29radix_sort_onesweep_iterationIS3_Lb0EN6thrust23THRUST_200600_302600_NS6detail15normal_iteratorINS9_10device_ptrIfEEEESE_PS5_SF_jNS0_19identity_decomposerENS1_16block_id_wrapperIjLb1EEEEE10hipError_tT1_PNSt15iterator_traitsISK_E10value_typeET2_T3_PNSL_ISQ_E10value_typeET4_T5_PSV_SW_PNS1_23onesweep_lookback_stateEbbT6_jjT7_P12ihipStream_tbENKUlT_T0_SK_SP_E_clIPfSE_SF_SF_EEDaS13_S14_SK_SP_EUlS13_E_NS1_11comp_targetILNS1_3genE9ELNS1_11target_archE1100ELNS1_3gpuE3ELNS1_3repE0EEENS1_47radix_sort_onesweep_sort_config_static_selectorELNS0_4arch9wavefront6targetE1EEEvSK_.has_recursion, 0
	.set _ZN7rocprim17ROCPRIM_400000_NS6detail17trampoline_kernelINS0_14default_configENS1_35radix_sort_onesweep_config_selectorIfNS0_10empty_typeEEEZZNS1_29radix_sort_onesweep_iterationIS3_Lb0EN6thrust23THRUST_200600_302600_NS6detail15normal_iteratorINS9_10device_ptrIfEEEESE_PS5_SF_jNS0_19identity_decomposerENS1_16block_id_wrapperIjLb1EEEEE10hipError_tT1_PNSt15iterator_traitsISK_E10value_typeET2_T3_PNSL_ISQ_E10value_typeET4_T5_PSV_SW_PNS1_23onesweep_lookback_stateEbbT6_jjT7_P12ihipStream_tbENKUlT_T0_SK_SP_E_clIPfSE_SF_SF_EEDaS13_S14_SK_SP_EUlS13_E_NS1_11comp_targetILNS1_3genE9ELNS1_11target_archE1100ELNS1_3gpuE3ELNS1_3repE0EEENS1_47radix_sort_onesweep_sort_config_static_selectorELNS0_4arch9wavefront6targetE1EEEvSK_.has_indirect_call, 0
	.section	.AMDGPU.csdata,"",@progbits
; Kernel info:
; codeLenInByte = 0
; TotalNumSgprs: 6
; NumVgprs: 0
; NumAgprs: 0
; TotalNumVgprs: 0
; ScratchSize: 0
; MemoryBound: 0
; FloatMode: 240
; IeeeMode: 1
; LDSByteSize: 0 bytes/workgroup (compile time only)
; SGPRBlocks: 0
; VGPRBlocks: 0
; NumSGPRsForWavesPerEU: 6
; NumVGPRsForWavesPerEU: 1
; AccumOffset: 4
; Occupancy: 8
; WaveLimiterHint : 0
; COMPUTE_PGM_RSRC2:SCRATCH_EN: 0
; COMPUTE_PGM_RSRC2:USER_SGPR: 2
; COMPUTE_PGM_RSRC2:TRAP_HANDLER: 0
; COMPUTE_PGM_RSRC2:TGID_X_EN: 1
; COMPUTE_PGM_RSRC2:TGID_Y_EN: 0
; COMPUTE_PGM_RSRC2:TGID_Z_EN: 0
; COMPUTE_PGM_RSRC2:TIDIG_COMP_CNT: 0
; COMPUTE_PGM_RSRC3_GFX90A:ACCUM_OFFSET: 0
; COMPUTE_PGM_RSRC3_GFX90A:TG_SPLIT: 0
	.section	.text._ZN7rocprim17ROCPRIM_400000_NS6detail17trampoline_kernelINS0_14default_configENS1_35radix_sort_onesweep_config_selectorIfNS0_10empty_typeEEEZZNS1_29radix_sort_onesweep_iterationIS3_Lb0EN6thrust23THRUST_200600_302600_NS6detail15normal_iteratorINS9_10device_ptrIfEEEESE_PS5_SF_jNS0_19identity_decomposerENS1_16block_id_wrapperIjLb1EEEEE10hipError_tT1_PNSt15iterator_traitsISK_E10value_typeET2_T3_PNSL_ISQ_E10value_typeET4_T5_PSV_SW_PNS1_23onesweep_lookback_stateEbbT6_jjT7_P12ihipStream_tbENKUlT_T0_SK_SP_E_clIPfSE_SF_SF_EEDaS13_S14_SK_SP_EUlS13_E_NS1_11comp_targetILNS1_3genE8ELNS1_11target_archE1030ELNS1_3gpuE2ELNS1_3repE0EEENS1_47radix_sort_onesweep_sort_config_static_selectorELNS0_4arch9wavefront6targetE1EEEvSK_,"axG",@progbits,_ZN7rocprim17ROCPRIM_400000_NS6detail17trampoline_kernelINS0_14default_configENS1_35radix_sort_onesweep_config_selectorIfNS0_10empty_typeEEEZZNS1_29radix_sort_onesweep_iterationIS3_Lb0EN6thrust23THRUST_200600_302600_NS6detail15normal_iteratorINS9_10device_ptrIfEEEESE_PS5_SF_jNS0_19identity_decomposerENS1_16block_id_wrapperIjLb1EEEEE10hipError_tT1_PNSt15iterator_traitsISK_E10value_typeET2_T3_PNSL_ISQ_E10value_typeET4_T5_PSV_SW_PNS1_23onesweep_lookback_stateEbbT6_jjT7_P12ihipStream_tbENKUlT_T0_SK_SP_E_clIPfSE_SF_SF_EEDaS13_S14_SK_SP_EUlS13_E_NS1_11comp_targetILNS1_3genE8ELNS1_11target_archE1030ELNS1_3gpuE2ELNS1_3repE0EEENS1_47radix_sort_onesweep_sort_config_static_selectorELNS0_4arch9wavefront6targetE1EEEvSK_,comdat
	.protected	_ZN7rocprim17ROCPRIM_400000_NS6detail17trampoline_kernelINS0_14default_configENS1_35radix_sort_onesweep_config_selectorIfNS0_10empty_typeEEEZZNS1_29radix_sort_onesweep_iterationIS3_Lb0EN6thrust23THRUST_200600_302600_NS6detail15normal_iteratorINS9_10device_ptrIfEEEESE_PS5_SF_jNS0_19identity_decomposerENS1_16block_id_wrapperIjLb1EEEEE10hipError_tT1_PNSt15iterator_traitsISK_E10value_typeET2_T3_PNSL_ISQ_E10value_typeET4_T5_PSV_SW_PNS1_23onesweep_lookback_stateEbbT6_jjT7_P12ihipStream_tbENKUlT_T0_SK_SP_E_clIPfSE_SF_SF_EEDaS13_S14_SK_SP_EUlS13_E_NS1_11comp_targetILNS1_3genE8ELNS1_11target_archE1030ELNS1_3gpuE2ELNS1_3repE0EEENS1_47radix_sort_onesweep_sort_config_static_selectorELNS0_4arch9wavefront6targetE1EEEvSK_ ; -- Begin function _ZN7rocprim17ROCPRIM_400000_NS6detail17trampoline_kernelINS0_14default_configENS1_35radix_sort_onesweep_config_selectorIfNS0_10empty_typeEEEZZNS1_29radix_sort_onesweep_iterationIS3_Lb0EN6thrust23THRUST_200600_302600_NS6detail15normal_iteratorINS9_10device_ptrIfEEEESE_PS5_SF_jNS0_19identity_decomposerENS1_16block_id_wrapperIjLb1EEEEE10hipError_tT1_PNSt15iterator_traitsISK_E10value_typeET2_T3_PNSL_ISQ_E10value_typeET4_T5_PSV_SW_PNS1_23onesweep_lookback_stateEbbT6_jjT7_P12ihipStream_tbENKUlT_T0_SK_SP_E_clIPfSE_SF_SF_EEDaS13_S14_SK_SP_EUlS13_E_NS1_11comp_targetILNS1_3genE8ELNS1_11target_archE1030ELNS1_3gpuE2ELNS1_3repE0EEENS1_47radix_sort_onesweep_sort_config_static_selectorELNS0_4arch9wavefront6targetE1EEEvSK_
	.globl	_ZN7rocprim17ROCPRIM_400000_NS6detail17trampoline_kernelINS0_14default_configENS1_35radix_sort_onesweep_config_selectorIfNS0_10empty_typeEEEZZNS1_29radix_sort_onesweep_iterationIS3_Lb0EN6thrust23THRUST_200600_302600_NS6detail15normal_iteratorINS9_10device_ptrIfEEEESE_PS5_SF_jNS0_19identity_decomposerENS1_16block_id_wrapperIjLb1EEEEE10hipError_tT1_PNSt15iterator_traitsISK_E10value_typeET2_T3_PNSL_ISQ_E10value_typeET4_T5_PSV_SW_PNS1_23onesweep_lookback_stateEbbT6_jjT7_P12ihipStream_tbENKUlT_T0_SK_SP_E_clIPfSE_SF_SF_EEDaS13_S14_SK_SP_EUlS13_E_NS1_11comp_targetILNS1_3genE8ELNS1_11target_archE1030ELNS1_3gpuE2ELNS1_3repE0EEENS1_47radix_sort_onesweep_sort_config_static_selectorELNS0_4arch9wavefront6targetE1EEEvSK_
	.p2align	8
	.type	_ZN7rocprim17ROCPRIM_400000_NS6detail17trampoline_kernelINS0_14default_configENS1_35radix_sort_onesweep_config_selectorIfNS0_10empty_typeEEEZZNS1_29radix_sort_onesweep_iterationIS3_Lb0EN6thrust23THRUST_200600_302600_NS6detail15normal_iteratorINS9_10device_ptrIfEEEESE_PS5_SF_jNS0_19identity_decomposerENS1_16block_id_wrapperIjLb1EEEEE10hipError_tT1_PNSt15iterator_traitsISK_E10value_typeET2_T3_PNSL_ISQ_E10value_typeET4_T5_PSV_SW_PNS1_23onesweep_lookback_stateEbbT6_jjT7_P12ihipStream_tbENKUlT_T0_SK_SP_E_clIPfSE_SF_SF_EEDaS13_S14_SK_SP_EUlS13_E_NS1_11comp_targetILNS1_3genE8ELNS1_11target_archE1030ELNS1_3gpuE2ELNS1_3repE0EEENS1_47radix_sort_onesweep_sort_config_static_selectorELNS0_4arch9wavefront6targetE1EEEvSK_,@function
_ZN7rocprim17ROCPRIM_400000_NS6detail17trampoline_kernelINS0_14default_configENS1_35radix_sort_onesweep_config_selectorIfNS0_10empty_typeEEEZZNS1_29radix_sort_onesweep_iterationIS3_Lb0EN6thrust23THRUST_200600_302600_NS6detail15normal_iteratorINS9_10device_ptrIfEEEESE_PS5_SF_jNS0_19identity_decomposerENS1_16block_id_wrapperIjLb1EEEEE10hipError_tT1_PNSt15iterator_traitsISK_E10value_typeET2_T3_PNSL_ISQ_E10value_typeET4_T5_PSV_SW_PNS1_23onesweep_lookback_stateEbbT6_jjT7_P12ihipStream_tbENKUlT_T0_SK_SP_E_clIPfSE_SF_SF_EEDaS13_S14_SK_SP_EUlS13_E_NS1_11comp_targetILNS1_3genE8ELNS1_11target_archE1030ELNS1_3gpuE2ELNS1_3repE0EEENS1_47radix_sort_onesweep_sort_config_static_selectorELNS0_4arch9wavefront6targetE1EEEvSK_: ; @_ZN7rocprim17ROCPRIM_400000_NS6detail17trampoline_kernelINS0_14default_configENS1_35radix_sort_onesweep_config_selectorIfNS0_10empty_typeEEEZZNS1_29radix_sort_onesweep_iterationIS3_Lb0EN6thrust23THRUST_200600_302600_NS6detail15normal_iteratorINS9_10device_ptrIfEEEESE_PS5_SF_jNS0_19identity_decomposerENS1_16block_id_wrapperIjLb1EEEEE10hipError_tT1_PNSt15iterator_traitsISK_E10value_typeET2_T3_PNSL_ISQ_E10value_typeET4_T5_PSV_SW_PNS1_23onesweep_lookback_stateEbbT6_jjT7_P12ihipStream_tbENKUlT_T0_SK_SP_E_clIPfSE_SF_SF_EEDaS13_S14_SK_SP_EUlS13_E_NS1_11comp_targetILNS1_3genE8ELNS1_11target_archE1030ELNS1_3gpuE2ELNS1_3repE0EEENS1_47radix_sort_onesweep_sort_config_static_selectorELNS0_4arch9wavefront6targetE1EEEvSK_
; %bb.0:
	.section	.rodata,"a",@progbits
	.p2align	6, 0x0
	.amdhsa_kernel _ZN7rocprim17ROCPRIM_400000_NS6detail17trampoline_kernelINS0_14default_configENS1_35radix_sort_onesweep_config_selectorIfNS0_10empty_typeEEEZZNS1_29radix_sort_onesweep_iterationIS3_Lb0EN6thrust23THRUST_200600_302600_NS6detail15normal_iteratorINS9_10device_ptrIfEEEESE_PS5_SF_jNS0_19identity_decomposerENS1_16block_id_wrapperIjLb1EEEEE10hipError_tT1_PNSt15iterator_traitsISK_E10value_typeET2_T3_PNSL_ISQ_E10value_typeET4_T5_PSV_SW_PNS1_23onesweep_lookback_stateEbbT6_jjT7_P12ihipStream_tbENKUlT_T0_SK_SP_E_clIPfSE_SF_SF_EEDaS13_S14_SK_SP_EUlS13_E_NS1_11comp_targetILNS1_3genE8ELNS1_11target_archE1030ELNS1_3gpuE2ELNS1_3repE0EEENS1_47radix_sort_onesweep_sort_config_static_selectorELNS0_4arch9wavefront6targetE1EEEvSK_
		.amdhsa_group_segment_fixed_size 0
		.amdhsa_private_segment_fixed_size 0
		.amdhsa_kernarg_size 88
		.amdhsa_user_sgpr_count 2
		.amdhsa_user_sgpr_dispatch_ptr 0
		.amdhsa_user_sgpr_queue_ptr 0
		.amdhsa_user_sgpr_kernarg_segment_ptr 1
		.amdhsa_user_sgpr_dispatch_id 0
		.amdhsa_user_sgpr_kernarg_preload_length 0
		.amdhsa_user_sgpr_kernarg_preload_offset 0
		.amdhsa_user_sgpr_private_segment_size 0
		.amdhsa_uses_dynamic_stack 0
		.amdhsa_enable_private_segment 0
		.amdhsa_system_sgpr_workgroup_id_x 1
		.amdhsa_system_sgpr_workgroup_id_y 0
		.amdhsa_system_sgpr_workgroup_id_z 0
		.amdhsa_system_sgpr_workgroup_info 0
		.amdhsa_system_vgpr_workitem_id 0
		.amdhsa_next_free_vgpr 1
		.amdhsa_next_free_sgpr 0
		.amdhsa_accum_offset 4
		.amdhsa_reserve_vcc 0
		.amdhsa_float_round_mode_32 0
		.amdhsa_float_round_mode_16_64 0
		.amdhsa_float_denorm_mode_32 3
		.amdhsa_float_denorm_mode_16_64 3
		.amdhsa_dx10_clamp 1
		.amdhsa_ieee_mode 1
		.amdhsa_fp16_overflow 0
		.amdhsa_tg_split 0
		.amdhsa_exception_fp_ieee_invalid_op 0
		.amdhsa_exception_fp_denorm_src 0
		.amdhsa_exception_fp_ieee_div_zero 0
		.amdhsa_exception_fp_ieee_overflow 0
		.amdhsa_exception_fp_ieee_underflow 0
		.amdhsa_exception_fp_ieee_inexact 0
		.amdhsa_exception_int_div_zero 0
	.end_amdhsa_kernel
	.section	.text._ZN7rocprim17ROCPRIM_400000_NS6detail17trampoline_kernelINS0_14default_configENS1_35radix_sort_onesweep_config_selectorIfNS0_10empty_typeEEEZZNS1_29radix_sort_onesweep_iterationIS3_Lb0EN6thrust23THRUST_200600_302600_NS6detail15normal_iteratorINS9_10device_ptrIfEEEESE_PS5_SF_jNS0_19identity_decomposerENS1_16block_id_wrapperIjLb1EEEEE10hipError_tT1_PNSt15iterator_traitsISK_E10value_typeET2_T3_PNSL_ISQ_E10value_typeET4_T5_PSV_SW_PNS1_23onesweep_lookback_stateEbbT6_jjT7_P12ihipStream_tbENKUlT_T0_SK_SP_E_clIPfSE_SF_SF_EEDaS13_S14_SK_SP_EUlS13_E_NS1_11comp_targetILNS1_3genE8ELNS1_11target_archE1030ELNS1_3gpuE2ELNS1_3repE0EEENS1_47radix_sort_onesweep_sort_config_static_selectorELNS0_4arch9wavefront6targetE1EEEvSK_,"axG",@progbits,_ZN7rocprim17ROCPRIM_400000_NS6detail17trampoline_kernelINS0_14default_configENS1_35radix_sort_onesweep_config_selectorIfNS0_10empty_typeEEEZZNS1_29radix_sort_onesweep_iterationIS3_Lb0EN6thrust23THRUST_200600_302600_NS6detail15normal_iteratorINS9_10device_ptrIfEEEESE_PS5_SF_jNS0_19identity_decomposerENS1_16block_id_wrapperIjLb1EEEEE10hipError_tT1_PNSt15iterator_traitsISK_E10value_typeET2_T3_PNSL_ISQ_E10value_typeET4_T5_PSV_SW_PNS1_23onesweep_lookback_stateEbbT6_jjT7_P12ihipStream_tbENKUlT_T0_SK_SP_E_clIPfSE_SF_SF_EEDaS13_S14_SK_SP_EUlS13_E_NS1_11comp_targetILNS1_3genE8ELNS1_11target_archE1030ELNS1_3gpuE2ELNS1_3repE0EEENS1_47radix_sort_onesweep_sort_config_static_selectorELNS0_4arch9wavefront6targetE1EEEvSK_,comdat
.Lfunc_end585:
	.size	_ZN7rocprim17ROCPRIM_400000_NS6detail17trampoline_kernelINS0_14default_configENS1_35radix_sort_onesweep_config_selectorIfNS0_10empty_typeEEEZZNS1_29radix_sort_onesweep_iterationIS3_Lb0EN6thrust23THRUST_200600_302600_NS6detail15normal_iteratorINS9_10device_ptrIfEEEESE_PS5_SF_jNS0_19identity_decomposerENS1_16block_id_wrapperIjLb1EEEEE10hipError_tT1_PNSt15iterator_traitsISK_E10value_typeET2_T3_PNSL_ISQ_E10value_typeET4_T5_PSV_SW_PNS1_23onesweep_lookback_stateEbbT6_jjT7_P12ihipStream_tbENKUlT_T0_SK_SP_E_clIPfSE_SF_SF_EEDaS13_S14_SK_SP_EUlS13_E_NS1_11comp_targetILNS1_3genE8ELNS1_11target_archE1030ELNS1_3gpuE2ELNS1_3repE0EEENS1_47radix_sort_onesweep_sort_config_static_selectorELNS0_4arch9wavefront6targetE1EEEvSK_, .Lfunc_end585-_ZN7rocprim17ROCPRIM_400000_NS6detail17trampoline_kernelINS0_14default_configENS1_35radix_sort_onesweep_config_selectorIfNS0_10empty_typeEEEZZNS1_29radix_sort_onesweep_iterationIS3_Lb0EN6thrust23THRUST_200600_302600_NS6detail15normal_iteratorINS9_10device_ptrIfEEEESE_PS5_SF_jNS0_19identity_decomposerENS1_16block_id_wrapperIjLb1EEEEE10hipError_tT1_PNSt15iterator_traitsISK_E10value_typeET2_T3_PNSL_ISQ_E10value_typeET4_T5_PSV_SW_PNS1_23onesweep_lookback_stateEbbT6_jjT7_P12ihipStream_tbENKUlT_T0_SK_SP_E_clIPfSE_SF_SF_EEDaS13_S14_SK_SP_EUlS13_E_NS1_11comp_targetILNS1_3genE8ELNS1_11target_archE1030ELNS1_3gpuE2ELNS1_3repE0EEENS1_47radix_sort_onesweep_sort_config_static_selectorELNS0_4arch9wavefront6targetE1EEEvSK_
                                        ; -- End function
	.set _ZN7rocprim17ROCPRIM_400000_NS6detail17trampoline_kernelINS0_14default_configENS1_35radix_sort_onesweep_config_selectorIfNS0_10empty_typeEEEZZNS1_29radix_sort_onesweep_iterationIS3_Lb0EN6thrust23THRUST_200600_302600_NS6detail15normal_iteratorINS9_10device_ptrIfEEEESE_PS5_SF_jNS0_19identity_decomposerENS1_16block_id_wrapperIjLb1EEEEE10hipError_tT1_PNSt15iterator_traitsISK_E10value_typeET2_T3_PNSL_ISQ_E10value_typeET4_T5_PSV_SW_PNS1_23onesweep_lookback_stateEbbT6_jjT7_P12ihipStream_tbENKUlT_T0_SK_SP_E_clIPfSE_SF_SF_EEDaS13_S14_SK_SP_EUlS13_E_NS1_11comp_targetILNS1_3genE8ELNS1_11target_archE1030ELNS1_3gpuE2ELNS1_3repE0EEENS1_47radix_sort_onesweep_sort_config_static_selectorELNS0_4arch9wavefront6targetE1EEEvSK_.num_vgpr, 0
	.set _ZN7rocprim17ROCPRIM_400000_NS6detail17trampoline_kernelINS0_14default_configENS1_35radix_sort_onesweep_config_selectorIfNS0_10empty_typeEEEZZNS1_29radix_sort_onesweep_iterationIS3_Lb0EN6thrust23THRUST_200600_302600_NS6detail15normal_iteratorINS9_10device_ptrIfEEEESE_PS5_SF_jNS0_19identity_decomposerENS1_16block_id_wrapperIjLb1EEEEE10hipError_tT1_PNSt15iterator_traitsISK_E10value_typeET2_T3_PNSL_ISQ_E10value_typeET4_T5_PSV_SW_PNS1_23onesweep_lookback_stateEbbT6_jjT7_P12ihipStream_tbENKUlT_T0_SK_SP_E_clIPfSE_SF_SF_EEDaS13_S14_SK_SP_EUlS13_E_NS1_11comp_targetILNS1_3genE8ELNS1_11target_archE1030ELNS1_3gpuE2ELNS1_3repE0EEENS1_47radix_sort_onesweep_sort_config_static_selectorELNS0_4arch9wavefront6targetE1EEEvSK_.num_agpr, 0
	.set _ZN7rocprim17ROCPRIM_400000_NS6detail17trampoline_kernelINS0_14default_configENS1_35radix_sort_onesweep_config_selectorIfNS0_10empty_typeEEEZZNS1_29radix_sort_onesweep_iterationIS3_Lb0EN6thrust23THRUST_200600_302600_NS6detail15normal_iteratorINS9_10device_ptrIfEEEESE_PS5_SF_jNS0_19identity_decomposerENS1_16block_id_wrapperIjLb1EEEEE10hipError_tT1_PNSt15iterator_traitsISK_E10value_typeET2_T3_PNSL_ISQ_E10value_typeET4_T5_PSV_SW_PNS1_23onesweep_lookback_stateEbbT6_jjT7_P12ihipStream_tbENKUlT_T0_SK_SP_E_clIPfSE_SF_SF_EEDaS13_S14_SK_SP_EUlS13_E_NS1_11comp_targetILNS1_3genE8ELNS1_11target_archE1030ELNS1_3gpuE2ELNS1_3repE0EEENS1_47radix_sort_onesweep_sort_config_static_selectorELNS0_4arch9wavefront6targetE1EEEvSK_.numbered_sgpr, 0
	.set _ZN7rocprim17ROCPRIM_400000_NS6detail17trampoline_kernelINS0_14default_configENS1_35radix_sort_onesweep_config_selectorIfNS0_10empty_typeEEEZZNS1_29radix_sort_onesweep_iterationIS3_Lb0EN6thrust23THRUST_200600_302600_NS6detail15normal_iteratorINS9_10device_ptrIfEEEESE_PS5_SF_jNS0_19identity_decomposerENS1_16block_id_wrapperIjLb1EEEEE10hipError_tT1_PNSt15iterator_traitsISK_E10value_typeET2_T3_PNSL_ISQ_E10value_typeET4_T5_PSV_SW_PNS1_23onesweep_lookback_stateEbbT6_jjT7_P12ihipStream_tbENKUlT_T0_SK_SP_E_clIPfSE_SF_SF_EEDaS13_S14_SK_SP_EUlS13_E_NS1_11comp_targetILNS1_3genE8ELNS1_11target_archE1030ELNS1_3gpuE2ELNS1_3repE0EEENS1_47radix_sort_onesweep_sort_config_static_selectorELNS0_4arch9wavefront6targetE1EEEvSK_.num_named_barrier, 0
	.set _ZN7rocprim17ROCPRIM_400000_NS6detail17trampoline_kernelINS0_14default_configENS1_35radix_sort_onesweep_config_selectorIfNS0_10empty_typeEEEZZNS1_29radix_sort_onesweep_iterationIS3_Lb0EN6thrust23THRUST_200600_302600_NS6detail15normal_iteratorINS9_10device_ptrIfEEEESE_PS5_SF_jNS0_19identity_decomposerENS1_16block_id_wrapperIjLb1EEEEE10hipError_tT1_PNSt15iterator_traitsISK_E10value_typeET2_T3_PNSL_ISQ_E10value_typeET4_T5_PSV_SW_PNS1_23onesweep_lookback_stateEbbT6_jjT7_P12ihipStream_tbENKUlT_T0_SK_SP_E_clIPfSE_SF_SF_EEDaS13_S14_SK_SP_EUlS13_E_NS1_11comp_targetILNS1_3genE8ELNS1_11target_archE1030ELNS1_3gpuE2ELNS1_3repE0EEENS1_47radix_sort_onesweep_sort_config_static_selectorELNS0_4arch9wavefront6targetE1EEEvSK_.private_seg_size, 0
	.set _ZN7rocprim17ROCPRIM_400000_NS6detail17trampoline_kernelINS0_14default_configENS1_35radix_sort_onesweep_config_selectorIfNS0_10empty_typeEEEZZNS1_29radix_sort_onesweep_iterationIS3_Lb0EN6thrust23THRUST_200600_302600_NS6detail15normal_iteratorINS9_10device_ptrIfEEEESE_PS5_SF_jNS0_19identity_decomposerENS1_16block_id_wrapperIjLb1EEEEE10hipError_tT1_PNSt15iterator_traitsISK_E10value_typeET2_T3_PNSL_ISQ_E10value_typeET4_T5_PSV_SW_PNS1_23onesweep_lookback_stateEbbT6_jjT7_P12ihipStream_tbENKUlT_T0_SK_SP_E_clIPfSE_SF_SF_EEDaS13_S14_SK_SP_EUlS13_E_NS1_11comp_targetILNS1_3genE8ELNS1_11target_archE1030ELNS1_3gpuE2ELNS1_3repE0EEENS1_47radix_sort_onesweep_sort_config_static_selectorELNS0_4arch9wavefront6targetE1EEEvSK_.uses_vcc, 0
	.set _ZN7rocprim17ROCPRIM_400000_NS6detail17trampoline_kernelINS0_14default_configENS1_35radix_sort_onesweep_config_selectorIfNS0_10empty_typeEEEZZNS1_29radix_sort_onesweep_iterationIS3_Lb0EN6thrust23THRUST_200600_302600_NS6detail15normal_iteratorINS9_10device_ptrIfEEEESE_PS5_SF_jNS0_19identity_decomposerENS1_16block_id_wrapperIjLb1EEEEE10hipError_tT1_PNSt15iterator_traitsISK_E10value_typeET2_T3_PNSL_ISQ_E10value_typeET4_T5_PSV_SW_PNS1_23onesweep_lookback_stateEbbT6_jjT7_P12ihipStream_tbENKUlT_T0_SK_SP_E_clIPfSE_SF_SF_EEDaS13_S14_SK_SP_EUlS13_E_NS1_11comp_targetILNS1_3genE8ELNS1_11target_archE1030ELNS1_3gpuE2ELNS1_3repE0EEENS1_47radix_sort_onesweep_sort_config_static_selectorELNS0_4arch9wavefront6targetE1EEEvSK_.uses_flat_scratch, 0
	.set _ZN7rocprim17ROCPRIM_400000_NS6detail17trampoline_kernelINS0_14default_configENS1_35radix_sort_onesweep_config_selectorIfNS0_10empty_typeEEEZZNS1_29radix_sort_onesweep_iterationIS3_Lb0EN6thrust23THRUST_200600_302600_NS6detail15normal_iteratorINS9_10device_ptrIfEEEESE_PS5_SF_jNS0_19identity_decomposerENS1_16block_id_wrapperIjLb1EEEEE10hipError_tT1_PNSt15iterator_traitsISK_E10value_typeET2_T3_PNSL_ISQ_E10value_typeET4_T5_PSV_SW_PNS1_23onesweep_lookback_stateEbbT6_jjT7_P12ihipStream_tbENKUlT_T0_SK_SP_E_clIPfSE_SF_SF_EEDaS13_S14_SK_SP_EUlS13_E_NS1_11comp_targetILNS1_3genE8ELNS1_11target_archE1030ELNS1_3gpuE2ELNS1_3repE0EEENS1_47radix_sort_onesweep_sort_config_static_selectorELNS0_4arch9wavefront6targetE1EEEvSK_.has_dyn_sized_stack, 0
	.set _ZN7rocprim17ROCPRIM_400000_NS6detail17trampoline_kernelINS0_14default_configENS1_35radix_sort_onesweep_config_selectorIfNS0_10empty_typeEEEZZNS1_29radix_sort_onesweep_iterationIS3_Lb0EN6thrust23THRUST_200600_302600_NS6detail15normal_iteratorINS9_10device_ptrIfEEEESE_PS5_SF_jNS0_19identity_decomposerENS1_16block_id_wrapperIjLb1EEEEE10hipError_tT1_PNSt15iterator_traitsISK_E10value_typeET2_T3_PNSL_ISQ_E10value_typeET4_T5_PSV_SW_PNS1_23onesweep_lookback_stateEbbT6_jjT7_P12ihipStream_tbENKUlT_T0_SK_SP_E_clIPfSE_SF_SF_EEDaS13_S14_SK_SP_EUlS13_E_NS1_11comp_targetILNS1_3genE8ELNS1_11target_archE1030ELNS1_3gpuE2ELNS1_3repE0EEENS1_47radix_sort_onesweep_sort_config_static_selectorELNS0_4arch9wavefront6targetE1EEEvSK_.has_recursion, 0
	.set _ZN7rocprim17ROCPRIM_400000_NS6detail17trampoline_kernelINS0_14default_configENS1_35radix_sort_onesweep_config_selectorIfNS0_10empty_typeEEEZZNS1_29radix_sort_onesweep_iterationIS3_Lb0EN6thrust23THRUST_200600_302600_NS6detail15normal_iteratorINS9_10device_ptrIfEEEESE_PS5_SF_jNS0_19identity_decomposerENS1_16block_id_wrapperIjLb1EEEEE10hipError_tT1_PNSt15iterator_traitsISK_E10value_typeET2_T3_PNSL_ISQ_E10value_typeET4_T5_PSV_SW_PNS1_23onesweep_lookback_stateEbbT6_jjT7_P12ihipStream_tbENKUlT_T0_SK_SP_E_clIPfSE_SF_SF_EEDaS13_S14_SK_SP_EUlS13_E_NS1_11comp_targetILNS1_3genE8ELNS1_11target_archE1030ELNS1_3gpuE2ELNS1_3repE0EEENS1_47radix_sort_onesweep_sort_config_static_selectorELNS0_4arch9wavefront6targetE1EEEvSK_.has_indirect_call, 0
	.section	.AMDGPU.csdata,"",@progbits
; Kernel info:
; codeLenInByte = 0
; TotalNumSgprs: 6
; NumVgprs: 0
; NumAgprs: 0
; TotalNumVgprs: 0
; ScratchSize: 0
; MemoryBound: 0
; FloatMode: 240
; IeeeMode: 1
; LDSByteSize: 0 bytes/workgroup (compile time only)
; SGPRBlocks: 0
; VGPRBlocks: 0
; NumSGPRsForWavesPerEU: 6
; NumVGPRsForWavesPerEU: 1
; AccumOffset: 4
; Occupancy: 8
; WaveLimiterHint : 0
; COMPUTE_PGM_RSRC2:SCRATCH_EN: 0
; COMPUTE_PGM_RSRC2:USER_SGPR: 2
; COMPUTE_PGM_RSRC2:TRAP_HANDLER: 0
; COMPUTE_PGM_RSRC2:TGID_X_EN: 1
; COMPUTE_PGM_RSRC2:TGID_Y_EN: 0
; COMPUTE_PGM_RSRC2:TGID_Z_EN: 0
; COMPUTE_PGM_RSRC2:TIDIG_COMP_CNT: 0
; COMPUTE_PGM_RSRC3_GFX90A:ACCUM_OFFSET: 0
; COMPUTE_PGM_RSRC3_GFX90A:TG_SPLIT: 0
	.section	.text._ZN7rocprim17ROCPRIM_400000_NS6detail17trampoline_kernelINS0_14default_configENS1_35radix_sort_onesweep_config_selectorIfNS0_10empty_typeEEEZZNS1_29radix_sort_onesweep_iterationIS3_Lb0EN6thrust23THRUST_200600_302600_NS6detail15normal_iteratorINS9_10device_ptrIfEEEESE_PS5_SF_jNS0_19identity_decomposerENS1_16block_id_wrapperIjLb0EEEEE10hipError_tT1_PNSt15iterator_traitsISK_E10value_typeET2_T3_PNSL_ISQ_E10value_typeET4_T5_PSV_SW_PNS1_23onesweep_lookback_stateEbbT6_jjT7_P12ihipStream_tbENKUlT_T0_SK_SP_E_clISE_SE_SF_SF_EEDaS13_S14_SK_SP_EUlS13_E_NS1_11comp_targetILNS1_3genE0ELNS1_11target_archE4294967295ELNS1_3gpuE0ELNS1_3repE0EEENS1_47radix_sort_onesweep_sort_config_static_selectorELNS0_4arch9wavefront6targetE1EEEvSK_,"axG",@progbits,_ZN7rocprim17ROCPRIM_400000_NS6detail17trampoline_kernelINS0_14default_configENS1_35radix_sort_onesweep_config_selectorIfNS0_10empty_typeEEEZZNS1_29radix_sort_onesweep_iterationIS3_Lb0EN6thrust23THRUST_200600_302600_NS6detail15normal_iteratorINS9_10device_ptrIfEEEESE_PS5_SF_jNS0_19identity_decomposerENS1_16block_id_wrapperIjLb0EEEEE10hipError_tT1_PNSt15iterator_traitsISK_E10value_typeET2_T3_PNSL_ISQ_E10value_typeET4_T5_PSV_SW_PNS1_23onesweep_lookback_stateEbbT6_jjT7_P12ihipStream_tbENKUlT_T0_SK_SP_E_clISE_SE_SF_SF_EEDaS13_S14_SK_SP_EUlS13_E_NS1_11comp_targetILNS1_3genE0ELNS1_11target_archE4294967295ELNS1_3gpuE0ELNS1_3repE0EEENS1_47radix_sort_onesweep_sort_config_static_selectorELNS0_4arch9wavefront6targetE1EEEvSK_,comdat
	.protected	_ZN7rocprim17ROCPRIM_400000_NS6detail17trampoline_kernelINS0_14default_configENS1_35radix_sort_onesweep_config_selectorIfNS0_10empty_typeEEEZZNS1_29radix_sort_onesweep_iterationIS3_Lb0EN6thrust23THRUST_200600_302600_NS6detail15normal_iteratorINS9_10device_ptrIfEEEESE_PS5_SF_jNS0_19identity_decomposerENS1_16block_id_wrapperIjLb0EEEEE10hipError_tT1_PNSt15iterator_traitsISK_E10value_typeET2_T3_PNSL_ISQ_E10value_typeET4_T5_PSV_SW_PNS1_23onesweep_lookback_stateEbbT6_jjT7_P12ihipStream_tbENKUlT_T0_SK_SP_E_clISE_SE_SF_SF_EEDaS13_S14_SK_SP_EUlS13_E_NS1_11comp_targetILNS1_3genE0ELNS1_11target_archE4294967295ELNS1_3gpuE0ELNS1_3repE0EEENS1_47radix_sort_onesweep_sort_config_static_selectorELNS0_4arch9wavefront6targetE1EEEvSK_ ; -- Begin function _ZN7rocprim17ROCPRIM_400000_NS6detail17trampoline_kernelINS0_14default_configENS1_35radix_sort_onesweep_config_selectorIfNS0_10empty_typeEEEZZNS1_29radix_sort_onesweep_iterationIS3_Lb0EN6thrust23THRUST_200600_302600_NS6detail15normal_iteratorINS9_10device_ptrIfEEEESE_PS5_SF_jNS0_19identity_decomposerENS1_16block_id_wrapperIjLb0EEEEE10hipError_tT1_PNSt15iterator_traitsISK_E10value_typeET2_T3_PNSL_ISQ_E10value_typeET4_T5_PSV_SW_PNS1_23onesweep_lookback_stateEbbT6_jjT7_P12ihipStream_tbENKUlT_T0_SK_SP_E_clISE_SE_SF_SF_EEDaS13_S14_SK_SP_EUlS13_E_NS1_11comp_targetILNS1_3genE0ELNS1_11target_archE4294967295ELNS1_3gpuE0ELNS1_3repE0EEENS1_47radix_sort_onesweep_sort_config_static_selectorELNS0_4arch9wavefront6targetE1EEEvSK_
	.globl	_ZN7rocprim17ROCPRIM_400000_NS6detail17trampoline_kernelINS0_14default_configENS1_35radix_sort_onesweep_config_selectorIfNS0_10empty_typeEEEZZNS1_29radix_sort_onesweep_iterationIS3_Lb0EN6thrust23THRUST_200600_302600_NS6detail15normal_iteratorINS9_10device_ptrIfEEEESE_PS5_SF_jNS0_19identity_decomposerENS1_16block_id_wrapperIjLb0EEEEE10hipError_tT1_PNSt15iterator_traitsISK_E10value_typeET2_T3_PNSL_ISQ_E10value_typeET4_T5_PSV_SW_PNS1_23onesweep_lookback_stateEbbT6_jjT7_P12ihipStream_tbENKUlT_T0_SK_SP_E_clISE_SE_SF_SF_EEDaS13_S14_SK_SP_EUlS13_E_NS1_11comp_targetILNS1_3genE0ELNS1_11target_archE4294967295ELNS1_3gpuE0ELNS1_3repE0EEENS1_47radix_sort_onesweep_sort_config_static_selectorELNS0_4arch9wavefront6targetE1EEEvSK_
	.p2align	8
	.type	_ZN7rocprim17ROCPRIM_400000_NS6detail17trampoline_kernelINS0_14default_configENS1_35radix_sort_onesweep_config_selectorIfNS0_10empty_typeEEEZZNS1_29radix_sort_onesweep_iterationIS3_Lb0EN6thrust23THRUST_200600_302600_NS6detail15normal_iteratorINS9_10device_ptrIfEEEESE_PS5_SF_jNS0_19identity_decomposerENS1_16block_id_wrapperIjLb0EEEEE10hipError_tT1_PNSt15iterator_traitsISK_E10value_typeET2_T3_PNSL_ISQ_E10value_typeET4_T5_PSV_SW_PNS1_23onesweep_lookback_stateEbbT6_jjT7_P12ihipStream_tbENKUlT_T0_SK_SP_E_clISE_SE_SF_SF_EEDaS13_S14_SK_SP_EUlS13_E_NS1_11comp_targetILNS1_3genE0ELNS1_11target_archE4294967295ELNS1_3gpuE0ELNS1_3repE0EEENS1_47radix_sort_onesweep_sort_config_static_selectorELNS0_4arch9wavefront6targetE1EEEvSK_,@function
_ZN7rocprim17ROCPRIM_400000_NS6detail17trampoline_kernelINS0_14default_configENS1_35radix_sort_onesweep_config_selectorIfNS0_10empty_typeEEEZZNS1_29radix_sort_onesweep_iterationIS3_Lb0EN6thrust23THRUST_200600_302600_NS6detail15normal_iteratorINS9_10device_ptrIfEEEESE_PS5_SF_jNS0_19identity_decomposerENS1_16block_id_wrapperIjLb0EEEEE10hipError_tT1_PNSt15iterator_traitsISK_E10value_typeET2_T3_PNSL_ISQ_E10value_typeET4_T5_PSV_SW_PNS1_23onesweep_lookback_stateEbbT6_jjT7_P12ihipStream_tbENKUlT_T0_SK_SP_E_clISE_SE_SF_SF_EEDaS13_S14_SK_SP_EUlS13_E_NS1_11comp_targetILNS1_3genE0ELNS1_11target_archE4294967295ELNS1_3gpuE0ELNS1_3repE0EEENS1_47radix_sort_onesweep_sort_config_static_selectorELNS0_4arch9wavefront6targetE1EEEvSK_: ; @_ZN7rocprim17ROCPRIM_400000_NS6detail17trampoline_kernelINS0_14default_configENS1_35radix_sort_onesweep_config_selectorIfNS0_10empty_typeEEEZZNS1_29radix_sort_onesweep_iterationIS3_Lb0EN6thrust23THRUST_200600_302600_NS6detail15normal_iteratorINS9_10device_ptrIfEEEESE_PS5_SF_jNS0_19identity_decomposerENS1_16block_id_wrapperIjLb0EEEEE10hipError_tT1_PNSt15iterator_traitsISK_E10value_typeET2_T3_PNSL_ISQ_E10value_typeET4_T5_PSV_SW_PNS1_23onesweep_lookback_stateEbbT6_jjT7_P12ihipStream_tbENKUlT_T0_SK_SP_E_clISE_SE_SF_SF_EEDaS13_S14_SK_SP_EUlS13_E_NS1_11comp_targetILNS1_3genE0ELNS1_11target_archE4294967295ELNS1_3gpuE0ELNS1_3repE0EEENS1_47radix_sort_onesweep_sort_config_static_selectorELNS0_4arch9wavefront6targetE1EEEvSK_
; %bb.0:
	.section	.rodata,"a",@progbits
	.p2align	6, 0x0
	.amdhsa_kernel _ZN7rocprim17ROCPRIM_400000_NS6detail17trampoline_kernelINS0_14default_configENS1_35radix_sort_onesweep_config_selectorIfNS0_10empty_typeEEEZZNS1_29radix_sort_onesweep_iterationIS3_Lb0EN6thrust23THRUST_200600_302600_NS6detail15normal_iteratorINS9_10device_ptrIfEEEESE_PS5_SF_jNS0_19identity_decomposerENS1_16block_id_wrapperIjLb0EEEEE10hipError_tT1_PNSt15iterator_traitsISK_E10value_typeET2_T3_PNSL_ISQ_E10value_typeET4_T5_PSV_SW_PNS1_23onesweep_lookback_stateEbbT6_jjT7_P12ihipStream_tbENKUlT_T0_SK_SP_E_clISE_SE_SF_SF_EEDaS13_S14_SK_SP_EUlS13_E_NS1_11comp_targetILNS1_3genE0ELNS1_11target_archE4294967295ELNS1_3gpuE0ELNS1_3repE0EEENS1_47radix_sort_onesweep_sort_config_static_selectorELNS0_4arch9wavefront6targetE1EEEvSK_
		.amdhsa_group_segment_fixed_size 0
		.amdhsa_private_segment_fixed_size 0
		.amdhsa_kernarg_size 88
		.amdhsa_user_sgpr_count 2
		.amdhsa_user_sgpr_dispatch_ptr 0
		.amdhsa_user_sgpr_queue_ptr 0
		.amdhsa_user_sgpr_kernarg_segment_ptr 1
		.amdhsa_user_sgpr_dispatch_id 0
		.amdhsa_user_sgpr_kernarg_preload_length 0
		.amdhsa_user_sgpr_kernarg_preload_offset 0
		.amdhsa_user_sgpr_private_segment_size 0
		.amdhsa_uses_dynamic_stack 0
		.amdhsa_enable_private_segment 0
		.amdhsa_system_sgpr_workgroup_id_x 1
		.amdhsa_system_sgpr_workgroup_id_y 0
		.amdhsa_system_sgpr_workgroup_id_z 0
		.amdhsa_system_sgpr_workgroup_info 0
		.amdhsa_system_vgpr_workitem_id 0
		.amdhsa_next_free_vgpr 1
		.amdhsa_next_free_sgpr 0
		.amdhsa_accum_offset 4
		.amdhsa_reserve_vcc 0
		.amdhsa_float_round_mode_32 0
		.amdhsa_float_round_mode_16_64 0
		.amdhsa_float_denorm_mode_32 3
		.amdhsa_float_denorm_mode_16_64 3
		.amdhsa_dx10_clamp 1
		.amdhsa_ieee_mode 1
		.amdhsa_fp16_overflow 0
		.amdhsa_tg_split 0
		.amdhsa_exception_fp_ieee_invalid_op 0
		.amdhsa_exception_fp_denorm_src 0
		.amdhsa_exception_fp_ieee_div_zero 0
		.amdhsa_exception_fp_ieee_overflow 0
		.amdhsa_exception_fp_ieee_underflow 0
		.amdhsa_exception_fp_ieee_inexact 0
		.amdhsa_exception_int_div_zero 0
	.end_amdhsa_kernel
	.section	.text._ZN7rocprim17ROCPRIM_400000_NS6detail17trampoline_kernelINS0_14default_configENS1_35radix_sort_onesweep_config_selectorIfNS0_10empty_typeEEEZZNS1_29radix_sort_onesweep_iterationIS3_Lb0EN6thrust23THRUST_200600_302600_NS6detail15normal_iteratorINS9_10device_ptrIfEEEESE_PS5_SF_jNS0_19identity_decomposerENS1_16block_id_wrapperIjLb0EEEEE10hipError_tT1_PNSt15iterator_traitsISK_E10value_typeET2_T3_PNSL_ISQ_E10value_typeET4_T5_PSV_SW_PNS1_23onesweep_lookback_stateEbbT6_jjT7_P12ihipStream_tbENKUlT_T0_SK_SP_E_clISE_SE_SF_SF_EEDaS13_S14_SK_SP_EUlS13_E_NS1_11comp_targetILNS1_3genE0ELNS1_11target_archE4294967295ELNS1_3gpuE0ELNS1_3repE0EEENS1_47radix_sort_onesweep_sort_config_static_selectorELNS0_4arch9wavefront6targetE1EEEvSK_,"axG",@progbits,_ZN7rocprim17ROCPRIM_400000_NS6detail17trampoline_kernelINS0_14default_configENS1_35radix_sort_onesweep_config_selectorIfNS0_10empty_typeEEEZZNS1_29radix_sort_onesweep_iterationIS3_Lb0EN6thrust23THRUST_200600_302600_NS6detail15normal_iteratorINS9_10device_ptrIfEEEESE_PS5_SF_jNS0_19identity_decomposerENS1_16block_id_wrapperIjLb0EEEEE10hipError_tT1_PNSt15iterator_traitsISK_E10value_typeET2_T3_PNSL_ISQ_E10value_typeET4_T5_PSV_SW_PNS1_23onesweep_lookback_stateEbbT6_jjT7_P12ihipStream_tbENKUlT_T0_SK_SP_E_clISE_SE_SF_SF_EEDaS13_S14_SK_SP_EUlS13_E_NS1_11comp_targetILNS1_3genE0ELNS1_11target_archE4294967295ELNS1_3gpuE0ELNS1_3repE0EEENS1_47radix_sort_onesweep_sort_config_static_selectorELNS0_4arch9wavefront6targetE1EEEvSK_,comdat
.Lfunc_end586:
	.size	_ZN7rocprim17ROCPRIM_400000_NS6detail17trampoline_kernelINS0_14default_configENS1_35radix_sort_onesweep_config_selectorIfNS0_10empty_typeEEEZZNS1_29radix_sort_onesweep_iterationIS3_Lb0EN6thrust23THRUST_200600_302600_NS6detail15normal_iteratorINS9_10device_ptrIfEEEESE_PS5_SF_jNS0_19identity_decomposerENS1_16block_id_wrapperIjLb0EEEEE10hipError_tT1_PNSt15iterator_traitsISK_E10value_typeET2_T3_PNSL_ISQ_E10value_typeET4_T5_PSV_SW_PNS1_23onesweep_lookback_stateEbbT6_jjT7_P12ihipStream_tbENKUlT_T0_SK_SP_E_clISE_SE_SF_SF_EEDaS13_S14_SK_SP_EUlS13_E_NS1_11comp_targetILNS1_3genE0ELNS1_11target_archE4294967295ELNS1_3gpuE0ELNS1_3repE0EEENS1_47radix_sort_onesweep_sort_config_static_selectorELNS0_4arch9wavefront6targetE1EEEvSK_, .Lfunc_end586-_ZN7rocprim17ROCPRIM_400000_NS6detail17trampoline_kernelINS0_14default_configENS1_35radix_sort_onesweep_config_selectorIfNS0_10empty_typeEEEZZNS1_29radix_sort_onesweep_iterationIS3_Lb0EN6thrust23THRUST_200600_302600_NS6detail15normal_iteratorINS9_10device_ptrIfEEEESE_PS5_SF_jNS0_19identity_decomposerENS1_16block_id_wrapperIjLb0EEEEE10hipError_tT1_PNSt15iterator_traitsISK_E10value_typeET2_T3_PNSL_ISQ_E10value_typeET4_T5_PSV_SW_PNS1_23onesweep_lookback_stateEbbT6_jjT7_P12ihipStream_tbENKUlT_T0_SK_SP_E_clISE_SE_SF_SF_EEDaS13_S14_SK_SP_EUlS13_E_NS1_11comp_targetILNS1_3genE0ELNS1_11target_archE4294967295ELNS1_3gpuE0ELNS1_3repE0EEENS1_47radix_sort_onesweep_sort_config_static_selectorELNS0_4arch9wavefront6targetE1EEEvSK_
                                        ; -- End function
	.set _ZN7rocprim17ROCPRIM_400000_NS6detail17trampoline_kernelINS0_14default_configENS1_35radix_sort_onesweep_config_selectorIfNS0_10empty_typeEEEZZNS1_29radix_sort_onesweep_iterationIS3_Lb0EN6thrust23THRUST_200600_302600_NS6detail15normal_iteratorINS9_10device_ptrIfEEEESE_PS5_SF_jNS0_19identity_decomposerENS1_16block_id_wrapperIjLb0EEEEE10hipError_tT1_PNSt15iterator_traitsISK_E10value_typeET2_T3_PNSL_ISQ_E10value_typeET4_T5_PSV_SW_PNS1_23onesweep_lookback_stateEbbT6_jjT7_P12ihipStream_tbENKUlT_T0_SK_SP_E_clISE_SE_SF_SF_EEDaS13_S14_SK_SP_EUlS13_E_NS1_11comp_targetILNS1_3genE0ELNS1_11target_archE4294967295ELNS1_3gpuE0ELNS1_3repE0EEENS1_47radix_sort_onesweep_sort_config_static_selectorELNS0_4arch9wavefront6targetE1EEEvSK_.num_vgpr, 0
	.set _ZN7rocprim17ROCPRIM_400000_NS6detail17trampoline_kernelINS0_14default_configENS1_35radix_sort_onesweep_config_selectorIfNS0_10empty_typeEEEZZNS1_29radix_sort_onesweep_iterationIS3_Lb0EN6thrust23THRUST_200600_302600_NS6detail15normal_iteratorINS9_10device_ptrIfEEEESE_PS5_SF_jNS0_19identity_decomposerENS1_16block_id_wrapperIjLb0EEEEE10hipError_tT1_PNSt15iterator_traitsISK_E10value_typeET2_T3_PNSL_ISQ_E10value_typeET4_T5_PSV_SW_PNS1_23onesweep_lookback_stateEbbT6_jjT7_P12ihipStream_tbENKUlT_T0_SK_SP_E_clISE_SE_SF_SF_EEDaS13_S14_SK_SP_EUlS13_E_NS1_11comp_targetILNS1_3genE0ELNS1_11target_archE4294967295ELNS1_3gpuE0ELNS1_3repE0EEENS1_47radix_sort_onesweep_sort_config_static_selectorELNS0_4arch9wavefront6targetE1EEEvSK_.num_agpr, 0
	.set _ZN7rocprim17ROCPRIM_400000_NS6detail17trampoline_kernelINS0_14default_configENS1_35radix_sort_onesweep_config_selectorIfNS0_10empty_typeEEEZZNS1_29radix_sort_onesweep_iterationIS3_Lb0EN6thrust23THRUST_200600_302600_NS6detail15normal_iteratorINS9_10device_ptrIfEEEESE_PS5_SF_jNS0_19identity_decomposerENS1_16block_id_wrapperIjLb0EEEEE10hipError_tT1_PNSt15iterator_traitsISK_E10value_typeET2_T3_PNSL_ISQ_E10value_typeET4_T5_PSV_SW_PNS1_23onesweep_lookback_stateEbbT6_jjT7_P12ihipStream_tbENKUlT_T0_SK_SP_E_clISE_SE_SF_SF_EEDaS13_S14_SK_SP_EUlS13_E_NS1_11comp_targetILNS1_3genE0ELNS1_11target_archE4294967295ELNS1_3gpuE0ELNS1_3repE0EEENS1_47radix_sort_onesweep_sort_config_static_selectorELNS0_4arch9wavefront6targetE1EEEvSK_.numbered_sgpr, 0
	.set _ZN7rocprim17ROCPRIM_400000_NS6detail17trampoline_kernelINS0_14default_configENS1_35radix_sort_onesweep_config_selectorIfNS0_10empty_typeEEEZZNS1_29radix_sort_onesweep_iterationIS3_Lb0EN6thrust23THRUST_200600_302600_NS6detail15normal_iteratorINS9_10device_ptrIfEEEESE_PS5_SF_jNS0_19identity_decomposerENS1_16block_id_wrapperIjLb0EEEEE10hipError_tT1_PNSt15iterator_traitsISK_E10value_typeET2_T3_PNSL_ISQ_E10value_typeET4_T5_PSV_SW_PNS1_23onesweep_lookback_stateEbbT6_jjT7_P12ihipStream_tbENKUlT_T0_SK_SP_E_clISE_SE_SF_SF_EEDaS13_S14_SK_SP_EUlS13_E_NS1_11comp_targetILNS1_3genE0ELNS1_11target_archE4294967295ELNS1_3gpuE0ELNS1_3repE0EEENS1_47radix_sort_onesweep_sort_config_static_selectorELNS0_4arch9wavefront6targetE1EEEvSK_.num_named_barrier, 0
	.set _ZN7rocprim17ROCPRIM_400000_NS6detail17trampoline_kernelINS0_14default_configENS1_35radix_sort_onesweep_config_selectorIfNS0_10empty_typeEEEZZNS1_29radix_sort_onesweep_iterationIS3_Lb0EN6thrust23THRUST_200600_302600_NS6detail15normal_iteratorINS9_10device_ptrIfEEEESE_PS5_SF_jNS0_19identity_decomposerENS1_16block_id_wrapperIjLb0EEEEE10hipError_tT1_PNSt15iterator_traitsISK_E10value_typeET2_T3_PNSL_ISQ_E10value_typeET4_T5_PSV_SW_PNS1_23onesweep_lookback_stateEbbT6_jjT7_P12ihipStream_tbENKUlT_T0_SK_SP_E_clISE_SE_SF_SF_EEDaS13_S14_SK_SP_EUlS13_E_NS1_11comp_targetILNS1_3genE0ELNS1_11target_archE4294967295ELNS1_3gpuE0ELNS1_3repE0EEENS1_47radix_sort_onesweep_sort_config_static_selectorELNS0_4arch9wavefront6targetE1EEEvSK_.private_seg_size, 0
	.set _ZN7rocprim17ROCPRIM_400000_NS6detail17trampoline_kernelINS0_14default_configENS1_35radix_sort_onesweep_config_selectorIfNS0_10empty_typeEEEZZNS1_29radix_sort_onesweep_iterationIS3_Lb0EN6thrust23THRUST_200600_302600_NS6detail15normal_iteratorINS9_10device_ptrIfEEEESE_PS5_SF_jNS0_19identity_decomposerENS1_16block_id_wrapperIjLb0EEEEE10hipError_tT1_PNSt15iterator_traitsISK_E10value_typeET2_T3_PNSL_ISQ_E10value_typeET4_T5_PSV_SW_PNS1_23onesweep_lookback_stateEbbT6_jjT7_P12ihipStream_tbENKUlT_T0_SK_SP_E_clISE_SE_SF_SF_EEDaS13_S14_SK_SP_EUlS13_E_NS1_11comp_targetILNS1_3genE0ELNS1_11target_archE4294967295ELNS1_3gpuE0ELNS1_3repE0EEENS1_47radix_sort_onesweep_sort_config_static_selectorELNS0_4arch9wavefront6targetE1EEEvSK_.uses_vcc, 0
	.set _ZN7rocprim17ROCPRIM_400000_NS6detail17trampoline_kernelINS0_14default_configENS1_35radix_sort_onesweep_config_selectorIfNS0_10empty_typeEEEZZNS1_29radix_sort_onesweep_iterationIS3_Lb0EN6thrust23THRUST_200600_302600_NS6detail15normal_iteratorINS9_10device_ptrIfEEEESE_PS5_SF_jNS0_19identity_decomposerENS1_16block_id_wrapperIjLb0EEEEE10hipError_tT1_PNSt15iterator_traitsISK_E10value_typeET2_T3_PNSL_ISQ_E10value_typeET4_T5_PSV_SW_PNS1_23onesweep_lookback_stateEbbT6_jjT7_P12ihipStream_tbENKUlT_T0_SK_SP_E_clISE_SE_SF_SF_EEDaS13_S14_SK_SP_EUlS13_E_NS1_11comp_targetILNS1_3genE0ELNS1_11target_archE4294967295ELNS1_3gpuE0ELNS1_3repE0EEENS1_47radix_sort_onesweep_sort_config_static_selectorELNS0_4arch9wavefront6targetE1EEEvSK_.uses_flat_scratch, 0
	.set _ZN7rocprim17ROCPRIM_400000_NS6detail17trampoline_kernelINS0_14default_configENS1_35radix_sort_onesweep_config_selectorIfNS0_10empty_typeEEEZZNS1_29radix_sort_onesweep_iterationIS3_Lb0EN6thrust23THRUST_200600_302600_NS6detail15normal_iteratorINS9_10device_ptrIfEEEESE_PS5_SF_jNS0_19identity_decomposerENS1_16block_id_wrapperIjLb0EEEEE10hipError_tT1_PNSt15iterator_traitsISK_E10value_typeET2_T3_PNSL_ISQ_E10value_typeET4_T5_PSV_SW_PNS1_23onesweep_lookback_stateEbbT6_jjT7_P12ihipStream_tbENKUlT_T0_SK_SP_E_clISE_SE_SF_SF_EEDaS13_S14_SK_SP_EUlS13_E_NS1_11comp_targetILNS1_3genE0ELNS1_11target_archE4294967295ELNS1_3gpuE0ELNS1_3repE0EEENS1_47radix_sort_onesweep_sort_config_static_selectorELNS0_4arch9wavefront6targetE1EEEvSK_.has_dyn_sized_stack, 0
	.set _ZN7rocprim17ROCPRIM_400000_NS6detail17trampoline_kernelINS0_14default_configENS1_35radix_sort_onesweep_config_selectorIfNS0_10empty_typeEEEZZNS1_29radix_sort_onesweep_iterationIS3_Lb0EN6thrust23THRUST_200600_302600_NS6detail15normal_iteratorINS9_10device_ptrIfEEEESE_PS5_SF_jNS0_19identity_decomposerENS1_16block_id_wrapperIjLb0EEEEE10hipError_tT1_PNSt15iterator_traitsISK_E10value_typeET2_T3_PNSL_ISQ_E10value_typeET4_T5_PSV_SW_PNS1_23onesweep_lookback_stateEbbT6_jjT7_P12ihipStream_tbENKUlT_T0_SK_SP_E_clISE_SE_SF_SF_EEDaS13_S14_SK_SP_EUlS13_E_NS1_11comp_targetILNS1_3genE0ELNS1_11target_archE4294967295ELNS1_3gpuE0ELNS1_3repE0EEENS1_47radix_sort_onesweep_sort_config_static_selectorELNS0_4arch9wavefront6targetE1EEEvSK_.has_recursion, 0
	.set _ZN7rocprim17ROCPRIM_400000_NS6detail17trampoline_kernelINS0_14default_configENS1_35radix_sort_onesweep_config_selectorIfNS0_10empty_typeEEEZZNS1_29radix_sort_onesweep_iterationIS3_Lb0EN6thrust23THRUST_200600_302600_NS6detail15normal_iteratorINS9_10device_ptrIfEEEESE_PS5_SF_jNS0_19identity_decomposerENS1_16block_id_wrapperIjLb0EEEEE10hipError_tT1_PNSt15iterator_traitsISK_E10value_typeET2_T3_PNSL_ISQ_E10value_typeET4_T5_PSV_SW_PNS1_23onesweep_lookback_stateEbbT6_jjT7_P12ihipStream_tbENKUlT_T0_SK_SP_E_clISE_SE_SF_SF_EEDaS13_S14_SK_SP_EUlS13_E_NS1_11comp_targetILNS1_3genE0ELNS1_11target_archE4294967295ELNS1_3gpuE0ELNS1_3repE0EEENS1_47radix_sort_onesweep_sort_config_static_selectorELNS0_4arch9wavefront6targetE1EEEvSK_.has_indirect_call, 0
	.section	.AMDGPU.csdata,"",@progbits
; Kernel info:
; codeLenInByte = 0
; TotalNumSgprs: 6
; NumVgprs: 0
; NumAgprs: 0
; TotalNumVgprs: 0
; ScratchSize: 0
; MemoryBound: 0
; FloatMode: 240
; IeeeMode: 1
; LDSByteSize: 0 bytes/workgroup (compile time only)
; SGPRBlocks: 0
; VGPRBlocks: 0
; NumSGPRsForWavesPerEU: 6
; NumVGPRsForWavesPerEU: 1
; AccumOffset: 4
; Occupancy: 8
; WaveLimiterHint : 0
; COMPUTE_PGM_RSRC2:SCRATCH_EN: 0
; COMPUTE_PGM_RSRC2:USER_SGPR: 2
; COMPUTE_PGM_RSRC2:TRAP_HANDLER: 0
; COMPUTE_PGM_RSRC2:TGID_X_EN: 1
; COMPUTE_PGM_RSRC2:TGID_Y_EN: 0
; COMPUTE_PGM_RSRC2:TGID_Z_EN: 0
; COMPUTE_PGM_RSRC2:TIDIG_COMP_CNT: 0
; COMPUTE_PGM_RSRC3_GFX90A:ACCUM_OFFSET: 0
; COMPUTE_PGM_RSRC3_GFX90A:TG_SPLIT: 0
	.section	.text._ZN7rocprim17ROCPRIM_400000_NS6detail17trampoline_kernelINS0_14default_configENS1_35radix_sort_onesweep_config_selectorIfNS0_10empty_typeEEEZZNS1_29radix_sort_onesweep_iterationIS3_Lb0EN6thrust23THRUST_200600_302600_NS6detail15normal_iteratorINS9_10device_ptrIfEEEESE_PS5_SF_jNS0_19identity_decomposerENS1_16block_id_wrapperIjLb0EEEEE10hipError_tT1_PNSt15iterator_traitsISK_E10value_typeET2_T3_PNSL_ISQ_E10value_typeET4_T5_PSV_SW_PNS1_23onesweep_lookback_stateEbbT6_jjT7_P12ihipStream_tbENKUlT_T0_SK_SP_E_clISE_SE_SF_SF_EEDaS13_S14_SK_SP_EUlS13_E_NS1_11comp_targetILNS1_3genE6ELNS1_11target_archE950ELNS1_3gpuE13ELNS1_3repE0EEENS1_47radix_sort_onesweep_sort_config_static_selectorELNS0_4arch9wavefront6targetE1EEEvSK_,"axG",@progbits,_ZN7rocprim17ROCPRIM_400000_NS6detail17trampoline_kernelINS0_14default_configENS1_35radix_sort_onesweep_config_selectorIfNS0_10empty_typeEEEZZNS1_29radix_sort_onesweep_iterationIS3_Lb0EN6thrust23THRUST_200600_302600_NS6detail15normal_iteratorINS9_10device_ptrIfEEEESE_PS5_SF_jNS0_19identity_decomposerENS1_16block_id_wrapperIjLb0EEEEE10hipError_tT1_PNSt15iterator_traitsISK_E10value_typeET2_T3_PNSL_ISQ_E10value_typeET4_T5_PSV_SW_PNS1_23onesweep_lookback_stateEbbT6_jjT7_P12ihipStream_tbENKUlT_T0_SK_SP_E_clISE_SE_SF_SF_EEDaS13_S14_SK_SP_EUlS13_E_NS1_11comp_targetILNS1_3genE6ELNS1_11target_archE950ELNS1_3gpuE13ELNS1_3repE0EEENS1_47radix_sort_onesweep_sort_config_static_selectorELNS0_4arch9wavefront6targetE1EEEvSK_,comdat
	.protected	_ZN7rocprim17ROCPRIM_400000_NS6detail17trampoline_kernelINS0_14default_configENS1_35radix_sort_onesweep_config_selectorIfNS0_10empty_typeEEEZZNS1_29radix_sort_onesweep_iterationIS3_Lb0EN6thrust23THRUST_200600_302600_NS6detail15normal_iteratorINS9_10device_ptrIfEEEESE_PS5_SF_jNS0_19identity_decomposerENS1_16block_id_wrapperIjLb0EEEEE10hipError_tT1_PNSt15iterator_traitsISK_E10value_typeET2_T3_PNSL_ISQ_E10value_typeET4_T5_PSV_SW_PNS1_23onesweep_lookback_stateEbbT6_jjT7_P12ihipStream_tbENKUlT_T0_SK_SP_E_clISE_SE_SF_SF_EEDaS13_S14_SK_SP_EUlS13_E_NS1_11comp_targetILNS1_3genE6ELNS1_11target_archE950ELNS1_3gpuE13ELNS1_3repE0EEENS1_47radix_sort_onesweep_sort_config_static_selectorELNS0_4arch9wavefront6targetE1EEEvSK_ ; -- Begin function _ZN7rocprim17ROCPRIM_400000_NS6detail17trampoline_kernelINS0_14default_configENS1_35radix_sort_onesweep_config_selectorIfNS0_10empty_typeEEEZZNS1_29radix_sort_onesweep_iterationIS3_Lb0EN6thrust23THRUST_200600_302600_NS6detail15normal_iteratorINS9_10device_ptrIfEEEESE_PS5_SF_jNS0_19identity_decomposerENS1_16block_id_wrapperIjLb0EEEEE10hipError_tT1_PNSt15iterator_traitsISK_E10value_typeET2_T3_PNSL_ISQ_E10value_typeET4_T5_PSV_SW_PNS1_23onesweep_lookback_stateEbbT6_jjT7_P12ihipStream_tbENKUlT_T0_SK_SP_E_clISE_SE_SF_SF_EEDaS13_S14_SK_SP_EUlS13_E_NS1_11comp_targetILNS1_3genE6ELNS1_11target_archE950ELNS1_3gpuE13ELNS1_3repE0EEENS1_47radix_sort_onesweep_sort_config_static_selectorELNS0_4arch9wavefront6targetE1EEEvSK_
	.globl	_ZN7rocprim17ROCPRIM_400000_NS6detail17trampoline_kernelINS0_14default_configENS1_35radix_sort_onesweep_config_selectorIfNS0_10empty_typeEEEZZNS1_29radix_sort_onesweep_iterationIS3_Lb0EN6thrust23THRUST_200600_302600_NS6detail15normal_iteratorINS9_10device_ptrIfEEEESE_PS5_SF_jNS0_19identity_decomposerENS1_16block_id_wrapperIjLb0EEEEE10hipError_tT1_PNSt15iterator_traitsISK_E10value_typeET2_T3_PNSL_ISQ_E10value_typeET4_T5_PSV_SW_PNS1_23onesweep_lookback_stateEbbT6_jjT7_P12ihipStream_tbENKUlT_T0_SK_SP_E_clISE_SE_SF_SF_EEDaS13_S14_SK_SP_EUlS13_E_NS1_11comp_targetILNS1_3genE6ELNS1_11target_archE950ELNS1_3gpuE13ELNS1_3repE0EEENS1_47radix_sort_onesweep_sort_config_static_selectorELNS0_4arch9wavefront6targetE1EEEvSK_
	.p2align	8
	.type	_ZN7rocprim17ROCPRIM_400000_NS6detail17trampoline_kernelINS0_14default_configENS1_35radix_sort_onesweep_config_selectorIfNS0_10empty_typeEEEZZNS1_29radix_sort_onesweep_iterationIS3_Lb0EN6thrust23THRUST_200600_302600_NS6detail15normal_iteratorINS9_10device_ptrIfEEEESE_PS5_SF_jNS0_19identity_decomposerENS1_16block_id_wrapperIjLb0EEEEE10hipError_tT1_PNSt15iterator_traitsISK_E10value_typeET2_T3_PNSL_ISQ_E10value_typeET4_T5_PSV_SW_PNS1_23onesweep_lookback_stateEbbT6_jjT7_P12ihipStream_tbENKUlT_T0_SK_SP_E_clISE_SE_SF_SF_EEDaS13_S14_SK_SP_EUlS13_E_NS1_11comp_targetILNS1_3genE6ELNS1_11target_archE950ELNS1_3gpuE13ELNS1_3repE0EEENS1_47radix_sort_onesweep_sort_config_static_selectorELNS0_4arch9wavefront6targetE1EEEvSK_,@function
_ZN7rocprim17ROCPRIM_400000_NS6detail17trampoline_kernelINS0_14default_configENS1_35radix_sort_onesweep_config_selectorIfNS0_10empty_typeEEEZZNS1_29radix_sort_onesweep_iterationIS3_Lb0EN6thrust23THRUST_200600_302600_NS6detail15normal_iteratorINS9_10device_ptrIfEEEESE_PS5_SF_jNS0_19identity_decomposerENS1_16block_id_wrapperIjLb0EEEEE10hipError_tT1_PNSt15iterator_traitsISK_E10value_typeET2_T3_PNSL_ISQ_E10value_typeET4_T5_PSV_SW_PNS1_23onesweep_lookback_stateEbbT6_jjT7_P12ihipStream_tbENKUlT_T0_SK_SP_E_clISE_SE_SF_SF_EEDaS13_S14_SK_SP_EUlS13_E_NS1_11comp_targetILNS1_3genE6ELNS1_11target_archE950ELNS1_3gpuE13ELNS1_3repE0EEENS1_47radix_sort_onesweep_sort_config_static_selectorELNS0_4arch9wavefront6targetE1EEEvSK_: ; @_ZN7rocprim17ROCPRIM_400000_NS6detail17trampoline_kernelINS0_14default_configENS1_35radix_sort_onesweep_config_selectorIfNS0_10empty_typeEEEZZNS1_29radix_sort_onesweep_iterationIS3_Lb0EN6thrust23THRUST_200600_302600_NS6detail15normal_iteratorINS9_10device_ptrIfEEEESE_PS5_SF_jNS0_19identity_decomposerENS1_16block_id_wrapperIjLb0EEEEE10hipError_tT1_PNSt15iterator_traitsISK_E10value_typeET2_T3_PNSL_ISQ_E10value_typeET4_T5_PSV_SW_PNS1_23onesweep_lookback_stateEbbT6_jjT7_P12ihipStream_tbENKUlT_T0_SK_SP_E_clISE_SE_SF_SF_EEDaS13_S14_SK_SP_EUlS13_E_NS1_11comp_targetILNS1_3genE6ELNS1_11target_archE950ELNS1_3gpuE13ELNS1_3repE0EEENS1_47radix_sort_onesweep_sort_config_static_selectorELNS0_4arch9wavefront6targetE1EEEvSK_
; %bb.0:
	s_load_dwordx2 s[28:29], s[0:1], 0x38
	s_load_dwordx4 s[20:23], s[0:1], 0x44
	s_load_dwordx4 s[24:27], s[0:1], 0x0
	;; [unrolled: 1-line block ×3, first 2 shown]
	s_mov_b64 s[4:5], -1
	v_mbcnt_lo_u32_b32 v1, -1, 0
	s_waitcnt lgkmcnt(0)
	s_cmp_ge_u32 s2, s22
	s_cbranch_scc0 .LBB587_82
; %bb.1:
	s_load_dword s3, s[0:1], 0x20
	s_lshl_b32 s6, s22, 13
	s_lshl_b32 s4, s2, 13
	s_mov_b32 s5, 0
	v_and_b32_e32 v10, 0x3ff, v0
	s_waitcnt lgkmcnt(0)
	s_sub_i32 s3, s3, s6
	s_lshl_b64 s[4:5], s[4:5], 2
	v_mbcnt_hi_u32_b32 v16, -1, v1
	s_add_u32 s4, s24, s4
	v_and_b32_e32 v6, 63, v16
	v_lshlrev_b32_e32 v2, 3, v10
	s_addc_u32 s5, s25, s5
	v_and_b32_e32 v7, 0x1e00, v2
	v_lshlrev_b32_e32 v2, 2, v6
	v_mov_b32_e32 v3, 0
	v_lshl_add_u64 v[4:5], s[4:5], 0, v[2:3]
	v_lshlrev_b32_e32 v2, 2, v7
	v_lshl_add_u64 v[12:13], v[4:5], 0, v[2:3]
	v_or_b32_e32 v11, v6, v7
	v_bfrev_b32_e32 v2, -2
	v_cmp_gt_u32_e32 vcc, s3, v11
	v_mov_b32_e32 v3, v2
	v_mov_b32_e32 v4, v2
	;; [unrolled: 1-line block ×7, first 2 shown]
	s_and_saveexec_b64 s[4:5], vcc
	s_cbranch_execz .LBB587_3
; %bb.2:
	global_load_dword v18, v[12:13], off
	v_mov_b32_e32 v19, v2
	v_mov_b32_e32 v20, v2
	;; [unrolled: 1-line block ×7, first 2 shown]
	s_waitcnt vmcnt(0)
	v_mov_b64_e32 v[2:3], v[18:19]
	v_mov_b64_e32 v[4:5], v[20:21]
	;; [unrolled: 1-line block ×4, first 2 shown]
.LBB587_3:
	s_or_b64 exec, exec, s[4:5]
	v_or_b32_e32 v14, 64, v11
	v_cmp_gt_u32_e32 vcc, s3, v14
	s_and_saveexec_b64 s[4:5], vcc
	s_cbranch_execz .LBB587_5
; %bb.4:
	global_load_dword v3, v[12:13], off offset:256
.LBB587_5:
	s_or_b64 exec, exec, s[4:5]
	v_or_b32_e32 v14, 0x80, v11
	v_cmp_gt_u32_e32 vcc, s3, v14
	s_and_saveexec_b64 s[4:5], vcc
	s_cbranch_execz .LBB587_7
; %bb.6:
	global_load_dword v4, v[12:13], off offset:512
.LBB587_7:
	;; [unrolled: 8-line block ×7, first 2 shown]
	s_or_b64 exec, exec, s[4:5]
	s_load_dword s4, s[0:1], 0x64
	s_load_dword s22, s[0:1], 0x58
	s_add_u32 s5, s0, 0x58
	s_addc_u32 s6, s1, 0
	v_mov_b32_e32 v13, 0
	s_waitcnt lgkmcnt(0)
	s_lshr_b32 s7, s4, 16
	s_cmp_lt_u32 s2, s22
	s_cselect_b32 s4, 12, 18
	s_add_u32 s4, s5, s4
	s_addc_u32 s5, s6, 0
	global_load_ushort v18, v13, s[4:5]
	v_bfrev_b32_e32 v19, 1
	v_cmp_lt_i32_e32 vcc, -1, v2
	s_brev_b32 s30, -2
	s_lshl_b32 s4, -1, s21
	v_cndmask_b32_e32 v11, -1, v19, vcc
	v_xor_b32_e32 v11, v11, v2
	v_cmp_ne_u32_e32 vcc, s30, v11
	v_bfe_u32 v12, v0, 10, 10
	v_bfe_u32 v15, v0, 20, 10
	v_cndmask_b32_e32 v2, v19, v11, vcc
	v_lshrrev_b32_e32 v2, s20, v2
	v_bitop3_b32 v2, v2, s4, v2 bitop3:0x30
	v_mad_u32_u24 v32, v15, s7, v12
	v_and_b32_e32 v12, 1, v2
	v_lshlrev_b32_e32 v15, 30, v2
	v_mov_b32_e32 v14, v13
	v_mov_b32_e32 v22, v13
	v_lshlrev_b32_e32 v21, 29, v2
	v_lshlrev_b32_e32 v23, 28, v2
	v_lshl_add_u64 v[28:29], v[12:13], 0, -1
	v_cmp_ne_u32_e32 vcc, 0, v12
	v_not_b32_e32 v12, v15
	v_mov_b32_e32 v20, v13
	v_mov_b32_e32 v24, v13
	s_not_b32 s23, s4
	v_lshlrev_b32_e32 v25, 27, v2
	v_cmp_gt_i64_e64 s[4:5], 0, v[14:15]
	v_not_b32_e32 v14, v21
	v_cmp_gt_i64_e64 s[8:9], 0, v[22:23]
	v_xor_b32_e32 v22, vcc_hi, v29
	v_ashrrev_i32_e32 v12, 31, v12
	v_cmp_gt_i64_e64 s[6:7], 0, v[20:21]
	v_not_b32_e32 v15, v23
	v_cmp_gt_i64_e64 s[10:11], 0, v[24:25]
	v_xor_b32_e32 v23, vcc_lo, v28
	v_ashrrev_i32_e32 v14, 31, v14
	v_and_b32_e32 v22, exec_hi, v22
	v_xor_b32_e32 v24, s5, v12
	v_mov_b32_e32 v26, v13
	v_lshlrev_b32_e32 v27, 26, v2
	v_not_b32_e32 v20, v25
	v_ashrrev_i32_e32 v15, 31, v15
	v_and_b32_e32 v23, exec_lo, v23
	v_xor_b32_e32 v12, s4, v12
	v_xor_b32_e32 v25, s7, v14
	v_and_b32_e32 v22, v22, v24
	v_cmp_gt_i64_e64 s[12:13], 0, v[26:27]
	v_not_b32_e32 v21, v27
	v_ashrrev_i32_e32 v20, 31, v20
	v_xor_b32_e32 v14, s6, v14
	v_xor_b32_e32 v26, s9, v15
	v_and_b32_e32 v12, v23, v12
	v_and_b32_e32 v22, v22, v25
	v_ashrrev_i32_e32 v21, 31, v21
	v_xor_b32_e32 v15, s8, v15
	v_xor_b32_e32 v27, s11, v20
	v_and_b32_e32 v12, v12, v14
	v_and_b32_e32 v14, v22, v26
	v_xor_b32_e32 v20, s10, v20
	v_xor_b32_e32 v28, s13, v21
	v_and_b32_e32 v12, v12, v15
	v_and_b32_e32 v14, v14, v27
	;; [unrolled: 1-line block ×4, first 2 shown]
	v_lshlrev_b32_e32 v31, 25, v2
	v_mov_b32_e32 v30, v13
	v_cmp_gt_i64_e64 s[14:15], 0, v[30:31]
	v_xor_b32_e32 v21, s12, v21
	s_movk_i32 s31, 0x44
	v_and_b32_e32 v12, v12, v21
	v_mul_lo_u32 v33, v2, s31
	v_mul_u32_u24_e32 v17, 20, v10
	ds_write2_b32 v17, v13, v13 offset0:16 offset1:17
	ds_write2_b32 v17, v13, v13 offset0:18 offset1:19
	ds_write_b32 v17, v13 offset:80
	s_waitcnt lgkmcnt(0)
	s_barrier
	s_waitcnt vmcnt(0)
	; wave barrier
	v_mad_u64_u32 v[14:15], s[4:5], v32, v18, v[10:11]
	v_lshrrev_b32_e32 v14, 4, v14
	v_and_b32_e32 v29, 0xffffffc, v14
	v_not_b32_e32 v14, v31
	v_ashrrev_i32_e32 v14, 31, v14
	v_xor_b32_e32 v15, s15, v14
	v_xor_b32_e32 v14, s14, v14
	v_and_b32_e32 v18, v20, v15
	v_lshlrev_b32_e32 v15, 24, v2
	v_and_b32_e32 v12, v12, v14
	v_mov_b32_e32 v14, v13
	v_not_b32_e32 v2, v15
	v_cmp_gt_i64_e32 vcc, 0, v[14:15]
	v_ashrrev_i32_e32 v2, 31, v2
	v_add_u32_e32 v22, v29, v33
	v_xor_b32_e32 v14, vcc_hi, v2
	v_xor_b32_e32 v2, vcc_lo, v2
	v_and_b32_e32 v15, v18, v14
	v_and_b32_e32 v14, v12, v2
	v_mbcnt_lo_u32_b32 v2, v14, 0
	v_mbcnt_hi_u32_b32 v18, v15, v2
	v_cmp_eq_u32_e32 vcc, 0, v18
	v_cmp_ne_u64_e64 s[4:5], 0, v[14:15]
	s_and_b64 s[6:7], s[4:5], vcc
	s_and_saveexec_b64 s[4:5], s[6:7]
; %bb.18:
	v_bcnt_u32_b32 v2, v14, 0
	v_bcnt_u32_b32 v2, v15, v2
	ds_write_b32 v22, v2 offset:64
; %bb.19:
	s_or_b64 exec, exec, s[4:5]
	v_cmp_lt_i32_e32 vcc, -1, v3
	; wave barrier
	s_nop 1
	v_cndmask_b32_e32 v2, -1, v19, vcc
	v_xor_b32_e32 v14, v2, v3
	v_cmp_ne_u32_e32 vcc, s30, v14
	s_nop 1
	v_cndmask_b32_e32 v2, v19, v14, vcc
	v_lshrrev_b32_e32 v2, s20, v2
	v_and_b32_e32 v15, s23, v2
	v_mul_lo_u32 v2, v15, s31
	v_and_b32_e32 v12, 1, v15
	v_add_u32_e32 v23, v29, v2
	v_lshl_add_u64 v[2:3], v[12:13], 0, -1
	v_cmp_ne_u32_e32 vcc, 0, v12
	ds_read_b32 v19, v23 offset:64
	s_nop 0
	v_xor_b32_e32 v3, vcc_hi, v3
	v_xor_b32_e32 v2, vcc_lo, v2
	v_and_b32_e32 v12, exec_hi, v3
	v_and_b32_e32 v20, exec_lo, v2
	v_lshlrev_b32_e32 v3, 30, v15
	v_mov_b32_e32 v2, v13
	v_cmp_gt_i64_e32 vcc, 0, v[2:3]
	v_not_b32_e32 v2, v3
	v_ashrrev_i32_e32 v2, 31, v2
	v_xor_b32_e32 v3, vcc_hi, v2
	v_xor_b32_e32 v2, vcc_lo, v2
	v_and_b32_e32 v12, v12, v3
	v_and_b32_e32 v20, v20, v2
	v_lshlrev_b32_e32 v3, 29, v15
	v_mov_b32_e32 v2, v13
	v_cmp_gt_i64_e32 vcc, 0, v[2:3]
	v_not_b32_e32 v2, v3
	v_ashrrev_i32_e32 v2, 31, v2
	v_xor_b32_e32 v3, vcc_hi, v2
	v_xor_b32_e32 v2, vcc_lo, v2
	v_and_b32_e32 v12, v12, v3
	v_and_b32_e32 v20, v20, v2
	;; [unrolled: 9-line block ×7, first 2 shown]
	v_mbcnt_lo_u32_b32 v12, v2, 0
	v_mbcnt_hi_u32_b32 v20, v3, v12
	v_cmp_eq_u32_e32 vcc, 0, v20
	v_cmp_ne_u64_e64 s[4:5], 0, v[2:3]
	s_and_b64 s[6:7], s[4:5], vcc
	; wave barrier
	s_and_saveexec_b64 s[4:5], s[6:7]
	s_cbranch_execz .LBB587_21
; %bb.20:
	v_bcnt_u32_b32 v2, v2, 0
	v_bcnt_u32_b32 v2, v3, v2
	s_waitcnt lgkmcnt(0)
	v_add_u32_e32 v2, v19, v2
	ds_write_b32 v23, v2 offset:64
.LBB587_21:
	s_or_b64 exec, exec, s[4:5]
	v_bfrev_b32_e32 v24, 1
	v_cmp_lt_i32_e32 vcc, -1, v4
	s_brev_b32 s6, -2
	s_movk_i32 s7, 0x44
	v_cndmask_b32_e32 v2, -1, v24, vcc
	v_xor_b32_e32 v15, v2, v4
	v_cmp_ne_u32_e32 vcc, s6, v15
	v_mov_b32_e32 v3, 0
	s_nop 0
	v_cndmask_b32_e32 v2, v24, v15, vcc
	v_lshrrev_b32_e32 v2, s20, v2
	v_and_b32_e32 v4, s23, v2
	v_mul_lo_u32 v2, v4, s7
	v_add_u32_e32 v27, v29, v2
	v_and_b32_e32 v2, 1, v4
	v_lshl_add_u64 v[12:13], v[2:3], 0, -1
	v_cmp_ne_u32_e32 vcc, 0, v2
	; wave barrier
	ds_read_b32 v21, v27 offset:64
	s_nop 0
	v_xor_b32_e32 v12, vcc_lo, v12
	v_xor_b32_e32 v2, vcc_hi, v13
	v_and_b32_e32 v25, exec_lo, v12
	v_lshlrev_b32_e32 v13, 30, v4
	v_mov_b32_e32 v12, v3
	v_cmp_gt_i64_e32 vcc, 0, v[12:13]
	v_not_b32_e32 v12, v13
	v_ashrrev_i32_e32 v12, 31, v12
	v_and_b32_e32 v2, exec_hi, v2
	v_xor_b32_e32 v13, vcc_hi, v12
	v_xor_b32_e32 v12, vcc_lo, v12
	v_and_b32_e32 v2, v2, v13
	v_and_b32_e32 v25, v25, v12
	v_lshlrev_b32_e32 v13, 29, v4
	v_mov_b32_e32 v12, v3
	v_cmp_gt_i64_e32 vcc, 0, v[12:13]
	v_not_b32_e32 v12, v13
	v_ashrrev_i32_e32 v12, 31, v12
	v_xor_b32_e32 v13, vcc_hi, v12
	v_xor_b32_e32 v12, vcc_lo, v12
	v_and_b32_e32 v2, v2, v13
	v_and_b32_e32 v25, v25, v12
	v_lshlrev_b32_e32 v13, 28, v4
	v_mov_b32_e32 v12, v3
	v_cmp_gt_i64_e32 vcc, 0, v[12:13]
	v_not_b32_e32 v12, v13
	v_ashrrev_i32_e32 v12, 31, v12
	;; [unrolled: 9-line block ×5, first 2 shown]
	v_xor_b32_e32 v13, vcc_hi, v12
	v_xor_b32_e32 v12, vcc_lo, v12
	v_and_b32_e32 v2, v2, v13
	v_lshlrev_b32_e32 v13, 24, v4
	v_and_b32_e32 v25, v25, v12
	v_mov_b32_e32 v12, v3
	v_not_b32_e32 v4, v13
	v_cmp_gt_i64_e32 vcc, 0, v[12:13]
	v_ashrrev_i32_e32 v4, 31, v4
	s_nop 0
	v_xor_b32_e32 v12, vcc_hi, v4
	v_xor_b32_e32 v4, vcc_lo, v4
	v_and_b32_e32 v13, v2, v12
	v_and_b32_e32 v12, v25, v4
	v_mbcnt_lo_u32_b32 v2, v12, 0
	v_mbcnt_hi_u32_b32 v25, v13, v2
	v_cmp_eq_u32_e32 vcc, 0, v25
	v_cmp_ne_u64_e64 s[4:5], 0, v[12:13]
	s_and_b64 s[8:9], s[4:5], vcc
	; wave barrier
	s_and_saveexec_b64 s[4:5], s[8:9]
	s_cbranch_execz .LBB587_23
; %bb.22:
	v_bcnt_u32_b32 v2, v12, 0
	v_bcnt_u32_b32 v2, v13, v2
	s_waitcnt lgkmcnt(0)
	v_add_u32_e32 v2, v21, v2
	ds_write_b32 v27, v2 offset:64
.LBB587_23:
	s_or_b64 exec, exec, s[4:5]
	v_cmp_lt_i32_e32 vcc, -1, v5
	; wave barrier
	s_nop 1
	v_cndmask_b32_e32 v2, -1, v24, vcc
	v_xor_b32_e32 v12, v2, v5
	v_cmp_ne_u32_e32 vcc, s6, v12
	s_nop 1
	v_cndmask_b32_e32 v2, v24, v12, vcc
	v_lshrrev_b32_e32 v2, s20, v2
	v_and_b32_e32 v13, s23, v2
	v_mul_lo_u32 v2, v13, s7
	v_add_u32_e32 v31, v29, v2
	v_and_b32_e32 v2, 1, v13
	v_lshl_add_u64 v[4:5], v[2:3], 0, -1
	v_cmp_ne_u32_e32 vcc, 0, v2
	ds_read_b32 v26, v31 offset:64
	s_nop 0
	v_xor_b32_e32 v4, vcc_lo, v4
	v_xor_b32_e32 v2, vcc_hi, v5
	v_and_b32_e32 v24, exec_lo, v4
	v_lshlrev_b32_e32 v5, 30, v13
	v_mov_b32_e32 v4, v3
	v_cmp_gt_i64_e32 vcc, 0, v[4:5]
	v_not_b32_e32 v4, v5
	v_ashrrev_i32_e32 v4, 31, v4
	v_and_b32_e32 v2, exec_hi, v2
	v_xor_b32_e32 v5, vcc_hi, v4
	v_xor_b32_e32 v4, vcc_lo, v4
	v_and_b32_e32 v2, v2, v5
	v_and_b32_e32 v24, v24, v4
	v_lshlrev_b32_e32 v5, 29, v13
	v_mov_b32_e32 v4, v3
	v_cmp_gt_i64_e32 vcc, 0, v[4:5]
	v_not_b32_e32 v4, v5
	v_ashrrev_i32_e32 v4, 31, v4
	v_xor_b32_e32 v5, vcc_hi, v4
	v_xor_b32_e32 v4, vcc_lo, v4
	v_and_b32_e32 v2, v2, v5
	v_and_b32_e32 v24, v24, v4
	v_lshlrev_b32_e32 v5, 28, v13
	v_mov_b32_e32 v4, v3
	v_cmp_gt_i64_e32 vcc, 0, v[4:5]
	v_not_b32_e32 v4, v5
	v_ashrrev_i32_e32 v4, 31, v4
	;; [unrolled: 9-line block ×5, first 2 shown]
	v_xor_b32_e32 v5, vcc_hi, v4
	v_xor_b32_e32 v4, vcc_lo, v4
	v_and_b32_e32 v2, v2, v5
	v_lshlrev_b32_e32 v5, 24, v13
	v_and_b32_e32 v24, v24, v4
	v_mov_b32_e32 v4, v3
	v_not_b32_e32 v3, v5
	v_cmp_gt_i64_e32 vcc, 0, v[4:5]
	v_ashrrev_i32_e32 v3, 31, v3
	; wave barrier
	s_nop 0
	v_xor_b32_e32 v4, vcc_hi, v3
	v_xor_b32_e32 v5, vcc_lo, v3
	v_and_b32_e32 v3, v2, v4
	v_and_b32_e32 v2, v24, v5
	v_mbcnt_lo_u32_b32 v4, v2, 0
	v_mbcnt_hi_u32_b32 v28, v3, v4
	v_cmp_eq_u32_e32 vcc, 0, v28
	v_cmp_ne_u64_e64 s[4:5], 0, v[2:3]
	s_and_b64 s[6:7], s[4:5], vcc
	s_and_saveexec_b64 s[4:5], s[6:7]
	s_cbranch_execz .LBB587_25
; %bb.24:
	v_bcnt_u32_b32 v2, v2, 0
	v_bcnt_u32_b32 v2, v3, v2
	s_waitcnt lgkmcnt(0)
	v_add_u32_e32 v2, v26, v2
	ds_write_b32 v31, v2 offset:64
.LBB587_25:
	s_or_b64 exec, exec, s[4:5]
	v_bfrev_b32_e32 v33, 1
	v_cmp_lt_i32_e32 vcc, -1, v6
	s_brev_b32 s6, -2
	s_movk_i32 s7, 0x44
	v_cndmask_b32_e32 v2, -1, v33, vcc
	v_xor_b32_e32 v13, v2, v6
	v_cmp_ne_u32_e32 vcc, s6, v13
	v_mov_b32_e32 v3, 0
	s_nop 0
	v_cndmask_b32_e32 v2, v33, v13, vcc
	v_lshrrev_b32_e32 v2, s20, v2
	v_and_b32_e32 v24, s23, v2
	v_mul_lo_u32 v2, v24, s7
	v_add_u32_e32 v6, v29, v2
	v_and_b32_e32 v2, 1, v24
	v_lshl_add_u64 v[4:5], v[2:3], 0, -1
	v_cmp_ne_u32_e32 vcc, 0, v2
	; wave barrier
	ds_read_b32 v30, v6 offset:64
	s_nop 0
	v_xor_b32_e32 v4, vcc_lo, v4
	v_xor_b32_e32 v2, vcc_hi, v5
	v_and_b32_e32 v32, exec_lo, v4
	v_lshlrev_b32_e32 v5, 30, v24
	v_mov_b32_e32 v4, v3
	v_cmp_gt_i64_e32 vcc, 0, v[4:5]
	v_not_b32_e32 v4, v5
	v_ashrrev_i32_e32 v4, 31, v4
	v_and_b32_e32 v2, exec_hi, v2
	v_xor_b32_e32 v5, vcc_hi, v4
	v_xor_b32_e32 v4, vcc_lo, v4
	v_and_b32_e32 v2, v2, v5
	v_and_b32_e32 v32, v32, v4
	v_lshlrev_b32_e32 v5, 29, v24
	v_mov_b32_e32 v4, v3
	v_cmp_gt_i64_e32 vcc, 0, v[4:5]
	v_not_b32_e32 v4, v5
	v_ashrrev_i32_e32 v4, 31, v4
	v_xor_b32_e32 v5, vcc_hi, v4
	v_xor_b32_e32 v4, vcc_lo, v4
	v_and_b32_e32 v2, v2, v5
	v_and_b32_e32 v32, v32, v4
	v_lshlrev_b32_e32 v5, 28, v24
	v_mov_b32_e32 v4, v3
	v_cmp_gt_i64_e32 vcc, 0, v[4:5]
	v_not_b32_e32 v4, v5
	v_ashrrev_i32_e32 v4, 31, v4
	;; [unrolled: 9-line block ×6, first 2 shown]
	v_xor_b32_e32 v5, vcc_hi, v4
	v_xor_b32_e32 v4, vcc_lo, v4
	v_and_b32_e32 v4, v32, v4
	v_and_b32_e32 v5, v2, v5
	v_mbcnt_lo_u32_b32 v2, v4, 0
	v_mbcnt_hi_u32_b32 v32, v5, v2
	v_cmp_eq_u32_e32 vcc, 0, v32
	v_cmp_ne_u64_e64 s[4:5], 0, v[4:5]
	s_and_b64 s[8:9], s[4:5], vcc
	; wave barrier
	s_and_saveexec_b64 s[4:5], s[8:9]
	s_cbranch_execz .LBB587_27
; %bb.26:
	v_bcnt_u32_b32 v2, v4, 0
	v_bcnt_u32_b32 v2, v5, v2
	s_waitcnt lgkmcnt(0)
	v_add_u32_e32 v2, v30, v2
	ds_write_b32 v6, v2 offset:64
.LBB587_27:
	s_or_b64 exec, exec, s[4:5]
	v_cmp_lt_i32_e32 vcc, -1, v7
	; wave barrier
	s_nop 1
	v_cndmask_b32_e32 v2, -1, v33, vcc
	v_xor_b32_e32 v24, v2, v7
	v_cmp_ne_u32_e32 vcc, s6, v24
	s_nop 1
	v_cndmask_b32_e32 v2, v33, v24, vcc
	v_lshrrev_b32_e32 v2, s20, v2
	v_and_b32_e32 v34, s23, v2
	v_mul_lo_u32 v2, v34, s7
	v_add_u32_e32 v7, v29, v2
	v_and_b32_e32 v2, 1, v34
	v_lshl_add_u64 v[4:5], v[2:3], 0, -1
	v_cmp_ne_u32_e32 vcc, 0, v2
	ds_read_b32 v33, v7 offset:64
	s_nop 0
	v_xor_b32_e32 v4, vcc_lo, v4
	v_xor_b32_e32 v2, vcc_hi, v5
	v_and_b32_e32 v35, exec_lo, v4
	v_lshlrev_b32_e32 v5, 30, v34
	v_mov_b32_e32 v4, v3
	v_cmp_gt_i64_e32 vcc, 0, v[4:5]
	v_not_b32_e32 v4, v5
	v_ashrrev_i32_e32 v4, 31, v4
	v_and_b32_e32 v2, exec_hi, v2
	v_xor_b32_e32 v5, vcc_hi, v4
	v_xor_b32_e32 v4, vcc_lo, v4
	v_and_b32_e32 v2, v2, v5
	v_and_b32_e32 v35, v35, v4
	v_lshlrev_b32_e32 v5, 29, v34
	v_mov_b32_e32 v4, v3
	v_cmp_gt_i64_e32 vcc, 0, v[4:5]
	v_not_b32_e32 v4, v5
	v_ashrrev_i32_e32 v4, 31, v4
	v_xor_b32_e32 v5, vcc_hi, v4
	v_xor_b32_e32 v4, vcc_lo, v4
	v_and_b32_e32 v2, v2, v5
	v_and_b32_e32 v35, v35, v4
	v_lshlrev_b32_e32 v5, 28, v34
	v_mov_b32_e32 v4, v3
	v_cmp_gt_i64_e32 vcc, 0, v[4:5]
	v_not_b32_e32 v4, v5
	v_ashrrev_i32_e32 v4, 31, v4
	;; [unrolled: 9-line block ×5, first 2 shown]
	v_xor_b32_e32 v5, vcc_hi, v4
	v_xor_b32_e32 v4, vcc_lo, v4
	v_and_b32_e32 v2, v2, v5
	v_lshlrev_b32_e32 v5, 24, v34
	v_and_b32_e32 v35, v35, v4
	v_mov_b32_e32 v4, v3
	v_not_b32_e32 v3, v5
	v_cmp_gt_i64_e32 vcc, 0, v[4:5]
	v_ashrrev_i32_e32 v3, 31, v3
	; wave barrier
	s_nop 0
	v_xor_b32_e32 v4, vcc_hi, v3
	v_xor_b32_e32 v5, vcc_lo, v3
	v_and_b32_e32 v3, v2, v4
	v_and_b32_e32 v2, v35, v5
	v_mbcnt_lo_u32_b32 v4, v2, 0
	v_mbcnt_hi_u32_b32 v34, v3, v4
	v_cmp_eq_u32_e32 vcc, 0, v34
	v_cmp_ne_u64_e64 s[4:5], 0, v[2:3]
	s_and_b64 s[6:7], s[4:5], vcc
	s_and_saveexec_b64 s[4:5], s[6:7]
	s_cbranch_execz .LBB587_29
; %bb.28:
	v_bcnt_u32_b32 v2, v2, 0
	v_bcnt_u32_b32 v2, v3, v2
	s_waitcnt lgkmcnt(0)
	v_add_u32_e32 v2, v33, v2
	ds_write_b32 v7, v2 offset:64
.LBB587_29:
	s_or_b64 exec, exec, s[4:5]
	v_bfrev_b32_e32 v37, 1
	v_cmp_lt_i32_e32 vcc, -1, v8
	s_brev_b32 s6, -2
	s_movk_i32 s7, 0x44
	v_cndmask_b32_e32 v2, -1, v37, vcc
	v_xor_b32_e32 v8, v2, v8
	v_cmp_ne_u32_e32 vcc, s6, v8
	v_mov_b32_e32 v3, 0
	s_nop 0
	v_cndmask_b32_e32 v2, v37, v8, vcc
	v_lshrrev_b32_e32 v2, s20, v2
	v_and_b32_e32 v36, s23, v2
	v_mul_lo_u32 v2, v36, s7
	v_add_u32_e32 v38, v29, v2
	v_and_b32_e32 v2, 1, v36
	v_lshl_add_u64 v[4:5], v[2:3], 0, -1
	v_cmp_ne_u32_e32 vcc, 0, v2
	; wave barrier
	ds_read_b32 v35, v38 offset:64
	s_nop 0
	v_xor_b32_e32 v4, vcc_lo, v4
	v_xor_b32_e32 v2, vcc_hi, v5
	v_and_b32_e32 v39, exec_lo, v4
	v_lshlrev_b32_e32 v5, 30, v36
	v_mov_b32_e32 v4, v3
	v_cmp_gt_i64_e32 vcc, 0, v[4:5]
	v_not_b32_e32 v4, v5
	v_ashrrev_i32_e32 v4, 31, v4
	v_and_b32_e32 v2, exec_hi, v2
	v_xor_b32_e32 v5, vcc_hi, v4
	v_xor_b32_e32 v4, vcc_lo, v4
	v_and_b32_e32 v2, v2, v5
	v_and_b32_e32 v39, v39, v4
	v_lshlrev_b32_e32 v5, 29, v36
	v_mov_b32_e32 v4, v3
	v_cmp_gt_i64_e32 vcc, 0, v[4:5]
	v_not_b32_e32 v4, v5
	v_ashrrev_i32_e32 v4, 31, v4
	v_xor_b32_e32 v5, vcc_hi, v4
	v_xor_b32_e32 v4, vcc_lo, v4
	v_and_b32_e32 v2, v2, v5
	v_and_b32_e32 v39, v39, v4
	v_lshlrev_b32_e32 v5, 28, v36
	v_mov_b32_e32 v4, v3
	v_cmp_gt_i64_e32 vcc, 0, v[4:5]
	v_not_b32_e32 v4, v5
	v_ashrrev_i32_e32 v4, 31, v4
	;; [unrolled: 9-line block ×6, first 2 shown]
	v_xor_b32_e32 v5, vcc_hi, v4
	v_xor_b32_e32 v4, vcc_lo, v4
	v_and_b32_e32 v4, v39, v4
	v_and_b32_e32 v5, v2, v5
	v_mbcnt_lo_u32_b32 v2, v4, 0
	v_mbcnt_hi_u32_b32 v36, v5, v2
	v_cmp_eq_u32_e32 vcc, 0, v36
	v_cmp_ne_u64_e64 s[4:5], 0, v[4:5]
	s_and_b64 s[8:9], s[4:5], vcc
	; wave barrier
	s_and_saveexec_b64 s[4:5], s[8:9]
	s_cbranch_execz .LBB587_31
; %bb.30:
	v_bcnt_u32_b32 v2, v4, 0
	v_bcnt_u32_b32 v2, v5, v2
	s_waitcnt lgkmcnt(0)
	v_add_u32_e32 v2, v35, v2
	ds_write_b32 v38, v2 offset:64
.LBB587_31:
	s_or_b64 exec, exec, s[4:5]
	v_cmp_lt_i32_e32 vcc, -1, v9
	; wave barrier
	s_nop 1
	v_cndmask_b32_e32 v2, -1, v37, vcc
	v_xor_b32_e32 v9, v2, v9
	v_cmp_ne_u32_e32 vcc, s6, v9
	s_nop 1
	v_cndmask_b32_e32 v2, v37, v9, vcc
	v_lshrrev_b32_e32 v2, s20, v2
	v_and_b32_e32 v39, s23, v2
	v_mul_lo_u32 v2, v39, s7
	v_add_u32_e32 v40, v29, v2
	v_and_b32_e32 v2, 1, v39
	v_lshl_add_u64 v[4:5], v[2:3], 0, -1
	v_cmp_ne_u32_e32 vcc, 0, v2
	ds_read_b32 v37, v40 offset:64
	s_nop 0
	v_xor_b32_e32 v4, vcc_lo, v4
	v_xor_b32_e32 v2, vcc_hi, v5
	v_and_b32_e32 v29, exec_lo, v4
	v_lshlrev_b32_e32 v5, 30, v39
	v_mov_b32_e32 v4, v3
	v_cmp_gt_i64_e32 vcc, 0, v[4:5]
	v_not_b32_e32 v4, v5
	v_ashrrev_i32_e32 v4, 31, v4
	v_and_b32_e32 v2, exec_hi, v2
	v_xor_b32_e32 v5, vcc_hi, v4
	v_xor_b32_e32 v4, vcc_lo, v4
	v_and_b32_e32 v2, v2, v5
	v_and_b32_e32 v29, v29, v4
	v_lshlrev_b32_e32 v5, 29, v39
	v_mov_b32_e32 v4, v3
	v_cmp_gt_i64_e32 vcc, 0, v[4:5]
	v_not_b32_e32 v4, v5
	v_ashrrev_i32_e32 v4, 31, v4
	v_xor_b32_e32 v5, vcc_hi, v4
	v_xor_b32_e32 v4, vcc_lo, v4
	v_and_b32_e32 v2, v2, v5
	v_and_b32_e32 v29, v29, v4
	v_lshlrev_b32_e32 v5, 28, v39
	v_mov_b32_e32 v4, v3
	v_cmp_gt_i64_e32 vcc, 0, v[4:5]
	v_not_b32_e32 v4, v5
	v_ashrrev_i32_e32 v4, 31, v4
	;; [unrolled: 9-line block ×5, first 2 shown]
	v_xor_b32_e32 v5, vcc_hi, v4
	v_xor_b32_e32 v4, vcc_lo, v4
	v_and_b32_e32 v2, v2, v5
	v_lshlrev_b32_e32 v5, 24, v39
	v_and_b32_e32 v29, v29, v4
	v_mov_b32_e32 v4, v3
	v_not_b32_e32 v3, v5
	v_cmp_gt_i64_e32 vcc, 0, v[4:5]
	v_ashrrev_i32_e32 v3, 31, v3
	; wave barrier
	s_nop 0
	v_xor_b32_e32 v4, vcc_hi, v3
	v_xor_b32_e32 v5, vcc_lo, v3
	v_and_b32_e32 v3, v2, v4
	v_and_b32_e32 v2, v29, v5
	v_mbcnt_lo_u32_b32 v4, v2, 0
	v_mbcnt_hi_u32_b32 v39, v3, v4
	v_cmp_eq_u32_e32 vcc, 0, v39
	v_cmp_ne_u64_e64 s[4:5], 0, v[2:3]
	s_and_b64 s[6:7], s[4:5], vcc
	s_and_saveexec_b64 s[4:5], s[6:7]
	s_cbranch_execz .LBB587_33
; %bb.32:
	v_bcnt_u32_b32 v2, v2, 0
	v_bcnt_u32_b32 v2, v3, v2
	s_waitcnt lgkmcnt(0)
	v_add_u32_e32 v2, v37, v2
	ds_write_b32 v40, v2 offset:64
.LBB587_33:
	s_or_b64 exec, exec, s[4:5]
	; wave barrier
	s_waitcnt lgkmcnt(0)
	s_barrier
	ds_read2_b32 v[4:5], v17 offset0:16 offset1:17
	ds_read2_b32 v[2:3], v17 offset0:18 offset1:19
	ds_read_b32 v29, v17 offset:80
	v_cmp_lt_u32_e64 s[10:11], 31, v16
	s_waitcnt lgkmcnt(1)
	v_add3_u32 v41, v5, v4, v2
	s_waitcnt lgkmcnt(0)
	v_add3_u32 v29, v41, v3, v29
	v_and_b32_e32 v41, 15, v16
	v_cmp_eq_u32_e32 vcc, 0, v41
	v_mov_b32_dpp v42, v29 row_shr:1 row_mask:0xf bank_mask:0xf
	v_cmp_lt_u32_e64 s[8:9], 1, v41
	v_cndmask_b32_e64 v42, v42, 0, vcc
	v_add_u32_e32 v29, v42, v29
	v_cmp_lt_u32_e64 s[4:5], 3, v41
	v_cmp_lt_u32_e64 s[6:7], 7, v41
	v_mov_b32_dpp v42, v29 row_shr:2 row_mask:0xf bank_mask:0xf
	v_cndmask_b32_e64 v42, 0, v42, s[8:9]
	v_add_u32_e32 v29, v29, v42
	s_nop 1
	v_mov_b32_dpp v42, v29 row_shr:4 row_mask:0xf bank_mask:0xf
	v_cndmask_b32_e64 v42, 0, v42, s[4:5]
	v_add_u32_e32 v29, v29, v42
	s_nop 1
	v_mov_b32_dpp v42, v29 row_shr:8 row_mask:0xf bank_mask:0xf
	v_cndmask_b32_e64 v41, 0, v42, s[6:7]
	v_add_u32_e32 v29, v29, v41
	v_bfe_i32 v42, v16, 4, 1
	s_nop 0
	v_mov_b32_dpp v41, v29 row_bcast:15 row_mask:0xf bank_mask:0xf
	v_and_b32_e32 v41, v42, v41
	v_add_u32_e32 v29, v29, v41
	v_lshrrev_b32_e32 v42, 6, v10
	s_nop 0
	v_mov_b32_dpp v41, v29 row_bcast:31 row_mask:0xf bank_mask:0xf
	v_cndmask_b32_e64 v41, 0, v41, s[10:11]
	v_add_u32_e32 v41, v29, v41
	v_and_b32_e32 v29, 63, v10
	v_cmp_eq_u32_e64 s[10:11], 63, v29
	s_and_saveexec_b64 s[12:13], s[10:11]
; %bb.34:
	v_lshlrev_b32_e32 v29, 2, v42
	ds_write_b32 v29, v41
; %bb.35:
	s_or_b64 exec, exec, s[12:13]
	v_cmp_gt_u32_e64 s[10:11], 16, v10
	v_lshlrev_b32_e32 v29, 2, v10
	s_waitcnt lgkmcnt(0)
	s_barrier
	s_and_saveexec_b64 s[12:13], s[10:11]
	s_cbranch_execz .LBB587_37
; %bb.36:
	ds_read_b32 v43, v29
	s_waitcnt lgkmcnt(0)
	s_nop 0
	v_mov_b32_dpp v44, v43 row_shr:1 row_mask:0xf bank_mask:0xf
	v_cndmask_b32_e64 v44, v44, 0, vcc
	v_add_u32_e32 v43, v44, v43
	s_nop 1
	v_mov_b32_dpp v44, v43 row_shr:2 row_mask:0xf bank_mask:0xf
	v_cndmask_b32_e64 v44, 0, v44, s[8:9]
	v_add_u32_e32 v43, v43, v44
	s_nop 1
	v_mov_b32_dpp v44, v43 row_shr:4 row_mask:0xf bank_mask:0xf
	v_cndmask_b32_e64 v44, 0, v44, s[4:5]
	;; [unrolled: 4-line block ×3, first 2 shown]
	v_add_u32_e32 v43, v43, v44
	ds_write_b32 v29, v43
.LBB587_37:
	s_or_b64 exec, exec, s[12:13]
	v_cmp_lt_u32_e32 vcc, 63, v10
	v_mov_b32_e32 v43, 0
	s_waitcnt lgkmcnt(0)
	s_barrier
	s_and_saveexec_b64 s[4:5], vcc
; %bb.38:
	v_lshl_add_u32 v42, v42, 2, -4
	ds_read_b32 v43, v42
; %bb.39:
	s_or_b64 exec, exec, s[4:5]
	v_subrev_co_u32_e32 v42, vcc, 1, v16
	v_and_b32_e32 v44, 64, v16
	v_cmp_lt_i32_e64 s[4:5], v42, v44
	s_waitcnt lgkmcnt(0)
	v_add_u32_e32 v41, v43, v41
	s_movk_i32 s6, 0x100
	v_cndmask_b32_e64 v16, v42, v16, s[4:5]
	v_lshlrev_b32_e32 v16, 2, v16
	ds_bpermute_b32 v16, v16, v41
	s_movk_i32 s4, 0xff
	v_cmp_lt_u32_e64 s[4:5], s4, v10
	s_waitcnt lgkmcnt(0)
	v_cndmask_b32_e32 v16, v16, v43, vcc
	v_cmp_ne_u32_e32 vcc, 0, v10
	s_nop 1
	v_cndmask_b32_e32 v16, 0, v16, vcc
	v_add_u32_e32 v4, v16, v4
	v_add_u32_e32 v5, v4, v5
	;; [unrolled: 1-line block ×4, first 2 shown]
	ds_write2_b32 v17, v16, v4 offset0:16 offset1:17
	ds_write2_b32 v17, v5, v2 offset0:18 offset1:19
	ds_write_b32 v17, v3 offset:80
	s_waitcnt lgkmcnt(0)
	s_barrier
	ds_read_b32 v22, v22 offset:64
	ds_read_b32 v23, v23 offset:64
	;; [unrolled: 1-line block ×8, first 2 shown]
	v_cmp_gt_u32_e32 vcc, s6, v10
                                        ; implicit-def: $vgpr16
                                        ; implicit-def: $vgpr17
	s_and_saveexec_b64 s[8:9], vcc
	s_cbranch_execz .LBB587_43
; %bb.40:
	v_mul_u32_u24_e32 v2, 0x44, v10
	ds_read_b32 v16, v2 offset:64
	v_add_u32_e32 v3, 1, v10
	v_cmp_ne_u32_e64 s[6:7], s6, v3
	v_mov_b32_e32 v2, 0x2000
	s_and_saveexec_b64 s[10:11], s[6:7]
; %bb.41:
	v_mul_u32_u24_e32 v2, 0x44, v3
	ds_read_b32 v2, v2 offset:64
; %bb.42:
	s_or_b64 exec, exec, s[10:11]
	s_waitcnt lgkmcnt(0)
	v_sub_u32_e32 v17, v2, v16
.LBB587_43:
	s_or_b64 exec, exec, s[8:9]
	v_mov_b32_e32 v3, 0
	s_waitcnt lgkmcnt(0)
	s_barrier
	s_and_saveexec_b64 s[6:7], vcc
	s_cbranch_execz .LBB587_53
; %bb.44:
	v_lshl_add_u32 v2, s2, 8, v10
	v_lshl_add_u64 v[4:5], v[2:3], 2, s[28:29]
	v_or_b32_e32 v2, 2.0, v17
	s_mov_b64 s[8:9], 0
	s_brev_b32 s14, -4
	s_mov_b32 s15, s2
	v_mov_b32_e32 v43, 0
	global_store_dword v[4:5], v2, off sc1
                                        ; implicit-def: $sgpr10_sgpr11
	s_branch .LBB587_47
.LBB587_45:                             ;   in Loop: Header=BB587_47 Depth=1
	s_or_b64 exec, exec, s[12:13]
.LBB587_46:                             ;   in Loop: Header=BB587_47 Depth=1
	s_or_b64 exec, exec, s[10:11]
	v_and_b32_e32 v6, 0x3fffffff, v2
	v_add_u32_e32 v43, v6, v43
	v_cmp_gt_i32_e64 s[10:11], -2.0, v2
	s_and_b64 s[12:13], exec, s[10:11]
	s_or_b64 s[8:9], s[12:13], s[8:9]
	s_andn2_b64 exec, exec, s[8:9]
	s_cbranch_execz .LBB587_52
.LBB587_47:                             ; =>This Loop Header: Depth=1
                                        ;     Child Loop BB587_50 Depth 2
	s_or_b64 s[10:11], s[10:11], exec
	s_cmp_eq_u32 s15, 0
	s_cbranch_scc1 .LBB587_51
; %bb.48:                               ;   in Loop: Header=BB587_47 Depth=1
	s_add_i32 s15, s15, -1
	v_lshl_or_b32 v2, s15, 8, v10
	v_lshl_add_u64 v[6:7], v[2:3], 2, s[28:29]
	global_load_dword v2, v[6:7], off sc1
	s_waitcnt vmcnt(0)
	v_cmp_gt_u32_e32 vcc, 2.0, v2
	s_and_saveexec_b64 s[10:11], vcc
	s_cbranch_execz .LBB587_46
; %bb.49:                               ;   in Loop: Header=BB587_47 Depth=1
	s_mov_b64 s[12:13], 0
.LBB587_50:                             ;   Parent Loop BB587_47 Depth=1
                                        ; =>  This Inner Loop Header: Depth=2
	global_load_dword v2, v[6:7], off sc1
	s_waitcnt vmcnt(0)
	v_cmp_lt_u32_e32 vcc, s14, v2
	s_or_b64 s[12:13], vcc, s[12:13]
	s_andn2_b64 exec, exec, s[12:13]
	s_cbranch_execnz .LBB587_50
	s_branch .LBB587_45
.LBB587_51:                             ;   in Loop: Header=BB587_47 Depth=1
                                        ; implicit-def: $sgpr15
	s_and_b64 s[12:13], exec, s[10:11]
	s_or_b64 s[8:9], s[12:13], s[8:9]
	s_andn2_b64 exec, exec, s[8:9]
	s_cbranch_execnz .LBB587_47
.LBB587_52:
	s_or_b64 exec, exec, s[8:9]
	v_add_u32_e32 v2, v43, v17
	v_or_b32_e32 v2, 0x80000000, v2
	global_store_dword v[4:5], v2, off sc1
	global_load_dword v2, v29, s[16:17]
	v_sub_u32_e32 v3, v43, v16
	s_waitcnt vmcnt(0)
	v_add_u32_e32 v2, v3, v2
	ds_write_b32 v29, v2
.LBB587_53:
	s_or_b64 exec, exec, s[6:7]
	v_add_u32_e32 v4, v22, v18
	v_add3_u32 v5, v20, v19, v23
	v_add3_u32 v6, v25, v21, v27
	;; [unrolled: 1-line block ×7, first 2 shown]
	v_lshlrev_b32_e32 v22, 2, v21
	v_lshlrev_b32_e32 v23, 2, v20
	;; [unrolled: 1-line block ×8, first 2 shown]
	s_mov_b64 s[6:7], -1
	s_mov_b32 s10, 0
	s_brev_b32 s11, -2
	v_mov_b32_e32 v3, 0
	s_movk_i32 s12, 0x400
	s_movk_i32 s13, 0x800
	s_movk_i32 s14, 0xc00
	v_bfrev_b32_e32 v32, 1
	s_branch .LBB587_55
.LBB587_54:                             ;   in Loop: Header=BB587_55 Depth=1
	s_or_b64 exec, exec, s[8:9]
	s_xor_b64 s[8:9], s[6:7], -1
	s_addk_i32 s10, 0xc000
	v_add_u32_e32 v10, 0x1000, v10
	s_mov_b64 s[6:7], 0
	s_and_b64 vcc, exec, s[8:9]
	s_barrier
	s_cbranch_vccnz .LBB587_79
.LBB587_55:                             ; =>This Inner Loop Header: Depth=1
	v_subrev_co_u32_e32 v4, vcc, 0x1000, v4
	s_and_saveexec_b64 s[8:9], vcc
	s_cbranch_execz .LBB587_63
; %bb.56:                               ;   in Loop: Header=BB587_55 Depth=1
	v_add_u32_e32 v2, s10, v31
	ds_write_b32 v2, v11 offset:1024
	s_or_b64 exec, exec, s[8:9]
	v_subrev_co_u32_e32 v5, vcc, 0x1000, v5
	s_and_saveexec_b64 s[8:9], vcc
	s_cbranch_execnz .LBB587_64
.LBB587_57:                             ;   in Loop: Header=BB587_55 Depth=1
	s_or_b64 exec, exec, s[8:9]
	v_subrev_co_u32_e32 v6, vcc, 0x1000, v6
	s_and_saveexec_b64 s[8:9], vcc
	s_cbranch_execz .LBB587_65
.LBB587_58:                             ;   in Loop: Header=BB587_55 Depth=1
	v_add_u32_e32 v2, s10, v28
	ds_write_b32 v2, v15 offset:1024
	s_or_b64 exec, exec, s[8:9]
	v_subrev_co_u32_e32 v7, vcc, 0x1000, v7
	s_and_saveexec_b64 s[8:9], vcc
	s_cbranch_execnz .LBB587_66
.LBB587_59:                             ;   in Loop: Header=BB587_55 Depth=1
	s_or_b64 exec, exec, s[8:9]
	v_subrev_co_u32_e32 v18, vcc, 0x1000, v18
	s_and_saveexec_b64 s[8:9], vcc
	s_cbranch_execz .LBB587_67
.LBB587_60:                             ;   in Loop: Header=BB587_55 Depth=1
	v_add_u32_e32 v2, s10, v26
	ds_write_b32 v2, v13 offset:1024
	s_or_b64 exec, exec, s[8:9]
	v_subrev_co_u32_e32 v19, vcc, 0x1000, v19
	s_and_saveexec_b64 s[8:9], vcc
	s_cbranch_execnz .LBB587_68
.LBB587_61:                             ;   in Loop: Header=BB587_55 Depth=1
	s_or_b64 exec, exec, s[8:9]
	v_subrev_co_u32_e32 v20, vcc, 0x1000, v20
	s_and_saveexec_b64 s[8:9], vcc
	s_cbranch_execz .LBB587_69
.LBB587_62:                             ;   in Loop: Header=BB587_55 Depth=1
	v_add_u32_e32 v2, s10, v23
	ds_write_b32 v2, v8 offset:1024
	s_or_b64 exec, exec, s[8:9]
	v_subrev_co_u32_e32 v21, vcc, 0x1000, v21
	s_and_saveexec_b64 s[8:9], vcc
	s_cbranch_execnz .LBB587_70
	s_branch .LBB587_71
.LBB587_63:                             ;   in Loop: Header=BB587_55 Depth=1
	s_or_b64 exec, exec, s[8:9]
	v_subrev_co_u32_e32 v5, vcc, 0x1000, v5
	s_and_saveexec_b64 s[8:9], vcc
	s_cbranch_execz .LBB587_57
.LBB587_64:                             ;   in Loop: Header=BB587_55 Depth=1
	v_add_u32_e32 v2, s10, v30
	ds_write_b32 v2, v14 offset:1024
	s_or_b64 exec, exec, s[8:9]
	v_subrev_co_u32_e32 v6, vcc, 0x1000, v6
	s_and_saveexec_b64 s[8:9], vcc
	s_cbranch_execnz .LBB587_58
.LBB587_65:                             ;   in Loop: Header=BB587_55 Depth=1
	s_or_b64 exec, exec, s[8:9]
	v_subrev_co_u32_e32 v7, vcc, 0x1000, v7
	s_and_saveexec_b64 s[8:9], vcc
	s_cbranch_execz .LBB587_59
.LBB587_66:                             ;   in Loop: Header=BB587_55 Depth=1
	v_add_u32_e32 v2, s10, v27
	ds_write_b32 v2, v12 offset:1024
	s_or_b64 exec, exec, s[8:9]
	v_subrev_co_u32_e32 v18, vcc, 0x1000, v18
	s_and_saveexec_b64 s[8:9], vcc
	s_cbranch_execnz .LBB587_60
.LBB587_67:                             ;   in Loop: Header=BB587_55 Depth=1
	s_or_b64 exec, exec, s[8:9]
	v_subrev_co_u32_e32 v19, vcc, 0x1000, v19
	s_and_saveexec_b64 s[8:9], vcc
	s_cbranch_execz .LBB587_61
.LBB587_68:                             ;   in Loop: Header=BB587_55 Depth=1
	v_add_u32_e32 v2, s10, v25
	ds_write_b32 v2, v24 offset:1024
	s_or_b64 exec, exec, s[8:9]
	v_subrev_co_u32_e32 v20, vcc, 0x1000, v20
	s_and_saveexec_b64 s[8:9], vcc
	s_cbranch_execnz .LBB587_62
.LBB587_69:                             ;   in Loop: Header=BB587_55 Depth=1
	s_or_b64 exec, exec, s[8:9]
	v_subrev_co_u32_e32 v21, vcc, 0x1000, v21
	s_and_saveexec_b64 s[8:9], vcc
.LBB587_70:                             ;   in Loop: Header=BB587_55 Depth=1
	v_add_u32_e32 v2, s10, v22
	ds_write_b32 v2, v9 offset:1024
.LBB587_71:                             ;   in Loop: Header=BB587_55 Depth=1
	s_or_b64 exec, exec, s[8:9]
	v_cmp_gt_u32_e32 vcc, s3, v10
	s_waitcnt lgkmcnt(0)
	s_barrier
	s_and_saveexec_b64 s[8:9], vcc
	s_cbranch_execz .LBB587_73
; %bb.72:                               ;   in Loop: Header=BB587_55 Depth=1
	ds_read_b32 v2, v29 offset:1024
	s_waitcnt lgkmcnt(0)
	v_cmp_ne_u32_e32 vcc, s11, v2
	s_nop 1
	v_cndmask_b32_e32 v33, v32, v2, vcc
	v_lshrrev_b32_e32 v33, s20, v33
	v_and_b32_e32 v33, s23, v33
	v_lshlrev_b32_e32 v33, 2, v33
	ds_read_b32 v33, v33
	v_cmp_lt_i32_e32 vcc, -1, v2
	s_nop 1
	v_cndmask_b32_e64 v34, v32, -1, vcc
	v_xor_b32_e32 v36, v34, v2
	s_waitcnt lgkmcnt(0)
	v_add_u32_e32 v2, v10, v33
	v_lshl_add_u64 v[34:35], v[2:3], 2, s[26:27]
	global_store_dword v[34:35], v36, off
.LBB587_73:                             ;   in Loop: Header=BB587_55 Depth=1
	s_or_b64 exec, exec, s[8:9]
	v_add_u32_e32 v2, 0x400, v10
	v_cmp_gt_u32_e32 vcc, s3, v2
	s_and_saveexec_b64 s[8:9], vcc
	s_cbranch_execz .LBB587_75
; %bb.74:                               ;   in Loop: Header=BB587_55 Depth=1
	ds_read_b32 v2, v29 offset:5120
	s_waitcnt lgkmcnt(0)
	v_cmp_ne_u32_e32 vcc, s11, v2
	s_nop 1
	v_cndmask_b32_e32 v33, v32, v2, vcc
	v_lshrrev_b32_e32 v33, s20, v33
	v_and_b32_e32 v33, s23, v33
	v_lshlrev_b32_e32 v33, 2, v33
	ds_read_b32 v33, v33
	v_cmp_lt_i32_e32 vcc, -1, v2
	s_nop 1
	v_cndmask_b32_e64 v34, v32, -1, vcc
	v_xor_b32_e32 v36, v34, v2
	s_waitcnt lgkmcnt(0)
	v_add3_u32 v2, v10, v33, s12
	v_lshl_add_u64 v[34:35], v[2:3], 2, s[26:27]
	global_store_dword v[34:35], v36, off
.LBB587_75:                             ;   in Loop: Header=BB587_55 Depth=1
	s_or_b64 exec, exec, s[8:9]
	v_add_u32_e32 v2, 0x800, v10
	v_cmp_gt_u32_e32 vcc, s3, v2
	s_and_saveexec_b64 s[8:9], vcc
	s_cbranch_execz .LBB587_77
; %bb.76:                               ;   in Loop: Header=BB587_55 Depth=1
	ds_read_b32 v2, v29 offset:9216
	s_waitcnt lgkmcnt(0)
	v_cmp_ne_u32_e32 vcc, s11, v2
	s_nop 1
	v_cndmask_b32_e32 v33, v32, v2, vcc
	v_lshrrev_b32_e32 v33, s20, v33
	v_and_b32_e32 v33, s23, v33
	v_lshlrev_b32_e32 v33, 2, v33
	ds_read_b32 v33, v33
	v_cmp_lt_i32_e32 vcc, -1, v2
	s_nop 1
	v_cndmask_b32_e64 v34, v32, -1, vcc
	v_xor_b32_e32 v36, v34, v2
	s_waitcnt lgkmcnt(0)
	v_add3_u32 v2, v10, v33, s13
	v_lshl_add_u64 v[34:35], v[2:3], 2, s[26:27]
	global_store_dword v[34:35], v36, off
.LBB587_77:                             ;   in Loop: Header=BB587_55 Depth=1
	s_or_b64 exec, exec, s[8:9]
	v_add_u32_e32 v2, 0xc00, v10
	v_cmp_gt_u32_e32 vcc, s3, v2
	s_and_saveexec_b64 s[8:9], vcc
	s_cbranch_execz .LBB587_54
; %bb.78:                               ;   in Loop: Header=BB587_55 Depth=1
	ds_read_b32 v2, v29 offset:13312
	s_waitcnt lgkmcnt(0)
	v_cmp_ne_u32_e32 vcc, s11, v2
	s_nop 1
	v_cndmask_b32_e32 v33, v32, v2, vcc
	v_lshrrev_b32_e32 v33, s20, v33
	v_and_b32_e32 v33, s23, v33
	v_lshlrev_b32_e32 v33, 2, v33
	ds_read_b32 v33, v33
	v_cmp_lt_i32_e32 vcc, -1, v2
	s_nop 1
	v_cndmask_b32_e64 v34, v32, -1, vcc
	v_xor_b32_e32 v36, v34, v2
	s_waitcnt lgkmcnt(0)
	v_add3_u32 v2, v10, v33, s14
	v_lshl_add_u64 v[34:35], v[2:3], 2, s[26:27]
	global_store_dword v[34:35], v36, off
	s_branch .LBB587_54
.LBB587_79:
	s_add_i32 s22, s22, -1
	s_cmp_eq_u32 s2, s22
	s_cselect_b64 s[6:7], -1, 0
	s_xor_b64 s[4:5], s[4:5], -1
	s_and_b64 s[6:7], s[4:5], s[6:7]
	s_and_saveexec_b64 s[4:5], s[6:7]
	s_cbranch_execz .LBB587_81
; %bb.80:
	ds_read_b32 v2, v29
	s_waitcnt lgkmcnt(0)
	v_add3_u32 v2, v16, v17, v2
	global_store_dword v29, v2, s[18:19]
.LBB587_81:
	s_or_b64 exec, exec, s[4:5]
	s_mov_b64 s[4:5], 0
.LBB587_82:
	s_and_b64 vcc, exec, s[4:5]
	s_cbranch_vccz .LBB587_139
; %bb.83:
	s_lshl_b32 s4, s2, 13
	s_mov_b32 s5, 0
	s_lshl_b64 s[4:5], s[4:5], 2
	v_mbcnt_hi_u32_b32 v6, -1, v1
	s_add_u32 s4, s24, s4
	v_and_b32_e32 v1, 63, v6
	s_addc_u32 s5, s25, s5
	v_lshlrev_b32_e32 v4, 2, v1
	v_mov_b32_e32 v5, 0
	v_and_b32_e32 v2, 0x3ff, v0
	v_lshl_add_u64 v[8:9], s[4:5], 0, v[4:5]
	s_load_dword s3, s[0:1], 0x58
	s_load_dword s4, s[0:1], 0x64
	v_lshlrev_b32_e32 v1, 5, v2
	v_and_b32_e32 v4, 0x7800, v1
	v_lshl_add_u64 v[16:17], v[8:9], 0, v[4:5]
	global_load_dword v1, v[16:17], off
	s_add_u32 s0, s0, 0x58
	s_addc_u32 s1, s1, 0
	s_waitcnt lgkmcnt(0)
	s_lshr_b32 s4, s4, 16
	s_cmp_lt_u32 s2, s3
	s_cselect_b32 s5, 12, 18
	s_add_u32 s0, s0, s5
	s_addc_u32 s1, s1, 0
	global_load_ushort v4, v5, s[0:1]
	v_mul_u32_u24_e32 v7, 20, v2
	ds_write2_b32 v7, v5, v5 offset0:16 offset1:17
	ds_write2_b32 v7, v5, v5 offset0:18 offset1:19
	ds_write_b32 v7, v5 offset:80
	global_load_dword v8, v[16:17], off offset:256
	global_load_dword v9, v[16:17], off offset:512
	;; [unrolled: 1-line block ×7, first 2 shown]
	v_bfrev_b32_e32 v11, 1
	v_bfe_u32 v3, v0, 10, 10
	v_bfe_u32 v10, v0, 20, 10
	v_mad_u32_u24 v10, v10, s4, v3
	s_brev_b32 s10, -2
	s_lshl_b32 s4, -1, s21
	v_mov_b32_e32 v0, v5
	v_mov_b32_e32 v18, v5
	;; [unrolled: 1-line block ×3, first 2 shown]
	s_not_b32 s12, s4
	v_mov_b32_e32 v28, v5
	s_movk_i32 s11, 0x44
	s_waitcnt lgkmcnt(0)
	s_barrier
	s_waitcnt vmcnt(8)
	; wave barrier
	v_cmp_lt_i32_e32 vcc, -1, v1
	s_nop 1
	v_cndmask_b32_e32 v3, -1, v11, vcc
	v_xor_b32_e32 v3, v3, v1
	v_cmp_ne_u32_e32 vcc, s10, v3
	s_waitcnt vmcnt(7)
	v_mad_u64_u32 v[16:17], s[0:1], v10, v4, v[2:3]
	v_cndmask_b32_e32 v1, v11, v3, vcc
	v_lshrrev_b32_e32 v1, s20, v1
	v_bitop3_b32 v10, v1, s4, v1 bitop3:0x30
	v_and_b32_e32 v4, 1, v10
	v_lshlrev_b32_e32 v1, 30, v10
	v_lshrrev_b32_e32 v13, 4, v16
	v_lshlrev_b32_e32 v19, 29, v10
	v_lshl_add_u64 v[16:17], v[4:5], 0, -1
	v_cmp_ne_u32_e32 vcc, 0, v4
	v_cmp_gt_i64_e64 s[0:1], 0, v[0:1]
	v_not_b32_e32 v0, v1
	v_lshlrev_b32_e32 v27, 28, v10
	v_not_b32_e32 v1, v19
	v_xor_b32_e32 v17, vcc_hi, v17
	v_xor_b32_e32 v16, vcc_lo, v16
	v_ashrrev_i32_e32 v0, 31, v0
	v_lshlrev_b32_e32 v29, 27, v10
	v_cmp_gt_i64_e64 s[4:5], 0, v[18:19]
	v_not_b32_e32 v4, v27
	v_ashrrev_i32_e32 v1, 31, v1
	v_and_b32_e32 v17, exec_hi, v17
	v_and_b32_e32 v16, exec_lo, v16
	v_xor_b32_e32 v18, s1, v0
	v_xor_b32_e32 v0, s0, v0
	v_and_b32_e32 v23, 0xffffffc, v13
	v_cmp_gt_i64_e64 s[6:7], 0, v[26:27]
	v_not_b32_e32 v13, v29
	v_ashrrev_i32_e32 v4, 31, v4
	v_xor_b32_e32 v19, s5, v1
	v_xor_b32_e32 v1, s4, v1
	v_and_b32_e32 v17, v17, v18
	v_and_b32_e32 v0, v16, v0
	v_cmp_gt_i64_e64 s[8:9], 0, v[28:29]
	v_ashrrev_i32_e32 v13, 31, v13
	v_xor_b32_e32 v22, s7, v4
	v_xor_b32_e32 v4, s6, v4
	v_and_b32_e32 v16, v17, v19
	v_and_b32_e32 v0, v0, v1
	;; [unrolled: 1-line block ×4, first 2 shown]
	v_xor_b32_e32 v4, s9, v13
	v_xor_b32_e32 v13, s8, v13
	v_and_b32_e32 v4, v1, v4
	v_and_b32_e32 v13, v0, v13
	v_lshlrev_b32_e32 v1, 26, v10
	v_mov_b32_e32 v0, v5
	v_cmp_gt_i64_e32 vcc, 0, v[0:1]
	v_not_b32_e32 v0, v1
	v_ashrrev_i32_e32 v0, 31, v0
	v_xor_b32_e32 v1, vcc_hi, v0
	v_xor_b32_e32 v0, vcc_lo, v0
	v_and_b32_e32 v4, v4, v1
	v_and_b32_e32 v13, v13, v0
	v_lshlrev_b32_e32 v1, 25, v10
	v_mov_b32_e32 v0, v5
	v_cmp_gt_i64_e32 vcc, 0, v[0:1]
	v_not_b32_e32 v0, v1
	v_ashrrev_i32_e32 v0, 31, v0
	v_xor_b32_e32 v1, vcc_hi, v0
	v_xor_b32_e32 v0, vcc_lo, v0
	;; [unrolled: 9-line block ×3, first 2 shown]
	v_and_b32_e32 v0, v13, v0
	v_and_b32_e32 v1, v4, v1
	v_mbcnt_lo_u32_b32 v4, v0, 0
	v_mul_lo_u32 v14, v10, s11
	v_mbcnt_hi_u32_b32 v10, v1, v4
	v_cmp_eq_u32_e32 vcc, 0, v10
	v_cmp_ne_u64_e64 s[0:1], 0, v[0:1]
	s_and_b64 s[4:5], s[0:1], vcc
	v_add_u32_e32 v16, v23, v14
	s_and_saveexec_b64 s[0:1], s[4:5]
; %bb.84:
	v_bcnt_u32_b32 v0, v0, 0
	v_bcnt_u32_b32 v0, v1, v0
	ds_write_b32 v16, v0 offset:64
; %bb.85:
	s_or_b64 exec, exec, s[0:1]
	s_waitcnt vmcnt(6)
	v_cmp_lt_i32_e32 vcc, -1, v8
	; wave barrier
	s_nop 1
	v_cndmask_b32_e32 v0, -1, v11, vcc
	v_xor_b32_e32 v8, v0, v8
	v_cmp_ne_u32_e32 vcc, s10, v8
	s_nop 1
	v_cndmask_b32_e32 v0, v11, v8, vcc
	v_lshrrev_b32_e32 v0, s20, v0
	v_and_b32_e32 v13, s12, v0
	v_mul_lo_u32 v0, v13, s11
	v_and_b32_e32 v4, 1, v13
	v_add_u32_e32 v17, v23, v0
	v_lshl_add_u64 v[0:1], v[4:5], 0, -1
	v_cmp_ne_u32_e32 vcc, 0, v4
	ds_read_b32 v11, v17 offset:64
	s_nop 0
	v_xor_b32_e32 v1, vcc_hi, v1
	v_xor_b32_e32 v0, vcc_lo, v0
	v_and_b32_e32 v4, exec_hi, v1
	v_and_b32_e32 v14, exec_lo, v0
	v_lshlrev_b32_e32 v1, 30, v13
	v_mov_b32_e32 v0, v5
	v_cmp_gt_i64_e32 vcc, 0, v[0:1]
	v_not_b32_e32 v0, v1
	v_ashrrev_i32_e32 v0, 31, v0
	v_xor_b32_e32 v1, vcc_hi, v0
	v_xor_b32_e32 v0, vcc_lo, v0
	v_and_b32_e32 v4, v4, v1
	v_and_b32_e32 v14, v14, v0
	v_lshlrev_b32_e32 v1, 29, v13
	v_mov_b32_e32 v0, v5
	v_cmp_gt_i64_e32 vcc, 0, v[0:1]
	v_not_b32_e32 v0, v1
	v_ashrrev_i32_e32 v0, 31, v0
	v_xor_b32_e32 v1, vcc_hi, v0
	v_xor_b32_e32 v0, vcc_lo, v0
	v_and_b32_e32 v4, v4, v1
	v_and_b32_e32 v14, v14, v0
	;; [unrolled: 9-line block ×7, first 2 shown]
	v_mbcnt_lo_u32_b32 v4, v0, 0
	v_mbcnt_hi_u32_b32 v13, v1, v4
	v_cmp_eq_u32_e32 vcc, 0, v13
	v_cmp_ne_u64_e64 s[0:1], 0, v[0:1]
	s_and_b64 s[4:5], s[0:1], vcc
	; wave barrier
	s_and_saveexec_b64 s[0:1], s[4:5]
	s_cbranch_execz .LBB587_87
; %bb.86:
	v_bcnt_u32_b32 v0, v0, 0
	v_bcnt_u32_b32 v0, v1, v0
	s_waitcnt lgkmcnt(0)
	v_add_u32_e32 v0, v11, v0
	ds_write_b32 v17, v0 offset:64
.LBB587_87:
	s_or_b64 exec, exec, s[0:1]
	v_bfrev_b32_e32 v19, 1
	s_waitcnt vmcnt(5)
	v_cmp_lt_i32_e32 vcc, -1, v9
	s_brev_b32 s4, -2
	s_movk_i32 s5, 0x44
	v_cndmask_b32_e32 v0, -1, v19, vcc
	v_xor_b32_e32 v9, v0, v9
	v_cmp_ne_u32_e32 vcc, s4, v9
	v_mov_b32_e32 v1, 0
	s_nop 0
	v_cndmask_b32_e32 v0, v19, v9, vcc
	v_lshrrev_b32_e32 v0, s20, v0
	v_and_b32_e32 v18, s12, v0
	v_mul_lo_u32 v0, v18, s5
	v_add_u32_e32 v22, v23, v0
	v_and_b32_e32 v0, 1, v18
	v_lshl_add_u64 v[4:5], v[0:1], 0, -1
	v_cmp_ne_u32_e32 vcc, 0, v0
	; wave barrier
	ds_read_b32 v14, v22 offset:64
	s_nop 0
	v_xor_b32_e32 v4, vcc_lo, v4
	v_xor_b32_e32 v0, vcc_hi, v5
	v_and_b32_e32 v24, exec_lo, v4
	v_lshlrev_b32_e32 v5, 30, v18
	v_mov_b32_e32 v4, v1
	v_cmp_gt_i64_e32 vcc, 0, v[4:5]
	v_not_b32_e32 v4, v5
	v_ashrrev_i32_e32 v4, 31, v4
	v_and_b32_e32 v0, exec_hi, v0
	v_xor_b32_e32 v5, vcc_hi, v4
	v_xor_b32_e32 v4, vcc_lo, v4
	v_and_b32_e32 v0, v0, v5
	v_and_b32_e32 v24, v24, v4
	v_lshlrev_b32_e32 v5, 29, v18
	v_mov_b32_e32 v4, v1
	v_cmp_gt_i64_e32 vcc, 0, v[4:5]
	v_not_b32_e32 v4, v5
	v_ashrrev_i32_e32 v4, 31, v4
	v_xor_b32_e32 v5, vcc_hi, v4
	v_xor_b32_e32 v4, vcc_lo, v4
	v_and_b32_e32 v0, v0, v5
	v_and_b32_e32 v24, v24, v4
	v_lshlrev_b32_e32 v5, 28, v18
	v_mov_b32_e32 v4, v1
	v_cmp_gt_i64_e32 vcc, 0, v[4:5]
	v_not_b32_e32 v4, v5
	v_ashrrev_i32_e32 v4, 31, v4
	;; [unrolled: 9-line block ×6, first 2 shown]
	v_xor_b32_e32 v5, vcc_hi, v4
	v_xor_b32_e32 v4, vcc_lo, v4
	v_and_b32_e32 v4, v24, v4
	v_and_b32_e32 v5, v0, v5
	v_mbcnt_lo_u32_b32 v0, v4, 0
	v_mbcnt_hi_u32_b32 v18, v5, v0
	v_cmp_eq_u32_e32 vcc, 0, v18
	v_cmp_ne_u64_e64 s[0:1], 0, v[4:5]
	s_and_b64 s[6:7], s[0:1], vcc
	; wave barrier
	s_and_saveexec_b64 s[0:1], s[6:7]
	s_cbranch_execz .LBB587_89
; %bb.88:
	v_bcnt_u32_b32 v0, v4, 0
	v_bcnt_u32_b32 v0, v5, v0
	s_waitcnt lgkmcnt(0)
	v_add_u32_e32 v0, v14, v0
	ds_write_b32 v22, v0 offset:64
.LBB587_89:
	s_or_b64 exec, exec, s[0:1]
	s_waitcnt vmcnt(4)
	v_cmp_lt_i32_e32 vcc, -1, v12
	; wave barrier
	s_nop 1
	v_cndmask_b32_e32 v0, -1, v19, vcc
	v_xor_b32_e32 v12, v0, v12
	v_cmp_ne_u32_e32 vcc, s4, v12
	s_nop 1
	v_cndmask_b32_e32 v0, v19, v12, vcc
	v_lshrrev_b32_e32 v0, s20, v0
	v_and_b32_e32 v24, s12, v0
	v_mul_lo_u32 v0, v24, s5
	v_add_u32_e32 v27, v23, v0
	v_and_b32_e32 v0, 1, v24
	v_lshl_add_u64 v[4:5], v[0:1], 0, -1
	v_cmp_ne_u32_e32 vcc, 0, v0
	ds_read_b32 v19, v27 offset:64
	s_nop 0
	v_xor_b32_e32 v4, vcc_lo, v4
	v_xor_b32_e32 v0, vcc_hi, v5
	v_and_b32_e32 v26, exec_lo, v4
	v_lshlrev_b32_e32 v5, 30, v24
	v_mov_b32_e32 v4, v1
	v_cmp_gt_i64_e32 vcc, 0, v[4:5]
	v_not_b32_e32 v4, v5
	v_ashrrev_i32_e32 v4, 31, v4
	v_and_b32_e32 v0, exec_hi, v0
	v_xor_b32_e32 v5, vcc_hi, v4
	v_xor_b32_e32 v4, vcc_lo, v4
	v_and_b32_e32 v0, v0, v5
	v_and_b32_e32 v26, v26, v4
	v_lshlrev_b32_e32 v5, 29, v24
	v_mov_b32_e32 v4, v1
	v_cmp_gt_i64_e32 vcc, 0, v[4:5]
	v_not_b32_e32 v4, v5
	v_ashrrev_i32_e32 v4, 31, v4
	v_xor_b32_e32 v5, vcc_hi, v4
	v_xor_b32_e32 v4, vcc_lo, v4
	v_and_b32_e32 v0, v0, v5
	v_and_b32_e32 v26, v26, v4
	v_lshlrev_b32_e32 v5, 28, v24
	v_mov_b32_e32 v4, v1
	v_cmp_gt_i64_e32 vcc, 0, v[4:5]
	v_not_b32_e32 v4, v5
	v_ashrrev_i32_e32 v4, 31, v4
	;; [unrolled: 9-line block ×5, first 2 shown]
	v_xor_b32_e32 v5, vcc_hi, v4
	v_xor_b32_e32 v4, vcc_lo, v4
	v_and_b32_e32 v0, v0, v5
	v_lshlrev_b32_e32 v5, 24, v24
	v_and_b32_e32 v26, v26, v4
	v_mov_b32_e32 v4, v1
	v_not_b32_e32 v1, v5
	v_cmp_gt_i64_e32 vcc, 0, v[4:5]
	v_ashrrev_i32_e32 v1, 31, v1
	; wave barrier
	s_nop 0
	v_xor_b32_e32 v4, vcc_hi, v1
	v_xor_b32_e32 v5, vcc_lo, v1
	v_and_b32_e32 v1, v0, v4
	v_and_b32_e32 v0, v26, v5
	v_mbcnt_lo_u32_b32 v4, v0, 0
	v_mbcnt_hi_u32_b32 v24, v1, v4
	v_cmp_eq_u32_e32 vcc, 0, v24
	v_cmp_ne_u64_e64 s[0:1], 0, v[0:1]
	s_and_b64 s[4:5], s[0:1], vcc
	s_and_saveexec_b64 s[0:1], s[4:5]
	s_cbranch_execz .LBB587_91
; %bb.90:
	v_bcnt_u32_b32 v0, v0, 0
	v_bcnt_u32_b32 v0, v1, v0
	s_waitcnt lgkmcnt(0)
	v_add_u32_e32 v0, v19, v0
	ds_write_b32 v27, v0 offset:64
.LBB587_91:
	s_or_b64 exec, exec, s[0:1]
	v_bfrev_b32_e32 v29, 1
	s_waitcnt vmcnt(3)
	v_cmp_lt_i32_e32 vcc, -1, v15
	s_brev_b32 s4, -2
	s_movk_i32 s5, 0x44
	v_cndmask_b32_e32 v0, -1, v29, vcc
	v_xor_b32_e32 v15, v0, v15
	v_cmp_ne_u32_e32 vcc, s4, v15
	v_mov_b32_e32 v1, 0
	s_nop 0
	v_cndmask_b32_e32 v0, v29, v15, vcc
	v_lshrrev_b32_e32 v0, s20, v0
	v_and_b32_e32 v28, s12, v0
	v_mul_lo_u32 v0, v28, s5
	v_add_u32_e32 v30, v23, v0
	v_and_b32_e32 v0, 1, v28
	v_lshl_add_u64 v[4:5], v[0:1], 0, -1
	v_cmp_ne_u32_e32 vcc, 0, v0
	; wave barrier
	ds_read_b32 v26, v30 offset:64
	s_nop 0
	v_xor_b32_e32 v4, vcc_lo, v4
	v_xor_b32_e32 v0, vcc_hi, v5
	v_and_b32_e32 v31, exec_lo, v4
	v_lshlrev_b32_e32 v5, 30, v28
	v_mov_b32_e32 v4, v1
	v_cmp_gt_i64_e32 vcc, 0, v[4:5]
	v_not_b32_e32 v4, v5
	v_ashrrev_i32_e32 v4, 31, v4
	v_and_b32_e32 v0, exec_hi, v0
	v_xor_b32_e32 v5, vcc_hi, v4
	v_xor_b32_e32 v4, vcc_lo, v4
	v_and_b32_e32 v0, v0, v5
	v_and_b32_e32 v31, v31, v4
	v_lshlrev_b32_e32 v5, 29, v28
	v_mov_b32_e32 v4, v1
	v_cmp_gt_i64_e32 vcc, 0, v[4:5]
	v_not_b32_e32 v4, v5
	v_ashrrev_i32_e32 v4, 31, v4
	v_xor_b32_e32 v5, vcc_hi, v4
	v_xor_b32_e32 v4, vcc_lo, v4
	v_and_b32_e32 v0, v0, v5
	v_and_b32_e32 v31, v31, v4
	v_lshlrev_b32_e32 v5, 28, v28
	v_mov_b32_e32 v4, v1
	v_cmp_gt_i64_e32 vcc, 0, v[4:5]
	v_not_b32_e32 v4, v5
	v_ashrrev_i32_e32 v4, 31, v4
	;; [unrolled: 9-line block ×6, first 2 shown]
	v_xor_b32_e32 v5, vcc_hi, v4
	v_xor_b32_e32 v4, vcc_lo, v4
	v_and_b32_e32 v4, v31, v4
	v_and_b32_e32 v5, v0, v5
	v_mbcnt_lo_u32_b32 v0, v4, 0
	v_mbcnt_hi_u32_b32 v28, v5, v0
	v_cmp_eq_u32_e32 vcc, 0, v28
	v_cmp_ne_u64_e64 s[0:1], 0, v[4:5]
	s_and_b64 s[6:7], s[0:1], vcc
	; wave barrier
	s_and_saveexec_b64 s[0:1], s[6:7]
	s_cbranch_execz .LBB587_93
; %bb.92:
	v_bcnt_u32_b32 v0, v4, 0
	v_bcnt_u32_b32 v0, v5, v0
	s_waitcnt lgkmcnt(0)
	v_add_u32_e32 v0, v26, v0
	ds_write_b32 v30, v0 offset:64
.LBB587_93:
	s_or_b64 exec, exec, s[0:1]
	s_waitcnt vmcnt(2)
	v_cmp_lt_i32_e32 vcc, -1, v20
	; wave barrier
	s_nop 1
	v_cndmask_b32_e32 v0, -1, v29, vcc
	v_xor_b32_e32 v20, v0, v20
	v_cmp_ne_u32_e32 vcc, s4, v20
	s_nop 1
	v_cndmask_b32_e32 v0, v29, v20, vcc
	v_lshrrev_b32_e32 v0, s20, v0
	v_and_b32_e32 v31, s12, v0
	v_mul_lo_u32 v0, v31, s5
	v_add_u32_e32 v33, v23, v0
	v_and_b32_e32 v0, 1, v31
	v_lshl_add_u64 v[4:5], v[0:1], 0, -1
	v_cmp_ne_u32_e32 vcc, 0, v0
	ds_read_b32 v29, v33 offset:64
	s_nop 0
	v_xor_b32_e32 v4, vcc_lo, v4
	v_xor_b32_e32 v0, vcc_hi, v5
	v_and_b32_e32 v32, exec_lo, v4
	v_lshlrev_b32_e32 v5, 30, v31
	v_mov_b32_e32 v4, v1
	v_cmp_gt_i64_e32 vcc, 0, v[4:5]
	v_not_b32_e32 v4, v5
	v_ashrrev_i32_e32 v4, 31, v4
	v_and_b32_e32 v0, exec_hi, v0
	v_xor_b32_e32 v5, vcc_hi, v4
	v_xor_b32_e32 v4, vcc_lo, v4
	v_and_b32_e32 v0, v0, v5
	v_and_b32_e32 v32, v32, v4
	v_lshlrev_b32_e32 v5, 29, v31
	v_mov_b32_e32 v4, v1
	v_cmp_gt_i64_e32 vcc, 0, v[4:5]
	v_not_b32_e32 v4, v5
	v_ashrrev_i32_e32 v4, 31, v4
	v_xor_b32_e32 v5, vcc_hi, v4
	v_xor_b32_e32 v4, vcc_lo, v4
	v_and_b32_e32 v0, v0, v5
	v_and_b32_e32 v32, v32, v4
	v_lshlrev_b32_e32 v5, 28, v31
	v_mov_b32_e32 v4, v1
	v_cmp_gt_i64_e32 vcc, 0, v[4:5]
	v_not_b32_e32 v4, v5
	v_ashrrev_i32_e32 v4, 31, v4
	;; [unrolled: 9-line block ×5, first 2 shown]
	v_xor_b32_e32 v5, vcc_hi, v4
	v_xor_b32_e32 v4, vcc_lo, v4
	v_and_b32_e32 v0, v0, v5
	v_lshlrev_b32_e32 v5, 24, v31
	v_and_b32_e32 v32, v32, v4
	v_mov_b32_e32 v4, v1
	v_not_b32_e32 v1, v5
	v_cmp_gt_i64_e32 vcc, 0, v[4:5]
	v_ashrrev_i32_e32 v1, 31, v1
	; wave barrier
	s_nop 0
	v_xor_b32_e32 v4, vcc_hi, v1
	v_xor_b32_e32 v5, vcc_lo, v1
	v_and_b32_e32 v1, v0, v4
	v_and_b32_e32 v0, v32, v5
	v_mbcnt_lo_u32_b32 v4, v0, 0
	v_mbcnt_hi_u32_b32 v31, v1, v4
	v_cmp_eq_u32_e32 vcc, 0, v31
	v_cmp_ne_u64_e64 s[0:1], 0, v[0:1]
	s_and_b64 s[4:5], s[0:1], vcc
	s_and_saveexec_b64 s[0:1], s[4:5]
	s_cbranch_execz .LBB587_95
; %bb.94:
	v_bcnt_u32_b32 v0, v0, 0
	v_bcnt_u32_b32 v0, v1, v0
	s_waitcnt lgkmcnt(0)
	v_add_u32_e32 v0, v29, v0
	ds_write_b32 v33, v0 offset:64
.LBB587_95:
	s_or_b64 exec, exec, s[0:1]
	v_bfrev_b32_e32 v35, 1
	s_waitcnt vmcnt(1)
	v_cmp_lt_i32_e32 vcc, -1, v25
	s_brev_b32 s4, -2
	s_movk_i32 s5, 0x44
	v_cndmask_b32_e32 v0, -1, v35, vcc
	v_xor_b32_e32 v25, v0, v25
	v_cmp_ne_u32_e32 vcc, s4, v25
	v_mov_b32_e32 v1, 0
	s_nop 0
	v_cndmask_b32_e32 v0, v35, v25, vcc
	v_lshrrev_b32_e32 v0, s20, v0
	v_and_b32_e32 v34, s12, v0
	v_mul_lo_u32 v0, v34, s5
	v_add_u32_e32 v36, v23, v0
	v_and_b32_e32 v0, 1, v34
	v_lshl_add_u64 v[4:5], v[0:1], 0, -1
	v_cmp_ne_u32_e32 vcc, 0, v0
	; wave barrier
	ds_read_b32 v32, v36 offset:64
	s_nop 0
	v_xor_b32_e32 v4, vcc_lo, v4
	v_xor_b32_e32 v0, vcc_hi, v5
	v_and_b32_e32 v37, exec_lo, v4
	v_lshlrev_b32_e32 v5, 30, v34
	v_mov_b32_e32 v4, v1
	v_cmp_gt_i64_e32 vcc, 0, v[4:5]
	v_not_b32_e32 v4, v5
	v_ashrrev_i32_e32 v4, 31, v4
	v_and_b32_e32 v0, exec_hi, v0
	v_xor_b32_e32 v5, vcc_hi, v4
	v_xor_b32_e32 v4, vcc_lo, v4
	v_and_b32_e32 v0, v0, v5
	v_and_b32_e32 v37, v37, v4
	v_lshlrev_b32_e32 v5, 29, v34
	v_mov_b32_e32 v4, v1
	v_cmp_gt_i64_e32 vcc, 0, v[4:5]
	v_not_b32_e32 v4, v5
	v_ashrrev_i32_e32 v4, 31, v4
	v_xor_b32_e32 v5, vcc_hi, v4
	v_xor_b32_e32 v4, vcc_lo, v4
	v_and_b32_e32 v0, v0, v5
	v_and_b32_e32 v37, v37, v4
	v_lshlrev_b32_e32 v5, 28, v34
	v_mov_b32_e32 v4, v1
	v_cmp_gt_i64_e32 vcc, 0, v[4:5]
	v_not_b32_e32 v4, v5
	v_ashrrev_i32_e32 v4, 31, v4
	;; [unrolled: 9-line block ×6, first 2 shown]
	v_xor_b32_e32 v5, vcc_hi, v4
	v_xor_b32_e32 v4, vcc_lo, v4
	v_and_b32_e32 v4, v37, v4
	v_and_b32_e32 v5, v0, v5
	v_mbcnt_lo_u32_b32 v0, v4, 0
	v_mbcnt_hi_u32_b32 v34, v5, v0
	v_cmp_eq_u32_e32 vcc, 0, v34
	v_cmp_ne_u64_e64 s[0:1], 0, v[4:5]
	s_and_b64 s[6:7], s[0:1], vcc
	; wave barrier
	s_and_saveexec_b64 s[0:1], s[6:7]
	s_cbranch_execz .LBB587_97
; %bb.96:
	v_bcnt_u32_b32 v0, v4, 0
	v_bcnt_u32_b32 v0, v5, v0
	s_waitcnt lgkmcnt(0)
	v_add_u32_e32 v0, v32, v0
	ds_write_b32 v36, v0 offset:64
.LBB587_97:
	s_or_b64 exec, exec, s[0:1]
	s_waitcnt vmcnt(0)
	v_cmp_lt_i32_e32 vcc, -1, v21
	; wave barrier
	s_nop 1
	v_cndmask_b32_e32 v0, -1, v35, vcc
	v_xor_b32_e32 v21, v0, v21
	v_cmp_ne_u32_e32 vcc, s4, v21
	s_nop 1
	v_cndmask_b32_e32 v0, v35, v21, vcc
	v_lshrrev_b32_e32 v0, s20, v0
	v_and_b32_e32 v37, s12, v0
	v_mul_lo_u32 v0, v37, s5
	v_add_u32_e32 v38, v23, v0
	v_and_b32_e32 v0, 1, v37
	v_lshl_add_u64 v[4:5], v[0:1], 0, -1
	v_cmp_ne_u32_e32 vcc, 0, v0
	ds_read_b32 v35, v38 offset:64
	s_nop 0
	v_xor_b32_e32 v4, vcc_lo, v4
	v_xor_b32_e32 v0, vcc_hi, v5
	v_and_b32_e32 v23, exec_lo, v4
	v_lshlrev_b32_e32 v5, 30, v37
	v_mov_b32_e32 v4, v1
	v_cmp_gt_i64_e32 vcc, 0, v[4:5]
	v_not_b32_e32 v4, v5
	v_ashrrev_i32_e32 v4, 31, v4
	v_and_b32_e32 v0, exec_hi, v0
	v_xor_b32_e32 v5, vcc_hi, v4
	v_xor_b32_e32 v4, vcc_lo, v4
	v_and_b32_e32 v0, v0, v5
	v_and_b32_e32 v23, v23, v4
	v_lshlrev_b32_e32 v5, 29, v37
	v_mov_b32_e32 v4, v1
	v_cmp_gt_i64_e32 vcc, 0, v[4:5]
	v_not_b32_e32 v4, v5
	v_ashrrev_i32_e32 v4, 31, v4
	v_xor_b32_e32 v5, vcc_hi, v4
	v_xor_b32_e32 v4, vcc_lo, v4
	v_and_b32_e32 v0, v0, v5
	v_and_b32_e32 v23, v23, v4
	v_lshlrev_b32_e32 v5, 28, v37
	v_mov_b32_e32 v4, v1
	v_cmp_gt_i64_e32 vcc, 0, v[4:5]
	v_not_b32_e32 v4, v5
	v_ashrrev_i32_e32 v4, 31, v4
	;; [unrolled: 9-line block ×5, first 2 shown]
	v_xor_b32_e32 v5, vcc_hi, v4
	v_xor_b32_e32 v4, vcc_lo, v4
	v_and_b32_e32 v0, v0, v5
	v_lshlrev_b32_e32 v5, 24, v37
	v_and_b32_e32 v23, v23, v4
	v_mov_b32_e32 v4, v1
	v_not_b32_e32 v1, v5
	v_cmp_gt_i64_e32 vcc, 0, v[4:5]
	v_ashrrev_i32_e32 v1, 31, v1
	; wave barrier
	s_nop 0
	v_xor_b32_e32 v4, vcc_hi, v1
	v_xor_b32_e32 v5, vcc_lo, v1
	v_and_b32_e32 v1, v0, v4
	v_and_b32_e32 v0, v23, v5
	v_mbcnt_lo_u32_b32 v4, v0, 0
	v_mbcnt_hi_u32_b32 v37, v1, v4
	v_cmp_eq_u32_e32 vcc, 0, v37
	v_cmp_ne_u64_e64 s[0:1], 0, v[0:1]
	s_and_b64 s[4:5], s[0:1], vcc
	s_and_saveexec_b64 s[0:1], s[4:5]
	s_cbranch_execz .LBB587_99
; %bb.98:
	v_bcnt_u32_b32 v0, v0, 0
	v_bcnt_u32_b32 v0, v1, v0
	s_waitcnt lgkmcnt(0)
	v_add_u32_e32 v0, v35, v0
	ds_write_b32 v38, v0 offset:64
.LBB587_99:
	s_or_b64 exec, exec, s[0:1]
	; wave barrier
	s_waitcnt lgkmcnt(0)
	s_barrier
	ds_read2_b32 v[4:5], v7 offset0:16 offset1:17
	ds_read2_b32 v[0:1], v7 offset0:18 offset1:19
	ds_read_b32 v23, v7 offset:80
	v_cmp_lt_u32_e64 s[8:9], 31, v6
	s_waitcnt lgkmcnt(1)
	v_add3_u32 v39, v5, v4, v0
	s_waitcnt lgkmcnt(0)
	v_add3_u32 v23, v39, v1, v23
	v_and_b32_e32 v39, 15, v6
	v_cmp_eq_u32_e32 vcc, 0, v39
	v_mov_b32_dpp v40, v23 row_shr:1 row_mask:0xf bank_mask:0xf
	v_cmp_lt_u32_e64 s[0:1], 1, v39
	v_cndmask_b32_e64 v40, v40, 0, vcc
	v_add_u32_e32 v23, v40, v23
	v_cmp_lt_u32_e64 s[6:7], 3, v39
	v_cmp_lt_u32_e64 s[4:5], 7, v39
	v_mov_b32_dpp v40, v23 row_shr:2 row_mask:0xf bank_mask:0xf
	v_cndmask_b32_e64 v40, 0, v40, s[0:1]
	v_add_u32_e32 v23, v23, v40
	s_nop 1
	v_mov_b32_dpp v40, v23 row_shr:4 row_mask:0xf bank_mask:0xf
	v_cndmask_b32_e64 v40, 0, v40, s[6:7]
	v_add_u32_e32 v23, v23, v40
	s_nop 1
	v_mov_b32_dpp v40, v23 row_shr:8 row_mask:0xf bank_mask:0xf
	v_cndmask_b32_e64 v39, 0, v40, s[4:5]
	v_add_u32_e32 v23, v23, v39
	v_bfe_i32 v40, v6, 4, 1
	s_nop 0
	v_mov_b32_dpp v39, v23 row_bcast:15 row_mask:0xf bank_mask:0xf
	v_and_b32_e32 v39, v40, v39
	v_add_u32_e32 v23, v23, v39
	v_lshrrev_b32_e32 v40, 6, v2
	s_nop 0
	v_mov_b32_dpp v39, v23 row_bcast:31 row_mask:0xf bank_mask:0xf
	v_cndmask_b32_e64 v39, 0, v39, s[8:9]
	v_add_u32_e32 v39, v23, v39
	v_and_b32_e32 v23, 63, v2
	v_cmp_eq_u32_e64 s[8:9], 63, v23
	s_and_saveexec_b64 s[10:11], s[8:9]
; %bb.100:
	v_lshlrev_b32_e32 v23, 2, v40
	ds_write_b32 v23, v39
; %bb.101:
	s_or_b64 exec, exec, s[10:11]
	v_cmp_gt_u32_e64 s[8:9], 16, v2
	v_lshlrev_b32_e32 v23, 2, v2
	s_waitcnt lgkmcnt(0)
	s_barrier
	s_and_saveexec_b64 s[10:11], s[8:9]
	s_cbranch_execz .LBB587_103
; %bb.102:
	ds_read_b32 v41, v23
	s_waitcnt lgkmcnt(0)
	s_nop 0
	v_mov_b32_dpp v42, v41 row_shr:1 row_mask:0xf bank_mask:0xf
	v_cndmask_b32_e64 v42, v42, 0, vcc
	v_add_u32_e32 v41, v42, v41
	s_nop 1
	v_mov_b32_dpp v42, v41 row_shr:2 row_mask:0xf bank_mask:0xf
	v_cndmask_b32_e64 v42, 0, v42, s[0:1]
	v_add_u32_e32 v41, v41, v42
	s_nop 1
	v_mov_b32_dpp v42, v41 row_shr:4 row_mask:0xf bank_mask:0xf
	v_cndmask_b32_e64 v42, 0, v42, s[6:7]
	;; [unrolled: 4-line block ×3, first 2 shown]
	v_add_u32_e32 v41, v41, v42
	ds_write_b32 v23, v41
.LBB587_103:
	s_or_b64 exec, exec, s[10:11]
	v_cmp_lt_u32_e32 vcc, 63, v2
	v_mov_b32_e32 v41, 0
	s_waitcnt lgkmcnt(0)
	s_barrier
	s_and_saveexec_b64 s[0:1], vcc
; %bb.104:
	v_lshl_add_u32 v40, v40, 2, -4
	ds_read_b32 v41, v40
; %bb.105:
	s_or_b64 exec, exec, s[0:1]
	v_subrev_co_u32_e32 v40, vcc, 1, v6
	v_and_b32_e32 v42, 64, v6
	v_cmp_lt_i32_e64 s[0:1], v40, v42
	s_waitcnt lgkmcnt(0)
	v_add_u32_e32 v39, v41, v39
	s_movk_i32 s4, 0x100
	v_cndmask_b32_e64 v6, v40, v6, s[0:1]
	v_lshlrev_b32_e32 v6, 2, v6
	ds_bpermute_b32 v6, v6, v39
	s_movk_i32 s0, 0xff
	v_cmp_lt_u32_e64 s[0:1], s0, v2
	s_waitcnt lgkmcnt(0)
	v_cndmask_b32_e32 v6, v6, v41, vcc
	v_cmp_ne_u32_e32 vcc, 0, v2
	s_nop 1
	v_cndmask_b32_e32 v6, 0, v6, vcc
	v_add_u32_e32 v4, v6, v4
	v_add_u32_e32 v5, v4, v5
	;; [unrolled: 1-line block ×4, first 2 shown]
	ds_write2_b32 v7, v6, v4 offset0:16 offset1:17
	ds_write2_b32 v7, v5, v0 offset0:18 offset1:19
	ds_write_b32 v7, v1 offset:80
	s_waitcnt lgkmcnt(0)
	s_barrier
	ds_read_b32 v42, v16 offset:64
	ds_read_b32 v39, v17 offset:64
	;; [unrolled: 1-line block ×8, first 2 shown]
	v_cmp_gt_u32_e32 vcc, s4, v2
                                        ; implicit-def: $vgpr16
                                        ; implicit-def: $vgpr17
	s_and_saveexec_b64 s[6:7], vcc
	s_cbranch_execz .LBB587_109
; %bb.106:
	v_mul_u32_u24_e32 v0, 0x44, v2
	ds_read_b32 v16, v0 offset:64
	v_add_u32_e32 v1, 1, v2
	v_cmp_ne_u32_e64 s[4:5], s4, v1
	v_mov_b32_e32 v0, 0x2000
	s_and_saveexec_b64 s[8:9], s[4:5]
; %bb.107:
	v_mul_u32_u24_e32 v0, 0x44, v1
	ds_read_b32 v0, v0 offset:64
; %bb.108:
	s_or_b64 exec, exec, s[8:9]
	s_waitcnt lgkmcnt(0)
	v_sub_u32_e32 v17, v0, v16
.LBB587_109:
	s_or_b64 exec, exec, s[6:7]
	v_mov_b32_e32 v1, 0
	s_waitcnt lgkmcnt(0)
	s_barrier
	s_and_saveexec_b64 s[4:5], vcc
	s_cbranch_execz .LBB587_119
; %bb.110:
	v_lshl_add_u32 v0, s2, 8, v2
	v_lshl_add_u64 v[4:5], v[0:1], 2, s[28:29]
	v_or_b32_e32 v0, 2.0, v17
	s_mov_b64 s[6:7], 0
	s_brev_b32 s13, -4
	s_mov_b32 s14, s2
	v_mov_b32_e32 v36, 0
	global_store_dword v[4:5], v0, off sc1
                                        ; implicit-def: $sgpr8_sgpr9
	s_branch .LBB587_113
.LBB587_111:                            ;   in Loop: Header=BB587_113 Depth=1
	s_or_b64 exec, exec, s[10:11]
.LBB587_112:                            ;   in Loop: Header=BB587_113 Depth=1
	s_or_b64 exec, exec, s[8:9]
	v_and_b32_e32 v6, 0x3fffffff, v0
	v_add_u32_e32 v36, v6, v36
	v_cmp_gt_i32_e64 s[8:9], -2.0, v0
	s_and_b64 s[10:11], exec, s[8:9]
	s_or_b64 s[6:7], s[10:11], s[6:7]
	s_andn2_b64 exec, exec, s[6:7]
	s_cbranch_execz .LBB587_118
.LBB587_113:                            ; =>This Loop Header: Depth=1
                                        ;     Child Loop BB587_116 Depth 2
	s_or_b64 s[8:9], s[8:9], exec
	s_cmp_eq_u32 s14, 0
	s_cbranch_scc1 .LBB587_117
; %bb.114:                              ;   in Loop: Header=BB587_113 Depth=1
	s_add_i32 s14, s14, -1
	v_lshl_or_b32 v0, s14, 8, v2
	v_lshl_add_u64 v[6:7], v[0:1], 2, s[28:29]
	global_load_dword v0, v[6:7], off sc1
	s_waitcnt vmcnt(0)
	v_cmp_gt_u32_e32 vcc, 2.0, v0
	s_and_saveexec_b64 s[8:9], vcc
	s_cbranch_execz .LBB587_112
; %bb.115:                              ;   in Loop: Header=BB587_113 Depth=1
	s_mov_b64 s[10:11], 0
.LBB587_116:                            ;   Parent Loop BB587_113 Depth=1
                                        ; =>  This Inner Loop Header: Depth=2
	global_load_dword v0, v[6:7], off sc1
	s_waitcnt vmcnt(0)
	v_cmp_lt_u32_e32 vcc, s13, v0
	s_or_b64 s[10:11], vcc, s[10:11]
	s_andn2_b64 exec, exec, s[10:11]
	s_cbranch_execnz .LBB587_116
	s_branch .LBB587_111
.LBB587_117:                            ;   in Loop: Header=BB587_113 Depth=1
                                        ; implicit-def: $sgpr14
	s_and_b64 s[10:11], exec, s[8:9]
	s_or_b64 s[6:7], s[10:11], s[6:7]
	s_andn2_b64 exec, exec, s[6:7]
	s_cbranch_execnz .LBB587_113
.LBB587_118:
	s_or_b64 exec, exec, s[6:7]
	v_add_u32_e32 v0, v36, v17
	v_or_b32_e32 v0, 0x80000000, v0
	global_store_dword v[4:5], v0, off sc1
	global_load_dword v0, v23, s[16:17]
	v_sub_u32_e32 v1, v36, v16
	s_waitcnt vmcnt(0)
	v_add_u32_e32 v0, v1, v0
	ds_write_b32 v23, v0
.LBB587_119:
	s_or_b64 exec, exec, s[4:5]
	v_add_u32_e32 v0, v37, v35
	v_add_u32_e32 v1, v34, v32
	;; [unrolled: 1-line block ×8, first 2 shown]
	v_add_lshl_u32 v5, v0, v33, 2
	v_add3_u32 v6, v37, v33, v35
	v_add_lshl_u32 v7, v1, v22, 2
	v_add3_u32 v10, v34, v22, v32
	;; [unrolled: 2-line block ×7, first 2 shown]
	v_lshlrev_b32_e32 v13, 2, v4
	s_mov_b64 s[4:5], -1
	s_mov_b32 s8, 0
	s_movk_i32 s9, 0x1000
	s_brev_b32 s10, -2
	v_bfrev_b32_e32 v30, 1
	v_mov_b32_e32 v1, 0
	s_movk_i32 s11, 0x400
	s_movk_i32 s13, 0x800
	s_movk_i32 s14, 0xc00
	s_mov_b32 s15, 0
	s_branch .LBB587_121
.LBB587_120:                            ;   in Loop: Header=BB587_121 Depth=1
	s_or_b64 exec, exec, s[6:7]
	s_waitcnt lgkmcnt(0)
	s_barrier
	ds_read2st64_b32 v[32:33], v23 offset0:4 offset1:20
	s_xor_b64 s[6:7], s[4:5], -1
	s_addk_i32 s15, 0xc000
	s_addk_i32 s8, 0xf000
	s_mov_b64 s[4:5], 0
	s_waitcnt lgkmcnt(0)
	v_cmp_ne_u32_e32 vcc, s10, v32
	s_nop 1
	v_cndmask_b32_e32 v0, v30, v32, vcc
	v_lshrrev_b32_e32 v0, s20, v0
	v_and_b32_e32 v0, s12, v0
	v_lshlrev_b32_e32 v0, 2, v0
	ds_read_b32 v0, v0
	ds_read2st64_b32 v[34:35], v23 offset0:36 offset1:52
	v_cmp_lt_i32_e32 vcc, -1, v32
	s_waitcnt lgkmcnt(1)
	v_add_u32_e32 v0, v2, v0
	v_cndmask_b32_e64 v31, v30, -1, vcc
	v_cmp_ne_u32_e32 vcc, s10, v33
	v_xor_b32_e32 v31, v31, v32
	s_nop 0
	v_cndmask_b32_e32 v32, v30, v33, vcc
	s_waitcnt lgkmcnt(0)
	v_cmp_ne_u32_e32 vcc, s10, v34
	v_lshrrev_b32_e32 v32, s20, v32
	v_and_b32_e32 v32, s12, v32
	v_cndmask_b32_e32 v36, v30, v34, vcc
	v_cmp_ne_u32_e32 vcc, s10, v35
	v_lshrrev_b32_e32 v36, s20, v36
	v_lshlrev_b32_e32 v32, 2, v32
	v_cndmask_b32_e32 v37, v30, v35, vcc
	v_lshrrev_b32_e32 v37, s20, v37
	v_and_b32_e32 v36, s12, v36
	v_and_b32_e32 v37, s12, v37
	v_lshlrev_b32_e32 v36, 2, v36
	v_lshlrev_b32_e32 v37, 2, v37
	ds_read_b32 v32, v32
	ds_read_b32 v38, v36
	;; [unrolled: 1-line block ×3, first 2 shown]
	v_cmp_lt_i32_e32 vcc, -1, v33
	v_lshl_add_u64 v[36:37], v[0:1], 2, s[26:27]
	global_store_dword v[36:37], v31, off
	v_cndmask_b32_e64 v0, v30, -1, vcc
	v_xor_b32_e32 v31, v0, v33
	s_waitcnt lgkmcnt(2)
	v_add3_u32 v0, v2, v32, s11
	v_cmp_lt_i32_e32 vcc, -1, v34
	v_lshl_add_u64 v[32:33], v[0:1], 2, s[26:27]
	global_store_dword v[32:33], v31, off
	v_cndmask_b32_e64 v0, v30, -1, vcc
	v_xor_b32_e32 v31, v0, v34
	s_waitcnt lgkmcnt(1)
	v_add3_u32 v0, v2, v38, s13
	;; [unrolled: 7-line block ×3, first 2 shown]
	v_lshl_add_u64 v[32:33], v[0:1], 2, s[26:27]
	v_add_u32_e32 v2, 0x1000, v2
	s_and_b64 vcc, exec, s[6:7]
	global_store_dword v[32:33], v31, off
	s_barrier
	s_cbranch_vccnz .LBB587_137
.LBB587_121:                            ; =>This Inner Loop Header: Depth=1
	v_add_u32_e32 v0, s8, v4
	v_cmp_gt_u32_e32 vcc, s9, v0
	s_and_saveexec_b64 s[6:7], vcc
; %bb.122:                              ;   in Loop: Header=BB587_121 Depth=1
	v_add_u32_e32 v0, s15, v13
	ds_write_b32 v0, v3 offset:1024
; %bb.123:                              ;   in Loop: Header=BB587_121 Depth=1
	s_or_b64 exec, exec, s[6:7]
	v_add_u32_e32 v0, s8, v11
	v_cmp_gt_u32_e32 vcc, s9, v0
	s_and_saveexec_b64 s[6:7], vcc
; %bb.124:                              ;   in Loop: Header=BB587_121 Depth=1
	v_add_u32_e32 v0, s15, v18
	ds_write_b32 v0, v8 offset:1024
; %bb.125:                              ;   in Loop: Header=BB587_121 Depth=1
	s_or_b64 exec, exec, s[6:7]
	;; [unrolled: 8-line block ×7, first 2 shown]
	v_add_u32_e32 v0, s8, v6
	v_cmp_gt_u32_e32 vcc, s9, v0
	s_and_saveexec_b64 s[6:7], vcc
	s_cbranch_execz .LBB587_120
; %bb.136:                              ;   in Loop: Header=BB587_121 Depth=1
	v_add_u32_e32 v0, s15, v5
	ds_write_b32 v0, v21 offset:1024
	s_branch .LBB587_120
.LBB587_137:
	s_add_i32 s3, s3, -1
	s_cmp_eq_u32 s2, s3
	s_cselect_b64 s[2:3], -1, 0
	s_xor_b64 s[0:1], s[0:1], -1
	s_and_b64 s[0:1], s[0:1], s[2:3]
	s_and_saveexec_b64 s[2:3], s[0:1]
	s_cbranch_execz .LBB587_139
; %bb.138:
	ds_read_b32 v0, v23
	s_waitcnt lgkmcnt(0)
	v_add3_u32 v0, v16, v17, v0
	global_store_dword v23, v0, s[18:19]
.LBB587_139:
	s_endpgm
	.section	.rodata,"a",@progbits
	.p2align	6, 0x0
	.amdhsa_kernel _ZN7rocprim17ROCPRIM_400000_NS6detail17trampoline_kernelINS0_14default_configENS1_35radix_sort_onesweep_config_selectorIfNS0_10empty_typeEEEZZNS1_29radix_sort_onesweep_iterationIS3_Lb0EN6thrust23THRUST_200600_302600_NS6detail15normal_iteratorINS9_10device_ptrIfEEEESE_PS5_SF_jNS0_19identity_decomposerENS1_16block_id_wrapperIjLb0EEEEE10hipError_tT1_PNSt15iterator_traitsISK_E10value_typeET2_T3_PNSL_ISQ_E10value_typeET4_T5_PSV_SW_PNS1_23onesweep_lookback_stateEbbT6_jjT7_P12ihipStream_tbENKUlT_T0_SK_SP_E_clISE_SE_SF_SF_EEDaS13_S14_SK_SP_EUlS13_E_NS1_11comp_targetILNS1_3genE6ELNS1_11target_archE950ELNS1_3gpuE13ELNS1_3repE0EEENS1_47radix_sort_onesweep_sort_config_static_selectorELNS0_4arch9wavefront6targetE1EEEvSK_
		.amdhsa_group_segment_fixed_size 20552
		.amdhsa_private_segment_fixed_size 0
		.amdhsa_kernarg_size 344
		.amdhsa_user_sgpr_count 2
		.amdhsa_user_sgpr_dispatch_ptr 0
		.amdhsa_user_sgpr_queue_ptr 0
		.amdhsa_user_sgpr_kernarg_segment_ptr 1
		.amdhsa_user_sgpr_dispatch_id 0
		.amdhsa_user_sgpr_kernarg_preload_length 0
		.amdhsa_user_sgpr_kernarg_preload_offset 0
		.amdhsa_user_sgpr_private_segment_size 0
		.amdhsa_uses_dynamic_stack 0
		.amdhsa_enable_private_segment 0
		.amdhsa_system_sgpr_workgroup_id_x 1
		.amdhsa_system_sgpr_workgroup_id_y 0
		.amdhsa_system_sgpr_workgroup_id_z 0
		.amdhsa_system_sgpr_workgroup_info 0
		.amdhsa_system_vgpr_workitem_id 2
		.amdhsa_next_free_vgpr 46
		.amdhsa_next_free_sgpr 32
		.amdhsa_accum_offset 48
		.amdhsa_reserve_vcc 1
		.amdhsa_float_round_mode_32 0
		.amdhsa_float_round_mode_16_64 0
		.amdhsa_float_denorm_mode_32 3
		.amdhsa_float_denorm_mode_16_64 3
		.amdhsa_dx10_clamp 1
		.amdhsa_ieee_mode 1
		.amdhsa_fp16_overflow 0
		.amdhsa_tg_split 0
		.amdhsa_exception_fp_ieee_invalid_op 0
		.amdhsa_exception_fp_denorm_src 0
		.amdhsa_exception_fp_ieee_div_zero 0
		.amdhsa_exception_fp_ieee_overflow 0
		.amdhsa_exception_fp_ieee_underflow 0
		.amdhsa_exception_fp_ieee_inexact 0
		.amdhsa_exception_int_div_zero 0
	.end_amdhsa_kernel
	.section	.text._ZN7rocprim17ROCPRIM_400000_NS6detail17trampoline_kernelINS0_14default_configENS1_35radix_sort_onesweep_config_selectorIfNS0_10empty_typeEEEZZNS1_29radix_sort_onesweep_iterationIS3_Lb0EN6thrust23THRUST_200600_302600_NS6detail15normal_iteratorINS9_10device_ptrIfEEEESE_PS5_SF_jNS0_19identity_decomposerENS1_16block_id_wrapperIjLb0EEEEE10hipError_tT1_PNSt15iterator_traitsISK_E10value_typeET2_T3_PNSL_ISQ_E10value_typeET4_T5_PSV_SW_PNS1_23onesweep_lookback_stateEbbT6_jjT7_P12ihipStream_tbENKUlT_T0_SK_SP_E_clISE_SE_SF_SF_EEDaS13_S14_SK_SP_EUlS13_E_NS1_11comp_targetILNS1_3genE6ELNS1_11target_archE950ELNS1_3gpuE13ELNS1_3repE0EEENS1_47radix_sort_onesweep_sort_config_static_selectorELNS0_4arch9wavefront6targetE1EEEvSK_,"axG",@progbits,_ZN7rocprim17ROCPRIM_400000_NS6detail17trampoline_kernelINS0_14default_configENS1_35radix_sort_onesweep_config_selectorIfNS0_10empty_typeEEEZZNS1_29radix_sort_onesweep_iterationIS3_Lb0EN6thrust23THRUST_200600_302600_NS6detail15normal_iteratorINS9_10device_ptrIfEEEESE_PS5_SF_jNS0_19identity_decomposerENS1_16block_id_wrapperIjLb0EEEEE10hipError_tT1_PNSt15iterator_traitsISK_E10value_typeET2_T3_PNSL_ISQ_E10value_typeET4_T5_PSV_SW_PNS1_23onesweep_lookback_stateEbbT6_jjT7_P12ihipStream_tbENKUlT_T0_SK_SP_E_clISE_SE_SF_SF_EEDaS13_S14_SK_SP_EUlS13_E_NS1_11comp_targetILNS1_3genE6ELNS1_11target_archE950ELNS1_3gpuE13ELNS1_3repE0EEENS1_47radix_sort_onesweep_sort_config_static_selectorELNS0_4arch9wavefront6targetE1EEEvSK_,comdat
.Lfunc_end587:
	.size	_ZN7rocprim17ROCPRIM_400000_NS6detail17trampoline_kernelINS0_14default_configENS1_35radix_sort_onesweep_config_selectorIfNS0_10empty_typeEEEZZNS1_29radix_sort_onesweep_iterationIS3_Lb0EN6thrust23THRUST_200600_302600_NS6detail15normal_iteratorINS9_10device_ptrIfEEEESE_PS5_SF_jNS0_19identity_decomposerENS1_16block_id_wrapperIjLb0EEEEE10hipError_tT1_PNSt15iterator_traitsISK_E10value_typeET2_T3_PNSL_ISQ_E10value_typeET4_T5_PSV_SW_PNS1_23onesweep_lookback_stateEbbT6_jjT7_P12ihipStream_tbENKUlT_T0_SK_SP_E_clISE_SE_SF_SF_EEDaS13_S14_SK_SP_EUlS13_E_NS1_11comp_targetILNS1_3genE6ELNS1_11target_archE950ELNS1_3gpuE13ELNS1_3repE0EEENS1_47radix_sort_onesweep_sort_config_static_selectorELNS0_4arch9wavefront6targetE1EEEvSK_, .Lfunc_end587-_ZN7rocprim17ROCPRIM_400000_NS6detail17trampoline_kernelINS0_14default_configENS1_35radix_sort_onesweep_config_selectorIfNS0_10empty_typeEEEZZNS1_29radix_sort_onesweep_iterationIS3_Lb0EN6thrust23THRUST_200600_302600_NS6detail15normal_iteratorINS9_10device_ptrIfEEEESE_PS5_SF_jNS0_19identity_decomposerENS1_16block_id_wrapperIjLb0EEEEE10hipError_tT1_PNSt15iterator_traitsISK_E10value_typeET2_T3_PNSL_ISQ_E10value_typeET4_T5_PSV_SW_PNS1_23onesweep_lookback_stateEbbT6_jjT7_P12ihipStream_tbENKUlT_T0_SK_SP_E_clISE_SE_SF_SF_EEDaS13_S14_SK_SP_EUlS13_E_NS1_11comp_targetILNS1_3genE6ELNS1_11target_archE950ELNS1_3gpuE13ELNS1_3repE0EEENS1_47radix_sort_onesweep_sort_config_static_selectorELNS0_4arch9wavefront6targetE1EEEvSK_
                                        ; -- End function
	.set _ZN7rocprim17ROCPRIM_400000_NS6detail17trampoline_kernelINS0_14default_configENS1_35radix_sort_onesweep_config_selectorIfNS0_10empty_typeEEEZZNS1_29radix_sort_onesweep_iterationIS3_Lb0EN6thrust23THRUST_200600_302600_NS6detail15normal_iteratorINS9_10device_ptrIfEEEESE_PS5_SF_jNS0_19identity_decomposerENS1_16block_id_wrapperIjLb0EEEEE10hipError_tT1_PNSt15iterator_traitsISK_E10value_typeET2_T3_PNSL_ISQ_E10value_typeET4_T5_PSV_SW_PNS1_23onesweep_lookback_stateEbbT6_jjT7_P12ihipStream_tbENKUlT_T0_SK_SP_E_clISE_SE_SF_SF_EEDaS13_S14_SK_SP_EUlS13_E_NS1_11comp_targetILNS1_3genE6ELNS1_11target_archE950ELNS1_3gpuE13ELNS1_3repE0EEENS1_47radix_sort_onesweep_sort_config_static_selectorELNS0_4arch9wavefront6targetE1EEEvSK_.num_vgpr, 46
	.set _ZN7rocprim17ROCPRIM_400000_NS6detail17trampoline_kernelINS0_14default_configENS1_35radix_sort_onesweep_config_selectorIfNS0_10empty_typeEEEZZNS1_29radix_sort_onesweep_iterationIS3_Lb0EN6thrust23THRUST_200600_302600_NS6detail15normal_iteratorINS9_10device_ptrIfEEEESE_PS5_SF_jNS0_19identity_decomposerENS1_16block_id_wrapperIjLb0EEEEE10hipError_tT1_PNSt15iterator_traitsISK_E10value_typeET2_T3_PNSL_ISQ_E10value_typeET4_T5_PSV_SW_PNS1_23onesweep_lookback_stateEbbT6_jjT7_P12ihipStream_tbENKUlT_T0_SK_SP_E_clISE_SE_SF_SF_EEDaS13_S14_SK_SP_EUlS13_E_NS1_11comp_targetILNS1_3genE6ELNS1_11target_archE950ELNS1_3gpuE13ELNS1_3repE0EEENS1_47radix_sort_onesweep_sort_config_static_selectorELNS0_4arch9wavefront6targetE1EEEvSK_.num_agpr, 0
	.set _ZN7rocprim17ROCPRIM_400000_NS6detail17trampoline_kernelINS0_14default_configENS1_35radix_sort_onesweep_config_selectorIfNS0_10empty_typeEEEZZNS1_29radix_sort_onesweep_iterationIS3_Lb0EN6thrust23THRUST_200600_302600_NS6detail15normal_iteratorINS9_10device_ptrIfEEEESE_PS5_SF_jNS0_19identity_decomposerENS1_16block_id_wrapperIjLb0EEEEE10hipError_tT1_PNSt15iterator_traitsISK_E10value_typeET2_T3_PNSL_ISQ_E10value_typeET4_T5_PSV_SW_PNS1_23onesweep_lookback_stateEbbT6_jjT7_P12ihipStream_tbENKUlT_T0_SK_SP_E_clISE_SE_SF_SF_EEDaS13_S14_SK_SP_EUlS13_E_NS1_11comp_targetILNS1_3genE6ELNS1_11target_archE950ELNS1_3gpuE13ELNS1_3repE0EEENS1_47radix_sort_onesweep_sort_config_static_selectorELNS0_4arch9wavefront6targetE1EEEvSK_.numbered_sgpr, 32
	.set _ZN7rocprim17ROCPRIM_400000_NS6detail17trampoline_kernelINS0_14default_configENS1_35radix_sort_onesweep_config_selectorIfNS0_10empty_typeEEEZZNS1_29radix_sort_onesweep_iterationIS3_Lb0EN6thrust23THRUST_200600_302600_NS6detail15normal_iteratorINS9_10device_ptrIfEEEESE_PS5_SF_jNS0_19identity_decomposerENS1_16block_id_wrapperIjLb0EEEEE10hipError_tT1_PNSt15iterator_traitsISK_E10value_typeET2_T3_PNSL_ISQ_E10value_typeET4_T5_PSV_SW_PNS1_23onesweep_lookback_stateEbbT6_jjT7_P12ihipStream_tbENKUlT_T0_SK_SP_E_clISE_SE_SF_SF_EEDaS13_S14_SK_SP_EUlS13_E_NS1_11comp_targetILNS1_3genE6ELNS1_11target_archE950ELNS1_3gpuE13ELNS1_3repE0EEENS1_47radix_sort_onesweep_sort_config_static_selectorELNS0_4arch9wavefront6targetE1EEEvSK_.num_named_barrier, 0
	.set _ZN7rocprim17ROCPRIM_400000_NS6detail17trampoline_kernelINS0_14default_configENS1_35radix_sort_onesweep_config_selectorIfNS0_10empty_typeEEEZZNS1_29radix_sort_onesweep_iterationIS3_Lb0EN6thrust23THRUST_200600_302600_NS6detail15normal_iteratorINS9_10device_ptrIfEEEESE_PS5_SF_jNS0_19identity_decomposerENS1_16block_id_wrapperIjLb0EEEEE10hipError_tT1_PNSt15iterator_traitsISK_E10value_typeET2_T3_PNSL_ISQ_E10value_typeET4_T5_PSV_SW_PNS1_23onesweep_lookback_stateEbbT6_jjT7_P12ihipStream_tbENKUlT_T0_SK_SP_E_clISE_SE_SF_SF_EEDaS13_S14_SK_SP_EUlS13_E_NS1_11comp_targetILNS1_3genE6ELNS1_11target_archE950ELNS1_3gpuE13ELNS1_3repE0EEENS1_47radix_sort_onesweep_sort_config_static_selectorELNS0_4arch9wavefront6targetE1EEEvSK_.private_seg_size, 0
	.set _ZN7rocprim17ROCPRIM_400000_NS6detail17trampoline_kernelINS0_14default_configENS1_35radix_sort_onesweep_config_selectorIfNS0_10empty_typeEEEZZNS1_29radix_sort_onesweep_iterationIS3_Lb0EN6thrust23THRUST_200600_302600_NS6detail15normal_iteratorINS9_10device_ptrIfEEEESE_PS5_SF_jNS0_19identity_decomposerENS1_16block_id_wrapperIjLb0EEEEE10hipError_tT1_PNSt15iterator_traitsISK_E10value_typeET2_T3_PNSL_ISQ_E10value_typeET4_T5_PSV_SW_PNS1_23onesweep_lookback_stateEbbT6_jjT7_P12ihipStream_tbENKUlT_T0_SK_SP_E_clISE_SE_SF_SF_EEDaS13_S14_SK_SP_EUlS13_E_NS1_11comp_targetILNS1_3genE6ELNS1_11target_archE950ELNS1_3gpuE13ELNS1_3repE0EEENS1_47radix_sort_onesweep_sort_config_static_selectorELNS0_4arch9wavefront6targetE1EEEvSK_.uses_vcc, 1
	.set _ZN7rocprim17ROCPRIM_400000_NS6detail17trampoline_kernelINS0_14default_configENS1_35radix_sort_onesweep_config_selectorIfNS0_10empty_typeEEEZZNS1_29radix_sort_onesweep_iterationIS3_Lb0EN6thrust23THRUST_200600_302600_NS6detail15normal_iteratorINS9_10device_ptrIfEEEESE_PS5_SF_jNS0_19identity_decomposerENS1_16block_id_wrapperIjLb0EEEEE10hipError_tT1_PNSt15iterator_traitsISK_E10value_typeET2_T3_PNSL_ISQ_E10value_typeET4_T5_PSV_SW_PNS1_23onesweep_lookback_stateEbbT6_jjT7_P12ihipStream_tbENKUlT_T0_SK_SP_E_clISE_SE_SF_SF_EEDaS13_S14_SK_SP_EUlS13_E_NS1_11comp_targetILNS1_3genE6ELNS1_11target_archE950ELNS1_3gpuE13ELNS1_3repE0EEENS1_47radix_sort_onesweep_sort_config_static_selectorELNS0_4arch9wavefront6targetE1EEEvSK_.uses_flat_scratch, 0
	.set _ZN7rocprim17ROCPRIM_400000_NS6detail17trampoline_kernelINS0_14default_configENS1_35radix_sort_onesweep_config_selectorIfNS0_10empty_typeEEEZZNS1_29radix_sort_onesweep_iterationIS3_Lb0EN6thrust23THRUST_200600_302600_NS6detail15normal_iteratorINS9_10device_ptrIfEEEESE_PS5_SF_jNS0_19identity_decomposerENS1_16block_id_wrapperIjLb0EEEEE10hipError_tT1_PNSt15iterator_traitsISK_E10value_typeET2_T3_PNSL_ISQ_E10value_typeET4_T5_PSV_SW_PNS1_23onesweep_lookback_stateEbbT6_jjT7_P12ihipStream_tbENKUlT_T0_SK_SP_E_clISE_SE_SF_SF_EEDaS13_S14_SK_SP_EUlS13_E_NS1_11comp_targetILNS1_3genE6ELNS1_11target_archE950ELNS1_3gpuE13ELNS1_3repE0EEENS1_47radix_sort_onesweep_sort_config_static_selectorELNS0_4arch9wavefront6targetE1EEEvSK_.has_dyn_sized_stack, 0
	.set _ZN7rocprim17ROCPRIM_400000_NS6detail17trampoline_kernelINS0_14default_configENS1_35radix_sort_onesweep_config_selectorIfNS0_10empty_typeEEEZZNS1_29radix_sort_onesweep_iterationIS3_Lb0EN6thrust23THRUST_200600_302600_NS6detail15normal_iteratorINS9_10device_ptrIfEEEESE_PS5_SF_jNS0_19identity_decomposerENS1_16block_id_wrapperIjLb0EEEEE10hipError_tT1_PNSt15iterator_traitsISK_E10value_typeET2_T3_PNSL_ISQ_E10value_typeET4_T5_PSV_SW_PNS1_23onesweep_lookback_stateEbbT6_jjT7_P12ihipStream_tbENKUlT_T0_SK_SP_E_clISE_SE_SF_SF_EEDaS13_S14_SK_SP_EUlS13_E_NS1_11comp_targetILNS1_3genE6ELNS1_11target_archE950ELNS1_3gpuE13ELNS1_3repE0EEENS1_47radix_sort_onesweep_sort_config_static_selectorELNS0_4arch9wavefront6targetE1EEEvSK_.has_recursion, 0
	.set _ZN7rocprim17ROCPRIM_400000_NS6detail17trampoline_kernelINS0_14default_configENS1_35radix_sort_onesweep_config_selectorIfNS0_10empty_typeEEEZZNS1_29radix_sort_onesweep_iterationIS3_Lb0EN6thrust23THRUST_200600_302600_NS6detail15normal_iteratorINS9_10device_ptrIfEEEESE_PS5_SF_jNS0_19identity_decomposerENS1_16block_id_wrapperIjLb0EEEEE10hipError_tT1_PNSt15iterator_traitsISK_E10value_typeET2_T3_PNSL_ISQ_E10value_typeET4_T5_PSV_SW_PNS1_23onesweep_lookback_stateEbbT6_jjT7_P12ihipStream_tbENKUlT_T0_SK_SP_E_clISE_SE_SF_SF_EEDaS13_S14_SK_SP_EUlS13_E_NS1_11comp_targetILNS1_3genE6ELNS1_11target_archE950ELNS1_3gpuE13ELNS1_3repE0EEENS1_47radix_sort_onesweep_sort_config_static_selectorELNS0_4arch9wavefront6targetE1EEEvSK_.has_indirect_call, 0
	.section	.AMDGPU.csdata,"",@progbits
; Kernel info:
; codeLenInByte = 11756
; TotalNumSgprs: 38
; NumVgprs: 46
; NumAgprs: 0
; TotalNumVgprs: 46
; ScratchSize: 0
; MemoryBound: 0
; FloatMode: 240
; IeeeMode: 1
; LDSByteSize: 20552 bytes/workgroup (compile time only)
; SGPRBlocks: 4
; VGPRBlocks: 5
; NumSGPRsForWavesPerEU: 38
; NumVGPRsForWavesPerEU: 46
; AccumOffset: 48
; Occupancy: 8
; WaveLimiterHint : 1
; COMPUTE_PGM_RSRC2:SCRATCH_EN: 0
; COMPUTE_PGM_RSRC2:USER_SGPR: 2
; COMPUTE_PGM_RSRC2:TRAP_HANDLER: 0
; COMPUTE_PGM_RSRC2:TGID_X_EN: 1
; COMPUTE_PGM_RSRC2:TGID_Y_EN: 0
; COMPUTE_PGM_RSRC2:TGID_Z_EN: 0
; COMPUTE_PGM_RSRC2:TIDIG_COMP_CNT: 2
; COMPUTE_PGM_RSRC3_GFX90A:ACCUM_OFFSET: 11
; COMPUTE_PGM_RSRC3_GFX90A:TG_SPLIT: 0
	.section	.text._ZN7rocprim17ROCPRIM_400000_NS6detail17trampoline_kernelINS0_14default_configENS1_35radix_sort_onesweep_config_selectorIfNS0_10empty_typeEEEZZNS1_29radix_sort_onesweep_iterationIS3_Lb0EN6thrust23THRUST_200600_302600_NS6detail15normal_iteratorINS9_10device_ptrIfEEEESE_PS5_SF_jNS0_19identity_decomposerENS1_16block_id_wrapperIjLb0EEEEE10hipError_tT1_PNSt15iterator_traitsISK_E10value_typeET2_T3_PNSL_ISQ_E10value_typeET4_T5_PSV_SW_PNS1_23onesweep_lookback_stateEbbT6_jjT7_P12ihipStream_tbENKUlT_T0_SK_SP_E_clISE_SE_SF_SF_EEDaS13_S14_SK_SP_EUlS13_E_NS1_11comp_targetILNS1_3genE5ELNS1_11target_archE942ELNS1_3gpuE9ELNS1_3repE0EEENS1_47radix_sort_onesweep_sort_config_static_selectorELNS0_4arch9wavefront6targetE1EEEvSK_,"axG",@progbits,_ZN7rocprim17ROCPRIM_400000_NS6detail17trampoline_kernelINS0_14default_configENS1_35radix_sort_onesweep_config_selectorIfNS0_10empty_typeEEEZZNS1_29radix_sort_onesweep_iterationIS3_Lb0EN6thrust23THRUST_200600_302600_NS6detail15normal_iteratorINS9_10device_ptrIfEEEESE_PS5_SF_jNS0_19identity_decomposerENS1_16block_id_wrapperIjLb0EEEEE10hipError_tT1_PNSt15iterator_traitsISK_E10value_typeET2_T3_PNSL_ISQ_E10value_typeET4_T5_PSV_SW_PNS1_23onesweep_lookback_stateEbbT6_jjT7_P12ihipStream_tbENKUlT_T0_SK_SP_E_clISE_SE_SF_SF_EEDaS13_S14_SK_SP_EUlS13_E_NS1_11comp_targetILNS1_3genE5ELNS1_11target_archE942ELNS1_3gpuE9ELNS1_3repE0EEENS1_47radix_sort_onesweep_sort_config_static_selectorELNS0_4arch9wavefront6targetE1EEEvSK_,comdat
	.protected	_ZN7rocprim17ROCPRIM_400000_NS6detail17trampoline_kernelINS0_14default_configENS1_35radix_sort_onesweep_config_selectorIfNS0_10empty_typeEEEZZNS1_29radix_sort_onesweep_iterationIS3_Lb0EN6thrust23THRUST_200600_302600_NS6detail15normal_iteratorINS9_10device_ptrIfEEEESE_PS5_SF_jNS0_19identity_decomposerENS1_16block_id_wrapperIjLb0EEEEE10hipError_tT1_PNSt15iterator_traitsISK_E10value_typeET2_T3_PNSL_ISQ_E10value_typeET4_T5_PSV_SW_PNS1_23onesweep_lookback_stateEbbT6_jjT7_P12ihipStream_tbENKUlT_T0_SK_SP_E_clISE_SE_SF_SF_EEDaS13_S14_SK_SP_EUlS13_E_NS1_11comp_targetILNS1_3genE5ELNS1_11target_archE942ELNS1_3gpuE9ELNS1_3repE0EEENS1_47radix_sort_onesweep_sort_config_static_selectorELNS0_4arch9wavefront6targetE1EEEvSK_ ; -- Begin function _ZN7rocprim17ROCPRIM_400000_NS6detail17trampoline_kernelINS0_14default_configENS1_35radix_sort_onesweep_config_selectorIfNS0_10empty_typeEEEZZNS1_29radix_sort_onesweep_iterationIS3_Lb0EN6thrust23THRUST_200600_302600_NS6detail15normal_iteratorINS9_10device_ptrIfEEEESE_PS5_SF_jNS0_19identity_decomposerENS1_16block_id_wrapperIjLb0EEEEE10hipError_tT1_PNSt15iterator_traitsISK_E10value_typeET2_T3_PNSL_ISQ_E10value_typeET4_T5_PSV_SW_PNS1_23onesweep_lookback_stateEbbT6_jjT7_P12ihipStream_tbENKUlT_T0_SK_SP_E_clISE_SE_SF_SF_EEDaS13_S14_SK_SP_EUlS13_E_NS1_11comp_targetILNS1_3genE5ELNS1_11target_archE942ELNS1_3gpuE9ELNS1_3repE0EEENS1_47radix_sort_onesweep_sort_config_static_selectorELNS0_4arch9wavefront6targetE1EEEvSK_
	.globl	_ZN7rocprim17ROCPRIM_400000_NS6detail17trampoline_kernelINS0_14default_configENS1_35radix_sort_onesweep_config_selectorIfNS0_10empty_typeEEEZZNS1_29radix_sort_onesweep_iterationIS3_Lb0EN6thrust23THRUST_200600_302600_NS6detail15normal_iteratorINS9_10device_ptrIfEEEESE_PS5_SF_jNS0_19identity_decomposerENS1_16block_id_wrapperIjLb0EEEEE10hipError_tT1_PNSt15iterator_traitsISK_E10value_typeET2_T3_PNSL_ISQ_E10value_typeET4_T5_PSV_SW_PNS1_23onesweep_lookback_stateEbbT6_jjT7_P12ihipStream_tbENKUlT_T0_SK_SP_E_clISE_SE_SF_SF_EEDaS13_S14_SK_SP_EUlS13_E_NS1_11comp_targetILNS1_3genE5ELNS1_11target_archE942ELNS1_3gpuE9ELNS1_3repE0EEENS1_47radix_sort_onesweep_sort_config_static_selectorELNS0_4arch9wavefront6targetE1EEEvSK_
	.p2align	8
	.type	_ZN7rocprim17ROCPRIM_400000_NS6detail17trampoline_kernelINS0_14default_configENS1_35radix_sort_onesweep_config_selectorIfNS0_10empty_typeEEEZZNS1_29radix_sort_onesweep_iterationIS3_Lb0EN6thrust23THRUST_200600_302600_NS6detail15normal_iteratorINS9_10device_ptrIfEEEESE_PS5_SF_jNS0_19identity_decomposerENS1_16block_id_wrapperIjLb0EEEEE10hipError_tT1_PNSt15iterator_traitsISK_E10value_typeET2_T3_PNSL_ISQ_E10value_typeET4_T5_PSV_SW_PNS1_23onesweep_lookback_stateEbbT6_jjT7_P12ihipStream_tbENKUlT_T0_SK_SP_E_clISE_SE_SF_SF_EEDaS13_S14_SK_SP_EUlS13_E_NS1_11comp_targetILNS1_3genE5ELNS1_11target_archE942ELNS1_3gpuE9ELNS1_3repE0EEENS1_47radix_sort_onesweep_sort_config_static_selectorELNS0_4arch9wavefront6targetE1EEEvSK_,@function
_ZN7rocprim17ROCPRIM_400000_NS6detail17trampoline_kernelINS0_14default_configENS1_35radix_sort_onesweep_config_selectorIfNS0_10empty_typeEEEZZNS1_29radix_sort_onesweep_iterationIS3_Lb0EN6thrust23THRUST_200600_302600_NS6detail15normal_iteratorINS9_10device_ptrIfEEEESE_PS5_SF_jNS0_19identity_decomposerENS1_16block_id_wrapperIjLb0EEEEE10hipError_tT1_PNSt15iterator_traitsISK_E10value_typeET2_T3_PNSL_ISQ_E10value_typeET4_T5_PSV_SW_PNS1_23onesweep_lookback_stateEbbT6_jjT7_P12ihipStream_tbENKUlT_T0_SK_SP_E_clISE_SE_SF_SF_EEDaS13_S14_SK_SP_EUlS13_E_NS1_11comp_targetILNS1_3genE5ELNS1_11target_archE942ELNS1_3gpuE9ELNS1_3repE0EEENS1_47radix_sort_onesweep_sort_config_static_selectorELNS0_4arch9wavefront6targetE1EEEvSK_: ; @_ZN7rocprim17ROCPRIM_400000_NS6detail17trampoline_kernelINS0_14default_configENS1_35radix_sort_onesweep_config_selectorIfNS0_10empty_typeEEEZZNS1_29radix_sort_onesweep_iterationIS3_Lb0EN6thrust23THRUST_200600_302600_NS6detail15normal_iteratorINS9_10device_ptrIfEEEESE_PS5_SF_jNS0_19identity_decomposerENS1_16block_id_wrapperIjLb0EEEEE10hipError_tT1_PNSt15iterator_traitsISK_E10value_typeET2_T3_PNSL_ISQ_E10value_typeET4_T5_PSV_SW_PNS1_23onesweep_lookback_stateEbbT6_jjT7_P12ihipStream_tbENKUlT_T0_SK_SP_E_clISE_SE_SF_SF_EEDaS13_S14_SK_SP_EUlS13_E_NS1_11comp_targetILNS1_3genE5ELNS1_11target_archE942ELNS1_3gpuE9ELNS1_3repE0EEENS1_47radix_sort_onesweep_sort_config_static_selectorELNS0_4arch9wavefront6targetE1EEEvSK_
; %bb.0:
	.section	.rodata,"a",@progbits
	.p2align	6, 0x0
	.amdhsa_kernel _ZN7rocprim17ROCPRIM_400000_NS6detail17trampoline_kernelINS0_14default_configENS1_35radix_sort_onesweep_config_selectorIfNS0_10empty_typeEEEZZNS1_29radix_sort_onesweep_iterationIS3_Lb0EN6thrust23THRUST_200600_302600_NS6detail15normal_iteratorINS9_10device_ptrIfEEEESE_PS5_SF_jNS0_19identity_decomposerENS1_16block_id_wrapperIjLb0EEEEE10hipError_tT1_PNSt15iterator_traitsISK_E10value_typeET2_T3_PNSL_ISQ_E10value_typeET4_T5_PSV_SW_PNS1_23onesweep_lookback_stateEbbT6_jjT7_P12ihipStream_tbENKUlT_T0_SK_SP_E_clISE_SE_SF_SF_EEDaS13_S14_SK_SP_EUlS13_E_NS1_11comp_targetILNS1_3genE5ELNS1_11target_archE942ELNS1_3gpuE9ELNS1_3repE0EEENS1_47radix_sort_onesweep_sort_config_static_selectorELNS0_4arch9wavefront6targetE1EEEvSK_
		.amdhsa_group_segment_fixed_size 0
		.amdhsa_private_segment_fixed_size 0
		.amdhsa_kernarg_size 88
		.amdhsa_user_sgpr_count 2
		.amdhsa_user_sgpr_dispatch_ptr 0
		.amdhsa_user_sgpr_queue_ptr 0
		.amdhsa_user_sgpr_kernarg_segment_ptr 1
		.amdhsa_user_sgpr_dispatch_id 0
		.amdhsa_user_sgpr_kernarg_preload_length 0
		.amdhsa_user_sgpr_kernarg_preload_offset 0
		.amdhsa_user_sgpr_private_segment_size 0
		.amdhsa_uses_dynamic_stack 0
		.amdhsa_enable_private_segment 0
		.amdhsa_system_sgpr_workgroup_id_x 1
		.amdhsa_system_sgpr_workgroup_id_y 0
		.amdhsa_system_sgpr_workgroup_id_z 0
		.amdhsa_system_sgpr_workgroup_info 0
		.amdhsa_system_vgpr_workitem_id 0
		.amdhsa_next_free_vgpr 1
		.amdhsa_next_free_sgpr 0
		.amdhsa_accum_offset 4
		.amdhsa_reserve_vcc 0
		.amdhsa_float_round_mode_32 0
		.amdhsa_float_round_mode_16_64 0
		.amdhsa_float_denorm_mode_32 3
		.amdhsa_float_denorm_mode_16_64 3
		.amdhsa_dx10_clamp 1
		.amdhsa_ieee_mode 1
		.amdhsa_fp16_overflow 0
		.amdhsa_tg_split 0
		.amdhsa_exception_fp_ieee_invalid_op 0
		.amdhsa_exception_fp_denorm_src 0
		.amdhsa_exception_fp_ieee_div_zero 0
		.amdhsa_exception_fp_ieee_overflow 0
		.amdhsa_exception_fp_ieee_underflow 0
		.amdhsa_exception_fp_ieee_inexact 0
		.amdhsa_exception_int_div_zero 0
	.end_amdhsa_kernel
	.section	.text._ZN7rocprim17ROCPRIM_400000_NS6detail17trampoline_kernelINS0_14default_configENS1_35radix_sort_onesweep_config_selectorIfNS0_10empty_typeEEEZZNS1_29radix_sort_onesweep_iterationIS3_Lb0EN6thrust23THRUST_200600_302600_NS6detail15normal_iteratorINS9_10device_ptrIfEEEESE_PS5_SF_jNS0_19identity_decomposerENS1_16block_id_wrapperIjLb0EEEEE10hipError_tT1_PNSt15iterator_traitsISK_E10value_typeET2_T3_PNSL_ISQ_E10value_typeET4_T5_PSV_SW_PNS1_23onesweep_lookback_stateEbbT6_jjT7_P12ihipStream_tbENKUlT_T0_SK_SP_E_clISE_SE_SF_SF_EEDaS13_S14_SK_SP_EUlS13_E_NS1_11comp_targetILNS1_3genE5ELNS1_11target_archE942ELNS1_3gpuE9ELNS1_3repE0EEENS1_47radix_sort_onesweep_sort_config_static_selectorELNS0_4arch9wavefront6targetE1EEEvSK_,"axG",@progbits,_ZN7rocprim17ROCPRIM_400000_NS6detail17trampoline_kernelINS0_14default_configENS1_35radix_sort_onesweep_config_selectorIfNS0_10empty_typeEEEZZNS1_29radix_sort_onesweep_iterationIS3_Lb0EN6thrust23THRUST_200600_302600_NS6detail15normal_iteratorINS9_10device_ptrIfEEEESE_PS5_SF_jNS0_19identity_decomposerENS1_16block_id_wrapperIjLb0EEEEE10hipError_tT1_PNSt15iterator_traitsISK_E10value_typeET2_T3_PNSL_ISQ_E10value_typeET4_T5_PSV_SW_PNS1_23onesweep_lookback_stateEbbT6_jjT7_P12ihipStream_tbENKUlT_T0_SK_SP_E_clISE_SE_SF_SF_EEDaS13_S14_SK_SP_EUlS13_E_NS1_11comp_targetILNS1_3genE5ELNS1_11target_archE942ELNS1_3gpuE9ELNS1_3repE0EEENS1_47radix_sort_onesweep_sort_config_static_selectorELNS0_4arch9wavefront6targetE1EEEvSK_,comdat
.Lfunc_end588:
	.size	_ZN7rocprim17ROCPRIM_400000_NS6detail17trampoline_kernelINS0_14default_configENS1_35radix_sort_onesweep_config_selectorIfNS0_10empty_typeEEEZZNS1_29radix_sort_onesweep_iterationIS3_Lb0EN6thrust23THRUST_200600_302600_NS6detail15normal_iteratorINS9_10device_ptrIfEEEESE_PS5_SF_jNS0_19identity_decomposerENS1_16block_id_wrapperIjLb0EEEEE10hipError_tT1_PNSt15iterator_traitsISK_E10value_typeET2_T3_PNSL_ISQ_E10value_typeET4_T5_PSV_SW_PNS1_23onesweep_lookback_stateEbbT6_jjT7_P12ihipStream_tbENKUlT_T0_SK_SP_E_clISE_SE_SF_SF_EEDaS13_S14_SK_SP_EUlS13_E_NS1_11comp_targetILNS1_3genE5ELNS1_11target_archE942ELNS1_3gpuE9ELNS1_3repE0EEENS1_47radix_sort_onesweep_sort_config_static_selectorELNS0_4arch9wavefront6targetE1EEEvSK_, .Lfunc_end588-_ZN7rocprim17ROCPRIM_400000_NS6detail17trampoline_kernelINS0_14default_configENS1_35radix_sort_onesweep_config_selectorIfNS0_10empty_typeEEEZZNS1_29radix_sort_onesweep_iterationIS3_Lb0EN6thrust23THRUST_200600_302600_NS6detail15normal_iteratorINS9_10device_ptrIfEEEESE_PS5_SF_jNS0_19identity_decomposerENS1_16block_id_wrapperIjLb0EEEEE10hipError_tT1_PNSt15iterator_traitsISK_E10value_typeET2_T3_PNSL_ISQ_E10value_typeET4_T5_PSV_SW_PNS1_23onesweep_lookback_stateEbbT6_jjT7_P12ihipStream_tbENKUlT_T0_SK_SP_E_clISE_SE_SF_SF_EEDaS13_S14_SK_SP_EUlS13_E_NS1_11comp_targetILNS1_3genE5ELNS1_11target_archE942ELNS1_3gpuE9ELNS1_3repE0EEENS1_47radix_sort_onesweep_sort_config_static_selectorELNS0_4arch9wavefront6targetE1EEEvSK_
                                        ; -- End function
	.set _ZN7rocprim17ROCPRIM_400000_NS6detail17trampoline_kernelINS0_14default_configENS1_35radix_sort_onesweep_config_selectorIfNS0_10empty_typeEEEZZNS1_29radix_sort_onesweep_iterationIS3_Lb0EN6thrust23THRUST_200600_302600_NS6detail15normal_iteratorINS9_10device_ptrIfEEEESE_PS5_SF_jNS0_19identity_decomposerENS1_16block_id_wrapperIjLb0EEEEE10hipError_tT1_PNSt15iterator_traitsISK_E10value_typeET2_T3_PNSL_ISQ_E10value_typeET4_T5_PSV_SW_PNS1_23onesweep_lookback_stateEbbT6_jjT7_P12ihipStream_tbENKUlT_T0_SK_SP_E_clISE_SE_SF_SF_EEDaS13_S14_SK_SP_EUlS13_E_NS1_11comp_targetILNS1_3genE5ELNS1_11target_archE942ELNS1_3gpuE9ELNS1_3repE0EEENS1_47radix_sort_onesweep_sort_config_static_selectorELNS0_4arch9wavefront6targetE1EEEvSK_.num_vgpr, 0
	.set _ZN7rocprim17ROCPRIM_400000_NS6detail17trampoline_kernelINS0_14default_configENS1_35radix_sort_onesweep_config_selectorIfNS0_10empty_typeEEEZZNS1_29radix_sort_onesweep_iterationIS3_Lb0EN6thrust23THRUST_200600_302600_NS6detail15normal_iteratorINS9_10device_ptrIfEEEESE_PS5_SF_jNS0_19identity_decomposerENS1_16block_id_wrapperIjLb0EEEEE10hipError_tT1_PNSt15iterator_traitsISK_E10value_typeET2_T3_PNSL_ISQ_E10value_typeET4_T5_PSV_SW_PNS1_23onesweep_lookback_stateEbbT6_jjT7_P12ihipStream_tbENKUlT_T0_SK_SP_E_clISE_SE_SF_SF_EEDaS13_S14_SK_SP_EUlS13_E_NS1_11comp_targetILNS1_3genE5ELNS1_11target_archE942ELNS1_3gpuE9ELNS1_3repE0EEENS1_47radix_sort_onesweep_sort_config_static_selectorELNS0_4arch9wavefront6targetE1EEEvSK_.num_agpr, 0
	.set _ZN7rocprim17ROCPRIM_400000_NS6detail17trampoline_kernelINS0_14default_configENS1_35radix_sort_onesweep_config_selectorIfNS0_10empty_typeEEEZZNS1_29radix_sort_onesweep_iterationIS3_Lb0EN6thrust23THRUST_200600_302600_NS6detail15normal_iteratorINS9_10device_ptrIfEEEESE_PS5_SF_jNS0_19identity_decomposerENS1_16block_id_wrapperIjLb0EEEEE10hipError_tT1_PNSt15iterator_traitsISK_E10value_typeET2_T3_PNSL_ISQ_E10value_typeET4_T5_PSV_SW_PNS1_23onesweep_lookback_stateEbbT6_jjT7_P12ihipStream_tbENKUlT_T0_SK_SP_E_clISE_SE_SF_SF_EEDaS13_S14_SK_SP_EUlS13_E_NS1_11comp_targetILNS1_3genE5ELNS1_11target_archE942ELNS1_3gpuE9ELNS1_3repE0EEENS1_47radix_sort_onesweep_sort_config_static_selectorELNS0_4arch9wavefront6targetE1EEEvSK_.numbered_sgpr, 0
	.set _ZN7rocprim17ROCPRIM_400000_NS6detail17trampoline_kernelINS0_14default_configENS1_35radix_sort_onesweep_config_selectorIfNS0_10empty_typeEEEZZNS1_29radix_sort_onesweep_iterationIS3_Lb0EN6thrust23THRUST_200600_302600_NS6detail15normal_iteratorINS9_10device_ptrIfEEEESE_PS5_SF_jNS0_19identity_decomposerENS1_16block_id_wrapperIjLb0EEEEE10hipError_tT1_PNSt15iterator_traitsISK_E10value_typeET2_T3_PNSL_ISQ_E10value_typeET4_T5_PSV_SW_PNS1_23onesweep_lookback_stateEbbT6_jjT7_P12ihipStream_tbENKUlT_T0_SK_SP_E_clISE_SE_SF_SF_EEDaS13_S14_SK_SP_EUlS13_E_NS1_11comp_targetILNS1_3genE5ELNS1_11target_archE942ELNS1_3gpuE9ELNS1_3repE0EEENS1_47radix_sort_onesweep_sort_config_static_selectorELNS0_4arch9wavefront6targetE1EEEvSK_.num_named_barrier, 0
	.set _ZN7rocprim17ROCPRIM_400000_NS6detail17trampoline_kernelINS0_14default_configENS1_35radix_sort_onesweep_config_selectorIfNS0_10empty_typeEEEZZNS1_29radix_sort_onesweep_iterationIS3_Lb0EN6thrust23THRUST_200600_302600_NS6detail15normal_iteratorINS9_10device_ptrIfEEEESE_PS5_SF_jNS0_19identity_decomposerENS1_16block_id_wrapperIjLb0EEEEE10hipError_tT1_PNSt15iterator_traitsISK_E10value_typeET2_T3_PNSL_ISQ_E10value_typeET4_T5_PSV_SW_PNS1_23onesweep_lookback_stateEbbT6_jjT7_P12ihipStream_tbENKUlT_T0_SK_SP_E_clISE_SE_SF_SF_EEDaS13_S14_SK_SP_EUlS13_E_NS1_11comp_targetILNS1_3genE5ELNS1_11target_archE942ELNS1_3gpuE9ELNS1_3repE0EEENS1_47radix_sort_onesweep_sort_config_static_selectorELNS0_4arch9wavefront6targetE1EEEvSK_.private_seg_size, 0
	.set _ZN7rocprim17ROCPRIM_400000_NS6detail17trampoline_kernelINS0_14default_configENS1_35radix_sort_onesweep_config_selectorIfNS0_10empty_typeEEEZZNS1_29radix_sort_onesweep_iterationIS3_Lb0EN6thrust23THRUST_200600_302600_NS6detail15normal_iteratorINS9_10device_ptrIfEEEESE_PS5_SF_jNS0_19identity_decomposerENS1_16block_id_wrapperIjLb0EEEEE10hipError_tT1_PNSt15iterator_traitsISK_E10value_typeET2_T3_PNSL_ISQ_E10value_typeET4_T5_PSV_SW_PNS1_23onesweep_lookback_stateEbbT6_jjT7_P12ihipStream_tbENKUlT_T0_SK_SP_E_clISE_SE_SF_SF_EEDaS13_S14_SK_SP_EUlS13_E_NS1_11comp_targetILNS1_3genE5ELNS1_11target_archE942ELNS1_3gpuE9ELNS1_3repE0EEENS1_47radix_sort_onesweep_sort_config_static_selectorELNS0_4arch9wavefront6targetE1EEEvSK_.uses_vcc, 0
	.set _ZN7rocprim17ROCPRIM_400000_NS6detail17trampoline_kernelINS0_14default_configENS1_35radix_sort_onesweep_config_selectorIfNS0_10empty_typeEEEZZNS1_29radix_sort_onesweep_iterationIS3_Lb0EN6thrust23THRUST_200600_302600_NS6detail15normal_iteratorINS9_10device_ptrIfEEEESE_PS5_SF_jNS0_19identity_decomposerENS1_16block_id_wrapperIjLb0EEEEE10hipError_tT1_PNSt15iterator_traitsISK_E10value_typeET2_T3_PNSL_ISQ_E10value_typeET4_T5_PSV_SW_PNS1_23onesweep_lookback_stateEbbT6_jjT7_P12ihipStream_tbENKUlT_T0_SK_SP_E_clISE_SE_SF_SF_EEDaS13_S14_SK_SP_EUlS13_E_NS1_11comp_targetILNS1_3genE5ELNS1_11target_archE942ELNS1_3gpuE9ELNS1_3repE0EEENS1_47radix_sort_onesweep_sort_config_static_selectorELNS0_4arch9wavefront6targetE1EEEvSK_.uses_flat_scratch, 0
	.set _ZN7rocprim17ROCPRIM_400000_NS6detail17trampoline_kernelINS0_14default_configENS1_35radix_sort_onesweep_config_selectorIfNS0_10empty_typeEEEZZNS1_29radix_sort_onesweep_iterationIS3_Lb0EN6thrust23THRUST_200600_302600_NS6detail15normal_iteratorINS9_10device_ptrIfEEEESE_PS5_SF_jNS0_19identity_decomposerENS1_16block_id_wrapperIjLb0EEEEE10hipError_tT1_PNSt15iterator_traitsISK_E10value_typeET2_T3_PNSL_ISQ_E10value_typeET4_T5_PSV_SW_PNS1_23onesweep_lookback_stateEbbT6_jjT7_P12ihipStream_tbENKUlT_T0_SK_SP_E_clISE_SE_SF_SF_EEDaS13_S14_SK_SP_EUlS13_E_NS1_11comp_targetILNS1_3genE5ELNS1_11target_archE942ELNS1_3gpuE9ELNS1_3repE0EEENS1_47radix_sort_onesweep_sort_config_static_selectorELNS0_4arch9wavefront6targetE1EEEvSK_.has_dyn_sized_stack, 0
	.set _ZN7rocprim17ROCPRIM_400000_NS6detail17trampoline_kernelINS0_14default_configENS1_35radix_sort_onesweep_config_selectorIfNS0_10empty_typeEEEZZNS1_29radix_sort_onesweep_iterationIS3_Lb0EN6thrust23THRUST_200600_302600_NS6detail15normal_iteratorINS9_10device_ptrIfEEEESE_PS5_SF_jNS0_19identity_decomposerENS1_16block_id_wrapperIjLb0EEEEE10hipError_tT1_PNSt15iterator_traitsISK_E10value_typeET2_T3_PNSL_ISQ_E10value_typeET4_T5_PSV_SW_PNS1_23onesweep_lookback_stateEbbT6_jjT7_P12ihipStream_tbENKUlT_T0_SK_SP_E_clISE_SE_SF_SF_EEDaS13_S14_SK_SP_EUlS13_E_NS1_11comp_targetILNS1_3genE5ELNS1_11target_archE942ELNS1_3gpuE9ELNS1_3repE0EEENS1_47radix_sort_onesweep_sort_config_static_selectorELNS0_4arch9wavefront6targetE1EEEvSK_.has_recursion, 0
	.set _ZN7rocprim17ROCPRIM_400000_NS6detail17trampoline_kernelINS0_14default_configENS1_35radix_sort_onesweep_config_selectorIfNS0_10empty_typeEEEZZNS1_29radix_sort_onesweep_iterationIS3_Lb0EN6thrust23THRUST_200600_302600_NS6detail15normal_iteratorINS9_10device_ptrIfEEEESE_PS5_SF_jNS0_19identity_decomposerENS1_16block_id_wrapperIjLb0EEEEE10hipError_tT1_PNSt15iterator_traitsISK_E10value_typeET2_T3_PNSL_ISQ_E10value_typeET4_T5_PSV_SW_PNS1_23onesweep_lookback_stateEbbT6_jjT7_P12ihipStream_tbENKUlT_T0_SK_SP_E_clISE_SE_SF_SF_EEDaS13_S14_SK_SP_EUlS13_E_NS1_11comp_targetILNS1_3genE5ELNS1_11target_archE942ELNS1_3gpuE9ELNS1_3repE0EEENS1_47radix_sort_onesweep_sort_config_static_selectorELNS0_4arch9wavefront6targetE1EEEvSK_.has_indirect_call, 0
	.section	.AMDGPU.csdata,"",@progbits
; Kernel info:
; codeLenInByte = 0
; TotalNumSgprs: 6
; NumVgprs: 0
; NumAgprs: 0
; TotalNumVgprs: 0
; ScratchSize: 0
; MemoryBound: 0
; FloatMode: 240
; IeeeMode: 1
; LDSByteSize: 0 bytes/workgroup (compile time only)
; SGPRBlocks: 0
; VGPRBlocks: 0
; NumSGPRsForWavesPerEU: 6
; NumVGPRsForWavesPerEU: 1
; AccumOffset: 4
; Occupancy: 8
; WaveLimiterHint : 0
; COMPUTE_PGM_RSRC2:SCRATCH_EN: 0
; COMPUTE_PGM_RSRC2:USER_SGPR: 2
; COMPUTE_PGM_RSRC2:TRAP_HANDLER: 0
; COMPUTE_PGM_RSRC2:TGID_X_EN: 1
; COMPUTE_PGM_RSRC2:TGID_Y_EN: 0
; COMPUTE_PGM_RSRC2:TGID_Z_EN: 0
; COMPUTE_PGM_RSRC2:TIDIG_COMP_CNT: 0
; COMPUTE_PGM_RSRC3_GFX90A:ACCUM_OFFSET: 0
; COMPUTE_PGM_RSRC3_GFX90A:TG_SPLIT: 0
	.section	.text._ZN7rocprim17ROCPRIM_400000_NS6detail17trampoline_kernelINS0_14default_configENS1_35radix_sort_onesweep_config_selectorIfNS0_10empty_typeEEEZZNS1_29radix_sort_onesweep_iterationIS3_Lb0EN6thrust23THRUST_200600_302600_NS6detail15normal_iteratorINS9_10device_ptrIfEEEESE_PS5_SF_jNS0_19identity_decomposerENS1_16block_id_wrapperIjLb0EEEEE10hipError_tT1_PNSt15iterator_traitsISK_E10value_typeET2_T3_PNSL_ISQ_E10value_typeET4_T5_PSV_SW_PNS1_23onesweep_lookback_stateEbbT6_jjT7_P12ihipStream_tbENKUlT_T0_SK_SP_E_clISE_SE_SF_SF_EEDaS13_S14_SK_SP_EUlS13_E_NS1_11comp_targetILNS1_3genE2ELNS1_11target_archE906ELNS1_3gpuE6ELNS1_3repE0EEENS1_47radix_sort_onesweep_sort_config_static_selectorELNS0_4arch9wavefront6targetE1EEEvSK_,"axG",@progbits,_ZN7rocprim17ROCPRIM_400000_NS6detail17trampoline_kernelINS0_14default_configENS1_35radix_sort_onesweep_config_selectorIfNS0_10empty_typeEEEZZNS1_29radix_sort_onesweep_iterationIS3_Lb0EN6thrust23THRUST_200600_302600_NS6detail15normal_iteratorINS9_10device_ptrIfEEEESE_PS5_SF_jNS0_19identity_decomposerENS1_16block_id_wrapperIjLb0EEEEE10hipError_tT1_PNSt15iterator_traitsISK_E10value_typeET2_T3_PNSL_ISQ_E10value_typeET4_T5_PSV_SW_PNS1_23onesweep_lookback_stateEbbT6_jjT7_P12ihipStream_tbENKUlT_T0_SK_SP_E_clISE_SE_SF_SF_EEDaS13_S14_SK_SP_EUlS13_E_NS1_11comp_targetILNS1_3genE2ELNS1_11target_archE906ELNS1_3gpuE6ELNS1_3repE0EEENS1_47radix_sort_onesweep_sort_config_static_selectorELNS0_4arch9wavefront6targetE1EEEvSK_,comdat
	.protected	_ZN7rocprim17ROCPRIM_400000_NS6detail17trampoline_kernelINS0_14default_configENS1_35radix_sort_onesweep_config_selectorIfNS0_10empty_typeEEEZZNS1_29radix_sort_onesweep_iterationIS3_Lb0EN6thrust23THRUST_200600_302600_NS6detail15normal_iteratorINS9_10device_ptrIfEEEESE_PS5_SF_jNS0_19identity_decomposerENS1_16block_id_wrapperIjLb0EEEEE10hipError_tT1_PNSt15iterator_traitsISK_E10value_typeET2_T3_PNSL_ISQ_E10value_typeET4_T5_PSV_SW_PNS1_23onesweep_lookback_stateEbbT6_jjT7_P12ihipStream_tbENKUlT_T0_SK_SP_E_clISE_SE_SF_SF_EEDaS13_S14_SK_SP_EUlS13_E_NS1_11comp_targetILNS1_3genE2ELNS1_11target_archE906ELNS1_3gpuE6ELNS1_3repE0EEENS1_47radix_sort_onesweep_sort_config_static_selectorELNS0_4arch9wavefront6targetE1EEEvSK_ ; -- Begin function _ZN7rocprim17ROCPRIM_400000_NS6detail17trampoline_kernelINS0_14default_configENS1_35radix_sort_onesweep_config_selectorIfNS0_10empty_typeEEEZZNS1_29radix_sort_onesweep_iterationIS3_Lb0EN6thrust23THRUST_200600_302600_NS6detail15normal_iteratorINS9_10device_ptrIfEEEESE_PS5_SF_jNS0_19identity_decomposerENS1_16block_id_wrapperIjLb0EEEEE10hipError_tT1_PNSt15iterator_traitsISK_E10value_typeET2_T3_PNSL_ISQ_E10value_typeET4_T5_PSV_SW_PNS1_23onesweep_lookback_stateEbbT6_jjT7_P12ihipStream_tbENKUlT_T0_SK_SP_E_clISE_SE_SF_SF_EEDaS13_S14_SK_SP_EUlS13_E_NS1_11comp_targetILNS1_3genE2ELNS1_11target_archE906ELNS1_3gpuE6ELNS1_3repE0EEENS1_47radix_sort_onesweep_sort_config_static_selectorELNS0_4arch9wavefront6targetE1EEEvSK_
	.globl	_ZN7rocprim17ROCPRIM_400000_NS6detail17trampoline_kernelINS0_14default_configENS1_35radix_sort_onesweep_config_selectorIfNS0_10empty_typeEEEZZNS1_29radix_sort_onesweep_iterationIS3_Lb0EN6thrust23THRUST_200600_302600_NS6detail15normal_iteratorINS9_10device_ptrIfEEEESE_PS5_SF_jNS0_19identity_decomposerENS1_16block_id_wrapperIjLb0EEEEE10hipError_tT1_PNSt15iterator_traitsISK_E10value_typeET2_T3_PNSL_ISQ_E10value_typeET4_T5_PSV_SW_PNS1_23onesweep_lookback_stateEbbT6_jjT7_P12ihipStream_tbENKUlT_T0_SK_SP_E_clISE_SE_SF_SF_EEDaS13_S14_SK_SP_EUlS13_E_NS1_11comp_targetILNS1_3genE2ELNS1_11target_archE906ELNS1_3gpuE6ELNS1_3repE0EEENS1_47radix_sort_onesweep_sort_config_static_selectorELNS0_4arch9wavefront6targetE1EEEvSK_
	.p2align	8
	.type	_ZN7rocprim17ROCPRIM_400000_NS6detail17trampoline_kernelINS0_14default_configENS1_35radix_sort_onesweep_config_selectorIfNS0_10empty_typeEEEZZNS1_29radix_sort_onesweep_iterationIS3_Lb0EN6thrust23THRUST_200600_302600_NS6detail15normal_iteratorINS9_10device_ptrIfEEEESE_PS5_SF_jNS0_19identity_decomposerENS1_16block_id_wrapperIjLb0EEEEE10hipError_tT1_PNSt15iterator_traitsISK_E10value_typeET2_T3_PNSL_ISQ_E10value_typeET4_T5_PSV_SW_PNS1_23onesweep_lookback_stateEbbT6_jjT7_P12ihipStream_tbENKUlT_T0_SK_SP_E_clISE_SE_SF_SF_EEDaS13_S14_SK_SP_EUlS13_E_NS1_11comp_targetILNS1_3genE2ELNS1_11target_archE906ELNS1_3gpuE6ELNS1_3repE0EEENS1_47radix_sort_onesweep_sort_config_static_selectorELNS0_4arch9wavefront6targetE1EEEvSK_,@function
_ZN7rocprim17ROCPRIM_400000_NS6detail17trampoline_kernelINS0_14default_configENS1_35radix_sort_onesweep_config_selectorIfNS0_10empty_typeEEEZZNS1_29radix_sort_onesweep_iterationIS3_Lb0EN6thrust23THRUST_200600_302600_NS6detail15normal_iteratorINS9_10device_ptrIfEEEESE_PS5_SF_jNS0_19identity_decomposerENS1_16block_id_wrapperIjLb0EEEEE10hipError_tT1_PNSt15iterator_traitsISK_E10value_typeET2_T3_PNSL_ISQ_E10value_typeET4_T5_PSV_SW_PNS1_23onesweep_lookback_stateEbbT6_jjT7_P12ihipStream_tbENKUlT_T0_SK_SP_E_clISE_SE_SF_SF_EEDaS13_S14_SK_SP_EUlS13_E_NS1_11comp_targetILNS1_3genE2ELNS1_11target_archE906ELNS1_3gpuE6ELNS1_3repE0EEENS1_47radix_sort_onesweep_sort_config_static_selectorELNS0_4arch9wavefront6targetE1EEEvSK_: ; @_ZN7rocprim17ROCPRIM_400000_NS6detail17trampoline_kernelINS0_14default_configENS1_35radix_sort_onesweep_config_selectorIfNS0_10empty_typeEEEZZNS1_29radix_sort_onesweep_iterationIS3_Lb0EN6thrust23THRUST_200600_302600_NS6detail15normal_iteratorINS9_10device_ptrIfEEEESE_PS5_SF_jNS0_19identity_decomposerENS1_16block_id_wrapperIjLb0EEEEE10hipError_tT1_PNSt15iterator_traitsISK_E10value_typeET2_T3_PNSL_ISQ_E10value_typeET4_T5_PSV_SW_PNS1_23onesweep_lookback_stateEbbT6_jjT7_P12ihipStream_tbENKUlT_T0_SK_SP_E_clISE_SE_SF_SF_EEDaS13_S14_SK_SP_EUlS13_E_NS1_11comp_targetILNS1_3genE2ELNS1_11target_archE906ELNS1_3gpuE6ELNS1_3repE0EEENS1_47radix_sort_onesweep_sort_config_static_selectorELNS0_4arch9wavefront6targetE1EEEvSK_
; %bb.0:
	.section	.rodata,"a",@progbits
	.p2align	6, 0x0
	.amdhsa_kernel _ZN7rocprim17ROCPRIM_400000_NS6detail17trampoline_kernelINS0_14default_configENS1_35radix_sort_onesweep_config_selectorIfNS0_10empty_typeEEEZZNS1_29radix_sort_onesweep_iterationIS3_Lb0EN6thrust23THRUST_200600_302600_NS6detail15normal_iteratorINS9_10device_ptrIfEEEESE_PS5_SF_jNS0_19identity_decomposerENS1_16block_id_wrapperIjLb0EEEEE10hipError_tT1_PNSt15iterator_traitsISK_E10value_typeET2_T3_PNSL_ISQ_E10value_typeET4_T5_PSV_SW_PNS1_23onesweep_lookback_stateEbbT6_jjT7_P12ihipStream_tbENKUlT_T0_SK_SP_E_clISE_SE_SF_SF_EEDaS13_S14_SK_SP_EUlS13_E_NS1_11comp_targetILNS1_3genE2ELNS1_11target_archE906ELNS1_3gpuE6ELNS1_3repE0EEENS1_47radix_sort_onesweep_sort_config_static_selectorELNS0_4arch9wavefront6targetE1EEEvSK_
		.amdhsa_group_segment_fixed_size 0
		.amdhsa_private_segment_fixed_size 0
		.amdhsa_kernarg_size 88
		.amdhsa_user_sgpr_count 2
		.amdhsa_user_sgpr_dispatch_ptr 0
		.amdhsa_user_sgpr_queue_ptr 0
		.amdhsa_user_sgpr_kernarg_segment_ptr 1
		.amdhsa_user_sgpr_dispatch_id 0
		.amdhsa_user_sgpr_kernarg_preload_length 0
		.amdhsa_user_sgpr_kernarg_preload_offset 0
		.amdhsa_user_sgpr_private_segment_size 0
		.amdhsa_uses_dynamic_stack 0
		.amdhsa_enable_private_segment 0
		.amdhsa_system_sgpr_workgroup_id_x 1
		.amdhsa_system_sgpr_workgroup_id_y 0
		.amdhsa_system_sgpr_workgroup_id_z 0
		.amdhsa_system_sgpr_workgroup_info 0
		.amdhsa_system_vgpr_workitem_id 0
		.amdhsa_next_free_vgpr 1
		.amdhsa_next_free_sgpr 0
		.amdhsa_accum_offset 4
		.amdhsa_reserve_vcc 0
		.amdhsa_float_round_mode_32 0
		.amdhsa_float_round_mode_16_64 0
		.amdhsa_float_denorm_mode_32 3
		.amdhsa_float_denorm_mode_16_64 3
		.amdhsa_dx10_clamp 1
		.amdhsa_ieee_mode 1
		.amdhsa_fp16_overflow 0
		.amdhsa_tg_split 0
		.amdhsa_exception_fp_ieee_invalid_op 0
		.amdhsa_exception_fp_denorm_src 0
		.amdhsa_exception_fp_ieee_div_zero 0
		.amdhsa_exception_fp_ieee_overflow 0
		.amdhsa_exception_fp_ieee_underflow 0
		.amdhsa_exception_fp_ieee_inexact 0
		.amdhsa_exception_int_div_zero 0
	.end_amdhsa_kernel
	.section	.text._ZN7rocprim17ROCPRIM_400000_NS6detail17trampoline_kernelINS0_14default_configENS1_35radix_sort_onesweep_config_selectorIfNS0_10empty_typeEEEZZNS1_29radix_sort_onesweep_iterationIS3_Lb0EN6thrust23THRUST_200600_302600_NS6detail15normal_iteratorINS9_10device_ptrIfEEEESE_PS5_SF_jNS0_19identity_decomposerENS1_16block_id_wrapperIjLb0EEEEE10hipError_tT1_PNSt15iterator_traitsISK_E10value_typeET2_T3_PNSL_ISQ_E10value_typeET4_T5_PSV_SW_PNS1_23onesweep_lookback_stateEbbT6_jjT7_P12ihipStream_tbENKUlT_T0_SK_SP_E_clISE_SE_SF_SF_EEDaS13_S14_SK_SP_EUlS13_E_NS1_11comp_targetILNS1_3genE2ELNS1_11target_archE906ELNS1_3gpuE6ELNS1_3repE0EEENS1_47radix_sort_onesweep_sort_config_static_selectorELNS0_4arch9wavefront6targetE1EEEvSK_,"axG",@progbits,_ZN7rocprim17ROCPRIM_400000_NS6detail17trampoline_kernelINS0_14default_configENS1_35radix_sort_onesweep_config_selectorIfNS0_10empty_typeEEEZZNS1_29radix_sort_onesweep_iterationIS3_Lb0EN6thrust23THRUST_200600_302600_NS6detail15normal_iteratorINS9_10device_ptrIfEEEESE_PS5_SF_jNS0_19identity_decomposerENS1_16block_id_wrapperIjLb0EEEEE10hipError_tT1_PNSt15iterator_traitsISK_E10value_typeET2_T3_PNSL_ISQ_E10value_typeET4_T5_PSV_SW_PNS1_23onesweep_lookback_stateEbbT6_jjT7_P12ihipStream_tbENKUlT_T0_SK_SP_E_clISE_SE_SF_SF_EEDaS13_S14_SK_SP_EUlS13_E_NS1_11comp_targetILNS1_3genE2ELNS1_11target_archE906ELNS1_3gpuE6ELNS1_3repE0EEENS1_47radix_sort_onesweep_sort_config_static_selectorELNS0_4arch9wavefront6targetE1EEEvSK_,comdat
.Lfunc_end589:
	.size	_ZN7rocprim17ROCPRIM_400000_NS6detail17trampoline_kernelINS0_14default_configENS1_35radix_sort_onesweep_config_selectorIfNS0_10empty_typeEEEZZNS1_29radix_sort_onesweep_iterationIS3_Lb0EN6thrust23THRUST_200600_302600_NS6detail15normal_iteratorINS9_10device_ptrIfEEEESE_PS5_SF_jNS0_19identity_decomposerENS1_16block_id_wrapperIjLb0EEEEE10hipError_tT1_PNSt15iterator_traitsISK_E10value_typeET2_T3_PNSL_ISQ_E10value_typeET4_T5_PSV_SW_PNS1_23onesweep_lookback_stateEbbT6_jjT7_P12ihipStream_tbENKUlT_T0_SK_SP_E_clISE_SE_SF_SF_EEDaS13_S14_SK_SP_EUlS13_E_NS1_11comp_targetILNS1_3genE2ELNS1_11target_archE906ELNS1_3gpuE6ELNS1_3repE0EEENS1_47radix_sort_onesweep_sort_config_static_selectorELNS0_4arch9wavefront6targetE1EEEvSK_, .Lfunc_end589-_ZN7rocprim17ROCPRIM_400000_NS6detail17trampoline_kernelINS0_14default_configENS1_35radix_sort_onesweep_config_selectorIfNS0_10empty_typeEEEZZNS1_29radix_sort_onesweep_iterationIS3_Lb0EN6thrust23THRUST_200600_302600_NS6detail15normal_iteratorINS9_10device_ptrIfEEEESE_PS5_SF_jNS0_19identity_decomposerENS1_16block_id_wrapperIjLb0EEEEE10hipError_tT1_PNSt15iterator_traitsISK_E10value_typeET2_T3_PNSL_ISQ_E10value_typeET4_T5_PSV_SW_PNS1_23onesweep_lookback_stateEbbT6_jjT7_P12ihipStream_tbENKUlT_T0_SK_SP_E_clISE_SE_SF_SF_EEDaS13_S14_SK_SP_EUlS13_E_NS1_11comp_targetILNS1_3genE2ELNS1_11target_archE906ELNS1_3gpuE6ELNS1_3repE0EEENS1_47radix_sort_onesweep_sort_config_static_selectorELNS0_4arch9wavefront6targetE1EEEvSK_
                                        ; -- End function
	.set _ZN7rocprim17ROCPRIM_400000_NS6detail17trampoline_kernelINS0_14default_configENS1_35radix_sort_onesweep_config_selectorIfNS0_10empty_typeEEEZZNS1_29radix_sort_onesweep_iterationIS3_Lb0EN6thrust23THRUST_200600_302600_NS6detail15normal_iteratorINS9_10device_ptrIfEEEESE_PS5_SF_jNS0_19identity_decomposerENS1_16block_id_wrapperIjLb0EEEEE10hipError_tT1_PNSt15iterator_traitsISK_E10value_typeET2_T3_PNSL_ISQ_E10value_typeET4_T5_PSV_SW_PNS1_23onesweep_lookback_stateEbbT6_jjT7_P12ihipStream_tbENKUlT_T0_SK_SP_E_clISE_SE_SF_SF_EEDaS13_S14_SK_SP_EUlS13_E_NS1_11comp_targetILNS1_3genE2ELNS1_11target_archE906ELNS1_3gpuE6ELNS1_3repE0EEENS1_47radix_sort_onesweep_sort_config_static_selectorELNS0_4arch9wavefront6targetE1EEEvSK_.num_vgpr, 0
	.set _ZN7rocprim17ROCPRIM_400000_NS6detail17trampoline_kernelINS0_14default_configENS1_35radix_sort_onesweep_config_selectorIfNS0_10empty_typeEEEZZNS1_29radix_sort_onesweep_iterationIS3_Lb0EN6thrust23THRUST_200600_302600_NS6detail15normal_iteratorINS9_10device_ptrIfEEEESE_PS5_SF_jNS0_19identity_decomposerENS1_16block_id_wrapperIjLb0EEEEE10hipError_tT1_PNSt15iterator_traitsISK_E10value_typeET2_T3_PNSL_ISQ_E10value_typeET4_T5_PSV_SW_PNS1_23onesweep_lookback_stateEbbT6_jjT7_P12ihipStream_tbENKUlT_T0_SK_SP_E_clISE_SE_SF_SF_EEDaS13_S14_SK_SP_EUlS13_E_NS1_11comp_targetILNS1_3genE2ELNS1_11target_archE906ELNS1_3gpuE6ELNS1_3repE0EEENS1_47radix_sort_onesweep_sort_config_static_selectorELNS0_4arch9wavefront6targetE1EEEvSK_.num_agpr, 0
	.set _ZN7rocprim17ROCPRIM_400000_NS6detail17trampoline_kernelINS0_14default_configENS1_35radix_sort_onesweep_config_selectorIfNS0_10empty_typeEEEZZNS1_29radix_sort_onesweep_iterationIS3_Lb0EN6thrust23THRUST_200600_302600_NS6detail15normal_iteratorINS9_10device_ptrIfEEEESE_PS5_SF_jNS0_19identity_decomposerENS1_16block_id_wrapperIjLb0EEEEE10hipError_tT1_PNSt15iterator_traitsISK_E10value_typeET2_T3_PNSL_ISQ_E10value_typeET4_T5_PSV_SW_PNS1_23onesweep_lookback_stateEbbT6_jjT7_P12ihipStream_tbENKUlT_T0_SK_SP_E_clISE_SE_SF_SF_EEDaS13_S14_SK_SP_EUlS13_E_NS1_11comp_targetILNS1_3genE2ELNS1_11target_archE906ELNS1_3gpuE6ELNS1_3repE0EEENS1_47radix_sort_onesweep_sort_config_static_selectorELNS0_4arch9wavefront6targetE1EEEvSK_.numbered_sgpr, 0
	.set _ZN7rocprim17ROCPRIM_400000_NS6detail17trampoline_kernelINS0_14default_configENS1_35radix_sort_onesweep_config_selectorIfNS0_10empty_typeEEEZZNS1_29radix_sort_onesweep_iterationIS3_Lb0EN6thrust23THRUST_200600_302600_NS6detail15normal_iteratorINS9_10device_ptrIfEEEESE_PS5_SF_jNS0_19identity_decomposerENS1_16block_id_wrapperIjLb0EEEEE10hipError_tT1_PNSt15iterator_traitsISK_E10value_typeET2_T3_PNSL_ISQ_E10value_typeET4_T5_PSV_SW_PNS1_23onesweep_lookback_stateEbbT6_jjT7_P12ihipStream_tbENKUlT_T0_SK_SP_E_clISE_SE_SF_SF_EEDaS13_S14_SK_SP_EUlS13_E_NS1_11comp_targetILNS1_3genE2ELNS1_11target_archE906ELNS1_3gpuE6ELNS1_3repE0EEENS1_47radix_sort_onesweep_sort_config_static_selectorELNS0_4arch9wavefront6targetE1EEEvSK_.num_named_barrier, 0
	.set _ZN7rocprim17ROCPRIM_400000_NS6detail17trampoline_kernelINS0_14default_configENS1_35radix_sort_onesweep_config_selectorIfNS0_10empty_typeEEEZZNS1_29radix_sort_onesweep_iterationIS3_Lb0EN6thrust23THRUST_200600_302600_NS6detail15normal_iteratorINS9_10device_ptrIfEEEESE_PS5_SF_jNS0_19identity_decomposerENS1_16block_id_wrapperIjLb0EEEEE10hipError_tT1_PNSt15iterator_traitsISK_E10value_typeET2_T3_PNSL_ISQ_E10value_typeET4_T5_PSV_SW_PNS1_23onesweep_lookback_stateEbbT6_jjT7_P12ihipStream_tbENKUlT_T0_SK_SP_E_clISE_SE_SF_SF_EEDaS13_S14_SK_SP_EUlS13_E_NS1_11comp_targetILNS1_3genE2ELNS1_11target_archE906ELNS1_3gpuE6ELNS1_3repE0EEENS1_47radix_sort_onesweep_sort_config_static_selectorELNS0_4arch9wavefront6targetE1EEEvSK_.private_seg_size, 0
	.set _ZN7rocprim17ROCPRIM_400000_NS6detail17trampoline_kernelINS0_14default_configENS1_35radix_sort_onesweep_config_selectorIfNS0_10empty_typeEEEZZNS1_29radix_sort_onesweep_iterationIS3_Lb0EN6thrust23THRUST_200600_302600_NS6detail15normal_iteratorINS9_10device_ptrIfEEEESE_PS5_SF_jNS0_19identity_decomposerENS1_16block_id_wrapperIjLb0EEEEE10hipError_tT1_PNSt15iterator_traitsISK_E10value_typeET2_T3_PNSL_ISQ_E10value_typeET4_T5_PSV_SW_PNS1_23onesweep_lookback_stateEbbT6_jjT7_P12ihipStream_tbENKUlT_T0_SK_SP_E_clISE_SE_SF_SF_EEDaS13_S14_SK_SP_EUlS13_E_NS1_11comp_targetILNS1_3genE2ELNS1_11target_archE906ELNS1_3gpuE6ELNS1_3repE0EEENS1_47radix_sort_onesweep_sort_config_static_selectorELNS0_4arch9wavefront6targetE1EEEvSK_.uses_vcc, 0
	.set _ZN7rocprim17ROCPRIM_400000_NS6detail17trampoline_kernelINS0_14default_configENS1_35radix_sort_onesweep_config_selectorIfNS0_10empty_typeEEEZZNS1_29radix_sort_onesweep_iterationIS3_Lb0EN6thrust23THRUST_200600_302600_NS6detail15normal_iteratorINS9_10device_ptrIfEEEESE_PS5_SF_jNS0_19identity_decomposerENS1_16block_id_wrapperIjLb0EEEEE10hipError_tT1_PNSt15iterator_traitsISK_E10value_typeET2_T3_PNSL_ISQ_E10value_typeET4_T5_PSV_SW_PNS1_23onesweep_lookback_stateEbbT6_jjT7_P12ihipStream_tbENKUlT_T0_SK_SP_E_clISE_SE_SF_SF_EEDaS13_S14_SK_SP_EUlS13_E_NS1_11comp_targetILNS1_3genE2ELNS1_11target_archE906ELNS1_3gpuE6ELNS1_3repE0EEENS1_47radix_sort_onesweep_sort_config_static_selectorELNS0_4arch9wavefront6targetE1EEEvSK_.uses_flat_scratch, 0
	.set _ZN7rocprim17ROCPRIM_400000_NS6detail17trampoline_kernelINS0_14default_configENS1_35radix_sort_onesweep_config_selectorIfNS0_10empty_typeEEEZZNS1_29radix_sort_onesweep_iterationIS3_Lb0EN6thrust23THRUST_200600_302600_NS6detail15normal_iteratorINS9_10device_ptrIfEEEESE_PS5_SF_jNS0_19identity_decomposerENS1_16block_id_wrapperIjLb0EEEEE10hipError_tT1_PNSt15iterator_traitsISK_E10value_typeET2_T3_PNSL_ISQ_E10value_typeET4_T5_PSV_SW_PNS1_23onesweep_lookback_stateEbbT6_jjT7_P12ihipStream_tbENKUlT_T0_SK_SP_E_clISE_SE_SF_SF_EEDaS13_S14_SK_SP_EUlS13_E_NS1_11comp_targetILNS1_3genE2ELNS1_11target_archE906ELNS1_3gpuE6ELNS1_3repE0EEENS1_47radix_sort_onesweep_sort_config_static_selectorELNS0_4arch9wavefront6targetE1EEEvSK_.has_dyn_sized_stack, 0
	.set _ZN7rocprim17ROCPRIM_400000_NS6detail17trampoline_kernelINS0_14default_configENS1_35radix_sort_onesweep_config_selectorIfNS0_10empty_typeEEEZZNS1_29radix_sort_onesweep_iterationIS3_Lb0EN6thrust23THRUST_200600_302600_NS6detail15normal_iteratorINS9_10device_ptrIfEEEESE_PS5_SF_jNS0_19identity_decomposerENS1_16block_id_wrapperIjLb0EEEEE10hipError_tT1_PNSt15iterator_traitsISK_E10value_typeET2_T3_PNSL_ISQ_E10value_typeET4_T5_PSV_SW_PNS1_23onesweep_lookback_stateEbbT6_jjT7_P12ihipStream_tbENKUlT_T0_SK_SP_E_clISE_SE_SF_SF_EEDaS13_S14_SK_SP_EUlS13_E_NS1_11comp_targetILNS1_3genE2ELNS1_11target_archE906ELNS1_3gpuE6ELNS1_3repE0EEENS1_47radix_sort_onesweep_sort_config_static_selectorELNS0_4arch9wavefront6targetE1EEEvSK_.has_recursion, 0
	.set _ZN7rocprim17ROCPRIM_400000_NS6detail17trampoline_kernelINS0_14default_configENS1_35radix_sort_onesweep_config_selectorIfNS0_10empty_typeEEEZZNS1_29radix_sort_onesweep_iterationIS3_Lb0EN6thrust23THRUST_200600_302600_NS6detail15normal_iteratorINS9_10device_ptrIfEEEESE_PS5_SF_jNS0_19identity_decomposerENS1_16block_id_wrapperIjLb0EEEEE10hipError_tT1_PNSt15iterator_traitsISK_E10value_typeET2_T3_PNSL_ISQ_E10value_typeET4_T5_PSV_SW_PNS1_23onesweep_lookback_stateEbbT6_jjT7_P12ihipStream_tbENKUlT_T0_SK_SP_E_clISE_SE_SF_SF_EEDaS13_S14_SK_SP_EUlS13_E_NS1_11comp_targetILNS1_3genE2ELNS1_11target_archE906ELNS1_3gpuE6ELNS1_3repE0EEENS1_47radix_sort_onesweep_sort_config_static_selectorELNS0_4arch9wavefront6targetE1EEEvSK_.has_indirect_call, 0
	.section	.AMDGPU.csdata,"",@progbits
; Kernel info:
; codeLenInByte = 0
; TotalNumSgprs: 6
; NumVgprs: 0
; NumAgprs: 0
; TotalNumVgprs: 0
; ScratchSize: 0
; MemoryBound: 0
; FloatMode: 240
; IeeeMode: 1
; LDSByteSize: 0 bytes/workgroup (compile time only)
; SGPRBlocks: 0
; VGPRBlocks: 0
; NumSGPRsForWavesPerEU: 6
; NumVGPRsForWavesPerEU: 1
; AccumOffset: 4
; Occupancy: 8
; WaveLimiterHint : 0
; COMPUTE_PGM_RSRC2:SCRATCH_EN: 0
; COMPUTE_PGM_RSRC2:USER_SGPR: 2
; COMPUTE_PGM_RSRC2:TRAP_HANDLER: 0
; COMPUTE_PGM_RSRC2:TGID_X_EN: 1
; COMPUTE_PGM_RSRC2:TGID_Y_EN: 0
; COMPUTE_PGM_RSRC2:TGID_Z_EN: 0
; COMPUTE_PGM_RSRC2:TIDIG_COMP_CNT: 0
; COMPUTE_PGM_RSRC3_GFX90A:ACCUM_OFFSET: 0
; COMPUTE_PGM_RSRC3_GFX90A:TG_SPLIT: 0
	.section	.text._ZN7rocprim17ROCPRIM_400000_NS6detail17trampoline_kernelINS0_14default_configENS1_35radix_sort_onesweep_config_selectorIfNS0_10empty_typeEEEZZNS1_29radix_sort_onesweep_iterationIS3_Lb0EN6thrust23THRUST_200600_302600_NS6detail15normal_iteratorINS9_10device_ptrIfEEEESE_PS5_SF_jNS0_19identity_decomposerENS1_16block_id_wrapperIjLb0EEEEE10hipError_tT1_PNSt15iterator_traitsISK_E10value_typeET2_T3_PNSL_ISQ_E10value_typeET4_T5_PSV_SW_PNS1_23onesweep_lookback_stateEbbT6_jjT7_P12ihipStream_tbENKUlT_T0_SK_SP_E_clISE_SE_SF_SF_EEDaS13_S14_SK_SP_EUlS13_E_NS1_11comp_targetILNS1_3genE4ELNS1_11target_archE910ELNS1_3gpuE8ELNS1_3repE0EEENS1_47radix_sort_onesweep_sort_config_static_selectorELNS0_4arch9wavefront6targetE1EEEvSK_,"axG",@progbits,_ZN7rocprim17ROCPRIM_400000_NS6detail17trampoline_kernelINS0_14default_configENS1_35radix_sort_onesweep_config_selectorIfNS0_10empty_typeEEEZZNS1_29radix_sort_onesweep_iterationIS3_Lb0EN6thrust23THRUST_200600_302600_NS6detail15normal_iteratorINS9_10device_ptrIfEEEESE_PS5_SF_jNS0_19identity_decomposerENS1_16block_id_wrapperIjLb0EEEEE10hipError_tT1_PNSt15iterator_traitsISK_E10value_typeET2_T3_PNSL_ISQ_E10value_typeET4_T5_PSV_SW_PNS1_23onesweep_lookback_stateEbbT6_jjT7_P12ihipStream_tbENKUlT_T0_SK_SP_E_clISE_SE_SF_SF_EEDaS13_S14_SK_SP_EUlS13_E_NS1_11comp_targetILNS1_3genE4ELNS1_11target_archE910ELNS1_3gpuE8ELNS1_3repE0EEENS1_47radix_sort_onesweep_sort_config_static_selectorELNS0_4arch9wavefront6targetE1EEEvSK_,comdat
	.protected	_ZN7rocprim17ROCPRIM_400000_NS6detail17trampoline_kernelINS0_14default_configENS1_35radix_sort_onesweep_config_selectorIfNS0_10empty_typeEEEZZNS1_29radix_sort_onesweep_iterationIS3_Lb0EN6thrust23THRUST_200600_302600_NS6detail15normal_iteratorINS9_10device_ptrIfEEEESE_PS5_SF_jNS0_19identity_decomposerENS1_16block_id_wrapperIjLb0EEEEE10hipError_tT1_PNSt15iterator_traitsISK_E10value_typeET2_T3_PNSL_ISQ_E10value_typeET4_T5_PSV_SW_PNS1_23onesweep_lookback_stateEbbT6_jjT7_P12ihipStream_tbENKUlT_T0_SK_SP_E_clISE_SE_SF_SF_EEDaS13_S14_SK_SP_EUlS13_E_NS1_11comp_targetILNS1_3genE4ELNS1_11target_archE910ELNS1_3gpuE8ELNS1_3repE0EEENS1_47radix_sort_onesweep_sort_config_static_selectorELNS0_4arch9wavefront6targetE1EEEvSK_ ; -- Begin function _ZN7rocprim17ROCPRIM_400000_NS6detail17trampoline_kernelINS0_14default_configENS1_35radix_sort_onesweep_config_selectorIfNS0_10empty_typeEEEZZNS1_29radix_sort_onesweep_iterationIS3_Lb0EN6thrust23THRUST_200600_302600_NS6detail15normal_iteratorINS9_10device_ptrIfEEEESE_PS5_SF_jNS0_19identity_decomposerENS1_16block_id_wrapperIjLb0EEEEE10hipError_tT1_PNSt15iterator_traitsISK_E10value_typeET2_T3_PNSL_ISQ_E10value_typeET4_T5_PSV_SW_PNS1_23onesweep_lookback_stateEbbT6_jjT7_P12ihipStream_tbENKUlT_T0_SK_SP_E_clISE_SE_SF_SF_EEDaS13_S14_SK_SP_EUlS13_E_NS1_11comp_targetILNS1_3genE4ELNS1_11target_archE910ELNS1_3gpuE8ELNS1_3repE0EEENS1_47radix_sort_onesweep_sort_config_static_selectorELNS0_4arch9wavefront6targetE1EEEvSK_
	.globl	_ZN7rocprim17ROCPRIM_400000_NS6detail17trampoline_kernelINS0_14default_configENS1_35radix_sort_onesweep_config_selectorIfNS0_10empty_typeEEEZZNS1_29radix_sort_onesweep_iterationIS3_Lb0EN6thrust23THRUST_200600_302600_NS6detail15normal_iteratorINS9_10device_ptrIfEEEESE_PS5_SF_jNS0_19identity_decomposerENS1_16block_id_wrapperIjLb0EEEEE10hipError_tT1_PNSt15iterator_traitsISK_E10value_typeET2_T3_PNSL_ISQ_E10value_typeET4_T5_PSV_SW_PNS1_23onesweep_lookback_stateEbbT6_jjT7_P12ihipStream_tbENKUlT_T0_SK_SP_E_clISE_SE_SF_SF_EEDaS13_S14_SK_SP_EUlS13_E_NS1_11comp_targetILNS1_3genE4ELNS1_11target_archE910ELNS1_3gpuE8ELNS1_3repE0EEENS1_47radix_sort_onesweep_sort_config_static_selectorELNS0_4arch9wavefront6targetE1EEEvSK_
	.p2align	8
	.type	_ZN7rocprim17ROCPRIM_400000_NS6detail17trampoline_kernelINS0_14default_configENS1_35radix_sort_onesweep_config_selectorIfNS0_10empty_typeEEEZZNS1_29radix_sort_onesweep_iterationIS3_Lb0EN6thrust23THRUST_200600_302600_NS6detail15normal_iteratorINS9_10device_ptrIfEEEESE_PS5_SF_jNS0_19identity_decomposerENS1_16block_id_wrapperIjLb0EEEEE10hipError_tT1_PNSt15iterator_traitsISK_E10value_typeET2_T3_PNSL_ISQ_E10value_typeET4_T5_PSV_SW_PNS1_23onesweep_lookback_stateEbbT6_jjT7_P12ihipStream_tbENKUlT_T0_SK_SP_E_clISE_SE_SF_SF_EEDaS13_S14_SK_SP_EUlS13_E_NS1_11comp_targetILNS1_3genE4ELNS1_11target_archE910ELNS1_3gpuE8ELNS1_3repE0EEENS1_47radix_sort_onesweep_sort_config_static_selectorELNS0_4arch9wavefront6targetE1EEEvSK_,@function
_ZN7rocprim17ROCPRIM_400000_NS6detail17trampoline_kernelINS0_14default_configENS1_35radix_sort_onesweep_config_selectorIfNS0_10empty_typeEEEZZNS1_29radix_sort_onesweep_iterationIS3_Lb0EN6thrust23THRUST_200600_302600_NS6detail15normal_iteratorINS9_10device_ptrIfEEEESE_PS5_SF_jNS0_19identity_decomposerENS1_16block_id_wrapperIjLb0EEEEE10hipError_tT1_PNSt15iterator_traitsISK_E10value_typeET2_T3_PNSL_ISQ_E10value_typeET4_T5_PSV_SW_PNS1_23onesweep_lookback_stateEbbT6_jjT7_P12ihipStream_tbENKUlT_T0_SK_SP_E_clISE_SE_SF_SF_EEDaS13_S14_SK_SP_EUlS13_E_NS1_11comp_targetILNS1_3genE4ELNS1_11target_archE910ELNS1_3gpuE8ELNS1_3repE0EEENS1_47radix_sort_onesweep_sort_config_static_selectorELNS0_4arch9wavefront6targetE1EEEvSK_: ; @_ZN7rocprim17ROCPRIM_400000_NS6detail17trampoline_kernelINS0_14default_configENS1_35radix_sort_onesweep_config_selectorIfNS0_10empty_typeEEEZZNS1_29radix_sort_onesweep_iterationIS3_Lb0EN6thrust23THRUST_200600_302600_NS6detail15normal_iteratorINS9_10device_ptrIfEEEESE_PS5_SF_jNS0_19identity_decomposerENS1_16block_id_wrapperIjLb0EEEEE10hipError_tT1_PNSt15iterator_traitsISK_E10value_typeET2_T3_PNSL_ISQ_E10value_typeET4_T5_PSV_SW_PNS1_23onesweep_lookback_stateEbbT6_jjT7_P12ihipStream_tbENKUlT_T0_SK_SP_E_clISE_SE_SF_SF_EEDaS13_S14_SK_SP_EUlS13_E_NS1_11comp_targetILNS1_3genE4ELNS1_11target_archE910ELNS1_3gpuE8ELNS1_3repE0EEENS1_47radix_sort_onesweep_sort_config_static_selectorELNS0_4arch9wavefront6targetE1EEEvSK_
; %bb.0:
	.section	.rodata,"a",@progbits
	.p2align	6, 0x0
	.amdhsa_kernel _ZN7rocprim17ROCPRIM_400000_NS6detail17trampoline_kernelINS0_14default_configENS1_35radix_sort_onesweep_config_selectorIfNS0_10empty_typeEEEZZNS1_29radix_sort_onesweep_iterationIS3_Lb0EN6thrust23THRUST_200600_302600_NS6detail15normal_iteratorINS9_10device_ptrIfEEEESE_PS5_SF_jNS0_19identity_decomposerENS1_16block_id_wrapperIjLb0EEEEE10hipError_tT1_PNSt15iterator_traitsISK_E10value_typeET2_T3_PNSL_ISQ_E10value_typeET4_T5_PSV_SW_PNS1_23onesweep_lookback_stateEbbT6_jjT7_P12ihipStream_tbENKUlT_T0_SK_SP_E_clISE_SE_SF_SF_EEDaS13_S14_SK_SP_EUlS13_E_NS1_11comp_targetILNS1_3genE4ELNS1_11target_archE910ELNS1_3gpuE8ELNS1_3repE0EEENS1_47radix_sort_onesweep_sort_config_static_selectorELNS0_4arch9wavefront6targetE1EEEvSK_
		.amdhsa_group_segment_fixed_size 0
		.amdhsa_private_segment_fixed_size 0
		.amdhsa_kernarg_size 88
		.amdhsa_user_sgpr_count 2
		.amdhsa_user_sgpr_dispatch_ptr 0
		.amdhsa_user_sgpr_queue_ptr 0
		.amdhsa_user_sgpr_kernarg_segment_ptr 1
		.amdhsa_user_sgpr_dispatch_id 0
		.amdhsa_user_sgpr_kernarg_preload_length 0
		.amdhsa_user_sgpr_kernarg_preload_offset 0
		.amdhsa_user_sgpr_private_segment_size 0
		.amdhsa_uses_dynamic_stack 0
		.amdhsa_enable_private_segment 0
		.amdhsa_system_sgpr_workgroup_id_x 1
		.amdhsa_system_sgpr_workgroup_id_y 0
		.amdhsa_system_sgpr_workgroup_id_z 0
		.amdhsa_system_sgpr_workgroup_info 0
		.amdhsa_system_vgpr_workitem_id 0
		.amdhsa_next_free_vgpr 1
		.amdhsa_next_free_sgpr 0
		.amdhsa_accum_offset 4
		.amdhsa_reserve_vcc 0
		.amdhsa_float_round_mode_32 0
		.amdhsa_float_round_mode_16_64 0
		.amdhsa_float_denorm_mode_32 3
		.amdhsa_float_denorm_mode_16_64 3
		.amdhsa_dx10_clamp 1
		.amdhsa_ieee_mode 1
		.amdhsa_fp16_overflow 0
		.amdhsa_tg_split 0
		.amdhsa_exception_fp_ieee_invalid_op 0
		.amdhsa_exception_fp_denorm_src 0
		.amdhsa_exception_fp_ieee_div_zero 0
		.amdhsa_exception_fp_ieee_overflow 0
		.amdhsa_exception_fp_ieee_underflow 0
		.amdhsa_exception_fp_ieee_inexact 0
		.amdhsa_exception_int_div_zero 0
	.end_amdhsa_kernel
	.section	.text._ZN7rocprim17ROCPRIM_400000_NS6detail17trampoline_kernelINS0_14default_configENS1_35radix_sort_onesweep_config_selectorIfNS0_10empty_typeEEEZZNS1_29radix_sort_onesweep_iterationIS3_Lb0EN6thrust23THRUST_200600_302600_NS6detail15normal_iteratorINS9_10device_ptrIfEEEESE_PS5_SF_jNS0_19identity_decomposerENS1_16block_id_wrapperIjLb0EEEEE10hipError_tT1_PNSt15iterator_traitsISK_E10value_typeET2_T3_PNSL_ISQ_E10value_typeET4_T5_PSV_SW_PNS1_23onesweep_lookback_stateEbbT6_jjT7_P12ihipStream_tbENKUlT_T0_SK_SP_E_clISE_SE_SF_SF_EEDaS13_S14_SK_SP_EUlS13_E_NS1_11comp_targetILNS1_3genE4ELNS1_11target_archE910ELNS1_3gpuE8ELNS1_3repE0EEENS1_47radix_sort_onesweep_sort_config_static_selectorELNS0_4arch9wavefront6targetE1EEEvSK_,"axG",@progbits,_ZN7rocprim17ROCPRIM_400000_NS6detail17trampoline_kernelINS0_14default_configENS1_35radix_sort_onesweep_config_selectorIfNS0_10empty_typeEEEZZNS1_29radix_sort_onesweep_iterationIS3_Lb0EN6thrust23THRUST_200600_302600_NS6detail15normal_iteratorINS9_10device_ptrIfEEEESE_PS5_SF_jNS0_19identity_decomposerENS1_16block_id_wrapperIjLb0EEEEE10hipError_tT1_PNSt15iterator_traitsISK_E10value_typeET2_T3_PNSL_ISQ_E10value_typeET4_T5_PSV_SW_PNS1_23onesweep_lookback_stateEbbT6_jjT7_P12ihipStream_tbENKUlT_T0_SK_SP_E_clISE_SE_SF_SF_EEDaS13_S14_SK_SP_EUlS13_E_NS1_11comp_targetILNS1_3genE4ELNS1_11target_archE910ELNS1_3gpuE8ELNS1_3repE0EEENS1_47radix_sort_onesweep_sort_config_static_selectorELNS0_4arch9wavefront6targetE1EEEvSK_,comdat
.Lfunc_end590:
	.size	_ZN7rocprim17ROCPRIM_400000_NS6detail17trampoline_kernelINS0_14default_configENS1_35radix_sort_onesweep_config_selectorIfNS0_10empty_typeEEEZZNS1_29radix_sort_onesweep_iterationIS3_Lb0EN6thrust23THRUST_200600_302600_NS6detail15normal_iteratorINS9_10device_ptrIfEEEESE_PS5_SF_jNS0_19identity_decomposerENS1_16block_id_wrapperIjLb0EEEEE10hipError_tT1_PNSt15iterator_traitsISK_E10value_typeET2_T3_PNSL_ISQ_E10value_typeET4_T5_PSV_SW_PNS1_23onesweep_lookback_stateEbbT6_jjT7_P12ihipStream_tbENKUlT_T0_SK_SP_E_clISE_SE_SF_SF_EEDaS13_S14_SK_SP_EUlS13_E_NS1_11comp_targetILNS1_3genE4ELNS1_11target_archE910ELNS1_3gpuE8ELNS1_3repE0EEENS1_47radix_sort_onesweep_sort_config_static_selectorELNS0_4arch9wavefront6targetE1EEEvSK_, .Lfunc_end590-_ZN7rocprim17ROCPRIM_400000_NS6detail17trampoline_kernelINS0_14default_configENS1_35radix_sort_onesweep_config_selectorIfNS0_10empty_typeEEEZZNS1_29radix_sort_onesweep_iterationIS3_Lb0EN6thrust23THRUST_200600_302600_NS6detail15normal_iteratorINS9_10device_ptrIfEEEESE_PS5_SF_jNS0_19identity_decomposerENS1_16block_id_wrapperIjLb0EEEEE10hipError_tT1_PNSt15iterator_traitsISK_E10value_typeET2_T3_PNSL_ISQ_E10value_typeET4_T5_PSV_SW_PNS1_23onesweep_lookback_stateEbbT6_jjT7_P12ihipStream_tbENKUlT_T0_SK_SP_E_clISE_SE_SF_SF_EEDaS13_S14_SK_SP_EUlS13_E_NS1_11comp_targetILNS1_3genE4ELNS1_11target_archE910ELNS1_3gpuE8ELNS1_3repE0EEENS1_47radix_sort_onesweep_sort_config_static_selectorELNS0_4arch9wavefront6targetE1EEEvSK_
                                        ; -- End function
	.set _ZN7rocprim17ROCPRIM_400000_NS6detail17trampoline_kernelINS0_14default_configENS1_35radix_sort_onesweep_config_selectorIfNS0_10empty_typeEEEZZNS1_29radix_sort_onesweep_iterationIS3_Lb0EN6thrust23THRUST_200600_302600_NS6detail15normal_iteratorINS9_10device_ptrIfEEEESE_PS5_SF_jNS0_19identity_decomposerENS1_16block_id_wrapperIjLb0EEEEE10hipError_tT1_PNSt15iterator_traitsISK_E10value_typeET2_T3_PNSL_ISQ_E10value_typeET4_T5_PSV_SW_PNS1_23onesweep_lookback_stateEbbT6_jjT7_P12ihipStream_tbENKUlT_T0_SK_SP_E_clISE_SE_SF_SF_EEDaS13_S14_SK_SP_EUlS13_E_NS1_11comp_targetILNS1_3genE4ELNS1_11target_archE910ELNS1_3gpuE8ELNS1_3repE0EEENS1_47radix_sort_onesweep_sort_config_static_selectorELNS0_4arch9wavefront6targetE1EEEvSK_.num_vgpr, 0
	.set _ZN7rocprim17ROCPRIM_400000_NS6detail17trampoline_kernelINS0_14default_configENS1_35radix_sort_onesweep_config_selectorIfNS0_10empty_typeEEEZZNS1_29radix_sort_onesweep_iterationIS3_Lb0EN6thrust23THRUST_200600_302600_NS6detail15normal_iteratorINS9_10device_ptrIfEEEESE_PS5_SF_jNS0_19identity_decomposerENS1_16block_id_wrapperIjLb0EEEEE10hipError_tT1_PNSt15iterator_traitsISK_E10value_typeET2_T3_PNSL_ISQ_E10value_typeET4_T5_PSV_SW_PNS1_23onesweep_lookback_stateEbbT6_jjT7_P12ihipStream_tbENKUlT_T0_SK_SP_E_clISE_SE_SF_SF_EEDaS13_S14_SK_SP_EUlS13_E_NS1_11comp_targetILNS1_3genE4ELNS1_11target_archE910ELNS1_3gpuE8ELNS1_3repE0EEENS1_47radix_sort_onesweep_sort_config_static_selectorELNS0_4arch9wavefront6targetE1EEEvSK_.num_agpr, 0
	.set _ZN7rocprim17ROCPRIM_400000_NS6detail17trampoline_kernelINS0_14default_configENS1_35radix_sort_onesweep_config_selectorIfNS0_10empty_typeEEEZZNS1_29radix_sort_onesweep_iterationIS3_Lb0EN6thrust23THRUST_200600_302600_NS6detail15normal_iteratorINS9_10device_ptrIfEEEESE_PS5_SF_jNS0_19identity_decomposerENS1_16block_id_wrapperIjLb0EEEEE10hipError_tT1_PNSt15iterator_traitsISK_E10value_typeET2_T3_PNSL_ISQ_E10value_typeET4_T5_PSV_SW_PNS1_23onesweep_lookback_stateEbbT6_jjT7_P12ihipStream_tbENKUlT_T0_SK_SP_E_clISE_SE_SF_SF_EEDaS13_S14_SK_SP_EUlS13_E_NS1_11comp_targetILNS1_3genE4ELNS1_11target_archE910ELNS1_3gpuE8ELNS1_3repE0EEENS1_47radix_sort_onesweep_sort_config_static_selectorELNS0_4arch9wavefront6targetE1EEEvSK_.numbered_sgpr, 0
	.set _ZN7rocprim17ROCPRIM_400000_NS6detail17trampoline_kernelINS0_14default_configENS1_35radix_sort_onesweep_config_selectorIfNS0_10empty_typeEEEZZNS1_29radix_sort_onesweep_iterationIS3_Lb0EN6thrust23THRUST_200600_302600_NS6detail15normal_iteratorINS9_10device_ptrIfEEEESE_PS5_SF_jNS0_19identity_decomposerENS1_16block_id_wrapperIjLb0EEEEE10hipError_tT1_PNSt15iterator_traitsISK_E10value_typeET2_T3_PNSL_ISQ_E10value_typeET4_T5_PSV_SW_PNS1_23onesweep_lookback_stateEbbT6_jjT7_P12ihipStream_tbENKUlT_T0_SK_SP_E_clISE_SE_SF_SF_EEDaS13_S14_SK_SP_EUlS13_E_NS1_11comp_targetILNS1_3genE4ELNS1_11target_archE910ELNS1_3gpuE8ELNS1_3repE0EEENS1_47radix_sort_onesweep_sort_config_static_selectorELNS0_4arch9wavefront6targetE1EEEvSK_.num_named_barrier, 0
	.set _ZN7rocprim17ROCPRIM_400000_NS6detail17trampoline_kernelINS0_14default_configENS1_35radix_sort_onesweep_config_selectorIfNS0_10empty_typeEEEZZNS1_29radix_sort_onesweep_iterationIS3_Lb0EN6thrust23THRUST_200600_302600_NS6detail15normal_iteratorINS9_10device_ptrIfEEEESE_PS5_SF_jNS0_19identity_decomposerENS1_16block_id_wrapperIjLb0EEEEE10hipError_tT1_PNSt15iterator_traitsISK_E10value_typeET2_T3_PNSL_ISQ_E10value_typeET4_T5_PSV_SW_PNS1_23onesweep_lookback_stateEbbT6_jjT7_P12ihipStream_tbENKUlT_T0_SK_SP_E_clISE_SE_SF_SF_EEDaS13_S14_SK_SP_EUlS13_E_NS1_11comp_targetILNS1_3genE4ELNS1_11target_archE910ELNS1_3gpuE8ELNS1_3repE0EEENS1_47radix_sort_onesweep_sort_config_static_selectorELNS0_4arch9wavefront6targetE1EEEvSK_.private_seg_size, 0
	.set _ZN7rocprim17ROCPRIM_400000_NS6detail17trampoline_kernelINS0_14default_configENS1_35radix_sort_onesweep_config_selectorIfNS0_10empty_typeEEEZZNS1_29radix_sort_onesweep_iterationIS3_Lb0EN6thrust23THRUST_200600_302600_NS6detail15normal_iteratorINS9_10device_ptrIfEEEESE_PS5_SF_jNS0_19identity_decomposerENS1_16block_id_wrapperIjLb0EEEEE10hipError_tT1_PNSt15iterator_traitsISK_E10value_typeET2_T3_PNSL_ISQ_E10value_typeET4_T5_PSV_SW_PNS1_23onesweep_lookback_stateEbbT6_jjT7_P12ihipStream_tbENKUlT_T0_SK_SP_E_clISE_SE_SF_SF_EEDaS13_S14_SK_SP_EUlS13_E_NS1_11comp_targetILNS1_3genE4ELNS1_11target_archE910ELNS1_3gpuE8ELNS1_3repE0EEENS1_47radix_sort_onesweep_sort_config_static_selectorELNS0_4arch9wavefront6targetE1EEEvSK_.uses_vcc, 0
	.set _ZN7rocprim17ROCPRIM_400000_NS6detail17trampoline_kernelINS0_14default_configENS1_35radix_sort_onesweep_config_selectorIfNS0_10empty_typeEEEZZNS1_29radix_sort_onesweep_iterationIS3_Lb0EN6thrust23THRUST_200600_302600_NS6detail15normal_iteratorINS9_10device_ptrIfEEEESE_PS5_SF_jNS0_19identity_decomposerENS1_16block_id_wrapperIjLb0EEEEE10hipError_tT1_PNSt15iterator_traitsISK_E10value_typeET2_T3_PNSL_ISQ_E10value_typeET4_T5_PSV_SW_PNS1_23onesweep_lookback_stateEbbT6_jjT7_P12ihipStream_tbENKUlT_T0_SK_SP_E_clISE_SE_SF_SF_EEDaS13_S14_SK_SP_EUlS13_E_NS1_11comp_targetILNS1_3genE4ELNS1_11target_archE910ELNS1_3gpuE8ELNS1_3repE0EEENS1_47radix_sort_onesweep_sort_config_static_selectorELNS0_4arch9wavefront6targetE1EEEvSK_.uses_flat_scratch, 0
	.set _ZN7rocprim17ROCPRIM_400000_NS6detail17trampoline_kernelINS0_14default_configENS1_35radix_sort_onesweep_config_selectorIfNS0_10empty_typeEEEZZNS1_29radix_sort_onesweep_iterationIS3_Lb0EN6thrust23THRUST_200600_302600_NS6detail15normal_iteratorINS9_10device_ptrIfEEEESE_PS5_SF_jNS0_19identity_decomposerENS1_16block_id_wrapperIjLb0EEEEE10hipError_tT1_PNSt15iterator_traitsISK_E10value_typeET2_T3_PNSL_ISQ_E10value_typeET4_T5_PSV_SW_PNS1_23onesweep_lookback_stateEbbT6_jjT7_P12ihipStream_tbENKUlT_T0_SK_SP_E_clISE_SE_SF_SF_EEDaS13_S14_SK_SP_EUlS13_E_NS1_11comp_targetILNS1_3genE4ELNS1_11target_archE910ELNS1_3gpuE8ELNS1_3repE0EEENS1_47radix_sort_onesweep_sort_config_static_selectorELNS0_4arch9wavefront6targetE1EEEvSK_.has_dyn_sized_stack, 0
	.set _ZN7rocprim17ROCPRIM_400000_NS6detail17trampoline_kernelINS0_14default_configENS1_35radix_sort_onesweep_config_selectorIfNS0_10empty_typeEEEZZNS1_29radix_sort_onesweep_iterationIS3_Lb0EN6thrust23THRUST_200600_302600_NS6detail15normal_iteratorINS9_10device_ptrIfEEEESE_PS5_SF_jNS0_19identity_decomposerENS1_16block_id_wrapperIjLb0EEEEE10hipError_tT1_PNSt15iterator_traitsISK_E10value_typeET2_T3_PNSL_ISQ_E10value_typeET4_T5_PSV_SW_PNS1_23onesweep_lookback_stateEbbT6_jjT7_P12ihipStream_tbENKUlT_T0_SK_SP_E_clISE_SE_SF_SF_EEDaS13_S14_SK_SP_EUlS13_E_NS1_11comp_targetILNS1_3genE4ELNS1_11target_archE910ELNS1_3gpuE8ELNS1_3repE0EEENS1_47radix_sort_onesweep_sort_config_static_selectorELNS0_4arch9wavefront6targetE1EEEvSK_.has_recursion, 0
	.set _ZN7rocprim17ROCPRIM_400000_NS6detail17trampoline_kernelINS0_14default_configENS1_35radix_sort_onesweep_config_selectorIfNS0_10empty_typeEEEZZNS1_29radix_sort_onesweep_iterationIS3_Lb0EN6thrust23THRUST_200600_302600_NS6detail15normal_iteratorINS9_10device_ptrIfEEEESE_PS5_SF_jNS0_19identity_decomposerENS1_16block_id_wrapperIjLb0EEEEE10hipError_tT1_PNSt15iterator_traitsISK_E10value_typeET2_T3_PNSL_ISQ_E10value_typeET4_T5_PSV_SW_PNS1_23onesweep_lookback_stateEbbT6_jjT7_P12ihipStream_tbENKUlT_T0_SK_SP_E_clISE_SE_SF_SF_EEDaS13_S14_SK_SP_EUlS13_E_NS1_11comp_targetILNS1_3genE4ELNS1_11target_archE910ELNS1_3gpuE8ELNS1_3repE0EEENS1_47radix_sort_onesweep_sort_config_static_selectorELNS0_4arch9wavefront6targetE1EEEvSK_.has_indirect_call, 0
	.section	.AMDGPU.csdata,"",@progbits
; Kernel info:
; codeLenInByte = 0
; TotalNumSgprs: 6
; NumVgprs: 0
; NumAgprs: 0
; TotalNumVgprs: 0
; ScratchSize: 0
; MemoryBound: 0
; FloatMode: 240
; IeeeMode: 1
; LDSByteSize: 0 bytes/workgroup (compile time only)
; SGPRBlocks: 0
; VGPRBlocks: 0
; NumSGPRsForWavesPerEU: 6
; NumVGPRsForWavesPerEU: 1
; AccumOffset: 4
; Occupancy: 8
; WaveLimiterHint : 0
; COMPUTE_PGM_RSRC2:SCRATCH_EN: 0
; COMPUTE_PGM_RSRC2:USER_SGPR: 2
; COMPUTE_PGM_RSRC2:TRAP_HANDLER: 0
; COMPUTE_PGM_RSRC2:TGID_X_EN: 1
; COMPUTE_PGM_RSRC2:TGID_Y_EN: 0
; COMPUTE_PGM_RSRC2:TGID_Z_EN: 0
; COMPUTE_PGM_RSRC2:TIDIG_COMP_CNT: 0
; COMPUTE_PGM_RSRC3_GFX90A:ACCUM_OFFSET: 0
; COMPUTE_PGM_RSRC3_GFX90A:TG_SPLIT: 0
	.section	.text._ZN7rocprim17ROCPRIM_400000_NS6detail17trampoline_kernelINS0_14default_configENS1_35radix_sort_onesweep_config_selectorIfNS0_10empty_typeEEEZZNS1_29radix_sort_onesweep_iterationIS3_Lb0EN6thrust23THRUST_200600_302600_NS6detail15normal_iteratorINS9_10device_ptrIfEEEESE_PS5_SF_jNS0_19identity_decomposerENS1_16block_id_wrapperIjLb0EEEEE10hipError_tT1_PNSt15iterator_traitsISK_E10value_typeET2_T3_PNSL_ISQ_E10value_typeET4_T5_PSV_SW_PNS1_23onesweep_lookback_stateEbbT6_jjT7_P12ihipStream_tbENKUlT_T0_SK_SP_E_clISE_SE_SF_SF_EEDaS13_S14_SK_SP_EUlS13_E_NS1_11comp_targetILNS1_3genE3ELNS1_11target_archE908ELNS1_3gpuE7ELNS1_3repE0EEENS1_47radix_sort_onesweep_sort_config_static_selectorELNS0_4arch9wavefront6targetE1EEEvSK_,"axG",@progbits,_ZN7rocprim17ROCPRIM_400000_NS6detail17trampoline_kernelINS0_14default_configENS1_35radix_sort_onesweep_config_selectorIfNS0_10empty_typeEEEZZNS1_29radix_sort_onesweep_iterationIS3_Lb0EN6thrust23THRUST_200600_302600_NS6detail15normal_iteratorINS9_10device_ptrIfEEEESE_PS5_SF_jNS0_19identity_decomposerENS1_16block_id_wrapperIjLb0EEEEE10hipError_tT1_PNSt15iterator_traitsISK_E10value_typeET2_T3_PNSL_ISQ_E10value_typeET4_T5_PSV_SW_PNS1_23onesweep_lookback_stateEbbT6_jjT7_P12ihipStream_tbENKUlT_T0_SK_SP_E_clISE_SE_SF_SF_EEDaS13_S14_SK_SP_EUlS13_E_NS1_11comp_targetILNS1_3genE3ELNS1_11target_archE908ELNS1_3gpuE7ELNS1_3repE0EEENS1_47radix_sort_onesweep_sort_config_static_selectorELNS0_4arch9wavefront6targetE1EEEvSK_,comdat
	.protected	_ZN7rocprim17ROCPRIM_400000_NS6detail17trampoline_kernelINS0_14default_configENS1_35radix_sort_onesweep_config_selectorIfNS0_10empty_typeEEEZZNS1_29radix_sort_onesweep_iterationIS3_Lb0EN6thrust23THRUST_200600_302600_NS6detail15normal_iteratorINS9_10device_ptrIfEEEESE_PS5_SF_jNS0_19identity_decomposerENS1_16block_id_wrapperIjLb0EEEEE10hipError_tT1_PNSt15iterator_traitsISK_E10value_typeET2_T3_PNSL_ISQ_E10value_typeET4_T5_PSV_SW_PNS1_23onesweep_lookback_stateEbbT6_jjT7_P12ihipStream_tbENKUlT_T0_SK_SP_E_clISE_SE_SF_SF_EEDaS13_S14_SK_SP_EUlS13_E_NS1_11comp_targetILNS1_3genE3ELNS1_11target_archE908ELNS1_3gpuE7ELNS1_3repE0EEENS1_47radix_sort_onesweep_sort_config_static_selectorELNS0_4arch9wavefront6targetE1EEEvSK_ ; -- Begin function _ZN7rocprim17ROCPRIM_400000_NS6detail17trampoline_kernelINS0_14default_configENS1_35radix_sort_onesweep_config_selectorIfNS0_10empty_typeEEEZZNS1_29radix_sort_onesweep_iterationIS3_Lb0EN6thrust23THRUST_200600_302600_NS6detail15normal_iteratorINS9_10device_ptrIfEEEESE_PS5_SF_jNS0_19identity_decomposerENS1_16block_id_wrapperIjLb0EEEEE10hipError_tT1_PNSt15iterator_traitsISK_E10value_typeET2_T3_PNSL_ISQ_E10value_typeET4_T5_PSV_SW_PNS1_23onesweep_lookback_stateEbbT6_jjT7_P12ihipStream_tbENKUlT_T0_SK_SP_E_clISE_SE_SF_SF_EEDaS13_S14_SK_SP_EUlS13_E_NS1_11comp_targetILNS1_3genE3ELNS1_11target_archE908ELNS1_3gpuE7ELNS1_3repE0EEENS1_47radix_sort_onesweep_sort_config_static_selectorELNS0_4arch9wavefront6targetE1EEEvSK_
	.globl	_ZN7rocprim17ROCPRIM_400000_NS6detail17trampoline_kernelINS0_14default_configENS1_35radix_sort_onesweep_config_selectorIfNS0_10empty_typeEEEZZNS1_29radix_sort_onesweep_iterationIS3_Lb0EN6thrust23THRUST_200600_302600_NS6detail15normal_iteratorINS9_10device_ptrIfEEEESE_PS5_SF_jNS0_19identity_decomposerENS1_16block_id_wrapperIjLb0EEEEE10hipError_tT1_PNSt15iterator_traitsISK_E10value_typeET2_T3_PNSL_ISQ_E10value_typeET4_T5_PSV_SW_PNS1_23onesweep_lookback_stateEbbT6_jjT7_P12ihipStream_tbENKUlT_T0_SK_SP_E_clISE_SE_SF_SF_EEDaS13_S14_SK_SP_EUlS13_E_NS1_11comp_targetILNS1_3genE3ELNS1_11target_archE908ELNS1_3gpuE7ELNS1_3repE0EEENS1_47radix_sort_onesweep_sort_config_static_selectorELNS0_4arch9wavefront6targetE1EEEvSK_
	.p2align	8
	.type	_ZN7rocprim17ROCPRIM_400000_NS6detail17trampoline_kernelINS0_14default_configENS1_35radix_sort_onesweep_config_selectorIfNS0_10empty_typeEEEZZNS1_29radix_sort_onesweep_iterationIS3_Lb0EN6thrust23THRUST_200600_302600_NS6detail15normal_iteratorINS9_10device_ptrIfEEEESE_PS5_SF_jNS0_19identity_decomposerENS1_16block_id_wrapperIjLb0EEEEE10hipError_tT1_PNSt15iterator_traitsISK_E10value_typeET2_T3_PNSL_ISQ_E10value_typeET4_T5_PSV_SW_PNS1_23onesweep_lookback_stateEbbT6_jjT7_P12ihipStream_tbENKUlT_T0_SK_SP_E_clISE_SE_SF_SF_EEDaS13_S14_SK_SP_EUlS13_E_NS1_11comp_targetILNS1_3genE3ELNS1_11target_archE908ELNS1_3gpuE7ELNS1_3repE0EEENS1_47radix_sort_onesweep_sort_config_static_selectorELNS0_4arch9wavefront6targetE1EEEvSK_,@function
_ZN7rocprim17ROCPRIM_400000_NS6detail17trampoline_kernelINS0_14default_configENS1_35radix_sort_onesweep_config_selectorIfNS0_10empty_typeEEEZZNS1_29radix_sort_onesweep_iterationIS3_Lb0EN6thrust23THRUST_200600_302600_NS6detail15normal_iteratorINS9_10device_ptrIfEEEESE_PS5_SF_jNS0_19identity_decomposerENS1_16block_id_wrapperIjLb0EEEEE10hipError_tT1_PNSt15iterator_traitsISK_E10value_typeET2_T3_PNSL_ISQ_E10value_typeET4_T5_PSV_SW_PNS1_23onesweep_lookback_stateEbbT6_jjT7_P12ihipStream_tbENKUlT_T0_SK_SP_E_clISE_SE_SF_SF_EEDaS13_S14_SK_SP_EUlS13_E_NS1_11comp_targetILNS1_3genE3ELNS1_11target_archE908ELNS1_3gpuE7ELNS1_3repE0EEENS1_47radix_sort_onesweep_sort_config_static_selectorELNS0_4arch9wavefront6targetE1EEEvSK_: ; @_ZN7rocprim17ROCPRIM_400000_NS6detail17trampoline_kernelINS0_14default_configENS1_35radix_sort_onesweep_config_selectorIfNS0_10empty_typeEEEZZNS1_29radix_sort_onesweep_iterationIS3_Lb0EN6thrust23THRUST_200600_302600_NS6detail15normal_iteratorINS9_10device_ptrIfEEEESE_PS5_SF_jNS0_19identity_decomposerENS1_16block_id_wrapperIjLb0EEEEE10hipError_tT1_PNSt15iterator_traitsISK_E10value_typeET2_T3_PNSL_ISQ_E10value_typeET4_T5_PSV_SW_PNS1_23onesweep_lookback_stateEbbT6_jjT7_P12ihipStream_tbENKUlT_T0_SK_SP_E_clISE_SE_SF_SF_EEDaS13_S14_SK_SP_EUlS13_E_NS1_11comp_targetILNS1_3genE3ELNS1_11target_archE908ELNS1_3gpuE7ELNS1_3repE0EEENS1_47radix_sort_onesweep_sort_config_static_selectorELNS0_4arch9wavefront6targetE1EEEvSK_
; %bb.0:
	.section	.rodata,"a",@progbits
	.p2align	6, 0x0
	.amdhsa_kernel _ZN7rocprim17ROCPRIM_400000_NS6detail17trampoline_kernelINS0_14default_configENS1_35radix_sort_onesweep_config_selectorIfNS0_10empty_typeEEEZZNS1_29radix_sort_onesweep_iterationIS3_Lb0EN6thrust23THRUST_200600_302600_NS6detail15normal_iteratorINS9_10device_ptrIfEEEESE_PS5_SF_jNS0_19identity_decomposerENS1_16block_id_wrapperIjLb0EEEEE10hipError_tT1_PNSt15iterator_traitsISK_E10value_typeET2_T3_PNSL_ISQ_E10value_typeET4_T5_PSV_SW_PNS1_23onesweep_lookback_stateEbbT6_jjT7_P12ihipStream_tbENKUlT_T0_SK_SP_E_clISE_SE_SF_SF_EEDaS13_S14_SK_SP_EUlS13_E_NS1_11comp_targetILNS1_3genE3ELNS1_11target_archE908ELNS1_3gpuE7ELNS1_3repE0EEENS1_47radix_sort_onesweep_sort_config_static_selectorELNS0_4arch9wavefront6targetE1EEEvSK_
		.amdhsa_group_segment_fixed_size 0
		.amdhsa_private_segment_fixed_size 0
		.amdhsa_kernarg_size 88
		.amdhsa_user_sgpr_count 2
		.amdhsa_user_sgpr_dispatch_ptr 0
		.amdhsa_user_sgpr_queue_ptr 0
		.amdhsa_user_sgpr_kernarg_segment_ptr 1
		.amdhsa_user_sgpr_dispatch_id 0
		.amdhsa_user_sgpr_kernarg_preload_length 0
		.amdhsa_user_sgpr_kernarg_preload_offset 0
		.amdhsa_user_sgpr_private_segment_size 0
		.amdhsa_uses_dynamic_stack 0
		.amdhsa_enable_private_segment 0
		.amdhsa_system_sgpr_workgroup_id_x 1
		.amdhsa_system_sgpr_workgroup_id_y 0
		.amdhsa_system_sgpr_workgroup_id_z 0
		.amdhsa_system_sgpr_workgroup_info 0
		.amdhsa_system_vgpr_workitem_id 0
		.amdhsa_next_free_vgpr 1
		.amdhsa_next_free_sgpr 0
		.amdhsa_accum_offset 4
		.amdhsa_reserve_vcc 0
		.amdhsa_float_round_mode_32 0
		.amdhsa_float_round_mode_16_64 0
		.amdhsa_float_denorm_mode_32 3
		.amdhsa_float_denorm_mode_16_64 3
		.amdhsa_dx10_clamp 1
		.amdhsa_ieee_mode 1
		.amdhsa_fp16_overflow 0
		.amdhsa_tg_split 0
		.amdhsa_exception_fp_ieee_invalid_op 0
		.amdhsa_exception_fp_denorm_src 0
		.amdhsa_exception_fp_ieee_div_zero 0
		.amdhsa_exception_fp_ieee_overflow 0
		.amdhsa_exception_fp_ieee_underflow 0
		.amdhsa_exception_fp_ieee_inexact 0
		.amdhsa_exception_int_div_zero 0
	.end_amdhsa_kernel
	.section	.text._ZN7rocprim17ROCPRIM_400000_NS6detail17trampoline_kernelINS0_14default_configENS1_35radix_sort_onesweep_config_selectorIfNS0_10empty_typeEEEZZNS1_29radix_sort_onesweep_iterationIS3_Lb0EN6thrust23THRUST_200600_302600_NS6detail15normal_iteratorINS9_10device_ptrIfEEEESE_PS5_SF_jNS0_19identity_decomposerENS1_16block_id_wrapperIjLb0EEEEE10hipError_tT1_PNSt15iterator_traitsISK_E10value_typeET2_T3_PNSL_ISQ_E10value_typeET4_T5_PSV_SW_PNS1_23onesweep_lookback_stateEbbT6_jjT7_P12ihipStream_tbENKUlT_T0_SK_SP_E_clISE_SE_SF_SF_EEDaS13_S14_SK_SP_EUlS13_E_NS1_11comp_targetILNS1_3genE3ELNS1_11target_archE908ELNS1_3gpuE7ELNS1_3repE0EEENS1_47radix_sort_onesweep_sort_config_static_selectorELNS0_4arch9wavefront6targetE1EEEvSK_,"axG",@progbits,_ZN7rocprim17ROCPRIM_400000_NS6detail17trampoline_kernelINS0_14default_configENS1_35radix_sort_onesweep_config_selectorIfNS0_10empty_typeEEEZZNS1_29radix_sort_onesweep_iterationIS3_Lb0EN6thrust23THRUST_200600_302600_NS6detail15normal_iteratorINS9_10device_ptrIfEEEESE_PS5_SF_jNS0_19identity_decomposerENS1_16block_id_wrapperIjLb0EEEEE10hipError_tT1_PNSt15iterator_traitsISK_E10value_typeET2_T3_PNSL_ISQ_E10value_typeET4_T5_PSV_SW_PNS1_23onesweep_lookback_stateEbbT6_jjT7_P12ihipStream_tbENKUlT_T0_SK_SP_E_clISE_SE_SF_SF_EEDaS13_S14_SK_SP_EUlS13_E_NS1_11comp_targetILNS1_3genE3ELNS1_11target_archE908ELNS1_3gpuE7ELNS1_3repE0EEENS1_47radix_sort_onesweep_sort_config_static_selectorELNS0_4arch9wavefront6targetE1EEEvSK_,comdat
.Lfunc_end591:
	.size	_ZN7rocprim17ROCPRIM_400000_NS6detail17trampoline_kernelINS0_14default_configENS1_35radix_sort_onesweep_config_selectorIfNS0_10empty_typeEEEZZNS1_29radix_sort_onesweep_iterationIS3_Lb0EN6thrust23THRUST_200600_302600_NS6detail15normal_iteratorINS9_10device_ptrIfEEEESE_PS5_SF_jNS0_19identity_decomposerENS1_16block_id_wrapperIjLb0EEEEE10hipError_tT1_PNSt15iterator_traitsISK_E10value_typeET2_T3_PNSL_ISQ_E10value_typeET4_T5_PSV_SW_PNS1_23onesweep_lookback_stateEbbT6_jjT7_P12ihipStream_tbENKUlT_T0_SK_SP_E_clISE_SE_SF_SF_EEDaS13_S14_SK_SP_EUlS13_E_NS1_11comp_targetILNS1_3genE3ELNS1_11target_archE908ELNS1_3gpuE7ELNS1_3repE0EEENS1_47radix_sort_onesweep_sort_config_static_selectorELNS0_4arch9wavefront6targetE1EEEvSK_, .Lfunc_end591-_ZN7rocprim17ROCPRIM_400000_NS6detail17trampoline_kernelINS0_14default_configENS1_35radix_sort_onesweep_config_selectorIfNS0_10empty_typeEEEZZNS1_29radix_sort_onesweep_iterationIS3_Lb0EN6thrust23THRUST_200600_302600_NS6detail15normal_iteratorINS9_10device_ptrIfEEEESE_PS5_SF_jNS0_19identity_decomposerENS1_16block_id_wrapperIjLb0EEEEE10hipError_tT1_PNSt15iterator_traitsISK_E10value_typeET2_T3_PNSL_ISQ_E10value_typeET4_T5_PSV_SW_PNS1_23onesweep_lookback_stateEbbT6_jjT7_P12ihipStream_tbENKUlT_T0_SK_SP_E_clISE_SE_SF_SF_EEDaS13_S14_SK_SP_EUlS13_E_NS1_11comp_targetILNS1_3genE3ELNS1_11target_archE908ELNS1_3gpuE7ELNS1_3repE0EEENS1_47radix_sort_onesweep_sort_config_static_selectorELNS0_4arch9wavefront6targetE1EEEvSK_
                                        ; -- End function
	.set _ZN7rocprim17ROCPRIM_400000_NS6detail17trampoline_kernelINS0_14default_configENS1_35radix_sort_onesweep_config_selectorIfNS0_10empty_typeEEEZZNS1_29radix_sort_onesweep_iterationIS3_Lb0EN6thrust23THRUST_200600_302600_NS6detail15normal_iteratorINS9_10device_ptrIfEEEESE_PS5_SF_jNS0_19identity_decomposerENS1_16block_id_wrapperIjLb0EEEEE10hipError_tT1_PNSt15iterator_traitsISK_E10value_typeET2_T3_PNSL_ISQ_E10value_typeET4_T5_PSV_SW_PNS1_23onesweep_lookback_stateEbbT6_jjT7_P12ihipStream_tbENKUlT_T0_SK_SP_E_clISE_SE_SF_SF_EEDaS13_S14_SK_SP_EUlS13_E_NS1_11comp_targetILNS1_3genE3ELNS1_11target_archE908ELNS1_3gpuE7ELNS1_3repE0EEENS1_47radix_sort_onesweep_sort_config_static_selectorELNS0_4arch9wavefront6targetE1EEEvSK_.num_vgpr, 0
	.set _ZN7rocprim17ROCPRIM_400000_NS6detail17trampoline_kernelINS0_14default_configENS1_35radix_sort_onesweep_config_selectorIfNS0_10empty_typeEEEZZNS1_29radix_sort_onesweep_iterationIS3_Lb0EN6thrust23THRUST_200600_302600_NS6detail15normal_iteratorINS9_10device_ptrIfEEEESE_PS5_SF_jNS0_19identity_decomposerENS1_16block_id_wrapperIjLb0EEEEE10hipError_tT1_PNSt15iterator_traitsISK_E10value_typeET2_T3_PNSL_ISQ_E10value_typeET4_T5_PSV_SW_PNS1_23onesweep_lookback_stateEbbT6_jjT7_P12ihipStream_tbENKUlT_T0_SK_SP_E_clISE_SE_SF_SF_EEDaS13_S14_SK_SP_EUlS13_E_NS1_11comp_targetILNS1_3genE3ELNS1_11target_archE908ELNS1_3gpuE7ELNS1_3repE0EEENS1_47radix_sort_onesweep_sort_config_static_selectorELNS0_4arch9wavefront6targetE1EEEvSK_.num_agpr, 0
	.set _ZN7rocprim17ROCPRIM_400000_NS6detail17trampoline_kernelINS0_14default_configENS1_35radix_sort_onesweep_config_selectorIfNS0_10empty_typeEEEZZNS1_29radix_sort_onesweep_iterationIS3_Lb0EN6thrust23THRUST_200600_302600_NS6detail15normal_iteratorINS9_10device_ptrIfEEEESE_PS5_SF_jNS0_19identity_decomposerENS1_16block_id_wrapperIjLb0EEEEE10hipError_tT1_PNSt15iterator_traitsISK_E10value_typeET2_T3_PNSL_ISQ_E10value_typeET4_T5_PSV_SW_PNS1_23onesweep_lookback_stateEbbT6_jjT7_P12ihipStream_tbENKUlT_T0_SK_SP_E_clISE_SE_SF_SF_EEDaS13_S14_SK_SP_EUlS13_E_NS1_11comp_targetILNS1_3genE3ELNS1_11target_archE908ELNS1_3gpuE7ELNS1_3repE0EEENS1_47radix_sort_onesweep_sort_config_static_selectorELNS0_4arch9wavefront6targetE1EEEvSK_.numbered_sgpr, 0
	.set _ZN7rocprim17ROCPRIM_400000_NS6detail17trampoline_kernelINS0_14default_configENS1_35radix_sort_onesweep_config_selectorIfNS0_10empty_typeEEEZZNS1_29radix_sort_onesweep_iterationIS3_Lb0EN6thrust23THRUST_200600_302600_NS6detail15normal_iteratorINS9_10device_ptrIfEEEESE_PS5_SF_jNS0_19identity_decomposerENS1_16block_id_wrapperIjLb0EEEEE10hipError_tT1_PNSt15iterator_traitsISK_E10value_typeET2_T3_PNSL_ISQ_E10value_typeET4_T5_PSV_SW_PNS1_23onesweep_lookback_stateEbbT6_jjT7_P12ihipStream_tbENKUlT_T0_SK_SP_E_clISE_SE_SF_SF_EEDaS13_S14_SK_SP_EUlS13_E_NS1_11comp_targetILNS1_3genE3ELNS1_11target_archE908ELNS1_3gpuE7ELNS1_3repE0EEENS1_47radix_sort_onesweep_sort_config_static_selectorELNS0_4arch9wavefront6targetE1EEEvSK_.num_named_barrier, 0
	.set _ZN7rocprim17ROCPRIM_400000_NS6detail17trampoline_kernelINS0_14default_configENS1_35radix_sort_onesweep_config_selectorIfNS0_10empty_typeEEEZZNS1_29radix_sort_onesweep_iterationIS3_Lb0EN6thrust23THRUST_200600_302600_NS6detail15normal_iteratorINS9_10device_ptrIfEEEESE_PS5_SF_jNS0_19identity_decomposerENS1_16block_id_wrapperIjLb0EEEEE10hipError_tT1_PNSt15iterator_traitsISK_E10value_typeET2_T3_PNSL_ISQ_E10value_typeET4_T5_PSV_SW_PNS1_23onesweep_lookback_stateEbbT6_jjT7_P12ihipStream_tbENKUlT_T0_SK_SP_E_clISE_SE_SF_SF_EEDaS13_S14_SK_SP_EUlS13_E_NS1_11comp_targetILNS1_3genE3ELNS1_11target_archE908ELNS1_3gpuE7ELNS1_3repE0EEENS1_47radix_sort_onesweep_sort_config_static_selectorELNS0_4arch9wavefront6targetE1EEEvSK_.private_seg_size, 0
	.set _ZN7rocprim17ROCPRIM_400000_NS6detail17trampoline_kernelINS0_14default_configENS1_35radix_sort_onesweep_config_selectorIfNS0_10empty_typeEEEZZNS1_29radix_sort_onesweep_iterationIS3_Lb0EN6thrust23THRUST_200600_302600_NS6detail15normal_iteratorINS9_10device_ptrIfEEEESE_PS5_SF_jNS0_19identity_decomposerENS1_16block_id_wrapperIjLb0EEEEE10hipError_tT1_PNSt15iterator_traitsISK_E10value_typeET2_T3_PNSL_ISQ_E10value_typeET4_T5_PSV_SW_PNS1_23onesweep_lookback_stateEbbT6_jjT7_P12ihipStream_tbENKUlT_T0_SK_SP_E_clISE_SE_SF_SF_EEDaS13_S14_SK_SP_EUlS13_E_NS1_11comp_targetILNS1_3genE3ELNS1_11target_archE908ELNS1_3gpuE7ELNS1_3repE0EEENS1_47radix_sort_onesweep_sort_config_static_selectorELNS0_4arch9wavefront6targetE1EEEvSK_.uses_vcc, 0
	.set _ZN7rocprim17ROCPRIM_400000_NS6detail17trampoline_kernelINS0_14default_configENS1_35radix_sort_onesweep_config_selectorIfNS0_10empty_typeEEEZZNS1_29radix_sort_onesweep_iterationIS3_Lb0EN6thrust23THRUST_200600_302600_NS6detail15normal_iteratorINS9_10device_ptrIfEEEESE_PS5_SF_jNS0_19identity_decomposerENS1_16block_id_wrapperIjLb0EEEEE10hipError_tT1_PNSt15iterator_traitsISK_E10value_typeET2_T3_PNSL_ISQ_E10value_typeET4_T5_PSV_SW_PNS1_23onesweep_lookback_stateEbbT6_jjT7_P12ihipStream_tbENKUlT_T0_SK_SP_E_clISE_SE_SF_SF_EEDaS13_S14_SK_SP_EUlS13_E_NS1_11comp_targetILNS1_3genE3ELNS1_11target_archE908ELNS1_3gpuE7ELNS1_3repE0EEENS1_47radix_sort_onesweep_sort_config_static_selectorELNS0_4arch9wavefront6targetE1EEEvSK_.uses_flat_scratch, 0
	.set _ZN7rocprim17ROCPRIM_400000_NS6detail17trampoline_kernelINS0_14default_configENS1_35radix_sort_onesweep_config_selectorIfNS0_10empty_typeEEEZZNS1_29radix_sort_onesweep_iterationIS3_Lb0EN6thrust23THRUST_200600_302600_NS6detail15normal_iteratorINS9_10device_ptrIfEEEESE_PS5_SF_jNS0_19identity_decomposerENS1_16block_id_wrapperIjLb0EEEEE10hipError_tT1_PNSt15iterator_traitsISK_E10value_typeET2_T3_PNSL_ISQ_E10value_typeET4_T5_PSV_SW_PNS1_23onesweep_lookback_stateEbbT6_jjT7_P12ihipStream_tbENKUlT_T0_SK_SP_E_clISE_SE_SF_SF_EEDaS13_S14_SK_SP_EUlS13_E_NS1_11comp_targetILNS1_3genE3ELNS1_11target_archE908ELNS1_3gpuE7ELNS1_3repE0EEENS1_47radix_sort_onesweep_sort_config_static_selectorELNS0_4arch9wavefront6targetE1EEEvSK_.has_dyn_sized_stack, 0
	.set _ZN7rocprim17ROCPRIM_400000_NS6detail17trampoline_kernelINS0_14default_configENS1_35radix_sort_onesweep_config_selectorIfNS0_10empty_typeEEEZZNS1_29radix_sort_onesweep_iterationIS3_Lb0EN6thrust23THRUST_200600_302600_NS6detail15normal_iteratorINS9_10device_ptrIfEEEESE_PS5_SF_jNS0_19identity_decomposerENS1_16block_id_wrapperIjLb0EEEEE10hipError_tT1_PNSt15iterator_traitsISK_E10value_typeET2_T3_PNSL_ISQ_E10value_typeET4_T5_PSV_SW_PNS1_23onesweep_lookback_stateEbbT6_jjT7_P12ihipStream_tbENKUlT_T0_SK_SP_E_clISE_SE_SF_SF_EEDaS13_S14_SK_SP_EUlS13_E_NS1_11comp_targetILNS1_3genE3ELNS1_11target_archE908ELNS1_3gpuE7ELNS1_3repE0EEENS1_47radix_sort_onesweep_sort_config_static_selectorELNS0_4arch9wavefront6targetE1EEEvSK_.has_recursion, 0
	.set _ZN7rocprim17ROCPRIM_400000_NS6detail17trampoline_kernelINS0_14default_configENS1_35radix_sort_onesweep_config_selectorIfNS0_10empty_typeEEEZZNS1_29radix_sort_onesweep_iterationIS3_Lb0EN6thrust23THRUST_200600_302600_NS6detail15normal_iteratorINS9_10device_ptrIfEEEESE_PS5_SF_jNS0_19identity_decomposerENS1_16block_id_wrapperIjLb0EEEEE10hipError_tT1_PNSt15iterator_traitsISK_E10value_typeET2_T3_PNSL_ISQ_E10value_typeET4_T5_PSV_SW_PNS1_23onesweep_lookback_stateEbbT6_jjT7_P12ihipStream_tbENKUlT_T0_SK_SP_E_clISE_SE_SF_SF_EEDaS13_S14_SK_SP_EUlS13_E_NS1_11comp_targetILNS1_3genE3ELNS1_11target_archE908ELNS1_3gpuE7ELNS1_3repE0EEENS1_47radix_sort_onesweep_sort_config_static_selectorELNS0_4arch9wavefront6targetE1EEEvSK_.has_indirect_call, 0
	.section	.AMDGPU.csdata,"",@progbits
; Kernel info:
; codeLenInByte = 0
; TotalNumSgprs: 6
; NumVgprs: 0
; NumAgprs: 0
; TotalNumVgprs: 0
; ScratchSize: 0
; MemoryBound: 0
; FloatMode: 240
; IeeeMode: 1
; LDSByteSize: 0 bytes/workgroup (compile time only)
; SGPRBlocks: 0
; VGPRBlocks: 0
; NumSGPRsForWavesPerEU: 6
; NumVGPRsForWavesPerEU: 1
; AccumOffset: 4
; Occupancy: 8
; WaveLimiterHint : 0
; COMPUTE_PGM_RSRC2:SCRATCH_EN: 0
; COMPUTE_PGM_RSRC2:USER_SGPR: 2
; COMPUTE_PGM_RSRC2:TRAP_HANDLER: 0
; COMPUTE_PGM_RSRC2:TGID_X_EN: 1
; COMPUTE_PGM_RSRC2:TGID_Y_EN: 0
; COMPUTE_PGM_RSRC2:TGID_Z_EN: 0
; COMPUTE_PGM_RSRC2:TIDIG_COMP_CNT: 0
; COMPUTE_PGM_RSRC3_GFX90A:ACCUM_OFFSET: 0
; COMPUTE_PGM_RSRC3_GFX90A:TG_SPLIT: 0
	.section	.text._ZN7rocprim17ROCPRIM_400000_NS6detail17trampoline_kernelINS0_14default_configENS1_35radix_sort_onesweep_config_selectorIfNS0_10empty_typeEEEZZNS1_29radix_sort_onesweep_iterationIS3_Lb0EN6thrust23THRUST_200600_302600_NS6detail15normal_iteratorINS9_10device_ptrIfEEEESE_PS5_SF_jNS0_19identity_decomposerENS1_16block_id_wrapperIjLb0EEEEE10hipError_tT1_PNSt15iterator_traitsISK_E10value_typeET2_T3_PNSL_ISQ_E10value_typeET4_T5_PSV_SW_PNS1_23onesweep_lookback_stateEbbT6_jjT7_P12ihipStream_tbENKUlT_T0_SK_SP_E_clISE_SE_SF_SF_EEDaS13_S14_SK_SP_EUlS13_E_NS1_11comp_targetILNS1_3genE10ELNS1_11target_archE1201ELNS1_3gpuE5ELNS1_3repE0EEENS1_47radix_sort_onesweep_sort_config_static_selectorELNS0_4arch9wavefront6targetE1EEEvSK_,"axG",@progbits,_ZN7rocprim17ROCPRIM_400000_NS6detail17trampoline_kernelINS0_14default_configENS1_35radix_sort_onesweep_config_selectorIfNS0_10empty_typeEEEZZNS1_29radix_sort_onesweep_iterationIS3_Lb0EN6thrust23THRUST_200600_302600_NS6detail15normal_iteratorINS9_10device_ptrIfEEEESE_PS5_SF_jNS0_19identity_decomposerENS1_16block_id_wrapperIjLb0EEEEE10hipError_tT1_PNSt15iterator_traitsISK_E10value_typeET2_T3_PNSL_ISQ_E10value_typeET4_T5_PSV_SW_PNS1_23onesweep_lookback_stateEbbT6_jjT7_P12ihipStream_tbENKUlT_T0_SK_SP_E_clISE_SE_SF_SF_EEDaS13_S14_SK_SP_EUlS13_E_NS1_11comp_targetILNS1_3genE10ELNS1_11target_archE1201ELNS1_3gpuE5ELNS1_3repE0EEENS1_47radix_sort_onesweep_sort_config_static_selectorELNS0_4arch9wavefront6targetE1EEEvSK_,comdat
	.protected	_ZN7rocprim17ROCPRIM_400000_NS6detail17trampoline_kernelINS0_14default_configENS1_35radix_sort_onesweep_config_selectorIfNS0_10empty_typeEEEZZNS1_29radix_sort_onesweep_iterationIS3_Lb0EN6thrust23THRUST_200600_302600_NS6detail15normal_iteratorINS9_10device_ptrIfEEEESE_PS5_SF_jNS0_19identity_decomposerENS1_16block_id_wrapperIjLb0EEEEE10hipError_tT1_PNSt15iterator_traitsISK_E10value_typeET2_T3_PNSL_ISQ_E10value_typeET4_T5_PSV_SW_PNS1_23onesweep_lookback_stateEbbT6_jjT7_P12ihipStream_tbENKUlT_T0_SK_SP_E_clISE_SE_SF_SF_EEDaS13_S14_SK_SP_EUlS13_E_NS1_11comp_targetILNS1_3genE10ELNS1_11target_archE1201ELNS1_3gpuE5ELNS1_3repE0EEENS1_47radix_sort_onesweep_sort_config_static_selectorELNS0_4arch9wavefront6targetE1EEEvSK_ ; -- Begin function _ZN7rocprim17ROCPRIM_400000_NS6detail17trampoline_kernelINS0_14default_configENS1_35radix_sort_onesweep_config_selectorIfNS0_10empty_typeEEEZZNS1_29radix_sort_onesweep_iterationIS3_Lb0EN6thrust23THRUST_200600_302600_NS6detail15normal_iteratorINS9_10device_ptrIfEEEESE_PS5_SF_jNS0_19identity_decomposerENS1_16block_id_wrapperIjLb0EEEEE10hipError_tT1_PNSt15iterator_traitsISK_E10value_typeET2_T3_PNSL_ISQ_E10value_typeET4_T5_PSV_SW_PNS1_23onesweep_lookback_stateEbbT6_jjT7_P12ihipStream_tbENKUlT_T0_SK_SP_E_clISE_SE_SF_SF_EEDaS13_S14_SK_SP_EUlS13_E_NS1_11comp_targetILNS1_3genE10ELNS1_11target_archE1201ELNS1_3gpuE5ELNS1_3repE0EEENS1_47radix_sort_onesweep_sort_config_static_selectorELNS0_4arch9wavefront6targetE1EEEvSK_
	.globl	_ZN7rocprim17ROCPRIM_400000_NS6detail17trampoline_kernelINS0_14default_configENS1_35radix_sort_onesweep_config_selectorIfNS0_10empty_typeEEEZZNS1_29radix_sort_onesweep_iterationIS3_Lb0EN6thrust23THRUST_200600_302600_NS6detail15normal_iteratorINS9_10device_ptrIfEEEESE_PS5_SF_jNS0_19identity_decomposerENS1_16block_id_wrapperIjLb0EEEEE10hipError_tT1_PNSt15iterator_traitsISK_E10value_typeET2_T3_PNSL_ISQ_E10value_typeET4_T5_PSV_SW_PNS1_23onesweep_lookback_stateEbbT6_jjT7_P12ihipStream_tbENKUlT_T0_SK_SP_E_clISE_SE_SF_SF_EEDaS13_S14_SK_SP_EUlS13_E_NS1_11comp_targetILNS1_3genE10ELNS1_11target_archE1201ELNS1_3gpuE5ELNS1_3repE0EEENS1_47radix_sort_onesweep_sort_config_static_selectorELNS0_4arch9wavefront6targetE1EEEvSK_
	.p2align	8
	.type	_ZN7rocprim17ROCPRIM_400000_NS6detail17trampoline_kernelINS0_14default_configENS1_35radix_sort_onesweep_config_selectorIfNS0_10empty_typeEEEZZNS1_29radix_sort_onesweep_iterationIS3_Lb0EN6thrust23THRUST_200600_302600_NS6detail15normal_iteratorINS9_10device_ptrIfEEEESE_PS5_SF_jNS0_19identity_decomposerENS1_16block_id_wrapperIjLb0EEEEE10hipError_tT1_PNSt15iterator_traitsISK_E10value_typeET2_T3_PNSL_ISQ_E10value_typeET4_T5_PSV_SW_PNS1_23onesweep_lookback_stateEbbT6_jjT7_P12ihipStream_tbENKUlT_T0_SK_SP_E_clISE_SE_SF_SF_EEDaS13_S14_SK_SP_EUlS13_E_NS1_11comp_targetILNS1_3genE10ELNS1_11target_archE1201ELNS1_3gpuE5ELNS1_3repE0EEENS1_47radix_sort_onesweep_sort_config_static_selectorELNS0_4arch9wavefront6targetE1EEEvSK_,@function
_ZN7rocprim17ROCPRIM_400000_NS6detail17trampoline_kernelINS0_14default_configENS1_35radix_sort_onesweep_config_selectorIfNS0_10empty_typeEEEZZNS1_29radix_sort_onesweep_iterationIS3_Lb0EN6thrust23THRUST_200600_302600_NS6detail15normal_iteratorINS9_10device_ptrIfEEEESE_PS5_SF_jNS0_19identity_decomposerENS1_16block_id_wrapperIjLb0EEEEE10hipError_tT1_PNSt15iterator_traitsISK_E10value_typeET2_T3_PNSL_ISQ_E10value_typeET4_T5_PSV_SW_PNS1_23onesweep_lookback_stateEbbT6_jjT7_P12ihipStream_tbENKUlT_T0_SK_SP_E_clISE_SE_SF_SF_EEDaS13_S14_SK_SP_EUlS13_E_NS1_11comp_targetILNS1_3genE10ELNS1_11target_archE1201ELNS1_3gpuE5ELNS1_3repE0EEENS1_47radix_sort_onesweep_sort_config_static_selectorELNS0_4arch9wavefront6targetE1EEEvSK_: ; @_ZN7rocprim17ROCPRIM_400000_NS6detail17trampoline_kernelINS0_14default_configENS1_35radix_sort_onesweep_config_selectorIfNS0_10empty_typeEEEZZNS1_29radix_sort_onesweep_iterationIS3_Lb0EN6thrust23THRUST_200600_302600_NS6detail15normal_iteratorINS9_10device_ptrIfEEEESE_PS5_SF_jNS0_19identity_decomposerENS1_16block_id_wrapperIjLb0EEEEE10hipError_tT1_PNSt15iterator_traitsISK_E10value_typeET2_T3_PNSL_ISQ_E10value_typeET4_T5_PSV_SW_PNS1_23onesweep_lookback_stateEbbT6_jjT7_P12ihipStream_tbENKUlT_T0_SK_SP_E_clISE_SE_SF_SF_EEDaS13_S14_SK_SP_EUlS13_E_NS1_11comp_targetILNS1_3genE10ELNS1_11target_archE1201ELNS1_3gpuE5ELNS1_3repE0EEENS1_47radix_sort_onesweep_sort_config_static_selectorELNS0_4arch9wavefront6targetE1EEEvSK_
; %bb.0:
	.section	.rodata,"a",@progbits
	.p2align	6, 0x0
	.amdhsa_kernel _ZN7rocprim17ROCPRIM_400000_NS6detail17trampoline_kernelINS0_14default_configENS1_35radix_sort_onesweep_config_selectorIfNS0_10empty_typeEEEZZNS1_29radix_sort_onesweep_iterationIS3_Lb0EN6thrust23THRUST_200600_302600_NS6detail15normal_iteratorINS9_10device_ptrIfEEEESE_PS5_SF_jNS0_19identity_decomposerENS1_16block_id_wrapperIjLb0EEEEE10hipError_tT1_PNSt15iterator_traitsISK_E10value_typeET2_T3_PNSL_ISQ_E10value_typeET4_T5_PSV_SW_PNS1_23onesweep_lookback_stateEbbT6_jjT7_P12ihipStream_tbENKUlT_T0_SK_SP_E_clISE_SE_SF_SF_EEDaS13_S14_SK_SP_EUlS13_E_NS1_11comp_targetILNS1_3genE10ELNS1_11target_archE1201ELNS1_3gpuE5ELNS1_3repE0EEENS1_47radix_sort_onesweep_sort_config_static_selectorELNS0_4arch9wavefront6targetE1EEEvSK_
		.amdhsa_group_segment_fixed_size 0
		.amdhsa_private_segment_fixed_size 0
		.amdhsa_kernarg_size 88
		.amdhsa_user_sgpr_count 2
		.amdhsa_user_sgpr_dispatch_ptr 0
		.amdhsa_user_sgpr_queue_ptr 0
		.amdhsa_user_sgpr_kernarg_segment_ptr 1
		.amdhsa_user_sgpr_dispatch_id 0
		.amdhsa_user_sgpr_kernarg_preload_length 0
		.amdhsa_user_sgpr_kernarg_preload_offset 0
		.amdhsa_user_sgpr_private_segment_size 0
		.amdhsa_uses_dynamic_stack 0
		.amdhsa_enable_private_segment 0
		.amdhsa_system_sgpr_workgroup_id_x 1
		.amdhsa_system_sgpr_workgroup_id_y 0
		.amdhsa_system_sgpr_workgroup_id_z 0
		.amdhsa_system_sgpr_workgroup_info 0
		.amdhsa_system_vgpr_workitem_id 0
		.amdhsa_next_free_vgpr 1
		.amdhsa_next_free_sgpr 0
		.amdhsa_accum_offset 4
		.amdhsa_reserve_vcc 0
		.amdhsa_float_round_mode_32 0
		.amdhsa_float_round_mode_16_64 0
		.amdhsa_float_denorm_mode_32 3
		.amdhsa_float_denorm_mode_16_64 3
		.amdhsa_dx10_clamp 1
		.amdhsa_ieee_mode 1
		.amdhsa_fp16_overflow 0
		.amdhsa_tg_split 0
		.amdhsa_exception_fp_ieee_invalid_op 0
		.amdhsa_exception_fp_denorm_src 0
		.amdhsa_exception_fp_ieee_div_zero 0
		.amdhsa_exception_fp_ieee_overflow 0
		.amdhsa_exception_fp_ieee_underflow 0
		.amdhsa_exception_fp_ieee_inexact 0
		.amdhsa_exception_int_div_zero 0
	.end_amdhsa_kernel
	.section	.text._ZN7rocprim17ROCPRIM_400000_NS6detail17trampoline_kernelINS0_14default_configENS1_35radix_sort_onesweep_config_selectorIfNS0_10empty_typeEEEZZNS1_29radix_sort_onesweep_iterationIS3_Lb0EN6thrust23THRUST_200600_302600_NS6detail15normal_iteratorINS9_10device_ptrIfEEEESE_PS5_SF_jNS0_19identity_decomposerENS1_16block_id_wrapperIjLb0EEEEE10hipError_tT1_PNSt15iterator_traitsISK_E10value_typeET2_T3_PNSL_ISQ_E10value_typeET4_T5_PSV_SW_PNS1_23onesweep_lookback_stateEbbT6_jjT7_P12ihipStream_tbENKUlT_T0_SK_SP_E_clISE_SE_SF_SF_EEDaS13_S14_SK_SP_EUlS13_E_NS1_11comp_targetILNS1_3genE10ELNS1_11target_archE1201ELNS1_3gpuE5ELNS1_3repE0EEENS1_47radix_sort_onesweep_sort_config_static_selectorELNS0_4arch9wavefront6targetE1EEEvSK_,"axG",@progbits,_ZN7rocprim17ROCPRIM_400000_NS6detail17trampoline_kernelINS0_14default_configENS1_35radix_sort_onesweep_config_selectorIfNS0_10empty_typeEEEZZNS1_29radix_sort_onesweep_iterationIS3_Lb0EN6thrust23THRUST_200600_302600_NS6detail15normal_iteratorINS9_10device_ptrIfEEEESE_PS5_SF_jNS0_19identity_decomposerENS1_16block_id_wrapperIjLb0EEEEE10hipError_tT1_PNSt15iterator_traitsISK_E10value_typeET2_T3_PNSL_ISQ_E10value_typeET4_T5_PSV_SW_PNS1_23onesweep_lookback_stateEbbT6_jjT7_P12ihipStream_tbENKUlT_T0_SK_SP_E_clISE_SE_SF_SF_EEDaS13_S14_SK_SP_EUlS13_E_NS1_11comp_targetILNS1_3genE10ELNS1_11target_archE1201ELNS1_3gpuE5ELNS1_3repE0EEENS1_47radix_sort_onesweep_sort_config_static_selectorELNS0_4arch9wavefront6targetE1EEEvSK_,comdat
.Lfunc_end592:
	.size	_ZN7rocprim17ROCPRIM_400000_NS6detail17trampoline_kernelINS0_14default_configENS1_35radix_sort_onesweep_config_selectorIfNS0_10empty_typeEEEZZNS1_29radix_sort_onesweep_iterationIS3_Lb0EN6thrust23THRUST_200600_302600_NS6detail15normal_iteratorINS9_10device_ptrIfEEEESE_PS5_SF_jNS0_19identity_decomposerENS1_16block_id_wrapperIjLb0EEEEE10hipError_tT1_PNSt15iterator_traitsISK_E10value_typeET2_T3_PNSL_ISQ_E10value_typeET4_T5_PSV_SW_PNS1_23onesweep_lookback_stateEbbT6_jjT7_P12ihipStream_tbENKUlT_T0_SK_SP_E_clISE_SE_SF_SF_EEDaS13_S14_SK_SP_EUlS13_E_NS1_11comp_targetILNS1_3genE10ELNS1_11target_archE1201ELNS1_3gpuE5ELNS1_3repE0EEENS1_47radix_sort_onesweep_sort_config_static_selectorELNS0_4arch9wavefront6targetE1EEEvSK_, .Lfunc_end592-_ZN7rocprim17ROCPRIM_400000_NS6detail17trampoline_kernelINS0_14default_configENS1_35radix_sort_onesweep_config_selectorIfNS0_10empty_typeEEEZZNS1_29radix_sort_onesweep_iterationIS3_Lb0EN6thrust23THRUST_200600_302600_NS6detail15normal_iteratorINS9_10device_ptrIfEEEESE_PS5_SF_jNS0_19identity_decomposerENS1_16block_id_wrapperIjLb0EEEEE10hipError_tT1_PNSt15iterator_traitsISK_E10value_typeET2_T3_PNSL_ISQ_E10value_typeET4_T5_PSV_SW_PNS1_23onesweep_lookback_stateEbbT6_jjT7_P12ihipStream_tbENKUlT_T0_SK_SP_E_clISE_SE_SF_SF_EEDaS13_S14_SK_SP_EUlS13_E_NS1_11comp_targetILNS1_3genE10ELNS1_11target_archE1201ELNS1_3gpuE5ELNS1_3repE0EEENS1_47radix_sort_onesweep_sort_config_static_selectorELNS0_4arch9wavefront6targetE1EEEvSK_
                                        ; -- End function
	.set _ZN7rocprim17ROCPRIM_400000_NS6detail17trampoline_kernelINS0_14default_configENS1_35radix_sort_onesweep_config_selectorIfNS0_10empty_typeEEEZZNS1_29radix_sort_onesweep_iterationIS3_Lb0EN6thrust23THRUST_200600_302600_NS6detail15normal_iteratorINS9_10device_ptrIfEEEESE_PS5_SF_jNS0_19identity_decomposerENS1_16block_id_wrapperIjLb0EEEEE10hipError_tT1_PNSt15iterator_traitsISK_E10value_typeET2_T3_PNSL_ISQ_E10value_typeET4_T5_PSV_SW_PNS1_23onesweep_lookback_stateEbbT6_jjT7_P12ihipStream_tbENKUlT_T0_SK_SP_E_clISE_SE_SF_SF_EEDaS13_S14_SK_SP_EUlS13_E_NS1_11comp_targetILNS1_3genE10ELNS1_11target_archE1201ELNS1_3gpuE5ELNS1_3repE0EEENS1_47radix_sort_onesweep_sort_config_static_selectorELNS0_4arch9wavefront6targetE1EEEvSK_.num_vgpr, 0
	.set _ZN7rocprim17ROCPRIM_400000_NS6detail17trampoline_kernelINS0_14default_configENS1_35radix_sort_onesweep_config_selectorIfNS0_10empty_typeEEEZZNS1_29radix_sort_onesweep_iterationIS3_Lb0EN6thrust23THRUST_200600_302600_NS6detail15normal_iteratorINS9_10device_ptrIfEEEESE_PS5_SF_jNS0_19identity_decomposerENS1_16block_id_wrapperIjLb0EEEEE10hipError_tT1_PNSt15iterator_traitsISK_E10value_typeET2_T3_PNSL_ISQ_E10value_typeET4_T5_PSV_SW_PNS1_23onesweep_lookback_stateEbbT6_jjT7_P12ihipStream_tbENKUlT_T0_SK_SP_E_clISE_SE_SF_SF_EEDaS13_S14_SK_SP_EUlS13_E_NS1_11comp_targetILNS1_3genE10ELNS1_11target_archE1201ELNS1_3gpuE5ELNS1_3repE0EEENS1_47radix_sort_onesweep_sort_config_static_selectorELNS0_4arch9wavefront6targetE1EEEvSK_.num_agpr, 0
	.set _ZN7rocprim17ROCPRIM_400000_NS6detail17trampoline_kernelINS0_14default_configENS1_35radix_sort_onesweep_config_selectorIfNS0_10empty_typeEEEZZNS1_29radix_sort_onesweep_iterationIS3_Lb0EN6thrust23THRUST_200600_302600_NS6detail15normal_iteratorINS9_10device_ptrIfEEEESE_PS5_SF_jNS0_19identity_decomposerENS1_16block_id_wrapperIjLb0EEEEE10hipError_tT1_PNSt15iterator_traitsISK_E10value_typeET2_T3_PNSL_ISQ_E10value_typeET4_T5_PSV_SW_PNS1_23onesweep_lookback_stateEbbT6_jjT7_P12ihipStream_tbENKUlT_T0_SK_SP_E_clISE_SE_SF_SF_EEDaS13_S14_SK_SP_EUlS13_E_NS1_11comp_targetILNS1_3genE10ELNS1_11target_archE1201ELNS1_3gpuE5ELNS1_3repE0EEENS1_47radix_sort_onesweep_sort_config_static_selectorELNS0_4arch9wavefront6targetE1EEEvSK_.numbered_sgpr, 0
	.set _ZN7rocprim17ROCPRIM_400000_NS6detail17trampoline_kernelINS0_14default_configENS1_35radix_sort_onesweep_config_selectorIfNS0_10empty_typeEEEZZNS1_29radix_sort_onesweep_iterationIS3_Lb0EN6thrust23THRUST_200600_302600_NS6detail15normal_iteratorINS9_10device_ptrIfEEEESE_PS5_SF_jNS0_19identity_decomposerENS1_16block_id_wrapperIjLb0EEEEE10hipError_tT1_PNSt15iterator_traitsISK_E10value_typeET2_T3_PNSL_ISQ_E10value_typeET4_T5_PSV_SW_PNS1_23onesweep_lookback_stateEbbT6_jjT7_P12ihipStream_tbENKUlT_T0_SK_SP_E_clISE_SE_SF_SF_EEDaS13_S14_SK_SP_EUlS13_E_NS1_11comp_targetILNS1_3genE10ELNS1_11target_archE1201ELNS1_3gpuE5ELNS1_3repE0EEENS1_47radix_sort_onesweep_sort_config_static_selectorELNS0_4arch9wavefront6targetE1EEEvSK_.num_named_barrier, 0
	.set _ZN7rocprim17ROCPRIM_400000_NS6detail17trampoline_kernelINS0_14default_configENS1_35radix_sort_onesweep_config_selectorIfNS0_10empty_typeEEEZZNS1_29radix_sort_onesweep_iterationIS3_Lb0EN6thrust23THRUST_200600_302600_NS6detail15normal_iteratorINS9_10device_ptrIfEEEESE_PS5_SF_jNS0_19identity_decomposerENS1_16block_id_wrapperIjLb0EEEEE10hipError_tT1_PNSt15iterator_traitsISK_E10value_typeET2_T3_PNSL_ISQ_E10value_typeET4_T5_PSV_SW_PNS1_23onesweep_lookback_stateEbbT6_jjT7_P12ihipStream_tbENKUlT_T0_SK_SP_E_clISE_SE_SF_SF_EEDaS13_S14_SK_SP_EUlS13_E_NS1_11comp_targetILNS1_3genE10ELNS1_11target_archE1201ELNS1_3gpuE5ELNS1_3repE0EEENS1_47radix_sort_onesweep_sort_config_static_selectorELNS0_4arch9wavefront6targetE1EEEvSK_.private_seg_size, 0
	.set _ZN7rocprim17ROCPRIM_400000_NS6detail17trampoline_kernelINS0_14default_configENS1_35radix_sort_onesweep_config_selectorIfNS0_10empty_typeEEEZZNS1_29radix_sort_onesweep_iterationIS3_Lb0EN6thrust23THRUST_200600_302600_NS6detail15normal_iteratorINS9_10device_ptrIfEEEESE_PS5_SF_jNS0_19identity_decomposerENS1_16block_id_wrapperIjLb0EEEEE10hipError_tT1_PNSt15iterator_traitsISK_E10value_typeET2_T3_PNSL_ISQ_E10value_typeET4_T5_PSV_SW_PNS1_23onesweep_lookback_stateEbbT6_jjT7_P12ihipStream_tbENKUlT_T0_SK_SP_E_clISE_SE_SF_SF_EEDaS13_S14_SK_SP_EUlS13_E_NS1_11comp_targetILNS1_3genE10ELNS1_11target_archE1201ELNS1_3gpuE5ELNS1_3repE0EEENS1_47radix_sort_onesweep_sort_config_static_selectorELNS0_4arch9wavefront6targetE1EEEvSK_.uses_vcc, 0
	.set _ZN7rocprim17ROCPRIM_400000_NS6detail17trampoline_kernelINS0_14default_configENS1_35radix_sort_onesweep_config_selectorIfNS0_10empty_typeEEEZZNS1_29radix_sort_onesweep_iterationIS3_Lb0EN6thrust23THRUST_200600_302600_NS6detail15normal_iteratorINS9_10device_ptrIfEEEESE_PS5_SF_jNS0_19identity_decomposerENS1_16block_id_wrapperIjLb0EEEEE10hipError_tT1_PNSt15iterator_traitsISK_E10value_typeET2_T3_PNSL_ISQ_E10value_typeET4_T5_PSV_SW_PNS1_23onesweep_lookback_stateEbbT6_jjT7_P12ihipStream_tbENKUlT_T0_SK_SP_E_clISE_SE_SF_SF_EEDaS13_S14_SK_SP_EUlS13_E_NS1_11comp_targetILNS1_3genE10ELNS1_11target_archE1201ELNS1_3gpuE5ELNS1_3repE0EEENS1_47radix_sort_onesweep_sort_config_static_selectorELNS0_4arch9wavefront6targetE1EEEvSK_.uses_flat_scratch, 0
	.set _ZN7rocprim17ROCPRIM_400000_NS6detail17trampoline_kernelINS0_14default_configENS1_35radix_sort_onesweep_config_selectorIfNS0_10empty_typeEEEZZNS1_29radix_sort_onesweep_iterationIS3_Lb0EN6thrust23THRUST_200600_302600_NS6detail15normal_iteratorINS9_10device_ptrIfEEEESE_PS5_SF_jNS0_19identity_decomposerENS1_16block_id_wrapperIjLb0EEEEE10hipError_tT1_PNSt15iterator_traitsISK_E10value_typeET2_T3_PNSL_ISQ_E10value_typeET4_T5_PSV_SW_PNS1_23onesweep_lookback_stateEbbT6_jjT7_P12ihipStream_tbENKUlT_T0_SK_SP_E_clISE_SE_SF_SF_EEDaS13_S14_SK_SP_EUlS13_E_NS1_11comp_targetILNS1_3genE10ELNS1_11target_archE1201ELNS1_3gpuE5ELNS1_3repE0EEENS1_47radix_sort_onesweep_sort_config_static_selectorELNS0_4arch9wavefront6targetE1EEEvSK_.has_dyn_sized_stack, 0
	.set _ZN7rocprim17ROCPRIM_400000_NS6detail17trampoline_kernelINS0_14default_configENS1_35radix_sort_onesweep_config_selectorIfNS0_10empty_typeEEEZZNS1_29radix_sort_onesweep_iterationIS3_Lb0EN6thrust23THRUST_200600_302600_NS6detail15normal_iteratorINS9_10device_ptrIfEEEESE_PS5_SF_jNS0_19identity_decomposerENS1_16block_id_wrapperIjLb0EEEEE10hipError_tT1_PNSt15iterator_traitsISK_E10value_typeET2_T3_PNSL_ISQ_E10value_typeET4_T5_PSV_SW_PNS1_23onesweep_lookback_stateEbbT6_jjT7_P12ihipStream_tbENKUlT_T0_SK_SP_E_clISE_SE_SF_SF_EEDaS13_S14_SK_SP_EUlS13_E_NS1_11comp_targetILNS1_3genE10ELNS1_11target_archE1201ELNS1_3gpuE5ELNS1_3repE0EEENS1_47radix_sort_onesweep_sort_config_static_selectorELNS0_4arch9wavefront6targetE1EEEvSK_.has_recursion, 0
	.set _ZN7rocprim17ROCPRIM_400000_NS6detail17trampoline_kernelINS0_14default_configENS1_35radix_sort_onesweep_config_selectorIfNS0_10empty_typeEEEZZNS1_29radix_sort_onesweep_iterationIS3_Lb0EN6thrust23THRUST_200600_302600_NS6detail15normal_iteratorINS9_10device_ptrIfEEEESE_PS5_SF_jNS0_19identity_decomposerENS1_16block_id_wrapperIjLb0EEEEE10hipError_tT1_PNSt15iterator_traitsISK_E10value_typeET2_T3_PNSL_ISQ_E10value_typeET4_T5_PSV_SW_PNS1_23onesweep_lookback_stateEbbT6_jjT7_P12ihipStream_tbENKUlT_T0_SK_SP_E_clISE_SE_SF_SF_EEDaS13_S14_SK_SP_EUlS13_E_NS1_11comp_targetILNS1_3genE10ELNS1_11target_archE1201ELNS1_3gpuE5ELNS1_3repE0EEENS1_47radix_sort_onesweep_sort_config_static_selectorELNS0_4arch9wavefront6targetE1EEEvSK_.has_indirect_call, 0
	.section	.AMDGPU.csdata,"",@progbits
; Kernel info:
; codeLenInByte = 0
; TotalNumSgprs: 6
; NumVgprs: 0
; NumAgprs: 0
; TotalNumVgprs: 0
; ScratchSize: 0
; MemoryBound: 0
; FloatMode: 240
; IeeeMode: 1
; LDSByteSize: 0 bytes/workgroup (compile time only)
; SGPRBlocks: 0
; VGPRBlocks: 0
; NumSGPRsForWavesPerEU: 6
; NumVGPRsForWavesPerEU: 1
; AccumOffset: 4
; Occupancy: 8
; WaveLimiterHint : 0
; COMPUTE_PGM_RSRC2:SCRATCH_EN: 0
; COMPUTE_PGM_RSRC2:USER_SGPR: 2
; COMPUTE_PGM_RSRC2:TRAP_HANDLER: 0
; COMPUTE_PGM_RSRC2:TGID_X_EN: 1
; COMPUTE_PGM_RSRC2:TGID_Y_EN: 0
; COMPUTE_PGM_RSRC2:TGID_Z_EN: 0
; COMPUTE_PGM_RSRC2:TIDIG_COMP_CNT: 0
; COMPUTE_PGM_RSRC3_GFX90A:ACCUM_OFFSET: 0
; COMPUTE_PGM_RSRC3_GFX90A:TG_SPLIT: 0
	.section	.text._ZN7rocprim17ROCPRIM_400000_NS6detail17trampoline_kernelINS0_14default_configENS1_35radix_sort_onesweep_config_selectorIfNS0_10empty_typeEEEZZNS1_29radix_sort_onesweep_iterationIS3_Lb0EN6thrust23THRUST_200600_302600_NS6detail15normal_iteratorINS9_10device_ptrIfEEEESE_PS5_SF_jNS0_19identity_decomposerENS1_16block_id_wrapperIjLb0EEEEE10hipError_tT1_PNSt15iterator_traitsISK_E10value_typeET2_T3_PNSL_ISQ_E10value_typeET4_T5_PSV_SW_PNS1_23onesweep_lookback_stateEbbT6_jjT7_P12ihipStream_tbENKUlT_T0_SK_SP_E_clISE_SE_SF_SF_EEDaS13_S14_SK_SP_EUlS13_E_NS1_11comp_targetILNS1_3genE9ELNS1_11target_archE1100ELNS1_3gpuE3ELNS1_3repE0EEENS1_47radix_sort_onesweep_sort_config_static_selectorELNS0_4arch9wavefront6targetE1EEEvSK_,"axG",@progbits,_ZN7rocprim17ROCPRIM_400000_NS6detail17trampoline_kernelINS0_14default_configENS1_35radix_sort_onesweep_config_selectorIfNS0_10empty_typeEEEZZNS1_29radix_sort_onesweep_iterationIS3_Lb0EN6thrust23THRUST_200600_302600_NS6detail15normal_iteratorINS9_10device_ptrIfEEEESE_PS5_SF_jNS0_19identity_decomposerENS1_16block_id_wrapperIjLb0EEEEE10hipError_tT1_PNSt15iterator_traitsISK_E10value_typeET2_T3_PNSL_ISQ_E10value_typeET4_T5_PSV_SW_PNS1_23onesweep_lookback_stateEbbT6_jjT7_P12ihipStream_tbENKUlT_T0_SK_SP_E_clISE_SE_SF_SF_EEDaS13_S14_SK_SP_EUlS13_E_NS1_11comp_targetILNS1_3genE9ELNS1_11target_archE1100ELNS1_3gpuE3ELNS1_3repE0EEENS1_47radix_sort_onesweep_sort_config_static_selectorELNS0_4arch9wavefront6targetE1EEEvSK_,comdat
	.protected	_ZN7rocprim17ROCPRIM_400000_NS6detail17trampoline_kernelINS0_14default_configENS1_35radix_sort_onesweep_config_selectorIfNS0_10empty_typeEEEZZNS1_29radix_sort_onesweep_iterationIS3_Lb0EN6thrust23THRUST_200600_302600_NS6detail15normal_iteratorINS9_10device_ptrIfEEEESE_PS5_SF_jNS0_19identity_decomposerENS1_16block_id_wrapperIjLb0EEEEE10hipError_tT1_PNSt15iterator_traitsISK_E10value_typeET2_T3_PNSL_ISQ_E10value_typeET4_T5_PSV_SW_PNS1_23onesweep_lookback_stateEbbT6_jjT7_P12ihipStream_tbENKUlT_T0_SK_SP_E_clISE_SE_SF_SF_EEDaS13_S14_SK_SP_EUlS13_E_NS1_11comp_targetILNS1_3genE9ELNS1_11target_archE1100ELNS1_3gpuE3ELNS1_3repE0EEENS1_47radix_sort_onesweep_sort_config_static_selectorELNS0_4arch9wavefront6targetE1EEEvSK_ ; -- Begin function _ZN7rocprim17ROCPRIM_400000_NS6detail17trampoline_kernelINS0_14default_configENS1_35radix_sort_onesweep_config_selectorIfNS0_10empty_typeEEEZZNS1_29radix_sort_onesweep_iterationIS3_Lb0EN6thrust23THRUST_200600_302600_NS6detail15normal_iteratorINS9_10device_ptrIfEEEESE_PS5_SF_jNS0_19identity_decomposerENS1_16block_id_wrapperIjLb0EEEEE10hipError_tT1_PNSt15iterator_traitsISK_E10value_typeET2_T3_PNSL_ISQ_E10value_typeET4_T5_PSV_SW_PNS1_23onesweep_lookback_stateEbbT6_jjT7_P12ihipStream_tbENKUlT_T0_SK_SP_E_clISE_SE_SF_SF_EEDaS13_S14_SK_SP_EUlS13_E_NS1_11comp_targetILNS1_3genE9ELNS1_11target_archE1100ELNS1_3gpuE3ELNS1_3repE0EEENS1_47radix_sort_onesweep_sort_config_static_selectorELNS0_4arch9wavefront6targetE1EEEvSK_
	.globl	_ZN7rocprim17ROCPRIM_400000_NS6detail17trampoline_kernelINS0_14default_configENS1_35radix_sort_onesweep_config_selectorIfNS0_10empty_typeEEEZZNS1_29radix_sort_onesweep_iterationIS3_Lb0EN6thrust23THRUST_200600_302600_NS6detail15normal_iteratorINS9_10device_ptrIfEEEESE_PS5_SF_jNS0_19identity_decomposerENS1_16block_id_wrapperIjLb0EEEEE10hipError_tT1_PNSt15iterator_traitsISK_E10value_typeET2_T3_PNSL_ISQ_E10value_typeET4_T5_PSV_SW_PNS1_23onesweep_lookback_stateEbbT6_jjT7_P12ihipStream_tbENKUlT_T0_SK_SP_E_clISE_SE_SF_SF_EEDaS13_S14_SK_SP_EUlS13_E_NS1_11comp_targetILNS1_3genE9ELNS1_11target_archE1100ELNS1_3gpuE3ELNS1_3repE0EEENS1_47radix_sort_onesweep_sort_config_static_selectorELNS0_4arch9wavefront6targetE1EEEvSK_
	.p2align	8
	.type	_ZN7rocprim17ROCPRIM_400000_NS6detail17trampoline_kernelINS0_14default_configENS1_35radix_sort_onesweep_config_selectorIfNS0_10empty_typeEEEZZNS1_29radix_sort_onesweep_iterationIS3_Lb0EN6thrust23THRUST_200600_302600_NS6detail15normal_iteratorINS9_10device_ptrIfEEEESE_PS5_SF_jNS0_19identity_decomposerENS1_16block_id_wrapperIjLb0EEEEE10hipError_tT1_PNSt15iterator_traitsISK_E10value_typeET2_T3_PNSL_ISQ_E10value_typeET4_T5_PSV_SW_PNS1_23onesweep_lookback_stateEbbT6_jjT7_P12ihipStream_tbENKUlT_T0_SK_SP_E_clISE_SE_SF_SF_EEDaS13_S14_SK_SP_EUlS13_E_NS1_11comp_targetILNS1_3genE9ELNS1_11target_archE1100ELNS1_3gpuE3ELNS1_3repE0EEENS1_47radix_sort_onesweep_sort_config_static_selectorELNS0_4arch9wavefront6targetE1EEEvSK_,@function
_ZN7rocprim17ROCPRIM_400000_NS6detail17trampoline_kernelINS0_14default_configENS1_35radix_sort_onesweep_config_selectorIfNS0_10empty_typeEEEZZNS1_29radix_sort_onesweep_iterationIS3_Lb0EN6thrust23THRUST_200600_302600_NS6detail15normal_iteratorINS9_10device_ptrIfEEEESE_PS5_SF_jNS0_19identity_decomposerENS1_16block_id_wrapperIjLb0EEEEE10hipError_tT1_PNSt15iterator_traitsISK_E10value_typeET2_T3_PNSL_ISQ_E10value_typeET4_T5_PSV_SW_PNS1_23onesweep_lookback_stateEbbT6_jjT7_P12ihipStream_tbENKUlT_T0_SK_SP_E_clISE_SE_SF_SF_EEDaS13_S14_SK_SP_EUlS13_E_NS1_11comp_targetILNS1_3genE9ELNS1_11target_archE1100ELNS1_3gpuE3ELNS1_3repE0EEENS1_47radix_sort_onesweep_sort_config_static_selectorELNS0_4arch9wavefront6targetE1EEEvSK_: ; @_ZN7rocprim17ROCPRIM_400000_NS6detail17trampoline_kernelINS0_14default_configENS1_35radix_sort_onesweep_config_selectorIfNS0_10empty_typeEEEZZNS1_29radix_sort_onesweep_iterationIS3_Lb0EN6thrust23THRUST_200600_302600_NS6detail15normal_iteratorINS9_10device_ptrIfEEEESE_PS5_SF_jNS0_19identity_decomposerENS1_16block_id_wrapperIjLb0EEEEE10hipError_tT1_PNSt15iterator_traitsISK_E10value_typeET2_T3_PNSL_ISQ_E10value_typeET4_T5_PSV_SW_PNS1_23onesweep_lookback_stateEbbT6_jjT7_P12ihipStream_tbENKUlT_T0_SK_SP_E_clISE_SE_SF_SF_EEDaS13_S14_SK_SP_EUlS13_E_NS1_11comp_targetILNS1_3genE9ELNS1_11target_archE1100ELNS1_3gpuE3ELNS1_3repE0EEENS1_47radix_sort_onesweep_sort_config_static_selectorELNS0_4arch9wavefront6targetE1EEEvSK_
; %bb.0:
	.section	.rodata,"a",@progbits
	.p2align	6, 0x0
	.amdhsa_kernel _ZN7rocprim17ROCPRIM_400000_NS6detail17trampoline_kernelINS0_14default_configENS1_35radix_sort_onesweep_config_selectorIfNS0_10empty_typeEEEZZNS1_29radix_sort_onesweep_iterationIS3_Lb0EN6thrust23THRUST_200600_302600_NS6detail15normal_iteratorINS9_10device_ptrIfEEEESE_PS5_SF_jNS0_19identity_decomposerENS1_16block_id_wrapperIjLb0EEEEE10hipError_tT1_PNSt15iterator_traitsISK_E10value_typeET2_T3_PNSL_ISQ_E10value_typeET4_T5_PSV_SW_PNS1_23onesweep_lookback_stateEbbT6_jjT7_P12ihipStream_tbENKUlT_T0_SK_SP_E_clISE_SE_SF_SF_EEDaS13_S14_SK_SP_EUlS13_E_NS1_11comp_targetILNS1_3genE9ELNS1_11target_archE1100ELNS1_3gpuE3ELNS1_3repE0EEENS1_47radix_sort_onesweep_sort_config_static_selectorELNS0_4arch9wavefront6targetE1EEEvSK_
		.amdhsa_group_segment_fixed_size 0
		.amdhsa_private_segment_fixed_size 0
		.amdhsa_kernarg_size 88
		.amdhsa_user_sgpr_count 2
		.amdhsa_user_sgpr_dispatch_ptr 0
		.amdhsa_user_sgpr_queue_ptr 0
		.amdhsa_user_sgpr_kernarg_segment_ptr 1
		.amdhsa_user_sgpr_dispatch_id 0
		.amdhsa_user_sgpr_kernarg_preload_length 0
		.amdhsa_user_sgpr_kernarg_preload_offset 0
		.amdhsa_user_sgpr_private_segment_size 0
		.amdhsa_uses_dynamic_stack 0
		.amdhsa_enable_private_segment 0
		.amdhsa_system_sgpr_workgroup_id_x 1
		.amdhsa_system_sgpr_workgroup_id_y 0
		.amdhsa_system_sgpr_workgroup_id_z 0
		.amdhsa_system_sgpr_workgroup_info 0
		.amdhsa_system_vgpr_workitem_id 0
		.amdhsa_next_free_vgpr 1
		.amdhsa_next_free_sgpr 0
		.amdhsa_accum_offset 4
		.amdhsa_reserve_vcc 0
		.amdhsa_float_round_mode_32 0
		.amdhsa_float_round_mode_16_64 0
		.amdhsa_float_denorm_mode_32 3
		.amdhsa_float_denorm_mode_16_64 3
		.amdhsa_dx10_clamp 1
		.amdhsa_ieee_mode 1
		.amdhsa_fp16_overflow 0
		.amdhsa_tg_split 0
		.amdhsa_exception_fp_ieee_invalid_op 0
		.amdhsa_exception_fp_denorm_src 0
		.amdhsa_exception_fp_ieee_div_zero 0
		.amdhsa_exception_fp_ieee_overflow 0
		.amdhsa_exception_fp_ieee_underflow 0
		.amdhsa_exception_fp_ieee_inexact 0
		.amdhsa_exception_int_div_zero 0
	.end_amdhsa_kernel
	.section	.text._ZN7rocprim17ROCPRIM_400000_NS6detail17trampoline_kernelINS0_14default_configENS1_35radix_sort_onesweep_config_selectorIfNS0_10empty_typeEEEZZNS1_29radix_sort_onesweep_iterationIS3_Lb0EN6thrust23THRUST_200600_302600_NS6detail15normal_iteratorINS9_10device_ptrIfEEEESE_PS5_SF_jNS0_19identity_decomposerENS1_16block_id_wrapperIjLb0EEEEE10hipError_tT1_PNSt15iterator_traitsISK_E10value_typeET2_T3_PNSL_ISQ_E10value_typeET4_T5_PSV_SW_PNS1_23onesweep_lookback_stateEbbT6_jjT7_P12ihipStream_tbENKUlT_T0_SK_SP_E_clISE_SE_SF_SF_EEDaS13_S14_SK_SP_EUlS13_E_NS1_11comp_targetILNS1_3genE9ELNS1_11target_archE1100ELNS1_3gpuE3ELNS1_3repE0EEENS1_47radix_sort_onesweep_sort_config_static_selectorELNS0_4arch9wavefront6targetE1EEEvSK_,"axG",@progbits,_ZN7rocprim17ROCPRIM_400000_NS6detail17trampoline_kernelINS0_14default_configENS1_35radix_sort_onesweep_config_selectorIfNS0_10empty_typeEEEZZNS1_29radix_sort_onesweep_iterationIS3_Lb0EN6thrust23THRUST_200600_302600_NS6detail15normal_iteratorINS9_10device_ptrIfEEEESE_PS5_SF_jNS0_19identity_decomposerENS1_16block_id_wrapperIjLb0EEEEE10hipError_tT1_PNSt15iterator_traitsISK_E10value_typeET2_T3_PNSL_ISQ_E10value_typeET4_T5_PSV_SW_PNS1_23onesweep_lookback_stateEbbT6_jjT7_P12ihipStream_tbENKUlT_T0_SK_SP_E_clISE_SE_SF_SF_EEDaS13_S14_SK_SP_EUlS13_E_NS1_11comp_targetILNS1_3genE9ELNS1_11target_archE1100ELNS1_3gpuE3ELNS1_3repE0EEENS1_47radix_sort_onesweep_sort_config_static_selectorELNS0_4arch9wavefront6targetE1EEEvSK_,comdat
.Lfunc_end593:
	.size	_ZN7rocprim17ROCPRIM_400000_NS6detail17trampoline_kernelINS0_14default_configENS1_35radix_sort_onesweep_config_selectorIfNS0_10empty_typeEEEZZNS1_29radix_sort_onesweep_iterationIS3_Lb0EN6thrust23THRUST_200600_302600_NS6detail15normal_iteratorINS9_10device_ptrIfEEEESE_PS5_SF_jNS0_19identity_decomposerENS1_16block_id_wrapperIjLb0EEEEE10hipError_tT1_PNSt15iterator_traitsISK_E10value_typeET2_T3_PNSL_ISQ_E10value_typeET4_T5_PSV_SW_PNS1_23onesweep_lookback_stateEbbT6_jjT7_P12ihipStream_tbENKUlT_T0_SK_SP_E_clISE_SE_SF_SF_EEDaS13_S14_SK_SP_EUlS13_E_NS1_11comp_targetILNS1_3genE9ELNS1_11target_archE1100ELNS1_3gpuE3ELNS1_3repE0EEENS1_47radix_sort_onesweep_sort_config_static_selectorELNS0_4arch9wavefront6targetE1EEEvSK_, .Lfunc_end593-_ZN7rocprim17ROCPRIM_400000_NS6detail17trampoline_kernelINS0_14default_configENS1_35radix_sort_onesweep_config_selectorIfNS0_10empty_typeEEEZZNS1_29radix_sort_onesweep_iterationIS3_Lb0EN6thrust23THRUST_200600_302600_NS6detail15normal_iteratorINS9_10device_ptrIfEEEESE_PS5_SF_jNS0_19identity_decomposerENS1_16block_id_wrapperIjLb0EEEEE10hipError_tT1_PNSt15iterator_traitsISK_E10value_typeET2_T3_PNSL_ISQ_E10value_typeET4_T5_PSV_SW_PNS1_23onesweep_lookback_stateEbbT6_jjT7_P12ihipStream_tbENKUlT_T0_SK_SP_E_clISE_SE_SF_SF_EEDaS13_S14_SK_SP_EUlS13_E_NS1_11comp_targetILNS1_3genE9ELNS1_11target_archE1100ELNS1_3gpuE3ELNS1_3repE0EEENS1_47radix_sort_onesweep_sort_config_static_selectorELNS0_4arch9wavefront6targetE1EEEvSK_
                                        ; -- End function
	.set _ZN7rocprim17ROCPRIM_400000_NS6detail17trampoline_kernelINS0_14default_configENS1_35radix_sort_onesweep_config_selectorIfNS0_10empty_typeEEEZZNS1_29radix_sort_onesweep_iterationIS3_Lb0EN6thrust23THRUST_200600_302600_NS6detail15normal_iteratorINS9_10device_ptrIfEEEESE_PS5_SF_jNS0_19identity_decomposerENS1_16block_id_wrapperIjLb0EEEEE10hipError_tT1_PNSt15iterator_traitsISK_E10value_typeET2_T3_PNSL_ISQ_E10value_typeET4_T5_PSV_SW_PNS1_23onesweep_lookback_stateEbbT6_jjT7_P12ihipStream_tbENKUlT_T0_SK_SP_E_clISE_SE_SF_SF_EEDaS13_S14_SK_SP_EUlS13_E_NS1_11comp_targetILNS1_3genE9ELNS1_11target_archE1100ELNS1_3gpuE3ELNS1_3repE0EEENS1_47radix_sort_onesweep_sort_config_static_selectorELNS0_4arch9wavefront6targetE1EEEvSK_.num_vgpr, 0
	.set _ZN7rocprim17ROCPRIM_400000_NS6detail17trampoline_kernelINS0_14default_configENS1_35radix_sort_onesweep_config_selectorIfNS0_10empty_typeEEEZZNS1_29radix_sort_onesweep_iterationIS3_Lb0EN6thrust23THRUST_200600_302600_NS6detail15normal_iteratorINS9_10device_ptrIfEEEESE_PS5_SF_jNS0_19identity_decomposerENS1_16block_id_wrapperIjLb0EEEEE10hipError_tT1_PNSt15iterator_traitsISK_E10value_typeET2_T3_PNSL_ISQ_E10value_typeET4_T5_PSV_SW_PNS1_23onesweep_lookback_stateEbbT6_jjT7_P12ihipStream_tbENKUlT_T0_SK_SP_E_clISE_SE_SF_SF_EEDaS13_S14_SK_SP_EUlS13_E_NS1_11comp_targetILNS1_3genE9ELNS1_11target_archE1100ELNS1_3gpuE3ELNS1_3repE0EEENS1_47radix_sort_onesweep_sort_config_static_selectorELNS0_4arch9wavefront6targetE1EEEvSK_.num_agpr, 0
	.set _ZN7rocprim17ROCPRIM_400000_NS6detail17trampoline_kernelINS0_14default_configENS1_35radix_sort_onesweep_config_selectorIfNS0_10empty_typeEEEZZNS1_29radix_sort_onesweep_iterationIS3_Lb0EN6thrust23THRUST_200600_302600_NS6detail15normal_iteratorINS9_10device_ptrIfEEEESE_PS5_SF_jNS0_19identity_decomposerENS1_16block_id_wrapperIjLb0EEEEE10hipError_tT1_PNSt15iterator_traitsISK_E10value_typeET2_T3_PNSL_ISQ_E10value_typeET4_T5_PSV_SW_PNS1_23onesweep_lookback_stateEbbT6_jjT7_P12ihipStream_tbENKUlT_T0_SK_SP_E_clISE_SE_SF_SF_EEDaS13_S14_SK_SP_EUlS13_E_NS1_11comp_targetILNS1_3genE9ELNS1_11target_archE1100ELNS1_3gpuE3ELNS1_3repE0EEENS1_47radix_sort_onesweep_sort_config_static_selectorELNS0_4arch9wavefront6targetE1EEEvSK_.numbered_sgpr, 0
	.set _ZN7rocprim17ROCPRIM_400000_NS6detail17trampoline_kernelINS0_14default_configENS1_35radix_sort_onesweep_config_selectorIfNS0_10empty_typeEEEZZNS1_29radix_sort_onesweep_iterationIS3_Lb0EN6thrust23THRUST_200600_302600_NS6detail15normal_iteratorINS9_10device_ptrIfEEEESE_PS5_SF_jNS0_19identity_decomposerENS1_16block_id_wrapperIjLb0EEEEE10hipError_tT1_PNSt15iterator_traitsISK_E10value_typeET2_T3_PNSL_ISQ_E10value_typeET4_T5_PSV_SW_PNS1_23onesweep_lookback_stateEbbT6_jjT7_P12ihipStream_tbENKUlT_T0_SK_SP_E_clISE_SE_SF_SF_EEDaS13_S14_SK_SP_EUlS13_E_NS1_11comp_targetILNS1_3genE9ELNS1_11target_archE1100ELNS1_3gpuE3ELNS1_3repE0EEENS1_47radix_sort_onesweep_sort_config_static_selectorELNS0_4arch9wavefront6targetE1EEEvSK_.num_named_barrier, 0
	.set _ZN7rocprim17ROCPRIM_400000_NS6detail17trampoline_kernelINS0_14default_configENS1_35radix_sort_onesweep_config_selectorIfNS0_10empty_typeEEEZZNS1_29radix_sort_onesweep_iterationIS3_Lb0EN6thrust23THRUST_200600_302600_NS6detail15normal_iteratorINS9_10device_ptrIfEEEESE_PS5_SF_jNS0_19identity_decomposerENS1_16block_id_wrapperIjLb0EEEEE10hipError_tT1_PNSt15iterator_traitsISK_E10value_typeET2_T3_PNSL_ISQ_E10value_typeET4_T5_PSV_SW_PNS1_23onesweep_lookback_stateEbbT6_jjT7_P12ihipStream_tbENKUlT_T0_SK_SP_E_clISE_SE_SF_SF_EEDaS13_S14_SK_SP_EUlS13_E_NS1_11comp_targetILNS1_3genE9ELNS1_11target_archE1100ELNS1_3gpuE3ELNS1_3repE0EEENS1_47radix_sort_onesweep_sort_config_static_selectorELNS0_4arch9wavefront6targetE1EEEvSK_.private_seg_size, 0
	.set _ZN7rocprim17ROCPRIM_400000_NS6detail17trampoline_kernelINS0_14default_configENS1_35radix_sort_onesweep_config_selectorIfNS0_10empty_typeEEEZZNS1_29radix_sort_onesweep_iterationIS3_Lb0EN6thrust23THRUST_200600_302600_NS6detail15normal_iteratorINS9_10device_ptrIfEEEESE_PS5_SF_jNS0_19identity_decomposerENS1_16block_id_wrapperIjLb0EEEEE10hipError_tT1_PNSt15iterator_traitsISK_E10value_typeET2_T3_PNSL_ISQ_E10value_typeET4_T5_PSV_SW_PNS1_23onesweep_lookback_stateEbbT6_jjT7_P12ihipStream_tbENKUlT_T0_SK_SP_E_clISE_SE_SF_SF_EEDaS13_S14_SK_SP_EUlS13_E_NS1_11comp_targetILNS1_3genE9ELNS1_11target_archE1100ELNS1_3gpuE3ELNS1_3repE0EEENS1_47radix_sort_onesweep_sort_config_static_selectorELNS0_4arch9wavefront6targetE1EEEvSK_.uses_vcc, 0
	.set _ZN7rocprim17ROCPRIM_400000_NS6detail17trampoline_kernelINS0_14default_configENS1_35radix_sort_onesweep_config_selectorIfNS0_10empty_typeEEEZZNS1_29radix_sort_onesweep_iterationIS3_Lb0EN6thrust23THRUST_200600_302600_NS6detail15normal_iteratorINS9_10device_ptrIfEEEESE_PS5_SF_jNS0_19identity_decomposerENS1_16block_id_wrapperIjLb0EEEEE10hipError_tT1_PNSt15iterator_traitsISK_E10value_typeET2_T3_PNSL_ISQ_E10value_typeET4_T5_PSV_SW_PNS1_23onesweep_lookback_stateEbbT6_jjT7_P12ihipStream_tbENKUlT_T0_SK_SP_E_clISE_SE_SF_SF_EEDaS13_S14_SK_SP_EUlS13_E_NS1_11comp_targetILNS1_3genE9ELNS1_11target_archE1100ELNS1_3gpuE3ELNS1_3repE0EEENS1_47radix_sort_onesweep_sort_config_static_selectorELNS0_4arch9wavefront6targetE1EEEvSK_.uses_flat_scratch, 0
	.set _ZN7rocprim17ROCPRIM_400000_NS6detail17trampoline_kernelINS0_14default_configENS1_35radix_sort_onesweep_config_selectorIfNS0_10empty_typeEEEZZNS1_29radix_sort_onesweep_iterationIS3_Lb0EN6thrust23THRUST_200600_302600_NS6detail15normal_iteratorINS9_10device_ptrIfEEEESE_PS5_SF_jNS0_19identity_decomposerENS1_16block_id_wrapperIjLb0EEEEE10hipError_tT1_PNSt15iterator_traitsISK_E10value_typeET2_T3_PNSL_ISQ_E10value_typeET4_T5_PSV_SW_PNS1_23onesweep_lookback_stateEbbT6_jjT7_P12ihipStream_tbENKUlT_T0_SK_SP_E_clISE_SE_SF_SF_EEDaS13_S14_SK_SP_EUlS13_E_NS1_11comp_targetILNS1_3genE9ELNS1_11target_archE1100ELNS1_3gpuE3ELNS1_3repE0EEENS1_47radix_sort_onesweep_sort_config_static_selectorELNS0_4arch9wavefront6targetE1EEEvSK_.has_dyn_sized_stack, 0
	.set _ZN7rocprim17ROCPRIM_400000_NS6detail17trampoline_kernelINS0_14default_configENS1_35radix_sort_onesweep_config_selectorIfNS0_10empty_typeEEEZZNS1_29radix_sort_onesweep_iterationIS3_Lb0EN6thrust23THRUST_200600_302600_NS6detail15normal_iteratorINS9_10device_ptrIfEEEESE_PS5_SF_jNS0_19identity_decomposerENS1_16block_id_wrapperIjLb0EEEEE10hipError_tT1_PNSt15iterator_traitsISK_E10value_typeET2_T3_PNSL_ISQ_E10value_typeET4_T5_PSV_SW_PNS1_23onesweep_lookback_stateEbbT6_jjT7_P12ihipStream_tbENKUlT_T0_SK_SP_E_clISE_SE_SF_SF_EEDaS13_S14_SK_SP_EUlS13_E_NS1_11comp_targetILNS1_3genE9ELNS1_11target_archE1100ELNS1_3gpuE3ELNS1_3repE0EEENS1_47radix_sort_onesweep_sort_config_static_selectorELNS0_4arch9wavefront6targetE1EEEvSK_.has_recursion, 0
	.set _ZN7rocprim17ROCPRIM_400000_NS6detail17trampoline_kernelINS0_14default_configENS1_35radix_sort_onesweep_config_selectorIfNS0_10empty_typeEEEZZNS1_29radix_sort_onesweep_iterationIS3_Lb0EN6thrust23THRUST_200600_302600_NS6detail15normal_iteratorINS9_10device_ptrIfEEEESE_PS5_SF_jNS0_19identity_decomposerENS1_16block_id_wrapperIjLb0EEEEE10hipError_tT1_PNSt15iterator_traitsISK_E10value_typeET2_T3_PNSL_ISQ_E10value_typeET4_T5_PSV_SW_PNS1_23onesweep_lookback_stateEbbT6_jjT7_P12ihipStream_tbENKUlT_T0_SK_SP_E_clISE_SE_SF_SF_EEDaS13_S14_SK_SP_EUlS13_E_NS1_11comp_targetILNS1_3genE9ELNS1_11target_archE1100ELNS1_3gpuE3ELNS1_3repE0EEENS1_47radix_sort_onesweep_sort_config_static_selectorELNS0_4arch9wavefront6targetE1EEEvSK_.has_indirect_call, 0
	.section	.AMDGPU.csdata,"",@progbits
; Kernel info:
; codeLenInByte = 0
; TotalNumSgprs: 6
; NumVgprs: 0
; NumAgprs: 0
; TotalNumVgprs: 0
; ScratchSize: 0
; MemoryBound: 0
; FloatMode: 240
; IeeeMode: 1
; LDSByteSize: 0 bytes/workgroup (compile time only)
; SGPRBlocks: 0
; VGPRBlocks: 0
; NumSGPRsForWavesPerEU: 6
; NumVGPRsForWavesPerEU: 1
; AccumOffset: 4
; Occupancy: 8
; WaveLimiterHint : 0
; COMPUTE_PGM_RSRC2:SCRATCH_EN: 0
; COMPUTE_PGM_RSRC2:USER_SGPR: 2
; COMPUTE_PGM_RSRC2:TRAP_HANDLER: 0
; COMPUTE_PGM_RSRC2:TGID_X_EN: 1
; COMPUTE_PGM_RSRC2:TGID_Y_EN: 0
; COMPUTE_PGM_RSRC2:TGID_Z_EN: 0
; COMPUTE_PGM_RSRC2:TIDIG_COMP_CNT: 0
; COMPUTE_PGM_RSRC3_GFX90A:ACCUM_OFFSET: 0
; COMPUTE_PGM_RSRC3_GFX90A:TG_SPLIT: 0
	.section	.text._ZN7rocprim17ROCPRIM_400000_NS6detail17trampoline_kernelINS0_14default_configENS1_35radix_sort_onesweep_config_selectorIfNS0_10empty_typeEEEZZNS1_29radix_sort_onesweep_iterationIS3_Lb0EN6thrust23THRUST_200600_302600_NS6detail15normal_iteratorINS9_10device_ptrIfEEEESE_PS5_SF_jNS0_19identity_decomposerENS1_16block_id_wrapperIjLb0EEEEE10hipError_tT1_PNSt15iterator_traitsISK_E10value_typeET2_T3_PNSL_ISQ_E10value_typeET4_T5_PSV_SW_PNS1_23onesweep_lookback_stateEbbT6_jjT7_P12ihipStream_tbENKUlT_T0_SK_SP_E_clISE_SE_SF_SF_EEDaS13_S14_SK_SP_EUlS13_E_NS1_11comp_targetILNS1_3genE8ELNS1_11target_archE1030ELNS1_3gpuE2ELNS1_3repE0EEENS1_47radix_sort_onesweep_sort_config_static_selectorELNS0_4arch9wavefront6targetE1EEEvSK_,"axG",@progbits,_ZN7rocprim17ROCPRIM_400000_NS6detail17trampoline_kernelINS0_14default_configENS1_35radix_sort_onesweep_config_selectorIfNS0_10empty_typeEEEZZNS1_29radix_sort_onesweep_iterationIS3_Lb0EN6thrust23THRUST_200600_302600_NS6detail15normal_iteratorINS9_10device_ptrIfEEEESE_PS5_SF_jNS0_19identity_decomposerENS1_16block_id_wrapperIjLb0EEEEE10hipError_tT1_PNSt15iterator_traitsISK_E10value_typeET2_T3_PNSL_ISQ_E10value_typeET4_T5_PSV_SW_PNS1_23onesweep_lookback_stateEbbT6_jjT7_P12ihipStream_tbENKUlT_T0_SK_SP_E_clISE_SE_SF_SF_EEDaS13_S14_SK_SP_EUlS13_E_NS1_11comp_targetILNS1_3genE8ELNS1_11target_archE1030ELNS1_3gpuE2ELNS1_3repE0EEENS1_47radix_sort_onesweep_sort_config_static_selectorELNS0_4arch9wavefront6targetE1EEEvSK_,comdat
	.protected	_ZN7rocprim17ROCPRIM_400000_NS6detail17trampoline_kernelINS0_14default_configENS1_35radix_sort_onesweep_config_selectorIfNS0_10empty_typeEEEZZNS1_29radix_sort_onesweep_iterationIS3_Lb0EN6thrust23THRUST_200600_302600_NS6detail15normal_iteratorINS9_10device_ptrIfEEEESE_PS5_SF_jNS0_19identity_decomposerENS1_16block_id_wrapperIjLb0EEEEE10hipError_tT1_PNSt15iterator_traitsISK_E10value_typeET2_T3_PNSL_ISQ_E10value_typeET4_T5_PSV_SW_PNS1_23onesweep_lookback_stateEbbT6_jjT7_P12ihipStream_tbENKUlT_T0_SK_SP_E_clISE_SE_SF_SF_EEDaS13_S14_SK_SP_EUlS13_E_NS1_11comp_targetILNS1_3genE8ELNS1_11target_archE1030ELNS1_3gpuE2ELNS1_3repE0EEENS1_47radix_sort_onesweep_sort_config_static_selectorELNS0_4arch9wavefront6targetE1EEEvSK_ ; -- Begin function _ZN7rocprim17ROCPRIM_400000_NS6detail17trampoline_kernelINS0_14default_configENS1_35radix_sort_onesweep_config_selectorIfNS0_10empty_typeEEEZZNS1_29radix_sort_onesweep_iterationIS3_Lb0EN6thrust23THRUST_200600_302600_NS6detail15normal_iteratorINS9_10device_ptrIfEEEESE_PS5_SF_jNS0_19identity_decomposerENS1_16block_id_wrapperIjLb0EEEEE10hipError_tT1_PNSt15iterator_traitsISK_E10value_typeET2_T3_PNSL_ISQ_E10value_typeET4_T5_PSV_SW_PNS1_23onesweep_lookback_stateEbbT6_jjT7_P12ihipStream_tbENKUlT_T0_SK_SP_E_clISE_SE_SF_SF_EEDaS13_S14_SK_SP_EUlS13_E_NS1_11comp_targetILNS1_3genE8ELNS1_11target_archE1030ELNS1_3gpuE2ELNS1_3repE0EEENS1_47radix_sort_onesweep_sort_config_static_selectorELNS0_4arch9wavefront6targetE1EEEvSK_
	.globl	_ZN7rocprim17ROCPRIM_400000_NS6detail17trampoline_kernelINS0_14default_configENS1_35radix_sort_onesweep_config_selectorIfNS0_10empty_typeEEEZZNS1_29radix_sort_onesweep_iterationIS3_Lb0EN6thrust23THRUST_200600_302600_NS6detail15normal_iteratorINS9_10device_ptrIfEEEESE_PS5_SF_jNS0_19identity_decomposerENS1_16block_id_wrapperIjLb0EEEEE10hipError_tT1_PNSt15iterator_traitsISK_E10value_typeET2_T3_PNSL_ISQ_E10value_typeET4_T5_PSV_SW_PNS1_23onesweep_lookback_stateEbbT6_jjT7_P12ihipStream_tbENKUlT_T0_SK_SP_E_clISE_SE_SF_SF_EEDaS13_S14_SK_SP_EUlS13_E_NS1_11comp_targetILNS1_3genE8ELNS1_11target_archE1030ELNS1_3gpuE2ELNS1_3repE0EEENS1_47radix_sort_onesweep_sort_config_static_selectorELNS0_4arch9wavefront6targetE1EEEvSK_
	.p2align	8
	.type	_ZN7rocprim17ROCPRIM_400000_NS6detail17trampoline_kernelINS0_14default_configENS1_35radix_sort_onesweep_config_selectorIfNS0_10empty_typeEEEZZNS1_29radix_sort_onesweep_iterationIS3_Lb0EN6thrust23THRUST_200600_302600_NS6detail15normal_iteratorINS9_10device_ptrIfEEEESE_PS5_SF_jNS0_19identity_decomposerENS1_16block_id_wrapperIjLb0EEEEE10hipError_tT1_PNSt15iterator_traitsISK_E10value_typeET2_T3_PNSL_ISQ_E10value_typeET4_T5_PSV_SW_PNS1_23onesweep_lookback_stateEbbT6_jjT7_P12ihipStream_tbENKUlT_T0_SK_SP_E_clISE_SE_SF_SF_EEDaS13_S14_SK_SP_EUlS13_E_NS1_11comp_targetILNS1_3genE8ELNS1_11target_archE1030ELNS1_3gpuE2ELNS1_3repE0EEENS1_47radix_sort_onesweep_sort_config_static_selectorELNS0_4arch9wavefront6targetE1EEEvSK_,@function
_ZN7rocprim17ROCPRIM_400000_NS6detail17trampoline_kernelINS0_14default_configENS1_35radix_sort_onesweep_config_selectorIfNS0_10empty_typeEEEZZNS1_29radix_sort_onesweep_iterationIS3_Lb0EN6thrust23THRUST_200600_302600_NS6detail15normal_iteratorINS9_10device_ptrIfEEEESE_PS5_SF_jNS0_19identity_decomposerENS1_16block_id_wrapperIjLb0EEEEE10hipError_tT1_PNSt15iterator_traitsISK_E10value_typeET2_T3_PNSL_ISQ_E10value_typeET4_T5_PSV_SW_PNS1_23onesweep_lookback_stateEbbT6_jjT7_P12ihipStream_tbENKUlT_T0_SK_SP_E_clISE_SE_SF_SF_EEDaS13_S14_SK_SP_EUlS13_E_NS1_11comp_targetILNS1_3genE8ELNS1_11target_archE1030ELNS1_3gpuE2ELNS1_3repE0EEENS1_47radix_sort_onesweep_sort_config_static_selectorELNS0_4arch9wavefront6targetE1EEEvSK_: ; @_ZN7rocprim17ROCPRIM_400000_NS6detail17trampoline_kernelINS0_14default_configENS1_35radix_sort_onesweep_config_selectorIfNS0_10empty_typeEEEZZNS1_29radix_sort_onesweep_iterationIS3_Lb0EN6thrust23THRUST_200600_302600_NS6detail15normal_iteratorINS9_10device_ptrIfEEEESE_PS5_SF_jNS0_19identity_decomposerENS1_16block_id_wrapperIjLb0EEEEE10hipError_tT1_PNSt15iterator_traitsISK_E10value_typeET2_T3_PNSL_ISQ_E10value_typeET4_T5_PSV_SW_PNS1_23onesweep_lookback_stateEbbT6_jjT7_P12ihipStream_tbENKUlT_T0_SK_SP_E_clISE_SE_SF_SF_EEDaS13_S14_SK_SP_EUlS13_E_NS1_11comp_targetILNS1_3genE8ELNS1_11target_archE1030ELNS1_3gpuE2ELNS1_3repE0EEENS1_47radix_sort_onesweep_sort_config_static_selectorELNS0_4arch9wavefront6targetE1EEEvSK_
; %bb.0:
	.section	.rodata,"a",@progbits
	.p2align	6, 0x0
	.amdhsa_kernel _ZN7rocprim17ROCPRIM_400000_NS6detail17trampoline_kernelINS0_14default_configENS1_35radix_sort_onesweep_config_selectorIfNS0_10empty_typeEEEZZNS1_29radix_sort_onesweep_iterationIS3_Lb0EN6thrust23THRUST_200600_302600_NS6detail15normal_iteratorINS9_10device_ptrIfEEEESE_PS5_SF_jNS0_19identity_decomposerENS1_16block_id_wrapperIjLb0EEEEE10hipError_tT1_PNSt15iterator_traitsISK_E10value_typeET2_T3_PNSL_ISQ_E10value_typeET4_T5_PSV_SW_PNS1_23onesweep_lookback_stateEbbT6_jjT7_P12ihipStream_tbENKUlT_T0_SK_SP_E_clISE_SE_SF_SF_EEDaS13_S14_SK_SP_EUlS13_E_NS1_11comp_targetILNS1_3genE8ELNS1_11target_archE1030ELNS1_3gpuE2ELNS1_3repE0EEENS1_47radix_sort_onesweep_sort_config_static_selectorELNS0_4arch9wavefront6targetE1EEEvSK_
		.amdhsa_group_segment_fixed_size 0
		.amdhsa_private_segment_fixed_size 0
		.amdhsa_kernarg_size 88
		.amdhsa_user_sgpr_count 2
		.amdhsa_user_sgpr_dispatch_ptr 0
		.amdhsa_user_sgpr_queue_ptr 0
		.amdhsa_user_sgpr_kernarg_segment_ptr 1
		.amdhsa_user_sgpr_dispatch_id 0
		.amdhsa_user_sgpr_kernarg_preload_length 0
		.amdhsa_user_sgpr_kernarg_preload_offset 0
		.amdhsa_user_sgpr_private_segment_size 0
		.amdhsa_uses_dynamic_stack 0
		.amdhsa_enable_private_segment 0
		.amdhsa_system_sgpr_workgroup_id_x 1
		.amdhsa_system_sgpr_workgroup_id_y 0
		.amdhsa_system_sgpr_workgroup_id_z 0
		.amdhsa_system_sgpr_workgroup_info 0
		.amdhsa_system_vgpr_workitem_id 0
		.amdhsa_next_free_vgpr 1
		.amdhsa_next_free_sgpr 0
		.amdhsa_accum_offset 4
		.amdhsa_reserve_vcc 0
		.amdhsa_float_round_mode_32 0
		.amdhsa_float_round_mode_16_64 0
		.amdhsa_float_denorm_mode_32 3
		.amdhsa_float_denorm_mode_16_64 3
		.amdhsa_dx10_clamp 1
		.amdhsa_ieee_mode 1
		.amdhsa_fp16_overflow 0
		.amdhsa_tg_split 0
		.amdhsa_exception_fp_ieee_invalid_op 0
		.amdhsa_exception_fp_denorm_src 0
		.amdhsa_exception_fp_ieee_div_zero 0
		.amdhsa_exception_fp_ieee_overflow 0
		.amdhsa_exception_fp_ieee_underflow 0
		.amdhsa_exception_fp_ieee_inexact 0
		.amdhsa_exception_int_div_zero 0
	.end_amdhsa_kernel
	.section	.text._ZN7rocprim17ROCPRIM_400000_NS6detail17trampoline_kernelINS0_14default_configENS1_35radix_sort_onesweep_config_selectorIfNS0_10empty_typeEEEZZNS1_29radix_sort_onesweep_iterationIS3_Lb0EN6thrust23THRUST_200600_302600_NS6detail15normal_iteratorINS9_10device_ptrIfEEEESE_PS5_SF_jNS0_19identity_decomposerENS1_16block_id_wrapperIjLb0EEEEE10hipError_tT1_PNSt15iterator_traitsISK_E10value_typeET2_T3_PNSL_ISQ_E10value_typeET4_T5_PSV_SW_PNS1_23onesweep_lookback_stateEbbT6_jjT7_P12ihipStream_tbENKUlT_T0_SK_SP_E_clISE_SE_SF_SF_EEDaS13_S14_SK_SP_EUlS13_E_NS1_11comp_targetILNS1_3genE8ELNS1_11target_archE1030ELNS1_3gpuE2ELNS1_3repE0EEENS1_47radix_sort_onesweep_sort_config_static_selectorELNS0_4arch9wavefront6targetE1EEEvSK_,"axG",@progbits,_ZN7rocprim17ROCPRIM_400000_NS6detail17trampoline_kernelINS0_14default_configENS1_35radix_sort_onesweep_config_selectorIfNS0_10empty_typeEEEZZNS1_29radix_sort_onesweep_iterationIS3_Lb0EN6thrust23THRUST_200600_302600_NS6detail15normal_iteratorINS9_10device_ptrIfEEEESE_PS5_SF_jNS0_19identity_decomposerENS1_16block_id_wrapperIjLb0EEEEE10hipError_tT1_PNSt15iterator_traitsISK_E10value_typeET2_T3_PNSL_ISQ_E10value_typeET4_T5_PSV_SW_PNS1_23onesweep_lookback_stateEbbT6_jjT7_P12ihipStream_tbENKUlT_T0_SK_SP_E_clISE_SE_SF_SF_EEDaS13_S14_SK_SP_EUlS13_E_NS1_11comp_targetILNS1_3genE8ELNS1_11target_archE1030ELNS1_3gpuE2ELNS1_3repE0EEENS1_47radix_sort_onesweep_sort_config_static_selectorELNS0_4arch9wavefront6targetE1EEEvSK_,comdat
.Lfunc_end594:
	.size	_ZN7rocprim17ROCPRIM_400000_NS6detail17trampoline_kernelINS0_14default_configENS1_35radix_sort_onesweep_config_selectorIfNS0_10empty_typeEEEZZNS1_29radix_sort_onesweep_iterationIS3_Lb0EN6thrust23THRUST_200600_302600_NS6detail15normal_iteratorINS9_10device_ptrIfEEEESE_PS5_SF_jNS0_19identity_decomposerENS1_16block_id_wrapperIjLb0EEEEE10hipError_tT1_PNSt15iterator_traitsISK_E10value_typeET2_T3_PNSL_ISQ_E10value_typeET4_T5_PSV_SW_PNS1_23onesweep_lookback_stateEbbT6_jjT7_P12ihipStream_tbENKUlT_T0_SK_SP_E_clISE_SE_SF_SF_EEDaS13_S14_SK_SP_EUlS13_E_NS1_11comp_targetILNS1_3genE8ELNS1_11target_archE1030ELNS1_3gpuE2ELNS1_3repE0EEENS1_47radix_sort_onesweep_sort_config_static_selectorELNS0_4arch9wavefront6targetE1EEEvSK_, .Lfunc_end594-_ZN7rocprim17ROCPRIM_400000_NS6detail17trampoline_kernelINS0_14default_configENS1_35radix_sort_onesweep_config_selectorIfNS0_10empty_typeEEEZZNS1_29radix_sort_onesweep_iterationIS3_Lb0EN6thrust23THRUST_200600_302600_NS6detail15normal_iteratorINS9_10device_ptrIfEEEESE_PS5_SF_jNS0_19identity_decomposerENS1_16block_id_wrapperIjLb0EEEEE10hipError_tT1_PNSt15iterator_traitsISK_E10value_typeET2_T3_PNSL_ISQ_E10value_typeET4_T5_PSV_SW_PNS1_23onesweep_lookback_stateEbbT6_jjT7_P12ihipStream_tbENKUlT_T0_SK_SP_E_clISE_SE_SF_SF_EEDaS13_S14_SK_SP_EUlS13_E_NS1_11comp_targetILNS1_3genE8ELNS1_11target_archE1030ELNS1_3gpuE2ELNS1_3repE0EEENS1_47radix_sort_onesweep_sort_config_static_selectorELNS0_4arch9wavefront6targetE1EEEvSK_
                                        ; -- End function
	.set _ZN7rocprim17ROCPRIM_400000_NS6detail17trampoline_kernelINS0_14default_configENS1_35radix_sort_onesweep_config_selectorIfNS0_10empty_typeEEEZZNS1_29radix_sort_onesweep_iterationIS3_Lb0EN6thrust23THRUST_200600_302600_NS6detail15normal_iteratorINS9_10device_ptrIfEEEESE_PS5_SF_jNS0_19identity_decomposerENS1_16block_id_wrapperIjLb0EEEEE10hipError_tT1_PNSt15iterator_traitsISK_E10value_typeET2_T3_PNSL_ISQ_E10value_typeET4_T5_PSV_SW_PNS1_23onesweep_lookback_stateEbbT6_jjT7_P12ihipStream_tbENKUlT_T0_SK_SP_E_clISE_SE_SF_SF_EEDaS13_S14_SK_SP_EUlS13_E_NS1_11comp_targetILNS1_3genE8ELNS1_11target_archE1030ELNS1_3gpuE2ELNS1_3repE0EEENS1_47radix_sort_onesweep_sort_config_static_selectorELNS0_4arch9wavefront6targetE1EEEvSK_.num_vgpr, 0
	.set _ZN7rocprim17ROCPRIM_400000_NS6detail17trampoline_kernelINS0_14default_configENS1_35radix_sort_onesweep_config_selectorIfNS0_10empty_typeEEEZZNS1_29radix_sort_onesweep_iterationIS3_Lb0EN6thrust23THRUST_200600_302600_NS6detail15normal_iteratorINS9_10device_ptrIfEEEESE_PS5_SF_jNS0_19identity_decomposerENS1_16block_id_wrapperIjLb0EEEEE10hipError_tT1_PNSt15iterator_traitsISK_E10value_typeET2_T3_PNSL_ISQ_E10value_typeET4_T5_PSV_SW_PNS1_23onesweep_lookback_stateEbbT6_jjT7_P12ihipStream_tbENKUlT_T0_SK_SP_E_clISE_SE_SF_SF_EEDaS13_S14_SK_SP_EUlS13_E_NS1_11comp_targetILNS1_3genE8ELNS1_11target_archE1030ELNS1_3gpuE2ELNS1_3repE0EEENS1_47radix_sort_onesweep_sort_config_static_selectorELNS0_4arch9wavefront6targetE1EEEvSK_.num_agpr, 0
	.set _ZN7rocprim17ROCPRIM_400000_NS6detail17trampoline_kernelINS0_14default_configENS1_35radix_sort_onesweep_config_selectorIfNS0_10empty_typeEEEZZNS1_29radix_sort_onesweep_iterationIS3_Lb0EN6thrust23THRUST_200600_302600_NS6detail15normal_iteratorINS9_10device_ptrIfEEEESE_PS5_SF_jNS0_19identity_decomposerENS1_16block_id_wrapperIjLb0EEEEE10hipError_tT1_PNSt15iterator_traitsISK_E10value_typeET2_T3_PNSL_ISQ_E10value_typeET4_T5_PSV_SW_PNS1_23onesweep_lookback_stateEbbT6_jjT7_P12ihipStream_tbENKUlT_T0_SK_SP_E_clISE_SE_SF_SF_EEDaS13_S14_SK_SP_EUlS13_E_NS1_11comp_targetILNS1_3genE8ELNS1_11target_archE1030ELNS1_3gpuE2ELNS1_3repE0EEENS1_47radix_sort_onesweep_sort_config_static_selectorELNS0_4arch9wavefront6targetE1EEEvSK_.numbered_sgpr, 0
	.set _ZN7rocprim17ROCPRIM_400000_NS6detail17trampoline_kernelINS0_14default_configENS1_35radix_sort_onesweep_config_selectorIfNS0_10empty_typeEEEZZNS1_29radix_sort_onesweep_iterationIS3_Lb0EN6thrust23THRUST_200600_302600_NS6detail15normal_iteratorINS9_10device_ptrIfEEEESE_PS5_SF_jNS0_19identity_decomposerENS1_16block_id_wrapperIjLb0EEEEE10hipError_tT1_PNSt15iterator_traitsISK_E10value_typeET2_T3_PNSL_ISQ_E10value_typeET4_T5_PSV_SW_PNS1_23onesweep_lookback_stateEbbT6_jjT7_P12ihipStream_tbENKUlT_T0_SK_SP_E_clISE_SE_SF_SF_EEDaS13_S14_SK_SP_EUlS13_E_NS1_11comp_targetILNS1_3genE8ELNS1_11target_archE1030ELNS1_3gpuE2ELNS1_3repE0EEENS1_47radix_sort_onesweep_sort_config_static_selectorELNS0_4arch9wavefront6targetE1EEEvSK_.num_named_barrier, 0
	.set _ZN7rocprim17ROCPRIM_400000_NS6detail17trampoline_kernelINS0_14default_configENS1_35radix_sort_onesweep_config_selectorIfNS0_10empty_typeEEEZZNS1_29radix_sort_onesweep_iterationIS3_Lb0EN6thrust23THRUST_200600_302600_NS6detail15normal_iteratorINS9_10device_ptrIfEEEESE_PS5_SF_jNS0_19identity_decomposerENS1_16block_id_wrapperIjLb0EEEEE10hipError_tT1_PNSt15iterator_traitsISK_E10value_typeET2_T3_PNSL_ISQ_E10value_typeET4_T5_PSV_SW_PNS1_23onesweep_lookback_stateEbbT6_jjT7_P12ihipStream_tbENKUlT_T0_SK_SP_E_clISE_SE_SF_SF_EEDaS13_S14_SK_SP_EUlS13_E_NS1_11comp_targetILNS1_3genE8ELNS1_11target_archE1030ELNS1_3gpuE2ELNS1_3repE0EEENS1_47radix_sort_onesweep_sort_config_static_selectorELNS0_4arch9wavefront6targetE1EEEvSK_.private_seg_size, 0
	.set _ZN7rocprim17ROCPRIM_400000_NS6detail17trampoline_kernelINS0_14default_configENS1_35radix_sort_onesweep_config_selectorIfNS0_10empty_typeEEEZZNS1_29radix_sort_onesweep_iterationIS3_Lb0EN6thrust23THRUST_200600_302600_NS6detail15normal_iteratorINS9_10device_ptrIfEEEESE_PS5_SF_jNS0_19identity_decomposerENS1_16block_id_wrapperIjLb0EEEEE10hipError_tT1_PNSt15iterator_traitsISK_E10value_typeET2_T3_PNSL_ISQ_E10value_typeET4_T5_PSV_SW_PNS1_23onesweep_lookback_stateEbbT6_jjT7_P12ihipStream_tbENKUlT_T0_SK_SP_E_clISE_SE_SF_SF_EEDaS13_S14_SK_SP_EUlS13_E_NS1_11comp_targetILNS1_3genE8ELNS1_11target_archE1030ELNS1_3gpuE2ELNS1_3repE0EEENS1_47radix_sort_onesweep_sort_config_static_selectorELNS0_4arch9wavefront6targetE1EEEvSK_.uses_vcc, 0
	.set _ZN7rocprim17ROCPRIM_400000_NS6detail17trampoline_kernelINS0_14default_configENS1_35radix_sort_onesweep_config_selectorIfNS0_10empty_typeEEEZZNS1_29radix_sort_onesweep_iterationIS3_Lb0EN6thrust23THRUST_200600_302600_NS6detail15normal_iteratorINS9_10device_ptrIfEEEESE_PS5_SF_jNS0_19identity_decomposerENS1_16block_id_wrapperIjLb0EEEEE10hipError_tT1_PNSt15iterator_traitsISK_E10value_typeET2_T3_PNSL_ISQ_E10value_typeET4_T5_PSV_SW_PNS1_23onesweep_lookback_stateEbbT6_jjT7_P12ihipStream_tbENKUlT_T0_SK_SP_E_clISE_SE_SF_SF_EEDaS13_S14_SK_SP_EUlS13_E_NS1_11comp_targetILNS1_3genE8ELNS1_11target_archE1030ELNS1_3gpuE2ELNS1_3repE0EEENS1_47radix_sort_onesweep_sort_config_static_selectorELNS0_4arch9wavefront6targetE1EEEvSK_.uses_flat_scratch, 0
	.set _ZN7rocprim17ROCPRIM_400000_NS6detail17trampoline_kernelINS0_14default_configENS1_35radix_sort_onesweep_config_selectorIfNS0_10empty_typeEEEZZNS1_29radix_sort_onesweep_iterationIS3_Lb0EN6thrust23THRUST_200600_302600_NS6detail15normal_iteratorINS9_10device_ptrIfEEEESE_PS5_SF_jNS0_19identity_decomposerENS1_16block_id_wrapperIjLb0EEEEE10hipError_tT1_PNSt15iterator_traitsISK_E10value_typeET2_T3_PNSL_ISQ_E10value_typeET4_T5_PSV_SW_PNS1_23onesweep_lookback_stateEbbT6_jjT7_P12ihipStream_tbENKUlT_T0_SK_SP_E_clISE_SE_SF_SF_EEDaS13_S14_SK_SP_EUlS13_E_NS1_11comp_targetILNS1_3genE8ELNS1_11target_archE1030ELNS1_3gpuE2ELNS1_3repE0EEENS1_47radix_sort_onesweep_sort_config_static_selectorELNS0_4arch9wavefront6targetE1EEEvSK_.has_dyn_sized_stack, 0
	.set _ZN7rocprim17ROCPRIM_400000_NS6detail17trampoline_kernelINS0_14default_configENS1_35radix_sort_onesweep_config_selectorIfNS0_10empty_typeEEEZZNS1_29radix_sort_onesweep_iterationIS3_Lb0EN6thrust23THRUST_200600_302600_NS6detail15normal_iteratorINS9_10device_ptrIfEEEESE_PS5_SF_jNS0_19identity_decomposerENS1_16block_id_wrapperIjLb0EEEEE10hipError_tT1_PNSt15iterator_traitsISK_E10value_typeET2_T3_PNSL_ISQ_E10value_typeET4_T5_PSV_SW_PNS1_23onesweep_lookback_stateEbbT6_jjT7_P12ihipStream_tbENKUlT_T0_SK_SP_E_clISE_SE_SF_SF_EEDaS13_S14_SK_SP_EUlS13_E_NS1_11comp_targetILNS1_3genE8ELNS1_11target_archE1030ELNS1_3gpuE2ELNS1_3repE0EEENS1_47radix_sort_onesweep_sort_config_static_selectorELNS0_4arch9wavefront6targetE1EEEvSK_.has_recursion, 0
	.set _ZN7rocprim17ROCPRIM_400000_NS6detail17trampoline_kernelINS0_14default_configENS1_35radix_sort_onesweep_config_selectorIfNS0_10empty_typeEEEZZNS1_29radix_sort_onesweep_iterationIS3_Lb0EN6thrust23THRUST_200600_302600_NS6detail15normal_iteratorINS9_10device_ptrIfEEEESE_PS5_SF_jNS0_19identity_decomposerENS1_16block_id_wrapperIjLb0EEEEE10hipError_tT1_PNSt15iterator_traitsISK_E10value_typeET2_T3_PNSL_ISQ_E10value_typeET4_T5_PSV_SW_PNS1_23onesweep_lookback_stateEbbT6_jjT7_P12ihipStream_tbENKUlT_T0_SK_SP_E_clISE_SE_SF_SF_EEDaS13_S14_SK_SP_EUlS13_E_NS1_11comp_targetILNS1_3genE8ELNS1_11target_archE1030ELNS1_3gpuE2ELNS1_3repE0EEENS1_47radix_sort_onesweep_sort_config_static_selectorELNS0_4arch9wavefront6targetE1EEEvSK_.has_indirect_call, 0
	.section	.AMDGPU.csdata,"",@progbits
; Kernel info:
; codeLenInByte = 0
; TotalNumSgprs: 6
; NumVgprs: 0
; NumAgprs: 0
; TotalNumVgprs: 0
; ScratchSize: 0
; MemoryBound: 0
; FloatMode: 240
; IeeeMode: 1
; LDSByteSize: 0 bytes/workgroup (compile time only)
; SGPRBlocks: 0
; VGPRBlocks: 0
; NumSGPRsForWavesPerEU: 6
; NumVGPRsForWavesPerEU: 1
; AccumOffset: 4
; Occupancy: 8
; WaveLimiterHint : 0
; COMPUTE_PGM_RSRC2:SCRATCH_EN: 0
; COMPUTE_PGM_RSRC2:USER_SGPR: 2
; COMPUTE_PGM_RSRC2:TRAP_HANDLER: 0
; COMPUTE_PGM_RSRC2:TGID_X_EN: 1
; COMPUTE_PGM_RSRC2:TGID_Y_EN: 0
; COMPUTE_PGM_RSRC2:TGID_Z_EN: 0
; COMPUTE_PGM_RSRC2:TIDIG_COMP_CNT: 0
; COMPUTE_PGM_RSRC3_GFX90A:ACCUM_OFFSET: 0
; COMPUTE_PGM_RSRC3_GFX90A:TG_SPLIT: 0
	.section	.text._ZN7rocprim17ROCPRIM_400000_NS6detail17trampoline_kernelINS0_14default_configENS1_35radix_sort_onesweep_config_selectorIfNS0_10empty_typeEEEZZNS1_29radix_sort_onesweep_iterationIS3_Lb0EN6thrust23THRUST_200600_302600_NS6detail15normal_iteratorINS9_10device_ptrIfEEEESE_PS5_SF_jNS0_19identity_decomposerENS1_16block_id_wrapperIjLb0EEEEE10hipError_tT1_PNSt15iterator_traitsISK_E10value_typeET2_T3_PNSL_ISQ_E10value_typeET4_T5_PSV_SW_PNS1_23onesweep_lookback_stateEbbT6_jjT7_P12ihipStream_tbENKUlT_T0_SK_SP_E_clISE_PfSF_SF_EEDaS13_S14_SK_SP_EUlS13_E_NS1_11comp_targetILNS1_3genE0ELNS1_11target_archE4294967295ELNS1_3gpuE0ELNS1_3repE0EEENS1_47radix_sort_onesweep_sort_config_static_selectorELNS0_4arch9wavefront6targetE1EEEvSK_,"axG",@progbits,_ZN7rocprim17ROCPRIM_400000_NS6detail17trampoline_kernelINS0_14default_configENS1_35radix_sort_onesweep_config_selectorIfNS0_10empty_typeEEEZZNS1_29radix_sort_onesweep_iterationIS3_Lb0EN6thrust23THRUST_200600_302600_NS6detail15normal_iteratorINS9_10device_ptrIfEEEESE_PS5_SF_jNS0_19identity_decomposerENS1_16block_id_wrapperIjLb0EEEEE10hipError_tT1_PNSt15iterator_traitsISK_E10value_typeET2_T3_PNSL_ISQ_E10value_typeET4_T5_PSV_SW_PNS1_23onesweep_lookback_stateEbbT6_jjT7_P12ihipStream_tbENKUlT_T0_SK_SP_E_clISE_PfSF_SF_EEDaS13_S14_SK_SP_EUlS13_E_NS1_11comp_targetILNS1_3genE0ELNS1_11target_archE4294967295ELNS1_3gpuE0ELNS1_3repE0EEENS1_47radix_sort_onesweep_sort_config_static_selectorELNS0_4arch9wavefront6targetE1EEEvSK_,comdat
	.protected	_ZN7rocprim17ROCPRIM_400000_NS6detail17trampoline_kernelINS0_14default_configENS1_35radix_sort_onesweep_config_selectorIfNS0_10empty_typeEEEZZNS1_29radix_sort_onesweep_iterationIS3_Lb0EN6thrust23THRUST_200600_302600_NS6detail15normal_iteratorINS9_10device_ptrIfEEEESE_PS5_SF_jNS0_19identity_decomposerENS1_16block_id_wrapperIjLb0EEEEE10hipError_tT1_PNSt15iterator_traitsISK_E10value_typeET2_T3_PNSL_ISQ_E10value_typeET4_T5_PSV_SW_PNS1_23onesweep_lookback_stateEbbT6_jjT7_P12ihipStream_tbENKUlT_T0_SK_SP_E_clISE_PfSF_SF_EEDaS13_S14_SK_SP_EUlS13_E_NS1_11comp_targetILNS1_3genE0ELNS1_11target_archE4294967295ELNS1_3gpuE0ELNS1_3repE0EEENS1_47radix_sort_onesweep_sort_config_static_selectorELNS0_4arch9wavefront6targetE1EEEvSK_ ; -- Begin function _ZN7rocprim17ROCPRIM_400000_NS6detail17trampoline_kernelINS0_14default_configENS1_35radix_sort_onesweep_config_selectorIfNS0_10empty_typeEEEZZNS1_29radix_sort_onesweep_iterationIS3_Lb0EN6thrust23THRUST_200600_302600_NS6detail15normal_iteratorINS9_10device_ptrIfEEEESE_PS5_SF_jNS0_19identity_decomposerENS1_16block_id_wrapperIjLb0EEEEE10hipError_tT1_PNSt15iterator_traitsISK_E10value_typeET2_T3_PNSL_ISQ_E10value_typeET4_T5_PSV_SW_PNS1_23onesweep_lookback_stateEbbT6_jjT7_P12ihipStream_tbENKUlT_T0_SK_SP_E_clISE_PfSF_SF_EEDaS13_S14_SK_SP_EUlS13_E_NS1_11comp_targetILNS1_3genE0ELNS1_11target_archE4294967295ELNS1_3gpuE0ELNS1_3repE0EEENS1_47radix_sort_onesweep_sort_config_static_selectorELNS0_4arch9wavefront6targetE1EEEvSK_
	.globl	_ZN7rocprim17ROCPRIM_400000_NS6detail17trampoline_kernelINS0_14default_configENS1_35radix_sort_onesweep_config_selectorIfNS0_10empty_typeEEEZZNS1_29radix_sort_onesweep_iterationIS3_Lb0EN6thrust23THRUST_200600_302600_NS6detail15normal_iteratorINS9_10device_ptrIfEEEESE_PS5_SF_jNS0_19identity_decomposerENS1_16block_id_wrapperIjLb0EEEEE10hipError_tT1_PNSt15iterator_traitsISK_E10value_typeET2_T3_PNSL_ISQ_E10value_typeET4_T5_PSV_SW_PNS1_23onesweep_lookback_stateEbbT6_jjT7_P12ihipStream_tbENKUlT_T0_SK_SP_E_clISE_PfSF_SF_EEDaS13_S14_SK_SP_EUlS13_E_NS1_11comp_targetILNS1_3genE0ELNS1_11target_archE4294967295ELNS1_3gpuE0ELNS1_3repE0EEENS1_47radix_sort_onesweep_sort_config_static_selectorELNS0_4arch9wavefront6targetE1EEEvSK_
	.p2align	8
	.type	_ZN7rocprim17ROCPRIM_400000_NS6detail17trampoline_kernelINS0_14default_configENS1_35radix_sort_onesweep_config_selectorIfNS0_10empty_typeEEEZZNS1_29radix_sort_onesweep_iterationIS3_Lb0EN6thrust23THRUST_200600_302600_NS6detail15normal_iteratorINS9_10device_ptrIfEEEESE_PS5_SF_jNS0_19identity_decomposerENS1_16block_id_wrapperIjLb0EEEEE10hipError_tT1_PNSt15iterator_traitsISK_E10value_typeET2_T3_PNSL_ISQ_E10value_typeET4_T5_PSV_SW_PNS1_23onesweep_lookback_stateEbbT6_jjT7_P12ihipStream_tbENKUlT_T0_SK_SP_E_clISE_PfSF_SF_EEDaS13_S14_SK_SP_EUlS13_E_NS1_11comp_targetILNS1_3genE0ELNS1_11target_archE4294967295ELNS1_3gpuE0ELNS1_3repE0EEENS1_47radix_sort_onesweep_sort_config_static_selectorELNS0_4arch9wavefront6targetE1EEEvSK_,@function
_ZN7rocprim17ROCPRIM_400000_NS6detail17trampoline_kernelINS0_14default_configENS1_35radix_sort_onesweep_config_selectorIfNS0_10empty_typeEEEZZNS1_29radix_sort_onesweep_iterationIS3_Lb0EN6thrust23THRUST_200600_302600_NS6detail15normal_iteratorINS9_10device_ptrIfEEEESE_PS5_SF_jNS0_19identity_decomposerENS1_16block_id_wrapperIjLb0EEEEE10hipError_tT1_PNSt15iterator_traitsISK_E10value_typeET2_T3_PNSL_ISQ_E10value_typeET4_T5_PSV_SW_PNS1_23onesweep_lookback_stateEbbT6_jjT7_P12ihipStream_tbENKUlT_T0_SK_SP_E_clISE_PfSF_SF_EEDaS13_S14_SK_SP_EUlS13_E_NS1_11comp_targetILNS1_3genE0ELNS1_11target_archE4294967295ELNS1_3gpuE0ELNS1_3repE0EEENS1_47radix_sort_onesweep_sort_config_static_selectorELNS0_4arch9wavefront6targetE1EEEvSK_: ; @_ZN7rocprim17ROCPRIM_400000_NS6detail17trampoline_kernelINS0_14default_configENS1_35radix_sort_onesweep_config_selectorIfNS0_10empty_typeEEEZZNS1_29radix_sort_onesweep_iterationIS3_Lb0EN6thrust23THRUST_200600_302600_NS6detail15normal_iteratorINS9_10device_ptrIfEEEESE_PS5_SF_jNS0_19identity_decomposerENS1_16block_id_wrapperIjLb0EEEEE10hipError_tT1_PNSt15iterator_traitsISK_E10value_typeET2_T3_PNSL_ISQ_E10value_typeET4_T5_PSV_SW_PNS1_23onesweep_lookback_stateEbbT6_jjT7_P12ihipStream_tbENKUlT_T0_SK_SP_E_clISE_PfSF_SF_EEDaS13_S14_SK_SP_EUlS13_E_NS1_11comp_targetILNS1_3genE0ELNS1_11target_archE4294967295ELNS1_3gpuE0ELNS1_3repE0EEENS1_47radix_sort_onesweep_sort_config_static_selectorELNS0_4arch9wavefront6targetE1EEEvSK_
; %bb.0:
	.section	.rodata,"a",@progbits
	.p2align	6, 0x0
	.amdhsa_kernel _ZN7rocprim17ROCPRIM_400000_NS6detail17trampoline_kernelINS0_14default_configENS1_35radix_sort_onesweep_config_selectorIfNS0_10empty_typeEEEZZNS1_29radix_sort_onesweep_iterationIS3_Lb0EN6thrust23THRUST_200600_302600_NS6detail15normal_iteratorINS9_10device_ptrIfEEEESE_PS5_SF_jNS0_19identity_decomposerENS1_16block_id_wrapperIjLb0EEEEE10hipError_tT1_PNSt15iterator_traitsISK_E10value_typeET2_T3_PNSL_ISQ_E10value_typeET4_T5_PSV_SW_PNS1_23onesweep_lookback_stateEbbT6_jjT7_P12ihipStream_tbENKUlT_T0_SK_SP_E_clISE_PfSF_SF_EEDaS13_S14_SK_SP_EUlS13_E_NS1_11comp_targetILNS1_3genE0ELNS1_11target_archE4294967295ELNS1_3gpuE0ELNS1_3repE0EEENS1_47radix_sort_onesweep_sort_config_static_selectorELNS0_4arch9wavefront6targetE1EEEvSK_
		.amdhsa_group_segment_fixed_size 0
		.amdhsa_private_segment_fixed_size 0
		.amdhsa_kernarg_size 88
		.amdhsa_user_sgpr_count 2
		.amdhsa_user_sgpr_dispatch_ptr 0
		.amdhsa_user_sgpr_queue_ptr 0
		.amdhsa_user_sgpr_kernarg_segment_ptr 1
		.amdhsa_user_sgpr_dispatch_id 0
		.amdhsa_user_sgpr_kernarg_preload_length 0
		.amdhsa_user_sgpr_kernarg_preload_offset 0
		.amdhsa_user_sgpr_private_segment_size 0
		.amdhsa_uses_dynamic_stack 0
		.amdhsa_enable_private_segment 0
		.amdhsa_system_sgpr_workgroup_id_x 1
		.amdhsa_system_sgpr_workgroup_id_y 0
		.amdhsa_system_sgpr_workgroup_id_z 0
		.amdhsa_system_sgpr_workgroup_info 0
		.amdhsa_system_vgpr_workitem_id 0
		.amdhsa_next_free_vgpr 1
		.amdhsa_next_free_sgpr 0
		.amdhsa_accum_offset 4
		.amdhsa_reserve_vcc 0
		.amdhsa_float_round_mode_32 0
		.amdhsa_float_round_mode_16_64 0
		.amdhsa_float_denorm_mode_32 3
		.amdhsa_float_denorm_mode_16_64 3
		.amdhsa_dx10_clamp 1
		.amdhsa_ieee_mode 1
		.amdhsa_fp16_overflow 0
		.amdhsa_tg_split 0
		.amdhsa_exception_fp_ieee_invalid_op 0
		.amdhsa_exception_fp_denorm_src 0
		.amdhsa_exception_fp_ieee_div_zero 0
		.amdhsa_exception_fp_ieee_overflow 0
		.amdhsa_exception_fp_ieee_underflow 0
		.amdhsa_exception_fp_ieee_inexact 0
		.amdhsa_exception_int_div_zero 0
	.end_amdhsa_kernel
	.section	.text._ZN7rocprim17ROCPRIM_400000_NS6detail17trampoline_kernelINS0_14default_configENS1_35radix_sort_onesweep_config_selectorIfNS0_10empty_typeEEEZZNS1_29radix_sort_onesweep_iterationIS3_Lb0EN6thrust23THRUST_200600_302600_NS6detail15normal_iteratorINS9_10device_ptrIfEEEESE_PS5_SF_jNS0_19identity_decomposerENS1_16block_id_wrapperIjLb0EEEEE10hipError_tT1_PNSt15iterator_traitsISK_E10value_typeET2_T3_PNSL_ISQ_E10value_typeET4_T5_PSV_SW_PNS1_23onesweep_lookback_stateEbbT6_jjT7_P12ihipStream_tbENKUlT_T0_SK_SP_E_clISE_PfSF_SF_EEDaS13_S14_SK_SP_EUlS13_E_NS1_11comp_targetILNS1_3genE0ELNS1_11target_archE4294967295ELNS1_3gpuE0ELNS1_3repE0EEENS1_47radix_sort_onesweep_sort_config_static_selectorELNS0_4arch9wavefront6targetE1EEEvSK_,"axG",@progbits,_ZN7rocprim17ROCPRIM_400000_NS6detail17trampoline_kernelINS0_14default_configENS1_35radix_sort_onesweep_config_selectorIfNS0_10empty_typeEEEZZNS1_29radix_sort_onesweep_iterationIS3_Lb0EN6thrust23THRUST_200600_302600_NS6detail15normal_iteratorINS9_10device_ptrIfEEEESE_PS5_SF_jNS0_19identity_decomposerENS1_16block_id_wrapperIjLb0EEEEE10hipError_tT1_PNSt15iterator_traitsISK_E10value_typeET2_T3_PNSL_ISQ_E10value_typeET4_T5_PSV_SW_PNS1_23onesweep_lookback_stateEbbT6_jjT7_P12ihipStream_tbENKUlT_T0_SK_SP_E_clISE_PfSF_SF_EEDaS13_S14_SK_SP_EUlS13_E_NS1_11comp_targetILNS1_3genE0ELNS1_11target_archE4294967295ELNS1_3gpuE0ELNS1_3repE0EEENS1_47radix_sort_onesweep_sort_config_static_selectorELNS0_4arch9wavefront6targetE1EEEvSK_,comdat
.Lfunc_end595:
	.size	_ZN7rocprim17ROCPRIM_400000_NS6detail17trampoline_kernelINS0_14default_configENS1_35radix_sort_onesweep_config_selectorIfNS0_10empty_typeEEEZZNS1_29radix_sort_onesweep_iterationIS3_Lb0EN6thrust23THRUST_200600_302600_NS6detail15normal_iteratorINS9_10device_ptrIfEEEESE_PS5_SF_jNS0_19identity_decomposerENS1_16block_id_wrapperIjLb0EEEEE10hipError_tT1_PNSt15iterator_traitsISK_E10value_typeET2_T3_PNSL_ISQ_E10value_typeET4_T5_PSV_SW_PNS1_23onesweep_lookback_stateEbbT6_jjT7_P12ihipStream_tbENKUlT_T0_SK_SP_E_clISE_PfSF_SF_EEDaS13_S14_SK_SP_EUlS13_E_NS1_11comp_targetILNS1_3genE0ELNS1_11target_archE4294967295ELNS1_3gpuE0ELNS1_3repE0EEENS1_47radix_sort_onesweep_sort_config_static_selectorELNS0_4arch9wavefront6targetE1EEEvSK_, .Lfunc_end595-_ZN7rocprim17ROCPRIM_400000_NS6detail17trampoline_kernelINS0_14default_configENS1_35radix_sort_onesweep_config_selectorIfNS0_10empty_typeEEEZZNS1_29radix_sort_onesweep_iterationIS3_Lb0EN6thrust23THRUST_200600_302600_NS6detail15normal_iteratorINS9_10device_ptrIfEEEESE_PS5_SF_jNS0_19identity_decomposerENS1_16block_id_wrapperIjLb0EEEEE10hipError_tT1_PNSt15iterator_traitsISK_E10value_typeET2_T3_PNSL_ISQ_E10value_typeET4_T5_PSV_SW_PNS1_23onesweep_lookback_stateEbbT6_jjT7_P12ihipStream_tbENKUlT_T0_SK_SP_E_clISE_PfSF_SF_EEDaS13_S14_SK_SP_EUlS13_E_NS1_11comp_targetILNS1_3genE0ELNS1_11target_archE4294967295ELNS1_3gpuE0ELNS1_3repE0EEENS1_47radix_sort_onesweep_sort_config_static_selectorELNS0_4arch9wavefront6targetE1EEEvSK_
                                        ; -- End function
	.set _ZN7rocprim17ROCPRIM_400000_NS6detail17trampoline_kernelINS0_14default_configENS1_35radix_sort_onesweep_config_selectorIfNS0_10empty_typeEEEZZNS1_29radix_sort_onesweep_iterationIS3_Lb0EN6thrust23THRUST_200600_302600_NS6detail15normal_iteratorINS9_10device_ptrIfEEEESE_PS5_SF_jNS0_19identity_decomposerENS1_16block_id_wrapperIjLb0EEEEE10hipError_tT1_PNSt15iterator_traitsISK_E10value_typeET2_T3_PNSL_ISQ_E10value_typeET4_T5_PSV_SW_PNS1_23onesweep_lookback_stateEbbT6_jjT7_P12ihipStream_tbENKUlT_T0_SK_SP_E_clISE_PfSF_SF_EEDaS13_S14_SK_SP_EUlS13_E_NS1_11comp_targetILNS1_3genE0ELNS1_11target_archE4294967295ELNS1_3gpuE0ELNS1_3repE0EEENS1_47radix_sort_onesweep_sort_config_static_selectorELNS0_4arch9wavefront6targetE1EEEvSK_.num_vgpr, 0
	.set _ZN7rocprim17ROCPRIM_400000_NS6detail17trampoline_kernelINS0_14default_configENS1_35radix_sort_onesweep_config_selectorIfNS0_10empty_typeEEEZZNS1_29radix_sort_onesweep_iterationIS3_Lb0EN6thrust23THRUST_200600_302600_NS6detail15normal_iteratorINS9_10device_ptrIfEEEESE_PS5_SF_jNS0_19identity_decomposerENS1_16block_id_wrapperIjLb0EEEEE10hipError_tT1_PNSt15iterator_traitsISK_E10value_typeET2_T3_PNSL_ISQ_E10value_typeET4_T5_PSV_SW_PNS1_23onesweep_lookback_stateEbbT6_jjT7_P12ihipStream_tbENKUlT_T0_SK_SP_E_clISE_PfSF_SF_EEDaS13_S14_SK_SP_EUlS13_E_NS1_11comp_targetILNS1_3genE0ELNS1_11target_archE4294967295ELNS1_3gpuE0ELNS1_3repE0EEENS1_47radix_sort_onesweep_sort_config_static_selectorELNS0_4arch9wavefront6targetE1EEEvSK_.num_agpr, 0
	.set _ZN7rocprim17ROCPRIM_400000_NS6detail17trampoline_kernelINS0_14default_configENS1_35radix_sort_onesweep_config_selectorIfNS0_10empty_typeEEEZZNS1_29radix_sort_onesweep_iterationIS3_Lb0EN6thrust23THRUST_200600_302600_NS6detail15normal_iteratorINS9_10device_ptrIfEEEESE_PS5_SF_jNS0_19identity_decomposerENS1_16block_id_wrapperIjLb0EEEEE10hipError_tT1_PNSt15iterator_traitsISK_E10value_typeET2_T3_PNSL_ISQ_E10value_typeET4_T5_PSV_SW_PNS1_23onesweep_lookback_stateEbbT6_jjT7_P12ihipStream_tbENKUlT_T0_SK_SP_E_clISE_PfSF_SF_EEDaS13_S14_SK_SP_EUlS13_E_NS1_11comp_targetILNS1_3genE0ELNS1_11target_archE4294967295ELNS1_3gpuE0ELNS1_3repE0EEENS1_47radix_sort_onesweep_sort_config_static_selectorELNS0_4arch9wavefront6targetE1EEEvSK_.numbered_sgpr, 0
	.set _ZN7rocprim17ROCPRIM_400000_NS6detail17trampoline_kernelINS0_14default_configENS1_35radix_sort_onesweep_config_selectorIfNS0_10empty_typeEEEZZNS1_29radix_sort_onesweep_iterationIS3_Lb0EN6thrust23THRUST_200600_302600_NS6detail15normal_iteratorINS9_10device_ptrIfEEEESE_PS5_SF_jNS0_19identity_decomposerENS1_16block_id_wrapperIjLb0EEEEE10hipError_tT1_PNSt15iterator_traitsISK_E10value_typeET2_T3_PNSL_ISQ_E10value_typeET4_T5_PSV_SW_PNS1_23onesweep_lookback_stateEbbT6_jjT7_P12ihipStream_tbENKUlT_T0_SK_SP_E_clISE_PfSF_SF_EEDaS13_S14_SK_SP_EUlS13_E_NS1_11comp_targetILNS1_3genE0ELNS1_11target_archE4294967295ELNS1_3gpuE0ELNS1_3repE0EEENS1_47radix_sort_onesweep_sort_config_static_selectorELNS0_4arch9wavefront6targetE1EEEvSK_.num_named_barrier, 0
	.set _ZN7rocprim17ROCPRIM_400000_NS6detail17trampoline_kernelINS0_14default_configENS1_35radix_sort_onesweep_config_selectorIfNS0_10empty_typeEEEZZNS1_29radix_sort_onesweep_iterationIS3_Lb0EN6thrust23THRUST_200600_302600_NS6detail15normal_iteratorINS9_10device_ptrIfEEEESE_PS5_SF_jNS0_19identity_decomposerENS1_16block_id_wrapperIjLb0EEEEE10hipError_tT1_PNSt15iterator_traitsISK_E10value_typeET2_T3_PNSL_ISQ_E10value_typeET4_T5_PSV_SW_PNS1_23onesweep_lookback_stateEbbT6_jjT7_P12ihipStream_tbENKUlT_T0_SK_SP_E_clISE_PfSF_SF_EEDaS13_S14_SK_SP_EUlS13_E_NS1_11comp_targetILNS1_3genE0ELNS1_11target_archE4294967295ELNS1_3gpuE0ELNS1_3repE0EEENS1_47radix_sort_onesweep_sort_config_static_selectorELNS0_4arch9wavefront6targetE1EEEvSK_.private_seg_size, 0
	.set _ZN7rocprim17ROCPRIM_400000_NS6detail17trampoline_kernelINS0_14default_configENS1_35radix_sort_onesweep_config_selectorIfNS0_10empty_typeEEEZZNS1_29radix_sort_onesweep_iterationIS3_Lb0EN6thrust23THRUST_200600_302600_NS6detail15normal_iteratorINS9_10device_ptrIfEEEESE_PS5_SF_jNS0_19identity_decomposerENS1_16block_id_wrapperIjLb0EEEEE10hipError_tT1_PNSt15iterator_traitsISK_E10value_typeET2_T3_PNSL_ISQ_E10value_typeET4_T5_PSV_SW_PNS1_23onesweep_lookback_stateEbbT6_jjT7_P12ihipStream_tbENKUlT_T0_SK_SP_E_clISE_PfSF_SF_EEDaS13_S14_SK_SP_EUlS13_E_NS1_11comp_targetILNS1_3genE0ELNS1_11target_archE4294967295ELNS1_3gpuE0ELNS1_3repE0EEENS1_47radix_sort_onesweep_sort_config_static_selectorELNS0_4arch9wavefront6targetE1EEEvSK_.uses_vcc, 0
	.set _ZN7rocprim17ROCPRIM_400000_NS6detail17trampoline_kernelINS0_14default_configENS1_35radix_sort_onesweep_config_selectorIfNS0_10empty_typeEEEZZNS1_29radix_sort_onesweep_iterationIS3_Lb0EN6thrust23THRUST_200600_302600_NS6detail15normal_iteratorINS9_10device_ptrIfEEEESE_PS5_SF_jNS0_19identity_decomposerENS1_16block_id_wrapperIjLb0EEEEE10hipError_tT1_PNSt15iterator_traitsISK_E10value_typeET2_T3_PNSL_ISQ_E10value_typeET4_T5_PSV_SW_PNS1_23onesweep_lookback_stateEbbT6_jjT7_P12ihipStream_tbENKUlT_T0_SK_SP_E_clISE_PfSF_SF_EEDaS13_S14_SK_SP_EUlS13_E_NS1_11comp_targetILNS1_3genE0ELNS1_11target_archE4294967295ELNS1_3gpuE0ELNS1_3repE0EEENS1_47radix_sort_onesweep_sort_config_static_selectorELNS0_4arch9wavefront6targetE1EEEvSK_.uses_flat_scratch, 0
	.set _ZN7rocprim17ROCPRIM_400000_NS6detail17trampoline_kernelINS0_14default_configENS1_35radix_sort_onesweep_config_selectorIfNS0_10empty_typeEEEZZNS1_29radix_sort_onesweep_iterationIS3_Lb0EN6thrust23THRUST_200600_302600_NS6detail15normal_iteratorINS9_10device_ptrIfEEEESE_PS5_SF_jNS0_19identity_decomposerENS1_16block_id_wrapperIjLb0EEEEE10hipError_tT1_PNSt15iterator_traitsISK_E10value_typeET2_T3_PNSL_ISQ_E10value_typeET4_T5_PSV_SW_PNS1_23onesweep_lookback_stateEbbT6_jjT7_P12ihipStream_tbENKUlT_T0_SK_SP_E_clISE_PfSF_SF_EEDaS13_S14_SK_SP_EUlS13_E_NS1_11comp_targetILNS1_3genE0ELNS1_11target_archE4294967295ELNS1_3gpuE0ELNS1_3repE0EEENS1_47radix_sort_onesweep_sort_config_static_selectorELNS0_4arch9wavefront6targetE1EEEvSK_.has_dyn_sized_stack, 0
	.set _ZN7rocprim17ROCPRIM_400000_NS6detail17trampoline_kernelINS0_14default_configENS1_35radix_sort_onesweep_config_selectorIfNS0_10empty_typeEEEZZNS1_29radix_sort_onesweep_iterationIS3_Lb0EN6thrust23THRUST_200600_302600_NS6detail15normal_iteratorINS9_10device_ptrIfEEEESE_PS5_SF_jNS0_19identity_decomposerENS1_16block_id_wrapperIjLb0EEEEE10hipError_tT1_PNSt15iterator_traitsISK_E10value_typeET2_T3_PNSL_ISQ_E10value_typeET4_T5_PSV_SW_PNS1_23onesweep_lookback_stateEbbT6_jjT7_P12ihipStream_tbENKUlT_T0_SK_SP_E_clISE_PfSF_SF_EEDaS13_S14_SK_SP_EUlS13_E_NS1_11comp_targetILNS1_3genE0ELNS1_11target_archE4294967295ELNS1_3gpuE0ELNS1_3repE0EEENS1_47radix_sort_onesweep_sort_config_static_selectorELNS0_4arch9wavefront6targetE1EEEvSK_.has_recursion, 0
	.set _ZN7rocprim17ROCPRIM_400000_NS6detail17trampoline_kernelINS0_14default_configENS1_35radix_sort_onesweep_config_selectorIfNS0_10empty_typeEEEZZNS1_29radix_sort_onesweep_iterationIS3_Lb0EN6thrust23THRUST_200600_302600_NS6detail15normal_iteratorINS9_10device_ptrIfEEEESE_PS5_SF_jNS0_19identity_decomposerENS1_16block_id_wrapperIjLb0EEEEE10hipError_tT1_PNSt15iterator_traitsISK_E10value_typeET2_T3_PNSL_ISQ_E10value_typeET4_T5_PSV_SW_PNS1_23onesweep_lookback_stateEbbT6_jjT7_P12ihipStream_tbENKUlT_T0_SK_SP_E_clISE_PfSF_SF_EEDaS13_S14_SK_SP_EUlS13_E_NS1_11comp_targetILNS1_3genE0ELNS1_11target_archE4294967295ELNS1_3gpuE0ELNS1_3repE0EEENS1_47radix_sort_onesweep_sort_config_static_selectorELNS0_4arch9wavefront6targetE1EEEvSK_.has_indirect_call, 0
	.section	.AMDGPU.csdata,"",@progbits
; Kernel info:
; codeLenInByte = 0
; TotalNumSgprs: 6
; NumVgprs: 0
; NumAgprs: 0
; TotalNumVgprs: 0
; ScratchSize: 0
; MemoryBound: 0
; FloatMode: 240
; IeeeMode: 1
; LDSByteSize: 0 bytes/workgroup (compile time only)
; SGPRBlocks: 0
; VGPRBlocks: 0
; NumSGPRsForWavesPerEU: 6
; NumVGPRsForWavesPerEU: 1
; AccumOffset: 4
; Occupancy: 8
; WaveLimiterHint : 0
; COMPUTE_PGM_RSRC2:SCRATCH_EN: 0
; COMPUTE_PGM_RSRC2:USER_SGPR: 2
; COMPUTE_PGM_RSRC2:TRAP_HANDLER: 0
; COMPUTE_PGM_RSRC2:TGID_X_EN: 1
; COMPUTE_PGM_RSRC2:TGID_Y_EN: 0
; COMPUTE_PGM_RSRC2:TGID_Z_EN: 0
; COMPUTE_PGM_RSRC2:TIDIG_COMP_CNT: 0
; COMPUTE_PGM_RSRC3_GFX90A:ACCUM_OFFSET: 0
; COMPUTE_PGM_RSRC3_GFX90A:TG_SPLIT: 0
	.section	.text._ZN7rocprim17ROCPRIM_400000_NS6detail17trampoline_kernelINS0_14default_configENS1_35radix_sort_onesweep_config_selectorIfNS0_10empty_typeEEEZZNS1_29radix_sort_onesweep_iterationIS3_Lb0EN6thrust23THRUST_200600_302600_NS6detail15normal_iteratorINS9_10device_ptrIfEEEESE_PS5_SF_jNS0_19identity_decomposerENS1_16block_id_wrapperIjLb0EEEEE10hipError_tT1_PNSt15iterator_traitsISK_E10value_typeET2_T3_PNSL_ISQ_E10value_typeET4_T5_PSV_SW_PNS1_23onesweep_lookback_stateEbbT6_jjT7_P12ihipStream_tbENKUlT_T0_SK_SP_E_clISE_PfSF_SF_EEDaS13_S14_SK_SP_EUlS13_E_NS1_11comp_targetILNS1_3genE6ELNS1_11target_archE950ELNS1_3gpuE13ELNS1_3repE0EEENS1_47radix_sort_onesweep_sort_config_static_selectorELNS0_4arch9wavefront6targetE1EEEvSK_,"axG",@progbits,_ZN7rocprim17ROCPRIM_400000_NS6detail17trampoline_kernelINS0_14default_configENS1_35radix_sort_onesweep_config_selectorIfNS0_10empty_typeEEEZZNS1_29radix_sort_onesweep_iterationIS3_Lb0EN6thrust23THRUST_200600_302600_NS6detail15normal_iteratorINS9_10device_ptrIfEEEESE_PS5_SF_jNS0_19identity_decomposerENS1_16block_id_wrapperIjLb0EEEEE10hipError_tT1_PNSt15iterator_traitsISK_E10value_typeET2_T3_PNSL_ISQ_E10value_typeET4_T5_PSV_SW_PNS1_23onesweep_lookback_stateEbbT6_jjT7_P12ihipStream_tbENKUlT_T0_SK_SP_E_clISE_PfSF_SF_EEDaS13_S14_SK_SP_EUlS13_E_NS1_11comp_targetILNS1_3genE6ELNS1_11target_archE950ELNS1_3gpuE13ELNS1_3repE0EEENS1_47radix_sort_onesweep_sort_config_static_selectorELNS0_4arch9wavefront6targetE1EEEvSK_,comdat
	.protected	_ZN7rocprim17ROCPRIM_400000_NS6detail17trampoline_kernelINS0_14default_configENS1_35radix_sort_onesweep_config_selectorIfNS0_10empty_typeEEEZZNS1_29radix_sort_onesweep_iterationIS3_Lb0EN6thrust23THRUST_200600_302600_NS6detail15normal_iteratorINS9_10device_ptrIfEEEESE_PS5_SF_jNS0_19identity_decomposerENS1_16block_id_wrapperIjLb0EEEEE10hipError_tT1_PNSt15iterator_traitsISK_E10value_typeET2_T3_PNSL_ISQ_E10value_typeET4_T5_PSV_SW_PNS1_23onesweep_lookback_stateEbbT6_jjT7_P12ihipStream_tbENKUlT_T0_SK_SP_E_clISE_PfSF_SF_EEDaS13_S14_SK_SP_EUlS13_E_NS1_11comp_targetILNS1_3genE6ELNS1_11target_archE950ELNS1_3gpuE13ELNS1_3repE0EEENS1_47radix_sort_onesweep_sort_config_static_selectorELNS0_4arch9wavefront6targetE1EEEvSK_ ; -- Begin function _ZN7rocprim17ROCPRIM_400000_NS6detail17trampoline_kernelINS0_14default_configENS1_35radix_sort_onesweep_config_selectorIfNS0_10empty_typeEEEZZNS1_29radix_sort_onesweep_iterationIS3_Lb0EN6thrust23THRUST_200600_302600_NS6detail15normal_iteratorINS9_10device_ptrIfEEEESE_PS5_SF_jNS0_19identity_decomposerENS1_16block_id_wrapperIjLb0EEEEE10hipError_tT1_PNSt15iterator_traitsISK_E10value_typeET2_T3_PNSL_ISQ_E10value_typeET4_T5_PSV_SW_PNS1_23onesweep_lookback_stateEbbT6_jjT7_P12ihipStream_tbENKUlT_T0_SK_SP_E_clISE_PfSF_SF_EEDaS13_S14_SK_SP_EUlS13_E_NS1_11comp_targetILNS1_3genE6ELNS1_11target_archE950ELNS1_3gpuE13ELNS1_3repE0EEENS1_47radix_sort_onesweep_sort_config_static_selectorELNS0_4arch9wavefront6targetE1EEEvSK_
	.globl	_ZN7rocprim17ROCPRIM_400000_NS6detail17trampoline_kernelINS0_14default_configENS1_35radix_sort_onesweep_config_selectorIfNS0_10empty_typeEEEZZNS1_29radix_sort_onesweep_iterationIS3_Lb0EN6thrust23THRUST_200600_302600_NS6detail15normal_iteratorINS9_10device_ptrIfEEEESE_PS5_SF_jNS0_19identity_decomposerENS1_16block_id_wrapperIjLb0EEEEE10hipError_tT1_PNSt15iterator_traitsISK_E10value_typeET2_T3_PNSL_ISQ_E10value_typeET4_T5_PSV_SW_PNS1_23onesweep_lookback_stateEbbT6_jjT7_P12ihipStream_tbENKUlT_T0_SK_SP_E_clISE_PfSF_SF_EEDaS13_S14_SK_SP_EUlS13_E_NS1_11comp_targetILNS1_3genE6ELNS1_11target_archE950ELNS1_3gpuE13ELNS1_3repE0EEENS1_47radix_sort_onesweep_sort_config_static_selectorELNS0_4arch9wavefront6targetE1EEEvSK_
	.p2align	8
	.type	_ZN7rocprim17ROCPRIM_400000_NS6detail17trampoline_kernelINS0_14default_configENS1_35radix_sort_onesweep_config_selectorIfNS0_10empty_typeEEEZZNS1_29radix_sort_onesweep_iterationIS3_Lb0EN6thrust23THRUST_200600_302600_NS6detail15normal_iteratorINS9_10device_ptrIfEEEESE_PS5_SF_jNS0_19identity_decomposerENS1_16block_id_wrapperIjLb0EEEEE10hipError_tT1_PNSt15iterator_traitsISK_E10value_typeET2_T3_PNSL_ISQ_E10value_typeET4_T5_PSV_SW_PNS1_23onesweep_lookback_stateEbbT6_jjT7_P12ihipStream_tbENKUlT_T0_SK_SP_E_clISE_PfSF_SF_EEDaS13_S14_SK_SP_EUlS13_E_NS1_11comp_targetILNS1_3genE6ELNS1_11target_archE950ELNS1_3gpuE13ELNS1_3repE0EEENS1_47radix_sort_onesweep_sort_config_static_selectorELNS0_4arch9wavefront6targetE1EEEvSK_,@function
_ZN7rocprim17ROCPRIM_400000_NS6detail17trampoline_kernelINS0_14default_configENS1_35radix_sort_onesweep_config_selectorIfNS0_10empty_typeEEEZZNS1_29radix_sort_onesweep_iterationIS3_Lb0EN6thrust23THRUST_200600_302600_NS6detail15normal_iteratorINS9_10device_ptrIfEEEESE_PS5_SF_jNS0_19identity_decomposerENS1_16block_id_wrapperIjLb0EEEEE10hipError_tT1_PNSt15iterator_traitsISK_E10value_typeET2_T3_PNSL_ISQ_E10value_typeET4_T5_PSV_SW_PNS1_23onesweep_lookback_stateEbbT6_jjT7_P12ihipStream_tbENKUlT_T0_SK_SP_E_clISE_PfSF_SF_EEDaS13_S14_SK_SP_EUlS13_E_NS1_11comp_targetILNS1_3genE6ELNS1_11target_archE950ELNS1_3gpuE13ELNS1_3repE0EEENS1_47radix_sort_onesweep_sort_config_static_selectorELNS0_4arch9wavefront6targetE1EEEvSK_: ; @_ZN7rocprim17ROCPRIM_400000_NS6detail17trampoline_kernelINS0_14default_configENS1_35radix_sort_onesweep_config_selectorIfNS0_10empty_typeEEEZZNS1_29radix_sort_onesweep_iterationIS3_Lb0EN6thrust23THRUST_200600_302600_NS6detail15normal_iteratorINS9_10device_ptrIfEEEESE_PS5_SF_jNS0_19identity_decomposerENS1_16block_id_wrapperIjLb0EEEEE10hipError_tT1_PNSt15iterator_traitsISK_E10value_typeET2_T3_PNSL_ISQ_E10value_typeET4_T5_PSV_SW_PNS1_23onesweep_lookback_stateEbbT6_jjT7_P12ihipStream_tbENKUlT_T0_SK_SP_E_clISE_PfSF_SF_EEDaS13_S14_SK_SP_EUlS13_E_NS1_11comp_targetILNS1_3genE6ELNS1_11target_archE950ELNS1_3gpuE13ELNS1_3repE0EEENS1_47radix_sort_onesweep_sort_config_static_selectorELNS0_4arch9wavefront6targetE1EEEvSK_
; %bb.0:
	s_load_dwordx2 s[28:29], s[0:1], 0x38
	s_load_dwordx4 s[20:23], s[0:1], 0x44
	s_load_dwordx4 s[24:27], s[0:1], 0x0
	;; [unrolled: 1-line block ×3, first 2 shown]
	s_mov_b64 s[4:5], -1
	v_mbcnt_lo_u32_b32 v1, -1, 0
	s_waitcnt lgkmcnt(0)
	s_cmp_ge_u32 s2, s22
	s_cbranch_scc0 .LBB596_82
; %bb.1:
	s_load_dword s3, s[0:1], 0x20
	s_lshl_b32 s6, s22, 13
	s_lshl_b32 s4, s2, 13
	s_mov_b32 s5, 0
	v_and_b32_e32 v10, 0x3ff, v0
	s_waitcnt lgkmcnt(0)
	s_sub_i32 s3, s3, s6
	s_lshl_b64 s[4:5], s[4:5], 2
	v_mbcnt_hi_u32_b32 v16, -1, v1
	s_add_u32 s4, s24, s4
	v_and_b32_e32 v6, 63, v16
	v_lshlrev_b32_e32 v2, 3, v10
	s_addc_u32 s5, s25, s5
	v_and_b32_e32 v7, 0x1e00, v2
	v_lshlrev_b32_e32 v2, 2, v6
	v_mov_b32_e32 v3, 0
	v_lshl_add_u64 v[4:5], s[4:5], 0, v[2:3]
	v_lshlrev_b32_e32 v2, 2, v7
	v_lshl_add_u64 v[12:13], v[4:5], 0, v[2:3]
	v_or_b32_e32 v11, v6, v7
	v_bfrev_b32_e32 v2, -2
	v_cmp_gt_u32_e32 vcc, s3, v11
	v_mov_b32_e32 v3, v2
	v_mov_b32_e32 v4, v2
	;; [unrolled: 1-line block ×7, first 2 shown]
	s_and_saveexec_b64 s[4:5], vcc
	s_cbranch_execz .LBB596_3
; %bb.2:
	global_load_dword v18, v[12:13], off
	v_mov_b32_e32 v19, v2
	v_mov_b32_e32 v20, v2
	;; [unrolled: 1-line block ×7, first 2 shown]
	s_waitcnt vmcnt(0)
	v_mov_b64_e32 v[2:3], v[18:19]
	v_mov_b64_e32 v[4:5], v[20:21]
	v_mov_b64_e32 v[6:7], v[22:23]
	v_mov_b64_e32 v[8:9], v[24:25]
.LBB596_3:
	s_or_b64 exec, exec, s[4:5]
	v_or_b32_e32 v14, 64, v11
	v_cmp_gt_u32_e32 vcc, s3, v14
	s_and_saveexec_b64 s[4:5], vcc
	s_cbranch_execz .LBB596_5
; %bb.4:
	global_load_dword v3, v[12:13], off offset:256
.LBB596_5:
	s_or_b64 exec, exec, s[4:5]
	v_or_b32_e32 v14, 0x80, v11
	v_cmp_gt_u32_e32 vcc, s3, v14
	s_and_saveexec_b64 s[4:5], vcc
	s_cbranch_execz .LBB596_7
; %bb.6:
	global_load_dword v4, v[12:13], off offset:512
.LBB596_7:
	;; [unrolled: 8-line block ×7, first 2 shown]
	s_or_b64 exec, exec, s[4:5]
	s_load_dword s4, s[0:1], 0x64
	s_load_dword s22, s[0:1], 0x58
	s_add_u32 s5, s0, 0x58
	s_addc_u32 s6, s1, 0
	v_mov_b32_e32 v13, 0
	s_waitcnt lgkmcnt(0)
	s_lshr_b32 s7, s4, 16
	s_cmp_lt_u32 s2, s22
	s_cselect_b32 s4, 12, 18
	s_add_u32 s4, s5, s4
	s_addc_u32 s5, s6, 0
	global_load_ushort v18, v13, s[4:5]
	v_bfrev_b32_e32 v19, 1
	v_cmp_lt_i32_e32 vcc, -1, v2
	s_brev_b32 s30, -2
	s_lshl_b32 s4, -1, s21
	v_cndmask_b32_e32 v11, -1, v19, vcc
	v_xor_b32_e32 v11, v11, v2
	v_cmp_ne_u32_e32 vcc, s30, v11
	v_bfe_u32 v12, v0, 10, 10
	v_bfe_u32 v15, v0, 20, 10
	v_cndmask_b32_e32 v2, v19, v11, vcc
	v_lshrrev_b32_e32 v2, s20, v2
	v_bitop3_b32 v2, v2, s4, v2 bitop3:0x30
	v_mad_u32_u24 v32, v15, s7, v12
	v_and_b32_e32 v12, 1, v2
	v_lshlrev_b32_e32 v15, 30, v2
	v_mov_b32_e32 v14, v13
	v_mov_b32_e32 v22, v13
	v_lshlrev_b32_e32 v21, 29, v2
	v_lshlrev_b32_e32 v23, 28, v2
	v_lshl_add_u64 v[28:29], v[12:13], 0, -1
	v_cmp_ne_u32_e32 vcc, 0, v12
	v_not_b32_e32 v12, v15
	v_mov_b32_e32 v20, v13
	v_mov_b32_e32 v24, v13
	s_not_b32 s23, s4
	v_lshlrev_b32_e32 v25, 27, v2
	v_cmp_gt_i64_e64 s[4:5], 0, v[14:15]
	v_not_b32_e32 v14, v21
	v_cmp_gt_i64_e64 s[8:9], 0, v[22:23]
	v_xor_b32_e32 v22, vcc_hi, v29
	v_ashrrev_i32_e32 v12, 31, v12
	v_cmp_gt_i64_e64 s[6:7], 0, v[20:21]
	v_not_b32_e32 v15, v23
	v_cmp_gt_i64_e64 s[10:11], 0, v[24:25]
	v_xor_b32_e32 v23, vcc_lo, v28
	v_ashrrev_i32_e32 v14, 31, v14
	v_and_b32_e32 v22, exec_hi, v22
	v_xor_b32_e32 v24, s5, v12
	v_mov_b32_e32 v26, v13
	v_lshlrev_b32_e32 v27, 26, v2
	v_not_b32_e32 v20, v25
	v_ashrrev_i32_e32 v15, 31, v15
	v_and_b32_e32 v23, exec_lo, v23
	v_xor_b32_e32 v12, s4, v12
	v_xor_b32_e32 v25, s7, v14
	v_and_b32_e32 v22, v22, v24
	v_cmp_gt_i64_e64 s[12:13], 0, v[26:27]
	v_not_b32_e32 v21, v27
	v_ashrrev_i32_e32 v20, 31, v20
	v_xor_b32_e32 v14, s6, v14
	v_xor_b32_e32 v26, s9, v15
	v_and_b32_e32 v12, v23, v12
	v_and_b32_e32 v22, v22, v25
	v_ashrrev_i32_e32 v21, 31, v21
	v_xor_b32_e32 v15, s8, v15
	v_xor_b32_e32 v27, s11, v20
	v_and_b32_e32 v12, v12, v14
	v_and_b32_e32 v14, v22, v26
	v_xor_b32_e32 v20, s10, v20
	v_xor_b32_e32 v28, s13, v21
	v_and_b32_e32 v12, v12, v15
	v_and_b32_e32 v14, v14, v27
	;; [unrolled: 1-line block ×4, first 2 shown]
	v_lshlrev_b32_e32 v31, 25, v2
	v_mov_b32_e32 v30, v13
	v_cmp_gt_i64_e64 s[14:15], 0, v[30:31]
	v_xor_b32_e32 v21, s12, v21
	s_movk_i32 s31, 0x44
	v_and_b32_e32 v12, v12, v21
	v_mul_lo_u32 v33, v2, s31
	v_mul_u32_u24_e32 v17, 20, v10
	ds_write2_b32 v17, v13, v13 offset0:16 offset1:17
	ds_write2_b32 v17, v13, v13 offset0:18 offset1:19
	ds_write_b32 v17, v13 offset:80
	s_waitcnt lgkmcnt(0)
	s_barrier
	s_waitcnt vmcnt(0)
	; wave barrier
	v_mad_u64_u32 v[14:15], s[4:5], v32, v18, v[10:11]
	v_lshrrev_b32_e32 v14, 4, v14
	v_and_b32_e32 v29, 0xffffffc, v14
	v_not_b32_e32 v14, v31
	v_ashrrev_i32_e32 v14, 31, v14
	v_xor_b32_e32 v15, s15, v14
	v_xor_b32_e32 v14, s14, v14
	v_and_b32_e32 v18, v20, v15
	v_lshlrev_b32_e32 v15, 24, v2
	v_and_b32_e32 v12, v12, v14
	v_mov_b32_e32 v14, v13
	v_not_b32_e32 v2, v15
	v_cmp_gt_i64_e32 vcc, 0, v[14:15]
	v_ashrrev_i32_e32 v2, 31, v2
	v_add_u32_e32 v22, v29, v33
	v_xor_b32_e32 v14, vcc_hi, v2
	v_xor_b32_e32 v2, vcc_lo, v2
	v_and_b32_e32 v15, v18, v14
	v_and_b32_e32 v14, v12, v2
	v_mbcnt_lo_u32_b32 v2, v14, 0
	v_mbcnt_hi_u32_b32 v18, v15, v2
	v_cmp_eq_u32_e32 vcc, 0, v18
	v_cmp_ne_u64_e64 s[4:5], 0, v[14:15]
	s_and_b64 s[6:7], s[4:5], vcc
	s_and_saveexec_b64 s[4:5], s[6:7]
; %bb.18:
	v_bcnt_u32_b32 v2, v14, 0
	v_bcnt_u32_b32 v2, v15, v2
	ds_write_b32 v22, v2 offset:64
; %bb.19:
	s_or_b64 exec, exec, s[4:5]
	v_cmp_lt_i32_e32 vcc, -1, v3
	; wave barrier
	s_nop 1
	v_cndmask_b32_e32 v2, -1, v19, vcc
	v_xor_b32_e32 v14, v2, v3
	v_cmp_ne_u32_e32 vcc, s30, v14
	s_nop 1
	v_cndmask_b32_e32 v2, v19, v14, vcc
	v_lshrrev_b32_e32 v2, s20, v2
	v_and_b32_e32 v15, s23, v2
	v_mul_lo_u32 v2, v15, s31
	v_and_b32_e32 v12, 1, v15
	v_add_u32_e32 v23, v29, v2
	v_lshl_add_u64 v[2:3], v[12:13], 0, -1
	v_cmp_ne_u32_e32 vcc, 0, v12
	ds_read_b32 v19, v23 offset:64
	s_nop 0
	v_xor_b32_e32 v3, vcc_hi, v3
	v_xor_b32_e32 v2, vcc_lo, v2
	v_and_b32_e32 v12, exec_hi, v3
	v_and_b32_e32 v20, exec_lo, v2
	v_lshlrev_b32_e32 v3, 30, v15
	v_mov_b32_e32 v2, v13
	v_cmp_gt_i64_e32 vcc, 0, v[2:3]
	v_not_b32_e32 v2, v3
	v_ashrrev_i32_e32 v2, 31, v2
	v_xor_b32_e32 v3, vcc_hi, v2
	v_xor_b32_e32 v2, vcc_lo, v2
	v_and_b32_e32 v12, v12, v3
	v_and_b32_e32 v20, v20, v2
	v_lshlrev_b32_e32 v3, 29, v15
	v_mov_b32_e32 v2, v13
	v_cmp_gt_i64_e32 vcc, 0, v[2:3]
	v_not_b32_e32 v2, v3
	v_ashrrev_i32_e32 v2, 31, v2
	v_xor_b32_e32 v3, vcc_hi, v2
	v_xor_b32_e32 v2, vcc_lo, v2
	v_and_b32_e32 v12, v12, v3
	v_and_b32_e32 v20, v20, v2
	;; [unrolled: 9-line block ×7, first 2 shown]
	v_mbcnt_lo_u32_b32 v12, v2, 0
	v_mbcnt_hi_u32_b32 v20, v3, v12
	v_cmp_eq_u32_e32 vcc, 0, v20
	v_cmp_ne_u64_e64 s[4:5], 0, v[2:3]
	s_and_b64 s[6:7], s[4:5], vcc
	; wave barrier
	s_and_saveexec_b64 s[4:5], s[6:7]
	s_cbranch_execz .LBB596_21
; %bb.20:
	v_bcnt_u32_b32 v2, v2, 0
	v_bcnt_u32_b32 v2, v3, v2
	s_waitcnt lgkmcnt(0)
	v_add_u32_e32 v2, v19, v2
	ds_write_b32 v23, v2 offset:64
.LBB596_21:
	s_or_b64 exec, exec, s[4:5]
	v_bfrev_b32_e32 v24, 1
	v_cmp_lt_i32_e32 vcc, -1, v4
	s_brev_b32 s6, -2
	s_movk_i32 s7, 0x44
	v_cndmask_b32_e32 v2, -1, v24, vcc
	v_xor_b32_e32 v15, v2, v4
	v_cmp_ne_u32_e32 vcc, s6, v15
	v_mov_b32_e32 v3, 0
	s_nop 0
	v_cndmask_b32_e32 v2, v24, v15, vcc
	v_lshrrev_b32_e32 v2, s20, v2
	v_and_b32_e32 v4, s23, v2
	v_mul_lo_u32 v2, v4, s7
	v_add_u32_e32 v27, v29, v2
	v_and_b32_e32 v2, 1, v4
	v_lshl_add_u64 v[12:13], v[2:3], 0, -1
	v_cmp_ne_u32_e32 vcc, 0, v2
	; wave barrier
	ds_read_b32 v21, v27 offset:64
	s_nop 0
	v_xor_b32_e32 v12, vcc_lo, v12
	v_xor_b32_e32 v2, vcc_hi, v13
	v_and_b32_e32 v25, exec_lo, v12
	v_lshlrev_b32_e32 v13, 30, v4
	v_mov_b32_e32 v12, v3
	v_cmp_gt_i64_e32 vcc, 0, v[12:13]
	v_not_b32_e32 v12, v13
	v_ashrrev_i32_e32 v12, 31, v12
	v_and_b32_e32 v2, exec_hi, v2
	v_xor_b32_e32 v13, vcc_hi, v12
	v_xor_b32_e32 v12, vcc_lo, v12
	v_and_b32_e32 v2, v2, v13
	v_and_b32_e32 v25, v25, v12
	v_lshlrev_b32_e32 v13, 29, v4
	v_mov_b32_e32 v12, v3
	v_cmp_gt_i64_e32 vcc, 0, v[12:13]
	v_not_b32_e32 v12, v13
	v_ashrrev_i32_e32 v12, 31, v12
	v_xor_b32_e32 v13, vcc_hi, v12
	v_xor_b32_e32 v12, vcc_lo, v12
	v_and_b32_e32 v2, v2, v13
	v_and_b32_e32 v25, v25, v12
	v_lshlrev_b32_e32 v13, 28, v4
	v_mov_b32_e32 v12, v3
	v_cmp_gt_i64_e32 vcc, 0, v[12:13]
	v_not_b32_e32 v12, v13
	v_ashrrev_i32_e32 v12, 31, v12
	;; [unrolled: 9-line block ×5, first 2 shown]
	v_xor_b32_e32 v13, vcc_hi, v12
	v_xor_b32_e32 v12, vcc_lo, v12
	v_and_b32_e32 v2, v2, v13
	v_lshlrev_b32_e32 v13, 24, v4
	v_and_b32_e32 v25, v25, v12
	v_mov_b32_e32 v12, v3
	v_not_b32_e32 v4, v13
	v_cmp_gt_i64_e32 vcc, 0, v[12:13]
	v_ashrrev_i32_e32 v4, 31, v4
	s_nop 0
	v_xor_b32_e32 v12, vcc_hi, v4
	v_xor_b32_e32 v4, vcc_lo, v4
	v_and_b32_e32 v13, v2, v12
	v_and_b32_e32 v12, v25, v4
	v_mbcnt_lo_u32_b32 v2, v12, 0
	v_mbcnt_hi_u32_b32 v25, v13, v2
	v_cmp_eq_u32_e32 vcc, 0, v25
	v_cmp_ne_u64_e64 s[4:5], 0, v[12:13]
	s_and_b64 s[8:9], s[4:5], vcc
	; wave barrier
	s_and_saveexec_b64 s[4:5], s[8:9]
	s_cbranch_execz .LBB596_23
; %bb.22:
	v_bcnt_u32_b32 v2, v12, 0
	v_bcnt_u32_b32 v2, v13, v2
	s_waitcnt lgkmcnt(0)
	v_add_u32_e32 v2, v21, v2
	ds_write_b32 v27, v2 offset:64
.LBB596_23:
	s_or_b64 exec, exec, s[4:5]
	v_cmp_lt_i32_e32 vcc, -1, v5
	; wave barrier
	s_nop 1
	v_cndmask_b32_e32 v2, -1, v24, vcc
	v_xor_b32_e32 v12, v2, v5
	v_cmp_ne_u32_e32 vcc, s6, v12
	s_nop 1
	v_cndmask_b32_e32 v2, v24, v12, vcc
	v_lshrrev_b32_e32 v2, s20, v2
	v_and_b32_e32 v13, s23, v2
	v_mul_lo_u32 v2, v13, s7
	v_add_u32_e32 v31, v29, v2
	v_and_b32_e32 v2, 1, v13
	v_lshl_add_u64 v[4:5], v[2:3], 0, -1
	v_cmp_ne_u32_e32 vcc, 0, v2
	ds_read_b32 v26, v31 offset:64
	s_nop 0
	v_xor_b32_e32 v4, vcc_lo, v4
	v_xor_b32_e32 v2, vcc_hi, v5
	v_and_b32_e32 v24, exec_lo, v4
	v_lshlrev_b32_e32 v5, 30, v13
	v_mov_b32_e32 v4, v3
	v_cmp_gt_i64_e32 vcc, 0, v[4:5]
	v_not_b32_e32 v4, v5
	v_ashrrev_i32_e32 v4, 31, v4
	v_and_b32_e32 v2, exec_hi, v2
	v_xor_b32_e32 v5, vcc_hi, v4
	v_xor_b32_e32 v4, vcc_lo, v4
	v_and_b32_e32 v2, v2, v5
	v_and_b32_e32 v24, v24, v4
	v_lshlrev_b32_e32 v5, 29, v13
	v_mov_b32_e32 v4, v3
	v_cmp_gt_i64_e32 vcc, 0, v[4:5]
	v_not_b32_e32 v4, v5
	v_ashrrev_i32_e32 v4, 31, v4
	v_xor_b32_e32 v5, vcc_hi, v4
	v_xor_b32_e32 v4, vcc_lo, v4
	v_and_b32_e32 v2, v2, v5
	v_and_b32_e32 v24, v24, v4
	v_lshlrev_b32_e32 v5, 28, v13
	v_mov_b32_e32 v4, v3
	v_cmp_gt_i64_e32 vcc, 0, v[4:5]
	v_not_b32_e32 v4, v5
	v_ashrrev_i32_e32 v4, 31, v4
	;; [unrolled: 9-line block ×5, first 2 shown]
	v_xor_b32_e32 v5, vcc_hi, v4
	v_xor_b32_e32 v4, vcc_lo, v4
	v_and_b32_e32 v2, v2, v5
	v_lshlrev_b32_e32 v5, 24, v13
	v_and_b32_e32 v24, v24, v4
	v_mov_b32_e32 v4, v3
	v_not_b32_e32 v3, v5
	v_cmp_gt_i64_e32 vcc, 0, v[4:5]
	v_ashrrev_i32_e32 v3, 31, v3
	; wave barrier
	s_nop 0
	v_xor_b32_e32 v4, vcc_hi, v3
	v_xor_b32_e32 v5, vcc_lo, v3
	v_and_b32_e32 v3, v2, v4
	v_and_b32_e32 v2, v24, v5
	v_mbcnt_lo_u32_b32 v4, v2, 0
	v_mbcnt_hi_u32_b32 v28, v3, v4
	v_cmp_eq_u32_e32 vcc, 0, v28
	v_cmp_ne_u64_e64 s[4:5], 0, v[2:3]
	s_and_b64 s[6:7], s[4:5], vcc
	s_and_saveexec_b64 s[4:5], s[6:7]
	s_cbranch_execz .LBB596_25
; %bb.24:
	v_bcnt_u32_b32 v2, v2, 0
	v_bcnt_u32_b32 v2, v3, v2
	s_waitcnt lgkmcnt(0)
	v_add_u32_e32 v2, v26, v2
	ds_write_b32 v31, v2 offset:64
.LBB596_25:
	s_or_b64 exec, exec, s[4:5]
	v_bfrev_b32_e32 v33, 1
	v_cmp_lt_i32_e32 vcc, -1, v6
	s_brev_b32 s6, -2
	s_movk_i32 s7, 0x44
	v_cndmask_b32_e32 v2, -1, v33, vcc
	v_xor_b32_e32 v13, v2, v6
	v_cmp_ne_u32_e32 vcc, s6, v13
	v_mov_b32_e32 v3, 0
	s_nop 0
	v_cndmask_b32_e32 v2, v33, v13, vcc
	v_lshrrev_b32_e32 v2, s20, v2
	v_and_b32_e32 v24, s23, v2
	v_mul_lo_u32 v2, v24, s7
	v_add_u32_e32 v6, v29, v2
	v_and_b32_e32 v2, 1, v24
	v_lshl_add_u64 v[4:5], v[2:3], 0, -1
	v_cmp_ne_u32_e32 vcc, 0, v2
	; wave barrier
	ds_read_b32 v30, v6 offset:64
	s_nop 0
	v_xor_b32_e32 v4, vcc_lo, v4
	v_xor_b32_e32 v2, vcc_hi, v5
	v_and_b32_e32 v32, exec_lo, v4
	v_lshlrev_b32_e32 v5, 30, v24
	v_mov_b32_e32 v4, v3
	v_cmp_gt_i64_e32 vcc, 0, v[4:5]
	v_not_b32_e32 v4, v5
	v_ashrrev_i32_e32 v4, 31, v4
	v_and_b32_e32 v2, exec_hi, v2
	v_xor_b32_e32 v5, vcc_hi, v4
	v_xor_b32_e32 v4, vcc_lo, v4
	v_and_b32_e32 v2, v2, v5
	v_and_b32_e32 v32, v32, v4
	v_lshlrev_b32_e32 v5, 29, v24
	v_mov_b32_e32 v4, v3
	v_cmp_gt_i64_e32 vcc, 0, v[4:5]
	v_not_b32_e32 v4, v5
	v_ashrrev_i32_e32 v4, 31, v4
	v_xor_b32_e32 v5, vcc_hi, v4
	v_xor_b32_e32 v4, vcc_lo, v4
	v_and_b32_e32 v2, v2, v5
	v_and_b32_e32 v32, v32, v4
	v_lshlrev_b32_e32 v5, 28, v24
	v_mov_b32_e32 v4, v3
	v_cmp_gt_i64_e32 vcc, 0, v[4:5]
	v_not_b32_e32 v4, v5
	v_ashrrev_i32_e32 v4, 31, v4
	;; [unrolled: 9-line block ×6, first 2 shown]
	v_xor_b32_e32 v5, vcc_hi, v4
	v_xor_b32_e32 v4, vcc_lo, v4
	v_and_b32_e32 v4, v32, v4
	v_and_b32_e32 v5, v2, v5
	v_mbcnt_lo_u32_b32 v2, v4, 0
	v_mbcnt_hi_u32_b32 v32, v5, v2
	v_cmp_eq_u32_e32 vcc, 0, v32
	v_cmp_ne_u64_e64 s[4:5], 0, v[4:5]
	s_and_b64 s[8:9], s[4:5], vcc
	; wave barrier
	s_and_saveexec_b64 s[4:5], s[8:9]
	s_cbranch_execz .LBB596_27
; %bb.26:
	v_bcnt_u32_b32 v2, v4, 0
	v_bcnt_u32_b32 v2, v5, v2
	s_waitcnt lgkmcnt(0)
	v_add_u32_e32 v2, v30, v2
	ds_write_b32 v6, v2 offset:64
.LBB596_27:
	s_or_b64 exec, exec, s[4:5]
	v_cmp_lt_i32_e32 vcc, -1, v7
	; wave barrier
	s_nop 1
	v_cndmask_b32_e32 v2, -1, v33, vcc
	v_xor_b32_e32 v24, v2, v7
	v_cmp_ne_u32_e32 vcc, s6, v24
	s_nop 1
	v_cndmask_b32_e32 v2, v33, v24, vcc
	v_lshrrev_b32_e32 v2, s20, v2
	v_and_b32_e32 v34, s23, v2
	v_mul_lo_u32 v2, v34, s7
	v_add_u32_e32 v7, v29, v2
	v_and_b32_e32 v2, 1, v34
	v_lshl_add_u64 v[4:5], v[2:3], 0, -1
	v_cmp_ne_u32_e32 vcc, 0, v2
	ds_read_b32 v33, v7 offset:64
	s_nop 0
	v_xor_b32_e32 v4, vcc_lo, v4
	v_xor_b32_e32 v2, vcc_hi, v5
	v_and_b32_e32 v35, exec_lo, v4
	v_lshlrev_b32_e32 v5, 30, v34
	v_mov_b32_e32 v4, v3
	v_cmp_gt_i64_e32 vcc, 0, v[4:5]
	v_not_b32_e32 v4, v5
	v_ashrrev_i32_e32 v4, 31, v4
	v_and_b32_e32 v2, exec_hi, v2
	v_xor_b32_e32 v5, vcc_hi, v4
	v_xor_b32_e32 v4, vcc_lo, v4
	v_and_b32_e32 v2, v2, v5
	v_and_b32_e32 v35, v35, v4
	v_lshlrev_b32_e32 v5, 29, v34
	v_mov_b32_e32 v4, v3
	v_cmp_gt_i64_e32 vcc, 0, v[4:5]
	v_not_b32_e32 v4, v5
	v_ashrrev_i32_e32 v4, 31, v4
	v_xor_b32_e32 v5, vcc_hi, v4
	v_xor_b32_e32 v4, vcc_lo, v4
	v_and_b32_e32 v2, v2, v5
	v_and_b32_e32 v35, v35, v4
	v_lshlrev_b32_e32 v5, 28, v34
	v_mov_b32_e32 v4, v3
	v_cmp_gt_i64_e32 vcc, 0, v[4:5]
	v_not_b32_e32 v4, v5
	v_ashrrev_i32_e32 v4, 31, v4
	;; [unrolled: 9-line block ×5, first 2 shown]
	v_xor_b32_e32 v5, vcc_hi, v4
	v_xor_b32_e32 v4, vcc_lo, v4
	v_and_b32_e32 v2, v2, v5
	v_lshlrev_b32_e32 v5, 24, v34
	v_and_b32_e32 v35, v35, v4
	v_mov_b32_e32 v4, v3
	v_not_b32_e32 v3, v5
	v_cmp_gt_i64_e32 vcc, 0, v[4:5]
	v_ashrrev_i32_e32 v3, 31, v3
	; wave barrier
	s_nop 0
	v_xor_b32_e32 v4, vcc_hi, v3
	v_xor_b32_e32 v5, vcc_lo, v3
	v_and_b32_e32 v3, v2, v4
	v_and_b32_e32 v2, v35, v5
	v_mbcnt_lo_u32_b32 v4, v2, 0
	v_mbcnt_hi_u32_b32 v34, v3, v4
	v_cmp_eq_u32_e32 vcc, 0, v34
	v_cmp_ne_u64_e64 s[4:5], 0, v[2:3]
	s_and_b64 s[6:7], s[4:5], vcc
	s_and_saveexec_b64 s[4:5], s[6:7]
	s_cbranch_execz .LBB596_29
; %bb.28:
	v_bcnt_u32_b32 v2, v2, 0
	v_bcnt_u32_b32 v2, v3, v2
	s_waitcnt lgkmcnt(0)
	v_add_u32_e32 v2, v33, v2
	ds_write_b32 v7, v2 offset:64
.LBB596_29:
	s_or_b64 exec, exec, s[4:5]
	v_bfrev_b32_e32 v37, 1
	v_cmp_lt_i32_e32 vcc, -1, v8
	s_brev_b32 s6, -2
	s_movk_i32 s7, 0x44
	v_cndmask_b32_e32 v2, -1, v37, vcc
	v_xor_b32_e32 v8, v2, v8
	v_cmp_ne_u32_e32 vcc, s6, v8
	v_mov_b32_e32 v3, 0
	s_nop 0
	v_cndmask_b32_e32 v2, v37, v8, vcc
	v_lshrrev_b32_e32 v2, s20, v2
	v_and_b32_e32 v36, s23, v2
	v_mul_lo_u32 v2, v36, s7
	v_add_u32_e32 v38, v29, v2
	v_and_b32_e32 v2, 1, v36
	v_lshl_add_u64 v[4:5], v[2:3], 0, -1
	v_cmp_ne_u32_e32 vcc, 0, v2
	; wave barrier
	ds_read_b32 v35, v38 offset:64
	s_nop 0
	v_xor_b32_e32 v4, vcc_lo, v4
	v_xor_b32_e32 v2, vcc_hi, v5
	v_and_b32_e32 v39, exec_lo, v4
	v_lshlrev_b32_e32 v5, 30, v36
	v_mov_b32_e32 v4, v3
	v_cmp_gt_i64_e32 vcc, 0, v[4:5]
	v_not_b32_e32 v4, v5
	v_ashrrev_i32_e32 v4, 31, v4
	v_and_b32_e32 v2, exec_hi, v2
	v_xor_b32_e32 v5, vcc_hi, v4
	v_xor_b32_e32 v4, vcc_lo, v4
	v_and_b32_e32 v2, v2, v5
	v_and_b32_e32 v39, v39, v4
	v_lshlrev_b32_e32 v5, 29, v36
	v_mov_b32_e32 v4, v3
	v_cmp_gt_i64_e32 vcc, 0, v[4:5]
	v_not_b32_e32 v4, v5
	v_ashrrev_i32_e32 v4, 31, v4
	v_xor_b32_e32 v5, vcc_hi, v4
	v_xor_b32_e32 v4, vcc_lo, v4
	v_and_b32_e32 v2, v2, v5
	v_and_b32_e32 v39, v39, v4
	v_lshlrev_b32_e32 v5, 28, v36
	v_mov_b32_e32 v4, v3
	v_cmp_gt_i64_e32 vcc, 0, v[4:5]
	v_not_b32_e32 v4, v5
	v_ashrrev_i32_e32 v4, 31, v4
	;; [unrolled: 9-line block ×6, first 2 shown]
	v_xor_b32_e32 v5, vcc_hi, v4
	v_xor_b32_e32 v4, vcc_lo, v4
	v_and_b32_e32 v4, v39, v4
	v_and_b32_e32 v5, v2, v5
	v_mbcnt_lo_u32_b32 v2, v4, 0
	v_mbcnt_hi_u32_b32 v36, v5, v2
	v_cmp_eq_u32_e32 vcc, 0, v36
	v_cmp_ne_u64_e64 s[4:5], 0, v[4:5]
	s_and_b64 s[8:9], s[4:5], vcc
	; wave barrier
	s_and_saveexec_b64 s[4:5], s[8:9]
	s_cbranch_execz .LBB596_31
; %bb.30:
	v_bcnt_u32_b32 v2, v4, 0
	v_bcnt_u32_b32 v2, v5, v2
	s_waitcnt lgkmcnt(0)
	v_add_u32_e32 v2, v35, v2
	ds_write_b32 v38, v2 offset:64
.LBB596_31:
	s_or_b64 exec, exec, s[4:5]
	v_cmp_lt_i32_e32 vcc, -1, v9
	; wave barrier
	s_nop 1
	v_cndmask_b32_e32 v2, -1, v37, vcc
	v_xor_b32_e32 v9, v2, v9
	v_cmp_ne_u32_e32 vcc, s6, v9
	s_nop 1
	v_cndmask_b32_e32 v2, v37, v9, vcc
	v_lshrrev_b32_e32 v2, s20, v2
	v_and_b32_e32 v39, s23, v2
	v_mul_lo_u32 v2, v39, s7
	v_add_u32_e32 v40, v29, v2
	v_and_b32_e32 v2, 1, v39
	v_lshl_add_u64 v[4:5], v[2:3], 0, -1
	v_cmp_ne_u32_e32 vcc, 0, v2
	ds_read_b32 v37, v40 offset:64
	s_nop 0
	v_xor_b32_e32 v4, vcc_lo, v4
	v_xor_b32_e32 v2, vcc_hi, v5
	v_and_b32_e32 v29, exec_lo, v4
	v_lshlrev_b32_e32 v5, 30, v39
	v_mov_b32_e32 v4, v3
	v_cmp_gt_i64_e32 vcc, 0, v[4:5]
	v_not_b32_e32 v4, v5
	v_ashrrev_i32_e32 v4, 31, v4
	v_and_b32_e32 v2, exec_hi, v2
	v_xor_b32_e32 v5, vcc_hi, v4
	v_xor_b32_e32 v4, vcc_lo, v4
	v_and_b32_e32 v2, v2, v5
	v_and_b32_e32 v29, v29, v4
	v_lshlrev_b32_e32 v5, 29, v39
	v_mov_b32_e32 v4, v3
	v_cmp_gt_i64_e32 vcc, 0, v[4:5]
	v_not_b32_e32 v4, v5
	v_ashrrev_i32_e32 v4, 31, v4
	v_xor_b32_e32 v5, vcc_hi, v4
	v_xor_b32_e32 v4, vcc_lo, v4
	v_and_b32_e32 v2, v2, v5
	v_and_b32_e32 v29, v29, v4
	v_lshlrev_b32_e32 v5, 28, v39
	v_mov_b32_e32 v4, v3
	v_cmp_gt_i64_e32 vcc, 0, v[4:5]
	v_not_b32_e32 v4, v5
	v_ashrrev_i32_e32 v4, 31, v4
	;; [unrolled: 9-line block ×5, first 2 shown]
	v_xor_b32_e32 v5, vcc_hi, v4
	v_xor_b32_e32 v4, vcc_lo, v4
	v_and_b32_e32 v2, v2, v5
	v_lshlrev_b32_e32 v5, 24, v39
	v_and_b32_e32 v29, v29, v4
	v_mov_b32_e32 v4, v3
	v_not_b32_e32 v3, v5
	v_cmp_gt_i64_e32 vcc, 0, v[4:5]
	v_ashrrev_i32_e32 v3, 31, v3
	; wave barrier
	s_nop 0
	v_xor_b32_e32 v4, vcc_hi, v3
	v_xor_b32_e32 v5, vcc_lo, v3
	v_and_b32_e32 v3, v2, v4
	v_and_b32_e32 v2, v29, v5
	v_mbcnt_lo_u32_b32 v4, v2, 0
	v_mbcnt_hi_u32_b32 v39, v3, v4
	v_cmp_eq_u32_e32 vcc, 0, v39
	v_cmp_ne_u64_e64 s[4:5], 0, v[2:3]
	s_and_b64 s[6:7], s[4:5], vcc
	s_and_saveexec_b64 s[4:5], s[6:7]
	s_cbranch_execz .LBB596_33
; %bb.32:
	v_bcnt_u32_b32 v2, v2, 0
	v_bcnt_u32_b32 v2, v3, v2
	s_waitcnt lgkmcnt(0)
	v_add_u32_e32 v2, v37, v2
	ds_write_b32 v40, v2 offset:64
.LBB596_33:
	s_or_b64 exec, exec, s[4:5]
	; wave barrier
	s_waitcnt lgkmcnt(0)
	s_barrier
	ds_read2_b32 v[4:5], v17 offset0:16 offset1:17
	ds_read2_b32 v[2:3], v17 offset0:18 offset1:19
	ds_read_b32 v29, v17 offset:80
	v_cmp_lt_u32_e64 s[10:11], 31, v16
	s_waitcnt lgkmcnt(1)
	v_add3_u32 v41, v5, v4, v2
	s_waitcnt lgkmcnt(0)
	v_add3_u32 v29, v41, v3, v29
	v_and_b32_e32 v41, 15, v16
	v_cmp_eq_u32_e32 vcc, 0, v41
	v_mov_b32_dpp v42, v29 row_shr:1 row_mask:0xf bank_mask:0xf
	v_cmp_lt_u32_e64 s[8:9], 1, v41
	v_cndmask_b32_e64 v42, v42, 0, vcc
	v_add_u32_e32 v29, v42, v29
	v_cmp_lt_u32_e64 s[4:5], 3, v41
	v_cmp_lt_u32_e64 s[6:7], 7, v41
	v_mov_b32_dpp v42, v29 row_shr:2 row_mask:0xf bank_mask:0xf
	v_cndmask_b32_e64 v42, 0, v42, s[8:9]
	v_add_u32_e32 v29, v29, v42
	s_nop 1
	v_mov_b32_dpp v42, v29 row_shr:4 row_mask:0xf bank_mask:0xf
	v_cndmask_b32_e64 v42, 0, v42, s[4:5]
	v_add_u32_e32 v29, v29, v42
	s_nop 1
	v_mov_b32_dpp v42, v29 row_shr:8 row_mask:0xf bank_mask:0xf
	v_cndmask_b32_e64 v41, 0, v42, s[6:7]
	v_add_u32_e32 v29, v29, v41
	v_bfe_i32 v42, v16, 4, 1
	s_nop 0
	v_mov_b32_dpp v41, v29 row_bcast:15 row_mask:0xf bank_mask:0xf
	v_and_b32_e32 v41, v42, v41
	v_add_u32_e32 v29, v29, v41
	v_lshrrev_b32_e32 v42, 6, v10
	s_nop 0
	v_mov_b32_dpp v41, v29 row_bcast:31 row_mask:0xf bank_mask:0xf
	v_cndmask_b32_e64 v41, 0, v41, s[10:11]
	v_add_u32_e32 v41, v29, v41
	v_and_b32_e32 v29, 63, v10
	v_cmp_eq_u32_e64 s[10:11], 63, v29
	s_and_saveexec_b64 s[12:13], s[10:11]
; %bb.34:
	v_lshlrev_b32_e32 v29, 2, v42
	ds_write_b32 v29, v41
; %bb.35:
	s_or_b64 exec, exec, s[12:13]
	v_cmp_gt_u32_e64 s[10:11], 16, v10
	v_lshlrev_b32_e32 v29, 2, v10
	s_waitcnt lgkmcnt(0)
	s_barrier
	s_and_saveexec_b64 s[12:13], s[10:11]
	s_cbranch_execz .LBB596_37
; %bb.36:
	ds_read_b32 v43, v29
	s_waitcnt lgkmcnt(0)
	s_nop 0
	v_mov_b32_dpp v44, v43 row_shr:1 row_mask:0xf bank_mask:0xf
	v_cndmask_b32_e64 v44, v44, 0, vcc
	v_add_u32_e32 v43, v44, v43
	s_nop 1
	v_mov_b32_dpp v44, v43 row_shr:2 row_mask:0xf bank_mask:0xf
	v_cndmask_b32_e64 v44, 0, v44, s[8:9]
	v_add_u32_e32 v43, v43, v44
	s_nop 1
	v_mov_b32_dpp v44, v43 row_shr:4 row_mask:0xf bank_mask:0xf
	v_cndmask_b32_e64 v44, 0, v44, s[4:5]
	;; [unrolled: 4-line block ×3, first 2 shown]
	v_add_u32_e32 v43, v43, v44
	ds_write_b32 v29, v43
.LBB596_37:
	s_or_b64 exec, exec, s[12:13]
	v_cmp_lt_u32_e32 vcc, 63, v10
	v_mov_b32_e32 v43, 0
	s_waitcnt lgkmcnt(0)
	s_barrier
	s_and_saveexec_b64 s[4:5], vcc
; %bb.38:
	v_lshl_add_u32 v42, v42, 2, -4
	ds_read_b32 v43, v42
; %bb.39:
	s_or_b64 exec, exec, s[4:5]
	v_subrev_co_u32_e32 v42, vcc, 1, v16
	v_and_b32_e32 v44, 64, v16
	v_cmp_lt_i32_e64 s[4:5], v42, v44
	s_waitcnt lgkmcnt(0)
	v_add_u32_e32 v41, v43, v41
	s_movk_i32 s6, 0x100
	v_cndmask_b32_e64 v16, v42, v16, s[4:5]
	v_lshlrev_b32_e32 v16, 2, v16
	ds_bpermute_b32 v16, v16, v41
	s_movk_i32 s4, 0xff
	v_cmp_lt_u32_e64 s[4:5], s4, v10
	s_waitcnt lgkmcnt(0)
	v_cndmask_b32_e32 v16, v16, v43, vcc
	v_cmp_ne_u32_e32 vcc, 0, v10
	s_nop 1
	v_cndmask_b32_e32 v16, 0, v16, vcc
	v_add_u32_e32 v4, v16, v4
	v_add_u32_e32 v5, v4, v5
	;; [unrolled: 1-line block ×4, first 2 shown]
	ds_write2_b32 v17, v16, v4 offset0:16 offset1:17
	ds_write2_b32 v17, v5, v2 offset0:18 offset1:19
	ds_write_b32 v17, v3 offset:80
	s_waitcnt lgkmcnt(0)
	s_barrier
	ds_read_b32 v22, v22 offset:64
	ds_read_b32 v23, v23 offset:64
	;; [unrolled: 1-line block ×8, first 2 shown]
	v_cmp_gt_u32_e32 vcc, s6, v10
                                        ; implicit-def: $vgpr16
                                        ; implicit-def: $vgpr17
	s_and_saveexec_b64 s[8:9], vcc
	s_cbranch_execz .LBB596_43
; %bb.40:
	v_mul_u32_u24_e32 v2, 0x44, v10
	ds_read_b32 v16, v2 offset:64
	v_add_u32_e32 v3, 1, v10
	v_cmp_ne_u32_e64 s[6:7], s6, v3
	v_mov_b32_e32 v2, 0x2000
	s_and_saveexec_b64 s[10:11], s[6:7]
; %bb.41:
	v_mul_u32_u24_e32 v2, 0x44, v3
	ds_read_b32 v2, v2 offset:64
; %bb.42:
	s_or_b64 exec, exec, s[10:11]
	s_waitcnt lgkmcnt(0)
	v_sub_u32_e32 v17, v2, v16
.LBB596_43:
	s_or_b64 exec, exec, s[8:9]
	v_mov_b32_e32 v3, 0
	s_waitcnt lgkmcnt(0)
	s_barrier
	s_and_saveexec_b64 s[6:7], vcc
	s_cbranch_execz .LBB596_53
; %bb.44:
	v_lshl_add_u32 v2, s2, 8, v10
	v_lshl_add_u64 v[4:5], v[2:3], 2, s[28:29]
	v_or_b32_e32 v2, 2.0, v17
	s_mov_b64 s[8:9], 0
	s_brev_b32 s14, -4
	s_mov_b32 s15, s2
	v_mov_b32_e32 v43, 0
	global_store_dword v[4:5], v2, off sc1
                                        ; implicit-def: $sgpr10_sgpr11
	s_branch .LBB596_47
.LBB596_45:                             ;   in Loop: Header=BB596_47 Depth=1
	s_or_b64 exec, exec, s[12:13]
.LBB596_46:                             ;   in Loop: Header=BB596_47 Depth=1
	s_or_b64 exec, exec, s[10:11]
	v_and_b32_e32 v6, 0x3fffffff, v2
	v_add_u32_e32 v43, v6, v43
	v_cmp_gt_i32_e64 s[10:11], -2.0, v2
	s_and_b64 s[12:13], exec, s[10:11]
	s_or_b64 s[8:9], s[12:13], s[8:9]
	s_andn2_b64 exec, exec, s[8:9]
	s_cbranch_execz .LBB596_52
.LBB596_47:                             ; =>This Loop Header: Depth=1
                                        ;     Child Loop BB596_50 Depth 2
	s_or_b64 s[10:11], s[10:11], exec
	s_cmp_eq_u32 s15, 0
	s_cbranch_scc1 .LBB596_51
; %bb.48:                               ;   in Loop: Header=BB596_47 Depth=1
	s_add_i32 s15, s15, -1
	v_lshl_or_b32 v2, s15, 8, v10
	v_lshl_add_u64 v[6:7], v[2:3], 2, s[28:29]
	global_load_dword v2, v[6:7], off sc1
	s_waitcnt vmcnt(0)
	v_cmp_gt_u32_e32 vcc, 2.0, v2
	s_and_saveexec_b64 s[10:11], vcc
	s_cbranch_execz .LBB596_46
; %bb.49:                               ;   in Loop: Header=BB596_47 Depth=1
	s_mov_b64 s[12:13], 0
.LBB596_50:                             ;   Parent Loop BB596_47 Depth=1
                                        ; =>  This Inner Loop Header: Depth=2
	global_load_dword v2, v[6:7], off sc1
	s_waitcnt vmcnt(0)
	v_cmp_lt_u32_e32 vcc, s14, v2
	s_or_b64 s[12:13], vcc, s[12:13]
	s_andn2_b64 exec, exec, s[12:13]
	s_cbranch_execnz .LBB596_50
	s_branch .LBB596_45
.LBB596_51:                             ;   in Loop: Header=BB596_47 Depth=1
                                        ; implicit-def: $sgpr15
	s_and_b64 s[12:13], exec, s[10:11]
	s_or_b64 s[8:9], s[12:13], s[8:9]
	s_andn2_b64 exec, exec, s[8:9]
	s_cbranch_execnz .LBB596_47
.LBB596_52:
	s_or_b64 exec, exec, s[8:9]
	v_add_u32_e32 v2, v43, v17
	v_or_b32_e32 v2, 0x80000000, v2
	global_store_dword v[4:5], v2, off sc1
	global_load_dword v2, v29, s[16:17]
	v_sub_u32_e32 v3, v43, v16
	s_waitcnt vmcnt(0)
	v_add_u32_e32 v2, v3, v2
	ds_write_b32 v29, v2
.LBB596_53:
	s_or_b64 exec, exec, s[6:7]
	v_add_u32_e32 v4, v22, v18
	v_add3_u32 v5, v20, v19, v23
	v_add3_u32 v6, v25, v21, v27
	;; [unrolled: 1-line block ×7, first 2 shown]
	v_lshlrev_b32_e32 v22, 2, v21
	v_lshlrev_b32_e32 v23, 2, v20
	;; [unrolled: 1-line block ×8, first 2 shown]
	s_mov_b64 s[6:7], -1
	s_mov_b32 s10, 0
	s_brev_b32 s11, -2
	v_mov_b32_e32 v3, 0
	s_movk_i32 s12, 0x400
	s_movk_i32 s13, 0x800
	;; [unrolled: 1-line block ×3, first 2 shown]
	v_bfrev_b32_e32 v32, 1
	s_branch .LBB596_55
.LBB596_54:                             ;   in Loop: Header=BB596_55 Depth=1
	s_or_b64 exec, exec, s[8:9]
	s_xor_b64 s[8:9], s[6:7], -1
	s_addk_i32 s10, 0xc000
	v_add_u32_e32 v10, 0x1000, v10
	s_mov_b64 s[6:7], 0
	s_and_b64 vcc, exec, s[8:9]
	s_barrier
	s_cbranch_vccnz .LBB596_79
.LBB596_55:                             ; =>This Inner Loop Header: Depth=1
	v_subrev_co_u32_e32 v4, vcc, 0x1000, v4
	s_and_saveexec_b64 s[8:9], vcc
	s_cbranch_execz .LBB596_63
; %bb.56:                               ;   in Loop: Header=BB596_55 Depth=1
	v_add_u32_e32 v2, s10, v31
	ds_write_b32 v2, v11 offset:1024
	s_or_b64 exec, exec, s[8:9]
	v_subrev_co_u32_e32 v5, vcc, 0x1000, v5
	s_and_saveexec_b64 s[8:9], vcc
	s_cbranch_execnz .LBB596_64
.LBB596_57:                             ;   in Loop: Header=BB596_55 Depth=1
	s_or_b64 exec, exec, s[8:9]
	v_subrev_co_u32_e32 v6, vcc, 0x1000, v6
	s_and_saveexec_b64 s[8:9], vcc
	s_cbranch_execz .LBB596_65
.LBB596_58:                             ;   in Loop: Header=BB596_55 Depth=1
	v_add_u32_e32 v2, s10, v28
	ds_write_b32 v2, v15 offset:1024
	s_or_b64 exec, exec, s[8:9]
	v_subrev_co_u32_e32 v7, vcc, 0x1000, v7
	s_and_saveexec_b64 s[8:9], vcc
	s_cbranch_execnz .LBB596_66
.LBB596_59:                             ;   in Loop: Header=BB596_55 Depth=1
	s_or_b64 exec, exec, s[8:9]
	v_subrev_co_u32_e32 v18, vcc, 0x1000, v18
	s_and_saveexec_b64 s[8:9], vcc
	s_cbranch_execz .LBB596_67
.LBB596_60:                             ;   in Loop: Header=BB596_55 Depth=1
	v_add_u32_e32 v2, s10, v26
	ds_write_b32 v2, v13 offset:1024
	s_or_b64 exec, exec, s[8:9]
	v_subrev_co_u32_e32 v19, vcc, 0x1000, v19
	s_and_saveexec_b64 s[8:9], vcc
	s_cbranch_execnz .LBB596_68
.LBB596_61:                             ;   in Loop: Header=BB596_55 Depth=1
	s_or_b64 exec, exec, s[8:9]
	v_subrev_co_u32_e32 v20, vcc, 0x1000, v20
	s_and_saveexec_b64 s[8:9], vcc
	s_cbranch_execz .LBB596_69
.LBB596_62:                             ;   in Loop: Header=BB596_55 Depth=1
	v_add_u32_e32 v2, s10, v23
	ds_write_b32 v2, v8 offset:1024
	s_or_b64 exec, exec, s[8:9]
	v_subrev_co_u32_e32 v21, vcc, 0x1000, v21
	s_and_saveexec_b64 s[8:9], vcc
	s_cbranch_execnz .LBB596_70
	s_branch .LBB596_71
.LBB596_63:                             ;   in Loop: Header=BB596_55 Depth=1
	s_or_b64 exec, exec, s[8:9]
	v_subrev_co_u32_e32 v5, vcc, 0x1000, v5
	s_and_saveexec_b64 s[8:9], vcc
	s_cbranch_execz .LBB596_57
.LBB596_64:                             ;   in Loop: Header=BB596_55 Depth=1
	v_add_u32_e32 v2, s10, v30
	ds_write_b32 v2, v14 offset:1024
	s_or_b64 exec, exec, s[8:9]
	v_subrev_co_u32_e32 v6, vcc, 0x1000, v6
	s_and_saveexec_b64 s[8:9], vcc
	s_cbranch_execnz .LBB596_58
.LBB596_65:                             ;   in Loop: Header=BB596_55 Depth=1
	s_or_b64 exec, exec, s[8:9]
	v_subrev_co_u32_e32 v7, vcc, 0x1000, v7
	s_and_saveexec_b64 s[8:9], vcc
	s_cbranch_execz .LBB596_59
.LBB596_66:                             ;   in Loop: Header=BB596_55 Depth=1
	v_add_u32_e32 v2, s10, v27
	ds_write_b32 v2, v12 offset:1024
	s_or_b64 exec, exec, s[8:9]
	v_subrev_co_u32_e32 v18, vcc, 0x1000, v18
	s_and_saveexec_b64 s[8:9], vcc
	s_cbranch_execnz .LBB596_60
.LBB596_67:                             ;   in Loop: Header=BB596_55 Depth=1
	s_or_b64 exec, exec, s[8:9]
	v_subrev_co_u32_e32 v19, vcc, 0x1000, v19
	s_and_saveexec_b64 s[8:9], vcc
	s_cbranch_execz .LBB596_61
.LBB596_68:                             ;   in Loop: Header=BB596_55 Depth=1
	v_add_u32_e32 v2, s10, v25
	ds_write_b32 v2, v24 offset:1024
	s_or_b64 exec, exec, s[8:9]
	v_subrev_co_u32_e32 v20, vcc, 0x1000, v20
	s_and_saveexec_b64 s[8:9], vcc
	s_cbranch_execnz .LBB596_62
.LBB596_69:                             ;   in Loop: Header=BB596_55 Depth=1
	s_or_b64 exec, exec, s[8:9]
	v_subrev_co_u32_e32 v21, vcc, 0x1000, v21
	s_and_saveexec_b64 s[8:9], vcc
.LBB596_70:                             ;   in Loop: Header=BB596_55 Depth=1
	v_add_u32_e32 v2, s10, v22
	ds_write_b32 v2, v9 offset:1024
.LBB596_71:                             ;   in Loop: Header=BB596_55 Depth=1
	s_or_b64 exec, exec, s[8:9]
	v_cmp_gt_u32_e32 vcc, s3, v10
	s_waitcnt lgkmcnt(0)
	s_barrier
	s_and_saveexec_b64 s[8:9], vcc
	s_cbranch_execz .LBB596_73
; %bb.72:                               ;   in Loop: Header=BB596_55 Depth=1
	ds_read_b32 v2, v29 offset:1024
	s_waitcnt lgkmcnt(0)
	v_cmp_ne_u32_e32 vcc, s11, v2
	s_nop 1
	v_cndmask_b32_e32 v33, v32, v2, vcc
	v_lshrrev_b32_e32 v33, s20, v33
	v_and_b32_e32 v33, s23, v33
	v_lshlrev_b32_e32 v33, 2, v33
	ds_read_b32 v33, v33
	v_cmp_lt_i32_e32 vcc, -1, v2
	s_nop 1
	v_cndmask_b32_e64 v34, v32, -1, vcc
	v_xor_b32_e32 v36, v34, v2
	s_waitcnt lgkmcnt(0)
	v_add_u32_e32 v2, v10, v33
	v_lshl_add_u64 v[34:35], v[2:3], 2, s[26:27]
	global_store_dword v[34:35], v36, off
.LBB596_73:                             ;   in Loop: Header=BB596_55 Depth=1
	s_or_b64 exec, exec, s[8:9]
	v_add_u32_e32 v2, 0x400, v10
	v_cmp_gt_u32_e32 vcc, s3, v2
	s_and_saveexec_b64 s[8:9], vcc
	s_cbranch_execz .LBB596_75
; %bb.74:                               ;   in Loop: Header=BB596_55 Depth=1
	ds_read_b32 v2, v29 offset:5120
	s_waitcnt lgkmcnt(0)
	v_cmp_ne_u32_e32 vcc, s11, v2
	s_nop 1
	v_cndmask_b32_e32 v33, v32, v2, vcc
	v_lshrrev_b32_e32 v33, s20, v33
	v_and_b32_e32 v33, s23, v33
	v_lshlrev_b32_e32 v33, 2, v33
	ds_read_b32 v33, v33
	v_cmp_lt_i32_e32 vcc, -1, v2
	s_nop 1
	v_cndmask_b32_e64 v34, v32, -1, vcc
	v_xor_b32_e32 v36, v34, v2
	s_waitcnt lgkmcnt(0)
	v_add3_u32 v2, v10, v33, s12
	v_lshl_add_u64 v[34:35], v[2:3], 2, s[26:27]
	global_store_dword v[34:35], v36, off
.LBB596_75:                             ;   in Loop: Header=BB596_55 Depth=1
	s_or_b64 exec, exec, s[8:9]
	v_add_u32_e32 v2, 0x800, v10
	v_cmp_gt_u32_e32 vcc, s3, v2
	s_and_saveexec_b64 s[8:9], vcc
	s_cbranch_execz .LBB596_77
; %bb.76:                               ;   in Loop: Header=BB596_55 Depth=1
	ds_read_b32 v2, v29 offset:9216
	s_waitcnt lgkmcnt(0)
	v_cmp_ne_u32_e32 vcc, s11, v2
	s_nop 1
	v_cndmask_b32_e32 v33, v32, v2, vcc
	v_lshrrev_b32_e32 v33, s20, v33
	v_and_b32_e32 v33, s23, v33
	v_lshlrev_b32_e32 v33, 2, v33
	ds_read_b32 v33, v33
	v_cmp_lt_i32_e32 vcc, -1, v2
	s_nop 1
	v_cndmask_b32_e64 v34, v32, -1, vcc
	v_xor_b32_e32 v36, v34, v2
	s_waitcnt lgkmcnt(0)
	v_add3_u32 v2, v10, v33, s13
	v_lshl_add_u64 v[34:35], v[2:3], 2, s[26:27]
	global_store_dword v[34:35], v36, off
.LBB596_77:                             ;   in Loop: Header=BB596_55 Depth=1
	s_or_b64 exec, exec, s[8:9]
	v_add_u32_e32 v2, 0xc00, v10
	v_cmp_gt_u32_e32 vcc, s3, v2
	s_and_saveexec_b64 s[8:9], vcc
	s_cbranch_execz .LBB596_54
; %bb.78:                               ;   in Loop: Header=BB596_55 Depth=1
	ds_read_b32 v2, v29 offset:13312
	s_waitcnt lgkmcnt(0)
	v_cmp_ne_u32_e32 vcc, s11, v2
	s_nop 1
	v_cndmask_b32_e32 v33, v32, v2, vcc
	v_lshrrev_b32_e32 v33, s20, v33
	v_and_b32_e32 v33, s23, v33
	v_lshlrev_b32_e32 v33, 2, v33
	ds_read_b32 v33, v33
	v_cmp_lt_i32_e32 vcc, -1, v2
	s_nop 1
	v_cndmask_b32_e64 v34, v32, -1, vcc
	v_xor_b32_e32 v36, v34, v2
	s_waitcnt lgkmcnt(0)
	v_add3_u32 v2, v10, v33, s14
	v_lshl_add_u64 v[34:35], v[2:3], 2, s[26:27]
	global_store_dword v[34:35], v36, off
	s_branch .LBB596_54
.LBB596_79:
	s_add_i32 s22, s22, -1
	s_cmp_eq_u32 s2, s22
	s_cselect_b64 s[6:7], -1, 0
	s_xor_b64 s[4:5], s[4:5], -1
	s_and_b64 s[6:7], s[4:5], s[6:7]
	s_and_saveexec_b64 s[4:5], s[6:7]
	s_cbranch_execz .LBB596_81
; %bb.80:
	ds_read_b32 v2, v29
	s_waitcnt lgkmcnt(0)
	v_add3_u32 v2, v16, v17, v2
	global_store_dword v29, v2, s[18:19]
.LBB596_81:
	s_or_b64 exec, exec, s[4:5]
	s_mov_b64 s[4:5], 0
.LBB596_82:
	s_and_b64 vcc, exec, s[4:5]
	s_cbranch_vccz .LBB596_139
; %bb.83:
	s_lshl_b32 s4, s2, 13
	s_mov_b32 s5, 0
	s_lshl_b64 s[4:5], s[4:5], 2
	v_mbcnt_hi_u32_b32 v6, -1, v1
	s_add_u32 s4, s24, s4
	v_and_b32_e32 v1, 63, v6
	s_addc_u32 s5, s25, s5
	v_lshlrev_b32_e32 v4, 2, v1
	v_mov_b32_e32 v5, 0
	v_and_b32_e32 v2, 0x3ff, v0
	v_lshl_add_u64 v[8:9], s[4:5], 0, v[4:5]
	s_load_dword s3, s[0:1], 0x58
	s_load_dword s4, s[0:1], 0x64
	v_lshlrev_b32_e32 v1, 5, v2
	v_and_b32_e32 v4, 0x7800, v1
	v_lshl_add_u64 v[16:17], v[8:9], 0, v[4:5]
	global_load_dword v1, v[16:17], off
	s_add_u32 s0, s0, 0x58
	s_addc_u32 s1, s1, 0
	s_waitcnt lgkmcnt(0)
	s_lshr_b32 s4, s4, 16
	s_cmp_lt_u32 s2, s3
	s_cselect_b32 s5, 12, 18
	s_add_u32 s0, s0, s5
	s_addc_u32 s1, s1, 0
	global_load_ushort v4, v5, s[0:1]
	v_mul_u32_u24_e32 v7, 20, v2
	ds_write2_b32 v7, v5, v5 offset0:16 offset1:17
	ds_write2_b32 v7, v5, v5 offset0:18 offset1:19
	ds_write_b32 v7, v5 offset:80
	global_load_dword v8, v[16:17], off offset:256
	global_load_dword v9, v[16:17], off offset:512
	;; [unrolled: 1-line block ×7, first 2 shown]
	v_bfrev_b32_e32 v11, 1
	v_bfe_u32 v3, v0, 10, 10
	v_bfe_u32 v10, v0, 20, 10
	v_mad_u32_u24 v10, v10, s4, v3
	s_brev_b32 s10, -2
	s_lshl_b32 s4, -1, s21
	v_mov_b32_e32 v0, v5
	v_mov_b32_e32 v18, v5
	;; [unrolled: 1-line block ×3, first 2 shown]
	s_not_b32 s12, s4
	v_mov_b32_e32 v28, v5
	s_movk_i32 s11, 0x44
	s_waitcnt lgkmcnt(0)
	s_barrier
	s_waitcnt vmcnt(8)
	; wave barrier
	v_cmp_lt_i32_e32 vcc, -1, v1
	s_nop 1
	v_cndmask_b32_e32 v3, -1, v11, vcc
	v_xor_b32_e32 v3, v3, v1
	v_cmp_ne_u32_e32 vcc, s10, v3
	s_waitcnt vmcnt(7)
	v_mad_u64_u32 v[16:17], s[0:1], v10, v4, v[2:3]
	v_cndmask_b32_e32 v1, v11, v3, vcc
	v_lshrrev_b32_e32 v1, s20, v1
	v_bitop3_b32 v10, v1, s4, v1 bitop3:0x30
	v_and_b32_e32 v4, 1, v10
	v_lshlrev_b32_e32 v1, 30, v10
	v_lshrrev_b32_e32 v13, 4, v16
	v_lshlrev_b32_e32 v19, 29, v10
	v_lshl_add_u64 v[16:17], v[4:5], 0, -1
	v_cmp_ne_u32_e32 vcc, 0, v4
	v_cmp_gt_i64_e64 s[0:1], 0, v[0:1]
	v_not_b32_e32 v0, v1
	v_lshlrev_b32_e32 v27, 28, v10
	v_not_b32_e32 v1, v19
	v_xor_b32_e32 v17, vcc_hi, v17
	v_xor_b32_e32 v16, vcc_lo, v16
	v_ashrrev_i32_e32 v0, 31, v0
	v_lshlrev_b32_e32 v29, 27, v10
	v_cmp_gt_i64_e64 s[4:5], 0, v[18:19]
	v_not_b32_e32 v4, v27
	v_ashrrev_i32_e32 v1, 31, v1
	v_and_b32_e32 v17, exec_hi, v17
	v_and_b32_e32 v16, exec_lo, v16
	v_xor_b32_e32 v18, s1, v0
	v_xor_b32_e32 v0, s0, v0
	v_and_b32_e32 v23, 0xffffffc, v13
	v_cmp_gt_i64_e64 s[6:7], 0, v[26:27]
	v_not_b32_e32 v13, v29
	v_ashrrev_i32_e32 v4, 31, v4
	v_xor_b32_e32 v19, s5, v1
	v_xor_b32_e32 v1, s4, v1
	v_and_b32_e32 v17, v17, v18
	v_and_b32_e32 v0, v16, v0
	v_cmp_gt_i64_e64 s[8:9], 0, v[28:29]
	v_ashrrev_i32_e32 v13, 31, v13
	v_xor_b32_e32 v22, s7, v4
	v_xor_b32_e32 v4, s6, v4
	v_and_b32_e32 v16, v17, v19
	v_and_b32_e32 v0, v0, v1
	;; [unrolled: 1-line block ×4, first 2 shown]
	v_xor_b32_e32 v4, s9, v13
	v_xor_b32_e32 v13, s8, v13
	v_and_b32_e32 v4, v1, v4
	v_and_b32_e32 v13, v0, v13
	v_lshlrev_b32_e32 v1, 26, v10
	v_mov_b32_e32 v0, v5
	v_cmp_gt_i64_e32 vcc, 0, v[0:1]
	v_not_b32_e32 v0, v1
	v_ashrrev_i32_e32 v0, 31, v0
	v_xor_b32_e32 v1, vcc_hi, v0
	v_xor_b32_e32 v0, vcc_lo, v0
	v_and_b32_e32 v4, v4, v1
	v_and_b32_e32 v13, v13, v0
	v_lshlrev_b32_e32 v1, 25, v10
	v_mov_b32_e32 v0, v5
	v_cmp_gt_i64_e32 vcc, 0, v[0:1]
	v_not_b32_e32 v0, v1
	v_ashrrev_i32_e32 v0, 31, v0
	v_xor_b32_e32 v1, vcc_hi, v0
	v_xor_b32_e32 v0, vcc_lo, v0
	;; [unrolled: 9-line block ×3, first 2 shown]
	v_and_b32_e32 v0, v13, v0
	v_and_b32_e32 v1, v4, v1
	v_mbcnt_lo_u32_b32 v4, v0, 0
	v_mul_lo_u32 v14, v10, s11
	v_mbcnt_hi_u32_b32 v10, v1, v4
	v_cmp_eq_u32_e32 vcc, 0, v10
	v_cmp_ne_u64_e64 s[0:1], 0, v[0:1]
	s_and_b64 s[4:5], s[0:1], vcc
	v_add_u32_e32 v16, v23, v14
	s_and_saveexec_b64 s[0:1], s[4:5]
; %bb.84:
	v_bcnt_u32_b32 v0, v0, 0
	v_bcnt_u32_b32 v0, v1, v0
	ds_write_b32 v16, v0 offset:64
; %bb.85:
	s_or_b64 exec, exec, s[0:1]
	s_waitcnt vmcnt(6)
	v_cmp_lt_i32_e32 vcc, -1, v8
	; wave barrier
	s_nop 1
	v_cndmask_b32_e32 v0, -1, v11, vcc
	v_xor_b32_e32 v8, v0, v8
	v_cmp_ne_u32_e32 vcc, s10, v8
	s_nop 1
	v_cndmask_b32_e32 v0, v11, v8, vcc
	v_lshrrev_b32_e32 v0, s20, v0
	v_and_b32_e32 v13, s12, v0
	v_mul_lo_u32 v0, v13, s11
	v_and_b32_e32 v4, 1, v13
	v_add_u32_e32 v17, v23, v0
	v_lshl_add_u64 v[0:1], v[4:5], 0, -1
	v_cmp_ne_u32_e32 vcc, 0, v4
	ds_read_b32 v11, v17 offset:64
	s_nop 0
	v_xor_b32_e32 v1, vcc_hi, v1
	v_xor_b32_e32 v0, vcc_lo, v0
	v_and_b32_e32 v4, exec_hi, v1
	v_and_b32_e32 v14, exec_lo, v0
	v_lshlrev_b32_e32 v1, 30, v13
	v_mov_b32_e32 v0, v5
	v_cmp_gt_i64_e32 vcc, 0, v[0:1]
	v_not_b32_e32 v0, v1
	v_ashrrev_i32_e32 v0, 31, v0
	v_xor_b32_e32 v1, vcc_hi, v0
	v_xor_b32_e32 v0, vcc_lo, v0
	v_and_b32_e32 v4, v4, v1
	v_and_b32_e32 v14, v14, v0
	v_lshlrev_b32_e32 v1, 29, v13
	v_mov_b32_e32 v0, v5
	v_cmp_gt_i64_e32 vcc, 0, v[0:1]
	v_not_b32_e32 v0, v1
	v_ashrrev_i32_e32 v0, 31, v0
	v_xor_b32_e32 v1, vcc_hi, v0
	v_xor_b32_e32 v0, vcc_lo, v0
	v_and_b32_e32 v4, v4, v1
	v_and_b32_e32 v14, v14, v0
	;; [unrolled: 9-line block ×7, first 2 shown]
	v_mbcnt_lo_u32_b32 v4, v0, 0
	v_mbcnt_hi_u32_b32 v13, v1, v4
	v_cmp_eq_u32_e32 vcc, 0, v13
	v_cmp_ne_u64_e64 s[0:1], 0, v[0:1]
	s_and_b64 s[4:5], s[0:1], vcc
	; wave barrier
	s_and_saveexec_b64 s[0:1], s[4:5]
	s_cbranch_execz .LBB596_87
; %bb.86:
	v_bcnt_u32_b32 v0, v0, 0
	v_bcnt_u32_b32 v0, v1, v0
	s_waitcnt lgkmcnt(0)
	v_add_u32_e32 v0, v11, v0
	ds_write_b32 v17, v0 offset:64
.LBB596_87:
	s_or_b64 exec, exec, s[0:1]
	v_bfrev_b32_e32 v19, 1
	s_waitcnt vmcnt(5)
	v_cmp_lt_i32_e32 vcc, -1, v9
	s_brev_b32 s4, -2
	s_movk_i32 s5, 0x44
	v_cndmask_b32_e32 v0, -1, v19, vcc
	v_xor_b32_e32 v9, v0, v9
	v_cmp_ne_u32_e32 vcc, s4, v9
	v_mov_b32_e32 v1, 0
	s_nop 0
	v_cndmask_b32_e32 v0, v19, v9, vcc
	v_lshrrev_b32_e32 v0, s20, v0
	v_and_b32_e32 v18, s12, v0
	v_mul_lo_u32 v0, v18, s5
	v_add_u32_e32 v22, v23, v0
	v_and_b32_e32 v0, 1, v18
	v_lshl_add_u64 v[4:5], v[0:1], 0, -1
	v_cmp_ne_u32_e32 vcc, 0, v0
	; wave barrier
	ds_read_b32 v14, v22 offset:64
	s_nop 0
	v_xor_b32_e32 v4, vcc_lo, v4
	v_xor_b32_e32 v0, vcc_hi, v5
	v_and_b32_e32 v24, exec_lo, v4
	v_lshlrev_b32_e32 v5, 30, v18
	v_mov_b32_e32 v4, v1
	v_cmp_gt_i64_e32 vcc, 0, v[4:5]
	v_not_b32_e32 v4, v5
	v_ashrrev_i32_e32 v4, 31, v4
	v_and_b32_e32 v0, exec_hi, v0
	v_xor_b32_e32 v5, vcc_hi, v4
	v_xor_b32_e32 v4, vcc_lo, v4
	v_and_b32_e32 v0, v0, v5
	v_and_b32_e32 v24, v24, v4
	v_lshlrev_b32_e32 v5, 29, v18
	v_mov_b32_e32 v4, v1
	v_cmp_gt_i64_e32 vcc, 0, v[4:5]
	v_not_b32_e32 v4, v5
	v_ashrrev_i32_e32 v4, 31, v4
	v_xor_b32_e32 v5, vcc_hi, v4
	v_xor_b32_e32 v4, vcc_lo, v4
	v_and_b32_e32 v0, v0, v5
	v_and_b32_e32 v24, v24, v4
	v_lshlrev_b32_e32 v5, 28, v18
	v_mov_b32_e32 v4, v1
	v_cmp_gt_i64_e32 vcc, 0, v[4:5]
	v_not_b32_e32 v4, v5
	v_ashrrev_i32_e32 v4, 31, v4
	;; [unrolled: 9-line block ×6, first 2 shown]
	v_xor_b32_e32 v5, vcc_hi, v4
	v_xor_b32_e32 v4, vcc_lo, v4
	v_and_b32_e32 v4, v24, v4
	v_and_b32_e32 v5, v0, v5
	v_mbcnt_lo_u32_b32 v0, v4, 0
	v_mbcnt_hi_u32_b32 v18, v5, v0
	v_cmp_eq_u32_e32 vcc, 0, v18
	v_cmp_ne_u64_e64 s[0:1], 0, v[4:5]
	s_and_b64 s[6:7], s[0:1], vcc
	; wave barrier
	s_and_saveexec_b64 s[0:1], s[6:7]
	s_cbranch_execz .LBB596_89
; %bb.88:
	v_bcnt_u32_b32 v0, v4, 0
	v_bcnt_u32_b32 v0, v5, v0
	s_waitcnt lgkmcnt(0)
	v_add_u32_e32 v0, v14, v0
	ds_write_b32 v22, v0 offset:64
.LBB596_89:
	s_or_b64 exec, exec, s[0:1]
	s_waitcnt vmcnt(4)
	v_cmp_lt_i32_e32 vcc, -1, v12
	; wave barrier
	s_nop 1
	v_cndmask_b32_e32 v0, -1, v19, vcc
	v_xor_b32_e32 v12, v0, v12
	v_cmp_ne_u32_e32 vcc, s4, v12
	s_nop 1
	v_cndmask_b32_e32 v0, v19, v12, vcc
	v_lshrrev_b32_e32 v0, s20, v0
	v_and_b32_e32 v24, s12, v0
	v_mul_lo_u32 v0, v24, s5
	v_add_u32_e32 v27, v23, v0
	v_and_b32_e32 v0, 1, v24
	v_lshl_add_u64 v[4:5], v[0:1], 0, -1
	v_cmp_ne_u32_e32 vcc, 0, v0
	ds_read_b32 v19, v27 offset:64
	s_nop 0
	v_xor_b32_e32 v4, vcc_lo, v4
	v_xor_b32_e32 v0, vcc_hi, v5
	v_and_b32_e32 v26, exec_lo, v4
	v_lshlrev_b32_e32 v5, 30, v24
	v_mov_b32_e32 v4, v1
	v_cmp_gt_i64_e32 vcc, 0, v[4:5]
	v_not_b32_e32 v4, v5
	v_ashrrev_i32_e32 v4, 31, v4
	v_and_b32_e32 v0, exec_hi, v0
	v_xor_b32_e32 v5, vcc_hi, v4
	v_xor_b32_e32 v4, vcc_lo, v4
	v_and_b32_e32 v0, v0, v5
	v_and_b32_e32 v26, v26, v4
	v_lshlrev_b32_e32 v5, 29, v24
	v_mov_b32_e32 v4, v1
	v_cmp_gt_i64_e32 vcc, 0, v[4:5]
	v_not_b32_e32 v4, v5
	v_ashrrev_i32_e32 v4, 31, v4
	v_xor_b32_e32 v5, vcc_hi, v4
	v_xor_b32_e32 v4, vcc_lo, v4
	v_and_b32_e32 v0, v0, v5
	v_and_b32_e32 v26, v26, v4
	v_lshlrev_b32_e32 v5, 28, v24
	v_mov_b32_e32 v4, v1
	v_cmp_gt_i64_e32 vcc, 0, v[4:5]
	v_not_b32_e32 v4, v5
	v_ashrrev_i32_e32 v4, 31, v4
	;; [unrolled: 9-line block ×5, first 2 shown]
	v_xor_b32_e32 v5, vcc_hi, v4
	v_xor_b32_e32 v4, vcc_lo, v4
	v_and_b32_e32 v0, v0, v5
	v_lshlrev_b32_e32 v5, 24, v24
	v_and_b32_e32 v26, v26, v4
	v_mov_b32_e32 v4, v1
	v_not_b32_e32 v1, v5
	v_cmp_gt_i64_e32 vcc, 0, v[4:5]
	v_ashrrev_i32_e32 v1, 31, v1
	; wave barrier
	s_nop 0
	v_xor_b32_e32 v4, vcc_hi, v1
	v_xor_b32_e32 v5, vcc_lo, v1
	v_and_b32_e32 v1, v0, v4
	v_and_b32_e32 v0, v26, v5
	v_mbcnt_lo_u32_b32 v4, v0, 0
	v_mbcnt_hi_u32_b32 v24, v1, v4
	v_cmp_eq_u32_e32 vcc, 0, v24
	v_cmp_ne_u64_e64 s[0:1], 0, v[0:1]
	s_and_b64 s[4:5], s[0:1], vcc
	s_and_saveexec_b64 s[0:1], s[4:5]
	s_cbranch_execz .LBB596_91
; %bb.90:
	v_bcnt_u32_b32 v0, v0, 0
	v_bcnt_u32_b32 v0, v1, v0
	s_waitcnt lgkmcnt(0)
	v_add_u32_e32 v0, v19, v0
	ds_write_b32 v27, v0 offset:64
.LBB596_91:
	s_or_b64 exec, exec, s[0:1]
	v_bfrev_b32_e32 v29, 1
	s_waitcnt vmcnt(3)
	v_cmp_lt_i32_e32 vcc, -1, v15
	s_brev_b32 s4, -2
	s_movk_i32 s5, 0x44
	v_cndmask_b32_e32 v0, -1, v29, vcc
	v_xor_b32_e32 v15, v0, v15
	v_cmp_ne_u32_e32 vcc, s4, v15
	v_mov_b32_e32 v1, 0
	s_nop 0
	v_cndmask_b32_e32 v0, v29, v15, vcc
	v_lshrrev_b32_e32 v0, s20, v0
	v_and_b32_e32 v28, s12, v0
	v_mul_lo_u32 v0, v28, s5
	v_add_u32_e32 v30, v23, v0
	v_and_b32_e32 v0, 1, v28
	v_lshl_add_u64 v[4:5], v[0:1], 0, -1
	v_cmp_ne_u32_e32 vcc, 0, v0
	; wave barrier
	ds_read_b32 v26, v30 offset:64
	s_nop 0
	v_xor_b32_e32 v4, vcc_lo, v4
	v_xor_b32_e32 v0, vcc_hi, v5
	v_and_b32_e32 v31, exec_lo, v4
	v_lshlrev_b32_e32 v5, 30, v28
	v_mov_b32_e32 v4, v1
	v_cmp_gt_i64_e32 vcc, 0, v[4:5]
	v_not_b32_e32 v4, v5
	v_ashrrev_i32_e32 v4, 31, v4
	v_and_b32_e32 v0, exec_hi, v0
	v_xor_b32_e32 v5, vcc_hi, v4
	v_xor_b32_e32 v4, vcc_lo, v4
	v_and_b32_e32 v0, v0, v5
	v_and_b32_e32 v31, v31, v4
	v_lshlrev_b32_e32 v5, 29, v28
	v_mov_b32_e32 v4, v1
	v_cmp_gt_i64_e32 vcc, 0, v[4:5]
	v_not_b32_e32 v4, v5
	v_ashrrev_i32_e32 v4, 31, v4
	v_xor_b32_e32 v5, vcc_hi, v4
	v_xor_b32_e32 v4, vcc_lo, v4
	v_and_b32_e32 v0, v0, v5
	v_and_b32_e32 v31, v31, v4
	v_lshlrev_b32_e32 v5, 28, v28
	v_mov_b32_e32 v4, v1
	v_cmp_gt_i64_e32 vcc, 0, v[4:5]
	v_not_b32_e32 v4, v5
	v_ashrrev_i32_e32 v4, 31, v4
	;; [unrolled: 9-line block ×6, first 2 shown]
	v_xor_b32_e32 v5, vcc_hi, v4
	v_xor_b32_e32 v4, vcc_lo, v4
	v_and_b32_e32 v4, v31, v4
	v_and_b32_e32 v5, v0, v5
	v_mbcnt_lo_u32_b32 v0, v4, 0
	v_mbcnt_hi_u32_b32 v28, v5, v0
	v_cmp_eq_u32_e32 vcc, 0, v28
	v_cmp_ne_u64_e64 s[0:1], 0, v[4:5]
	s_and_b64 s[6:7], s[0:1], vcc
	; wave barrier
	s_and_saveexec_b64 s[0:1], s[6:7]
	s_cbranch_execz .LBB596_93
; %bb.92:
	v_bcnt_u32_b32 v0, v4, 0
	v_bcnt_u32_b32 v0, v5, v0
	s_waitcnt lgkmcnt(0)
	v_add_u32_e32 v0, v26, v0
	ds_write_b32 v30, v0 offset:64
.LBB596_93:
	s_or_b64 exec, exec, s[0:1]
	s_waitcnt vmcnt(2)
	v_cmp_lt_i32_e32 vcc, -1, v20
	; wave barrier
	s_nop 1
	v_cndmask_b32_e32 v0, -1, v29, vcc
	v_xor_b32_e32 v20, v0, v20
	v_cmp_ne_u32_e32 vcc, s4, v20
	s_nop 1
	v_cndmask_b32_e32 v0, v29, v20, vcc
	v_lshrrev_b32_e32 v0, s20, v0
	v_and_b32_e32 v31, s12, v0
	v_mul_lo_u32 v0, v31, s5
	v_add_u32_e32 v33, v23, v0
	v_and_b32_e32 v0, 1, v31
	v_lshl_add_u64 v[4:5], v[0:1], 0, -1
	v_cmp_ne_u32_e32 vcc, 0, v0
	ds_read_b32 v29, v33 offset:64
	s_nop 0
	v_xor_b32_e32 v4, vcc_lo, v4
	v_xor_b32_e32 v0, vcc_hi, v5
	v_and_b32_e32 v32, exec_lo, v4
	v_lshlrev_b32_e32 v5, 30, v31
	v_mov_b32_e32 v4, v1
	v_cmp_gt_i64_e32 vcc, 0, v[4:5]
	v_not_b32_e32 v4, v5
	v_ashrrev_i32_e32 v4, 31, v4
	v_and_b32_e32 v0, exec_hi, v0
	v_xor_b32_e32 v5, vcc_hi, v4
	v_xor_b32_e32 v4, vcc_lo, v4
	v_and_b32_e32 v0, v0, v5
	v_and_b32_e32 v32, v32, v4
	v_lshlrev_b32_e32 v5, 29, v31
	v_mov_b32_e32 v4, v1
	v_cmp_gt_i64_e32 vcc, 0, v[4:5]
	v_not_b32_e32 v4, v5
	v_ashrrev_i32_e32 v4, 31, v4
	v_xor_b32_e32 v5, vcc_hi, v4
	v_xor_b32_e32 v4, vcc_lo, v4
	v_and_b32_e32 v0, v0, v5
	v_and_b32_e32 v32, v32, v4
	v_lshlrev_b32_e32 v5, 28, v31
	v_mov_b32_e32 v4, v1
	v_cmp_gt_i64_e32 vcc, 0, v[4:5]
	v_not_b32_e32 v4, v5
	v_ashrrev_i32_e32 v4, 31, v4
	;; [unrolled: 9-line block ×5, first 2 shown]
	v_xor_b32_e32 v5, vcc_hi, v4
	v_xor_b32_e32 v4, vcc_lo, v4
	v_and_b32_e32 v0, v0, v5
	v_lshlrev_b32_e32 v5, 24, v31
	v_and_b32_e32 v32, v32, v4
	v_mov_b32_e32 v4, v1
	v_not_b32_e32 v1, v5
	v_cmp_gt_i64_e32 vcc, 0, v[4:5]
	v_ashrrev_i32_e32 v1, 31, v1
	; wave barrier
	s_nop 0
	v_xor_b32_e32 v4, vcc_hi, v1
	v_xor_b32_e32 v5, vcc_lo, v1
	v_and_b32_e32 v1, v0, v4
	v_and_b32_e32 v0, v32, v5
	v_mbcnt_lo_u32_b32 v4, v0, 0
	v_mbcnt_hi_u32_b32 v31, v1, v4
	v_cmp_eq_u32_e32 vcc, 0, v31
	v_cmp_ne_u64_e64 s[0:1], 0, v[0:1]
	s_and_b64 s[4:5], s[0:1], vcc
	s_and_saveexec_b64 s[0:1], s[4:5]
	s_cbranch_execz .LBB596_95
; %bb.94:
	v_bcnt_u32_b32 v0, v0, 0
	v_bcnt_u32_b32 v0, v1, v0
	s_waitcnt lgkmcnt(0)
	v_add_u32_e32 v0, v29, v0
	ds_write_b32 v33, v0 offset:64
.LBB596_95:
	s_or_b64 exec, exec, s[0:1]
	v_bfrev_b32_e32 v35, 1
	s_waitcnt vmcnt(1)
	v_cmp_lt_i32_e32 vcc, -1, v25
	s_brev_b32 s4, -2
	s_movk_i32 s5, 0x44
	v_cndmask_b32_e32 v0, -1, v35, vcc
	v_xor_b32_e32 v25, v0, v25
	v_cmp_ne_u32_e32 vcc, s4, v25
	v_mov_b32_e32 v1, 0
	s_nop 0
	v_cndmask_b32_e32 v0, v35, v25, vcc
	v_lshrrev_b32_e32 v0, s20, v0
	v_and_b32_e32 v34, s12, v0
	v_mul_lo_u32 v0, v34, s5
	v_add_u32_e32 v36, v23, v0
	v_and_b32_e32 v0, 1, v34
	v_lshl_add_u64 v[4:5], v[0:1], 0, -1
	v_cmp_ne_u32_e32 vcc, 0, v0
	; wave barrier
	ds_read_b32 v32, v36 offset:64
	s_nop 0
	v_xor_b32_e32 v4, vcc_lo, v4
	v_xor_b32_e32 v0, vcc_hi, v5
	v_and_b32_e32 v37, exec_lo, v4
	v_lshlrev_b32_e32 v5, 30, v34
	v_mov_b32_e32 v4, v1
	v_cmp_gt_i64_e32 vcc, 0, v[4:5]
	v_not_b32_e32 v4, v5
	v_ashrrev_i32_e32 v4, 31, v4
	v_and_b32_e32 v0, exec_hi, v0
	v_xor_b32_e32 v5, vcc_hi, v4
	v_xor_b32_e32 v4, vcc_lo, v4
	v_and_b32_e32 v0, v0, v5
	v_and_b32_e32 v37, v37, v4
	v_lshlrev_b32_e32 v5, 29, v34
	v_mov_b32_e32 v4, v1
	v_cmp_gt_i64_e32 vcc, 0, v[4:5]
	v_not_b32_e32 v4, v5
	v_ashrrev_i32_e32 v4, 31, v4
	v_xor_b32_e32 v5, vcc_hi, v4
	v_xor_b32_e32 v4, vcc_lo, v4
	v_and_b32_e32 v0, v0, v5
	v_and_b32_e32 v37, v37, v4
	v_lshlrev_b32_e32 v5, 28, v34
	v_mov_b32_e32 v4, v1
	v_cmp_gt_i64_e32 vcc, 0, v[4:5]
	v_not_b32_e32 v4, v5
	v_ashrrev_i32_e32 v4, 31, v4
	;; [unrolled: 9-line block ×6, first 2 shown]
	v_xor_b32_e32 v5, vcc_hi, v4
	v_xor_b32_e32 v4, vcc_lo, v4
	v_and_b32_e32 v4, v37, v4
	v_and_b32_e32 v5, v0, v5
	v_mbcnt_lo_u32_b32 v0, v4, 0
	v_mbcnt_hi_u32_b32 v34, v5, v0
	v_cmp_eq_u32_e32 vcc, 0, v34
	v_cmp_ne_u64_e64 s[0:1], 0, v[4:5]
	s_and_b64 s[6:7], s[0:1], vcc
	; wave barrier
	s_and_saveexec_b64 s[0:1], s[6:7]
	s_cbranch_execz .LBB596_97
; %bb.96:
	v_bcnt_u32_b32 v0, v4, 0
	v_bcnt_u32_b32 v0, v5, v0
	s_waitcnt lgkmcnt(0)
	v_add_u32_e32 v0, v32, v0
	ds_write_b32 v36, v0 offset:64
.LBB596_97:
	s_or_b64 exec, exec, s[0:1]
	s_waitcnt vmcnt(0)
	v_cmp_lt_i32_e32 vcc, -1, v21
	; wave barrier
	s_nop 1
	v_cndmask_b32_e32 v0, -1, v35, vcc
	v_xor_b32_e32 v21, v0, v21
	v_cmp_ne_u32_e32 vcc, s4, v21
	s_nop 1
	v_cndmask_b32_e32 v0, v35, v21, vcc
	v_lshrrev_b32_e32 v0, s20, v0
	v_and_b32_e32 v37, s12, v0
	v_mul_lo_u32 v0, v37, s5
	v_add_u32_e32 v38, v23, v0
	v_and_b32_e32 v0, 1, v37
	v_lshl_add_u64 v[4:5], v[0:1], 0, -1
	v_cmp_ne_u32_e32 vcc, 0, v0
	ds_read_b32 v35, v38 offset:64
	s_nop 0
	v_xor_b32_e32 v4, vcc_lo, v4
	v_xor_b32_e32 v0, vcc_hi, v5
	v_and_b32_e32 v23, exec_lo, v4
	v_lshlrev_b32_e32 v5, 30, v37
	v_mov_b32_e32 v4, v1
	v_cmp_gt_i64_e32 vcc, 0, v[4:5]
	v_not_b32_e32 v4, v5
	v_ashrrev_i32_e32 v4, 31, v4
	v_and_b32_e32 v0, exec_hi, v0
	v_xor_b32_e32 v5, vcc_hi, v4
	v_xor_b32_e32 v4, vcc_lo, v4
	v_and_b32_e32 v0, v0, v5
	v_and_b32_e32 v23, v23, v4
	v_lshlrev_b32_e32 v5, 29, v37
	v_mov_b32_e32 v4, v1
	v_cmp_gt_i64_e32 vcc, 0, v[4:5]
	v_not_b32_e32 v4, v5
	v_ashrrev_i32_e32 v4, 31, v4
	v_xor_b32_e32 v5, vcc_hi, v4
	v_xor_b32_e32 v4, vcc_lo, v4
	v_and_b32_e32 v0, v0, v5
	v_and_b32_e32 v23, v23, v4
	v_lshlrev_b32_e32 v5, 28, v37
	v_mov_b32_e32 v4, v1
	v_cmp_gt_i64_e32 vcc, 0, v[4:5]
	v_not_b32_e32 v4, v5
	v_ashrrev_i32_e32 v4, 31, v4
	;; [unrolled: 9-line block ×5, first 2 shown]
	v_xor_b32_e32 v5, vcc_hi, v4
	v_xor_b32_e32 v4, vcc_lo, v4
	v_and_b32_e32 v0, v0, v5
	v_lshlrev_b32_e32 v5, 24, v37
	v_and_b32_e32 v23, v23, v4
	v_mov_b32_e32 v4, v1
	v_not_b32_e32 v1, v5
	v_cmp_gt_i64_e32 vcc, 0, v[4:5]
	v_ashrrev_i32_e32 v1, 31, v1
	; wave barrier
	s_nop 0
	v_xor_b32_e32 v4, vcc_hi, v1
	v_xor_b32_e32 v5, vcc_lo, v1
	v_and_b32_e32 v1, v0, v4
	v_and_b32_e32 v0, v23, v5
	v_mbcnt_lo_u32_b32 v4, v0, 0
	v_mbcnt_hi_u32_b32 v37, v1, v4
	v_cmp_eq_u32_e32 vcc, 0, v37
	v_cmp_ne_u64_e64 s[0:1], 0, v[0:1]
	s_and_b64 s[4:5], s[0:1], vcc
	s_and_saveexec_b64 s[0:1], s[4:5]
	s_cbranch_execz .LBB596_99
; %bb.98:
	v_bcnt_u32_b32 v0, v0, 0
	v_bcnt_u32_b32 v0, v1, v0
	s_waitcnt lgkmcnt(0)
	v_add_u32_e32 v0, v35, v0
	ds_write_b32 v38, v0 offset:64
.LBB596_99:
	s_or_b64 exec, exec, s[0:1]
	; wave barrier
	s_waitcnt lgkmcnt(0)
	s_barrier
	ds_read2_b32 v[4:5], v7 offset0:16 offset1:17
	ds_read2_b32 v[0:1], v7 offset0:18 offset1:19
	ds_read_b32 v23, v7 offset:80
	v_cmp_lt_u32_e64 s[8:9], 31, v6
	s_waitcnt lgkmcnt(1)
	v_add3_u32 v39, v5, v4, v0
	s_waitcnt lgkmcnt(0)
	v_add3_u32 v23, v39, v1, v23
	v_and_b32_e32 v39, 15, v6
	v_cmp_eq_u32_e32 vcc, 0, v39
	v_mov_b32_dpp v40, v23 row_shr:1 row_mask:0xf bank_mask:0xf
	v_cmp_lt_u32_e64 s[0:1], 1, v39
	v_cndmask_b32_e64 v40, v40, 0, vcc
	v_add_u32_e32 v23, v40, v23
	v_cmp_lt_u32_e64 s[6:7], 3, v39
	v_cmp_lt_u32_e64 s[4:5], 7, v39
	v_mov_b32_dpp v40, v23 row_shr:2 row_mask:0xf bank_mask:0xf
	v_cndmask_b32_e64 v40, 0, v40, s[0:1]
	v_add_u32_e32 v23, v23, v40
	s_nop 1
	v_mov_b32_dpp v40, v23 row_shr:4 row_mask:0xf bank_mask:0xf
	v_cndmask_b32_e64 v40, 0, v40, s[6:7]
	v_add_u32_e32 v23, v23, v40
	s_nop 1
	v_mov_b32_dpp v40, v23 row_shr:8 row_mask:0xf bank_mask:0xf
	v_cndmask_b32_e64 v39, 0, v40, s[4:5]
	v_add_u32_e32 v23, v23, v39
	v_bfe_i32 v40, v6, 4, 1
	s_nop 0
	v_mov_b32_dpp v39, v23 row_bcast:15 row_mask:0xf bank_mask:0xf
	v_and_b32_e32 v39, v40, v39
	v_add_u32_e32 v23, v23, v39
	v_lshrrev_b32_e32 v40, 6, v2
	s_nop 0
	v_mov_b32_dpp v39, v23 row_bcast:31 row_mask:0xf bank_mask:0xf
	v_cndmask_b32_e64 v39, 0, v39, s[8:9]
	v_add_u32_e32 v39, v23, v39
	v_and_b32_e32 v23, 63, v2
	v_cmp_eq_u32_e64 s[8:9], 63, v23
	s_and_saveexec_b64 s[10:11], s[8:9]
; %bb.100:
	v_lshlrev_b32_e32 v23, 2, v40
	ds_write_b32 v23, v39
; %bb.101:
	s_or_b64 exec, exec, s[10:11]
	v_cmp_gt_u32_e64 s[8:9], 16, v2
	v_lshlrev_b32_e32 v23, 2, v2
	s_waitcnt lgkmcnt(0)
	s_barrier
	s_and_saveexec_b64 s[10:11], s[8:9]
	s_cbranch_execz .LBB596_103
; %bb.102:
	ds_read_b32 v41, v23
	s_waitcnt lgkmcnt(0)
	s_nop 0
	v_mov_b32_dpp v42, v41 row_shr:1 row_mask:0xf bank_mask:0xf
	v_cndmask_b32_e64 v42, v42, 0, vcc
	v_add_u32_e32 v41, v42, v41
	s_nop 1
	v_mov_b32_dpp v42, v41 row_shr:2 row_mask:0xf bank_mask:0xf
	v_cndmask_b32_e64 v42, 0, v42, s[0:1]
	v_add_u32_e32 v41, v41, v42
	s_nop 1
	v_mov_b32_dpp v42, v41 row_shr:4 row_mask:0xf bank_mask:0xf
	v_cndmask_b32_e64 v42, 0, v42, s[6:7]
	;; [unrolled: 4-line block ×3, first 2 shown]
	v_add_u32_e32 v41, v41, v42
	ds_write_b32 v23, v41
.LBB596_103:
	s_or_b64 exec, exec, s[10:11]
	v_cmp_lt_u32_e32 vcc, 63, v2
	v_mov_b32_e32 v41, 0
	s_waitcnt lgkmcnt(0)
	s_barrier
	s_and_saveexec_b64 s[0:1], vcc
; %bb.104:
	v_lshl_add_u32 v40, v40, 2, -4
	ds_read_b32 v41, v40
; %bb.105:
	s_or_b64 exec, exec, s[0:1]
	v_subrev_co_u32_e32 v40, vcc, 1, v6
	v_and_b32_e32 v42, 64, v6
	v_cmp_lt_i32_e64 s[0:1], v40, v42
	s_waitcnt lgkmcnt(0)
	v_add_u32_e32 v39, v41, v39
	s_movk_i32 s4, 0x100
	v_cndmask_b32_e64 v6, v40, v6, s[0:1]
	v_lshlrev_b32_e32 v6, 2, v6
	ds_bpermute_b32 v6, v6, v39
	s_movk_i32 s0, 0xff
	v_cmp_lt_u32_e64 s[0:1], s0, v2
	s_waitcnt lgkmcnt(0)
	v_cndmask_b32_e32 v6, v6, v41, vcc
	v_cmp_ne_u32_e32 vcc, 0, v2
	s_nop 1
	v_cndmask_b32_e32 v6, 0, v6, vcc
	v_add_u32_e32 v4, v6, v4
	v_add_u32_e32 v5, v4, v5
	;; [unrolled: 1-line block ×4, first 2 shown]
	ds_write2_b32 v7, v6, v4 offset0:16 offset1:17
	ds_write2_b32 v7, v5, v0 offset0:18 offset1:19
	ds_write_b32 v7, v1 offset:80
	s_waitcnt lgkmcnt(0)
	s_barrier
	ds_read_b32 v42, v16 offset:64
	ds_read_b32 v39, v17 offset:64
	;; [unrolled: 1-line block ×8, first 2 shown]
	v_cmp_gt_u32_e32 vcc, s4, v2
                                        ; implicit-def: $vgpr16
                                        ; implicit-def: $vgpr17
	s_and_saveexec_b64 s[6:7], vcc
	s_cbranch_execz .LBB596_109
; %bb.106:
	v_mul_u32_u24_e32 v0, 0x44, v2
	ds_read_b32 v16, v0 offset:64
	v_add_u32_e32 v1, 1, v2
	v_cmp_ne_u32_e64 s[4:5], s4, v1
	v_mov_b32_e32 v0, 0x2000
	s_and_saveexec_b64 s[8:9], s[4:5]
; %bb.107:
	v_mul_u32_u24_e32 v0, 0x44, v1
	ds_read_b32 v0, v0 offset:64
; %bb.108:
	s_or_b64 exec, exec, s[8:9]
	s_waitcnt lgkmcnt(0)
	v_sub_u32_e32 v17, v0, v16
.LBB596_109:
	s_or_b64 exec, exec, s[6:7]
	v_mov_b32_e32 v1, 0
	s_waitcnt lgkmcnt(0)
	s_barrier
	s_and_saveexec_b64 s[4:5], vcc
	s_cbranch_execz .LBB596_119
; %bb.110:
	v_lshl_add_u32 v0, s2, 8, v2
	v_lshl_add_u64 v[4:5], v[0:1], 2, s[28:29]
	v_or_b32_e32 v0, 2.0, v17
	s_mov_b64 s[6:7], 0
	s_brev_b32 s13, -4
	s_mov_b32 s14, s2
	v_mov_b32_e32 v36, 0
	global_store_dword v[4:5], v0, off sc1
                                        ; implicit-def: $sgpr8_sgpr9
	s_branch .LBB596_113
.LBB596_111:                            ;   in Loop: Header=BB596_113 Depth=1
	s_or_b64 exec, exec, s[10:11]
.LBB596_112:                            ;   in Loop: Header=BB596_113 Depth=1
	s_or_b64 exec, exec, s[8:9]
	v_and_b32_e32 v6, 0x3fffffff, v0
	v_add_u32_e32 v36, v6, v36
	v_cmp_gt_i32_e64 s[8:9], -2.0, v0
	s_and_b64 s[10:11], exec, s[8:9]
	s_or_b64 s[6:7], s[10:11], s[6:7]
	s_andn2_b64 exec, exec, s[6:7]
	s_cbranch_execz .LBB596_118
.LBB596_113:                            ; =>This Loop Header: Depth=1
                                        ;     Child Loop BB596_116 Depth 2
	s_or_b64 s[8:9], s[8:9], exec
	s_cmp_eq_u32 s14, 0
	s_cbranch_scc1 .LBB596_117
; %bb.114:                              ;   in Loop: Header=BB596_113 Depth=1
	s_add_i32 s14, s14, -1
	v_lshl_or_b32 v0, s14, 8, v2
	v_lshl_add_u64 v[6:7], v[0:1], 2, s[28:29]
	global_load_dword v0, v[6:7], off sc1
	s_waitcnt vmcnt(0)
	v_cmp_gt_u32_e32 vcc, 2.0, v0
	s_and_saveexec_b64 s[8:9], vcc
	s_cbranch_execz .LBB596_112
; %bb.115:                              ;   in Loop: Header=BB596_113 Depth=1
	s_mov_b64 s[10:11], 0
.LBB596_116:                            ;   Parent Loop BB596_113 Depth=1
                                        ; =>  This Inner Loop Header: Depth=2
	global_load_dword v0, v[6:7], off sc1
	s_waitcnt vmcnt(0)
	v_cmp_lt_u32_e32 vcc, s13, v0
	s_or_b64 s[10:11], vcc, s[10:11]
	s_andn2_b64 exec, exec, s[10:11]
	s_cbranch_execnz .LBB596_116
	s_branch .LBB596_111
.LBB596_117:                            ;   in Loop: Header=BB596_113 Depth=1
                                        ; implicit-def: $sgpr14
	s_and_b64 s[10:11], exec, s[8:9]
	s_or_b64 s[6:7], s[10:11], s[6:7]
	s_andn2_b64 exec, exec, s[6:7]
	s_cbranch_execnz .LBB596_113
.LBB596_118:
	s_or_b64 exec, exec, s[6:7]
	v_add_u32_e32 v0, v36, v17
	v_or_b32_e32 v0, 0x80000000, v0
	global_store_dword v[4:5], v0, off sc1
	global_load_dword v0, v23, s[16:17]
	v_sub_u32_e32 v1, v36, v16
	s_waitcnt vmcnt(0)
	v_add_u32_e32 v0, v1, v0
	ds_write_b32 v23, v0
.LBB596_119:
	s_or_b64 exec, exec, s[4:5]
	v_add_u32_e32 v0, v37, v35
	v_add_u32_e32 v1, v34, v32
	;; [unrolled: 1-line block ×8, first 2 shown]
	v_add_lshl_u32 v5, v0, v33, 2
	v_add3_u32 v6, v37, v33, v35
	v_add_lshl_u32 v7, v1, v22, 2
	v_add3_u32 v10, v34, v22, v32
	;; [unrolled: 2-line block ×7, first 2 shown]
	v_lshlrev_b32_e32 v13, 2, v4
	s_mov_b64 s[4:5], -1
	s_mov_b32 s8, 0
	s_movk_i32 s9, 0x1000
	s_brev_b32 s10, -2
	v_bfrev_b32_e32 v30, 1
	v_mov_b32_e32 v1, 0
	s_movk_i32 s11, 0x400
	s_movk_i32 s13, 0x800
	;; [unrolled: 1-line block ×3, first 2 shown]
	s_mov_b32 s15, 0
	s_branch .LBB596_121
.LBB596_120:                            ;   in Loop: Header=BB596_121 Depth=1
	s_or_b64 exec, exec, s[6:7]
	s_waitcnt lgkmcnt(0)
	s_barrier
	ds_read2st64_b32 v[32:33], v23 offset0:4 offset1:20
	s_xor_b64 s[6:7], s[4:5], -1
	s_addk_i32 s15, 0xc000
	s_addk_i32 s8, 0xf000
	s_mov_b64 s[4:5], 0
	s_waitcnt lgkmcnt(0)
	v_cmp_ne_u32_e32 vcc, s10, v32
	s_nop 1
	v_cndmask_b32_e32 v0, v30, v32, vcc
	v_lshrrev_b32_e32 v0, s20, v0
	v_and_b32_e32 v0, s12, v0
	v_lshlrev_b32_e32 v0, 2, v0
	ds_read_b32 v0, v0
	ds_read2st64_b32 v[34:35], v23 offset0:36 offset1:52
	v_cmp_lt_i32_e32 vcc, -1, v32
	s_waitcnt lgkmcnt(1)
	v_add_u32_e32 v0, v2, v0
	v_cndmask_b32_e64 v31, v30, -1, vcc
	v_cmp_ne_u32_e32 vcc, s10, v33
	v_xor_b32_e32 v31, v31, v32
	s_nop 0
	v_cndmask_b32_e32 v32, v30, v33, vcc
	s_waitcnt lgkmcnt(0)
	v_cmp_ne_u32_e32 vcc, s10, v34
	v_lshrrev_b32_e32 v32, s20, v32
	v_and_b32_e32 v32, s12, v32
	v_cndmask_b32_e32 v36, v30, v34, vcc
	v_cmp_ne_u32_e32 vcc, s10, v35
	v_lshrrev_b32_e32 v36, s20, v36
	v_lshlrev_b32_e32 v32, 2, v32
	v_cndmask_b32_e32 v37, v30, v35, vcc
	v_lshrrev_b32_e32 v37, s20, v37
	v_and_b32_e32 v36, s12, v36
	v_and_b32_e32 v37, s12, v37
	v_lshlrev_b32_e32 v36, 2, v36
	v_lshlrev_b32_e32 v37, 2, v37
	ds_read_b32 v32, v32
	ds_read_b32 v38, v36
	;; [unrolled: 1-line block ×3, first 2 shown]
	v_cmp_lt_i32_e32 vcc, -1, v33
	v_lshl_add_u64 v[36:37], v[0:1], 2, s[26:27]
	global_store_dword v[36:37], v31, off
	v_cndmask_b32_e64 v0, v30, -1, vcc
	v_xor_b32_e32 v31, v0, v33
	s_waitcnt lgkmcnt(2)
	v_add3_u32 v0, v2, v32, s11
	v_cmp_lt_i32_e32 vcc, -1, v34
	v_lshl_add_u64 v[32:33], v[0:1], 2, s[26:27]
	global_store_dword v[32:33], v31, off
	v_cndmask_b32_e64 v0, v30, -1, vcc
	v_xor_b32_e32 v31, v0, v34
	s_waitcnt lgkmcnt(1)
	v_add3_u32 v0, v2, v38, s13
	v_cmp_lt_i32_e32 vcc, -1, v35
	v_lshl_add_u64 v[32:33], v[0:1], 2, s[26:27]
	global_store_dword v[32:33], v31, off
	v_cndmask_b32_e64 v0, v30, -1, vcc
	v_xor_b32_e32 v31, v0, v35
	s_waitcnt lgkmcnt(0)
	v_add3_u32 v0, v2, v39, s14
	v_lshl_add_u64 v[32:33], v[0:1], 2, s[26:27]
	v_add_u32_e32 v2, 0x1000, v2
	s_and_b64 vcc, exec, s[6:7]
	global_store_dword v[32:33], v31, off
	s_barrier
	s_cbranch_vccnz .LBB596_137
.LBB596_121:                            ; =>This Inner Loop Header: Depth=1
	v_add_u32_e32 v0, s8, v4
	v_cmp_gt_u32_e32 vcc, s9, v0
	s_and_saveexec_b64 s[6:7], vcc
; %bb.122:                              ;   in Loop: Header=BB596_121 Depth=1
	v_add_u32_e32 v0, s15, v13
	ds_write_b32 v0, v3 offset:1024
; %bb.123:                              ;   in Loop: Header=BB596_121 Depth=1
	s_or_b64 exec, exec, s[6:7]
	v_add_u32_e32 v0, s8, v11
	v_cmp_gt_u32_e32 vcc, s9, v0
	s_and_saveexec_b64 s[6:7], vcc
; %bb.124:                              ;   in Loop: Header=BB596_121 Depth=1
	v_add_u32_e32 v0, s15, v18
	ds_write_b32 v0, v8 offset:1024
; %bb.125:                              ;   in Loop: Header=BB596_121 Depth=1
	s_or_b64 exec, exec, s[6:7]
	;; [unrolled: 8-line block ×7, first 2 shown]
	v_add_u32_e32 v0, s8, v6
	v_cmp_gt_u32_e32 vcc, s9, v0
	s_and_saveexec_b64 s[6:7], vcc
	s_cbranch_execz .LBB596_120
; %bb.136:                              ;   in Loop: Header=BB596_121 Depth=1
	v_add_u32_e32 v0, s15, v5
	ds_write_b32 v0, v21 offset:1024
	s_branch .LBB596_120
.LBB596_137:
	s_add_i32 s3, s3, -1
	s_cmp_eq_u32 s2, s3
	s_cselect_b64 s[2:3], -1, 0
	s_xor_b64 s[0:1], s[0:1], -1
	s_and_b64 s[0:1], s[0:1], s[2:3]
	s_and_saveexec_b64 s[2:3], s[0:1]
	s_cbranch_execz .LBB596_139
; %bb.138:
	ds_read_b32 v0, v23
	s_waitcnt lgkmcnt(0)
	v_add3_u32 v0, v16, v17, v0
	global_store_dword v23, v0, s[18:19]
.LBB596_139:
	s_endpgm
	.section	.rodata,"a",@progbits
	.p2align	6, 0x0
	.amdhsa_kernel _ZN7rocprim17ROCPRIM_400000_NS6detail17trampoline_kernelINS0_14default_configENS1_35radix_sort_onesweep_config_selectorIfNS0_10empty_typeEEEZZNS1_29radix_sort_onesweep_iterationIS3_Lb0EN6thrust23THRUST_200600_302600_NS6detail15normal_iteratorINS9_10device_ptrIfEEEESE_PS5_SF_jNS0_19identity_decomposerENS1_16block_id_wrapperIjLb0EEEEE10hipError_tT1_PNSt15iterator_traitsISK_E10value_typeET2_T3_PNSL_ISQ_E10value_typeET4_T5_PSV_SW_PNS1_23onesweep_lookback_stateEbbT6_jjT7_P12ihipStream_tbENKUlT_T0_SK_SP_E_clISE_PfSF_SF_EEDaS13_S14_SK_SP_EUlS13_E_NS1_11comp_targetILNS1_3genE6ELNS1_11target_archE950ELNS1_3gpuE13ELNS1_3repE0EEENS1_47radix_sort_onesweep_sort_config_static_selectorELNS0_4arch9wavefront6targetE1EEEvSK_
		.amdhsa_group_segment_fixed_size 20552
		.amdhsa_private_segment_fixed_size 0
		.amdhsa_kernarg_size 344
		.amdhsa_user_sgpr_count 2
		.amdhsa_user_sgpr_dispatch_ptr 0
		.amdhsa_user_sgpr_queue_ptr 0
		.amdhsa_user_sgpr_kernarg_segment_ptr 1
		.amdhsa_user_sgpr_dispatch_id 0
		.amdhsa_user_sgpr_kernarg_preload_length 0
		.amdhsa_user_sgpr_kernarg_preload_offset 0
		.amdhsa_user_sgpr_private_segment_size 0
		.amdhsa_uses_dynamic_stack 0
		.amdhsa_enable_private_segment 0
		.amdhsa_system_sgpr_workgroup_id_x 1
		.amdhsa_system_sgpr_workgroup_id_y 0
		.amdhsa_system_sgpr_workgroup_id_z 0
		.amdhsa_system_sgpr_workgroup_info 0
		.amdhsa_system_vgpr_workitem_id 2
		.amdhsa_next_free_vgpr 46
		.amdhsa_next_free_sgpr 32
		.amdhsa_accum_offset 48
		.amdhsa_reserve_vcc 1
		.amdhsa_float_round_mode_32 0
		.amdhsa_float_round_mode_16_64 0
		.amdhsa_float_denorm_mode_32 3
		.amdhsa_float_denorm_mode_16_64 3
		.amdhsa_dx10_clamp 1
		.amdhsa_ieee_mode 1
		.amdhsa_fp16_overflow 0
		.amdhsa_tg_split 0
		.amdhsa_exception_fp_ieee_invalid_op 0
		.amdhsa_exception_fp_denorm_src 0
		.amdhsa_exception_fp_ieee_div_zero 0
		.amdhsa_exception_fp_ieee_overflow 0
		.amdhsa_exception_fp_ieee_underflow 0
		.amdhsa_exception_fp_ieee_inexact 0
		.amdhsa_exception_int_div_zero 0
	.end_amdhsa_kernel
	.section	.text._ZN7rocprim17ROCPRIM_400000_NS6detail17trampoline_kernelINS0_14default_configENS1_35radix_sort_onesweep_config_selectorIfNS0_10empty_typeEEEZZNS1_29radix_sort_onesweep_iterationIS3_Lb0EN6thrust23THRUST_200600_302600_NS6detail15normal_iteratorINS9_10device_ptrIfEEEESE_PS5_SF_jNS0_19identity_decomposerENS1_16block_id_wrapperIjLb0EEEEE10hipError_tT1_PNSt15iterator_traitsISK_E10value_typeET2_T3_PNSL_ISQ_E10value_typeET4_T5_PSV_SW_PNS1_23onesweep_lookback_stateEbbT6_jjT7_P12ihipStream_tbENKUlT_T0_SK_SP_E_clISE_PfSF_SF_EEDaS13_S14_SK_SP_EUlS13_E_NS1_11comp_targetILNS1_3genE6ELNS1_11target_archE950ELNS1_3gpuE13ELNS1_3repE0EEENS1_47radix_sort_onesweep_sort_config_static_selectorELNS0_4arch9wavefront6targetE1EEEvSK_,"axG",@progbits,_ZN7rocprim17ROCPRIM_400000_NS6detail17trampoline_kernelINS0_14default_configENS1_35radix_sort_onesweep_config_selectorIfNS0_10empty_typeEEEZZNS1_29radix_sort_onesweep_iterationIS3_Lb0EN6thrust23THRUST_200600_302600_NS6detail15normal_iteratorINS9_10device_ptrIfEEEESE_PS5_SF_jNS0_19identity_decomposerENS1_16block_id_wrapperIjLb0EEEEE10hipError_tT1_PNSt15iterator_traitsISK_E10value_typeET2_T3_PNSL_ISQ_E10value_typeET4_T5_PSV_SW_PNS1_23onesweep_lookback_stateEbbT6_jjT7_P12ihipStream_tbENKUlT_T0_SK_SP_E_clISE_PfSF_SF_EEDaS13_S14_SK_SP_EUlS13_E_NS1_11comp_targetILNS1_3genE6ELNS1_11target_archE950ELNS1_3gpuE13ELNS1_3repE0EEENS1_47radix_sort_onesweep_sort_config_static_selectorELNS0_4arch9wavefront6targetE1EEEvSK_,comdat
.Lfunc_end596:
	.size	_ZN7rocprim17ROCPRIM_400000_NS6detail17trampoline_kernelINS0_14default_configENS1_35radix_sort_onesweep_config_selectorIfNS0_10empty_typeEEEZZNS1_29radix_sort_onesweep_iterationIS3_Lb0EN6thrust23THRUST_200600_302600_NS6detail15normal_iteratorINS9_10device_ptrIfEEEESE_PS5_SF_jNS0_19identity_decomposerENS1_16block_id_wrapperIjLb0EEEEE10hipError_tT1_PNSt15iterator_traitsISK_E10value_typeET2_T3_PNSL_ISQ_E10value_typeET4_T5_PSV_SW_PNS1_23onesweep_lookback_stateEbbT6_jjT7_P12ihipStream_tbENKUlT_T0_SK_SP_E_clISE_PfSF_SF_EEDaS13_S14_SK_SP_EUlS13_E_NS1_11comp_targetILNS1_3genE6ELNS1_11target_archE950ELNS1_3gpuE13ELNS1_3repE0EEENS1_47radix_sort_onesweep_sort_config_static_selectorELNS0_4arch9wavefront6targetE1EEEvSK_, .Lfunc_end596-_ZN7rocprim17ROCPRIM_400000_NS6detail17trampoline_kernelINS0_14default_configENS1_35radix_sort_onesweep_config_selectorIfNS0_10empty_typeEEEZZNS1_29radix_sort_onesweep_iterationIS3_Lb0EN6thrust23THRUST_200600_302600_NS6detail15normal_iteratorINS9_10device_ptrIfEEEESE_PS5_SF_jNS0_19identity_decomposerENS1_16block_id_wrapperIjLb0EEEEE10hipError_tT1_PNSt15iterator_traitsISK_E10value_typeET2_T3_PNSL_ISQ_E10value_typeET4_T5_PSV_SW_PNS1_23onesweep_lookback_stateEbbT6_jjT7_P12ihipStream_tbENKUlT_T0_SK_SP_E_clISE_PfSF_SF_EEDaS13_S14_SK_SP_EUlS13_E_NS1_11comp_targetILNS1_3genE6ELNS1_11target_archE950ELNS1_3gpuE13ELNS1_3repE0EEENS1_47radix_sort_onesweep_sort_config_static_selectorELNS0_4arch9wavefront6targetE1EEEvSK_
                                        ; -- End function
	.set _ZN7rocprim17ROCPRIM_400000_NS6detail17trampoline_kernelINS0_14default_configENS1_35radix_sort_onesweep_config_selectorIfNS0_10empty_typeEEEZZNS1_29radix_sort_onesweep_iterationIS3_Lb0EN6thrust23THRUST_200600_302600_NS6detail15normal_iteratorINS9_10device_ptrIfEEEESE_PS5_SF_jNS0_19identity_decomposerENS1_16block_id_wrapperIjLb0EEEEE10hipError_tT1_PNSt15iterator_traitsISK_E10value_typeET2_T3_PNSL_ISQ_E10value_typeET4_T5_PSV_SW_PNS1_23onesweep_lookback_stateEbbT6_jjT7_P12ihipStream_tbENKUlT_T0_SK_SP_E_clISE_PfSF_SF_EEDaS13_S14_SK_SP_EUlS13_E_NS1_11comp_targetILNS1_3genE6ELNS1_11target_archE950ELNS1_3gpuE13ELNS1_3repE0EEENS1_47radix_sort_onesweep_sort_config_static_selectorELNS0_4arch9wavefront6targetE1EEEvSK_.num_vgpr, 46
	.set _ZN7rocprim17ROCPRIM_400000_NS6detail17trampoline_kernelINS0_14default_configENS1_35radix_sort_onesweep_config_selectorIfNS0_10empty_typeEEEZZNS1_29radix_sort_onesweep_iterationIS3_Lb0EN6thrust23THRUST_200600_302600_NS6detail15normal_iteratorINS9_10device_ptrIfEEEESE_PS5_SF_jNS0_19identity_decomposerENS1_16block_id_wrapperIjLb0EEEEE10hipError_tT1_PNSt15iterator_traitsISK_E10value_typeET2_T3_PNSL_ISQ_E10value_typeET4_T5_PSV_SW_PNS1_23onesweep_lookback_stateEbbT6_jjT7_P12ihipStream_tbENKUlT_T0_SK_SP_E_clISE_PfSF_SF_EEDaS13_S14_SK_SP_EUlS13_E_NS1_11comp_targetILNS1_3genE6ELNS1_11target_archE950ELNS1_3gpuE13ELNS1_3repE0EEENS1_47radix_sort_onesweep_sort_config_static_selectorELNS0_4arch9wavefront6targetE1EEEvSK_.num_agpr, 0
	.set _ZN7rocprim17ROCPRIM_400000_NS6detail17trampoline_kernelINS0_14default_configENS1_35radix_sort_onesweep_config_selectorIfNS0_10empty_typeEEEZZNS1_29radix_sort_onesweep_iterationIS3_Lb0EN6thrust23THRUST_200600_302600_NS6detail15normal_iteratorINS9_10device_ptrIfEEEESE_PS5_SF_jNS0_19identity_decomposerENS1_16block_id_wrapperIjLb0EEEEE10hipError_tT1_PNSt15iterator_traitsISK_E10value_typeET2_T3_PNSL_ISQ_E10value_typeET4_T5_PSV_SW_PNS1_23onesweep_lookback_stateEbbT6_jjT7_P12ihipStream_tbENKUlT_T0_SK_SP_E_clISE_PfSF_SF_EEDaS13_S14_SK_SP_EUlS13_E_NS1_11comp_targetILNS1_3genE6ELNS1_11target_archE950ELNS1_3gpuE13ELNS1_3repE0EEENS1_47radix_sort_onesweep_sort_config_static_selectorELNS0_4arch9wavefront6targetE1EEEvSK_.numbered_sgpr, 32
	.set _ZN7rocprim17ROCPRIM_400000_NS6detail17trampoline_kernelINS0_14default_configENS1_35radix_sort_onesweep_config_selectorIfNS0_10empty_typeEEEZZNS1_29radix_sort_onesweep_iterationIS3_Lb0EN6thrust23THRUST_200600_302600_NS6detail15normal_iteratorINS9_10device_ptrIfEEEESE_PS5_SF_jNS0_19identity_decomposerENS1_16block_id_wrapperIjLb0EEEEE10hipError_tT1_PNSt15iterator_traitsISK_E10value_typeET2_T3_PNSL_ISQ_E10value_typeET4_T5_PSV_SW_PNS1_23onesweep_lookback_stateEbbT6_jjT7_P12ihipStream_tbENKUlT_T0_SK_SP_E_clISE_PfSF_SF_EEDaS13_S14_SK_SP_EUlS13_E_NS1_11comp_targetILNS1_3genE6ELNS1_11target_archE950ELNS1_3gpuE13ELNS1_3repE0EEENS1_47radix_sort_onesweep_sort_config_static_selectorELNS0_4arch9wavefront6targetE1EEEvSK_.num_named_barrier, 0
	.set _ZN7rocprim17ROCPRIM_400000_NS6detail17trampoline_kernelINS0_14default_configENS1_35radix_sort_onesweep_config_selectorIfNS0_10empty_typeEEEZZNS1_29radix_sort_onesweep_iterationIS3_Lb0EN6thrust23THRUST_200600_302600_NS6detail15normal_iteratorINS9_10device_ptrIfEEEESE_PS5_SF_jNS0_19identity_decomposerENS1_16block_id_wrapperIjLb0EEEEE10hipError_tT1_PNSt15iterator_traitsISK_E10value_typeET2_T3_PNSL_ISQ_E10value_typeET4_T5_PSV_SW_PNS1_23onesweep_lookback_stateEbbT6_jjT7_P12ihipStream_tbENKUlT_T0_SK_SP_E_clISE_PfSF_SF_EEDaS13_S14_SK_SP_EUlS13_E_NS1_11comp_targetILNS1_3genE6ELNS1_11target_archE950ELNS1_3gpuE13ELNS1_3repE0EEENS1_47radix_sort_onesweep_sort_config_static_selectorELNS0_4arch9wavefront6targetE1EEEvSK_.private_seg_size, 0
	.set _ZN7rocprim17ROCPRIM_400000_NS6detail17trampoline_kernelINS0_14default_configENS1_35radix_sort_onesweep_config_selectorIfNS0_10empty_typeEEEZZNS1_29radix_sort_onesweep_iterationIS3_Lb0EN6thrust23THRUST_200600_302600_NS6detail15normal_iteratorINS9_10device_ptrIfEEEESE_PS5_SF_jNS0_19identity_decomposerENS1_16block_id_wrapperIjLb0EEEEE10hipError_tT1_PNSt15iterator_traitsISK_E10value_typeET2_T3_PNSL_ISQ_E10value_typeET4_T5_PSV_SW_PNS1_23onesweep_lookback_stateEbbT6_jjT7_P12ihipStream_tbENKUlT_T0_SK_SP_E_clISE_PfSF_SF_EEDaS13_S14_SK_SP_EUlS13_E_NS1_11comp_targetILNS1_3genE6ELNS1_11target_archE950ELNS1_3gpuE13ELNS1_3repE0EEENS1_47radix_sort_onesweep_sort_config_static_selectorELNS0_4arch9wavefront6targetE1EEEvSK_.uses_vcc, 1
	.set _ZN7rocprim17ROCPRIM_400000_NS6detail17trampoline_kernelINS0_14default_configENS1_35radix_sort_onesweep_config_selectorIfNS0_10empty_typeEEEZZNS1_29radix_sort_onesweep_iterationIS3_Lb0EN6thrust23THRUST_200600_302600_NS6detail15normal_iteratorINS9_10device_ptrIfEEEESE_PS5_SF_jNS0_19identity_decomposerENS1_16block_id_wrapperIjLb0EEEEE10hipError_tT1_PNSt15iterator_traitsISK_E10value_typeET2_T3_PNSL_ISQ_E10value_typeET4_T5_PSV_SW_PNS1_23onesweep_lookback_stateEbbT6_jjT7_P12ihipStream_tbENKUlT_T0_SK_SP_E_clISE_PfSF_SF_EEDaS13_S14_SK_SP_EUlS13_E_NS1_11comp_targetILNS1_3genE6ELNS1_11target_archE950ELNS1_3gpuE13ELNS1_3repE0EEENS1_47radix_sort_onesweep_sort_config_static_selectorELNS0_4arch9wavefront6targetE1EEEvSK_.uses_flat_scratch, 0
	.set _ZN7rocprim17ROCPRIM_400000_NS6detail17trampoline_kernelINS0_14default_configENS1_35radix_sort_onesweep_config_selectorIfNS0_10empty_typeEEEZZNS1_29radix_sort_onesweep_iterationIS3_Lb0EN6thrust23THRUST_200600_302600_NS6detail15normal_iteratorINS9_10device_ptrIfEEEESE_PS5_SF_jNS0_19identity_decomposerENS1_16block_id_wrapperIjLb0EEEEE10hipError_tT1_PNSt15iterator_traitsISK_E10value_typeET2_T3_PNSL_ISQ_E10value_typeET4_T5_PSV_SW_PNS1_23onesweep_lookback_stateEbbT6_jjT7_P12ihipStream_tbENKUlT_T0_SK_SP_E_clISE_PfSF_SF_EEDaS13_S14_SK_SP_EUlS13_E_NS1_11comp_targetILNS1_3genE6ELNS1_11target_archE950ELNS1_3gpuE13ELNS1_3repE0EEENS1_47radix_sort_onesweep_sort_config_static_selectorELNS0_4arch9wavefront6targetE1EEEvSK_.has_dyn_sized_stack, 0
	.set _ZN7rocprim17ROCPRIM_400000_NS6detail17trampoline_kernelINS0_14default_configENS1_35radix_sort_onesweep_config_selectorIfNS0_10empty_typeEEEZZNS1_29radix_sort_onesweep_iterationIS3_Lb0EN6thrust23THRUST_200600_302600_NS6detail15normal_iteratorINS9_10device_ptrIfEEEESE_PS5_SF_jNS0_19identity_decomposerENS1_16block_id_wrapperIjLb0EEEEE10hipError_tT1_PNSt15iterator_traitsISK_E10value_typeET2_T3_PNSL_ISQ_E10value_typeET4_T5_PSV_SW_PNS1_23onesweep_lookback_stateEbbT6_jjT7_P12ihipStream_tbENKUlT_T0_SK_SP_E_clISE_PfSF_SF_EEDaS13_S14_SK_SP_EUlS13_E_NS1_11comp_targetILNS1_3genE6ELNS1_11target_archE950ELNS1_3gpuE13ELNS1_3repE0EEENS1_47radix_sort_onesweep_sort_config_static_selectorELNS0_4arch9wavefront6targetE1EEEvSK_.has_recursion, 0
	.set _ZN7rocprim17ROCPRIM_400000_NS6detail17trampoline_kernelINS0_14default_configENS1_35radix_sort_onesweep_config_selectorIfNS0_10empty_typeEEEZZNS1_29radix_sort_onesweep_iterationIS3_Lb0EN6thrust23THRUST_200600_302600_NS6detail15normal_iteratorINS9_10device_ptrIfEEEESE_PS5_SF_jNS0_19identity_decomposerENS1_16block_id_wrapperIjLb0EEEEE10hipError_tT1_PNSt15iterator_traitsISK_E10value_typeET2_T3_PNSL_ISQ_E10value_typeET4_T5_PSV_SW_PNS1_23onesweep_lookback_stateEbbT6_jjT7_P12ihipStream_tbENKUlT_T0_SK_SP_E_clISE_PfSF_SF_EEDaS13_S14_SK_SP_EUlS13_E_NS1_11comp_targetILNS1_3genE6ELNS1_11target_archE950ELNS1_3gpuE13ELNS1_3repE0EEENS1_47radix_sort_onesweep_sort_config_static_selectorELNS0_4arch9wavefront6targetE1EEEvSK_.has_indirect_call, 0
	.section	.AMDGPU.csdata,"",@progbits
; Kernel info:
; codeLenInByte = 11756
; TotalNumSgprs: 38
; NumVgprs: 46
; NumAgprs: 0
; TotalNumVgprs: 46
; ScratchSize: 0
; MemoryBound: 0
; FloatMode: 240
; IeeeMode: 1
; LDSByteSize: 20552 bytes/workgroup (compile time only)
; SGPRBlocks: 4
; VGPRBlocks: 5
; NumSGPRsForWavesPerEU: 38
; NumVGPRsForWavesPerEU: 46
; AccumOffset: 48
; Occupancy: 8
; WaveLimiterHint : 1
; COMPUTE_PGM_RSRC2:SCRATCH_EN: 0
; COMPUTE_PGM_RSRC2:USER_SGPR: 2
; COMPUTE_PGM_RSRC2:TRAP_HANDLER: 0
; COMPUTE_PGM_RSRC2:TGID_X_EN: 1
; COMPUTE_PGM_RSRC2:TGID_Y_EN: 0
; COMPUTE_PGM_RSRC2:TGID_Z_EN: 0
; COMPUTE_PGM_RSRC2:TIDIG_COMP_CNT: 2
; COMPUTE_PGM_RSRC3_GFX90A:ACCUM_OFFSET: 11
; COMPUTE_PGM_RSRC3_GFX90A:TG_SPLIT: 0
	.section	.text._ZN7rocprim17ROCPRIM_400000_NS6detail17trampoline_kernelINS0_14default_configENS1_35radix_sort_onesweep_config_selectorIfNS0_10empty_typeEEEZZNS1_29radix_sort_onesweep_iterationIS3_Lb0EN6thrust23THRUST_200600_302600_NS6detail15normal_iteratorINS9_10device_ptrIfEEEESE_PS5_SF_jNS0_19identity_decomposerENS1_16block_id_wrapperIjLb0EEEEE10hipError_tT1_PNSt15iterator_traitsISK_E10value_typeET2_T3_PNSL_ISQ_E10value_typeET4_T5_PSV_SW_PNS1_23onesweep_lookback_stateEbbT6_jjT7_P12ihipStream_tbENKUlT_T0_SK_SP_E_clISE_PfSF_SF_EEDaS13_S14_SK_SP_EUlS13_E_NS1_11comp_targetILNS1_3genE5ELNS1_11target_archE942ELNS1_3gpuE9ELNS1_3repE0EEENS1_47radix_sort_onesweep_sort_config_static_selectorELNS0_4arch9wavefront6targetE1EEEvSK_,"axG",@progbits,_ZN7rocprim17ROCPRIM_400000_NS6detail17trampoline_kernelINS0_14default_configENS1_35radix_sort_onesweep_config_selectorIfNS0_10empty_typeEEEZZNS1_29radix_sort_onesweep_iterationIS3_Lb0EN6thrust23THRUST_200600_302600_NS6detail15normal_iteratorINS9_10device_ptrIfEEEESE_PS5_SF_jNS0_19identity_decomposerENS1_16block_id_wrapperIjLb0EEEEE10hipError_tT1_PNSt15iterator_traitsISK_E10value_typeET2_T3_PNSL_ISQ_E10value_typeET4_T5_PSV_SW_PNS1_23onesweep_lookback_stateEbbT6_jjT7_P12ihipStream_tbENKUlT_T0_SK_SP_E_clISE_PfSF_SF_EEDaS13_S14_SK_SP_EUlS13_E_NS1_11comp_targetILNS1_3genE5ELNS1_11target_archE942ELNS1_3gpuE9ELNS1_3repE0EEENS1_47radix_sort_onesweep_sort_config_static_selectorELNS0_4arch9wavefront6targetE1EEEvSK_,comdat
	.protected	_ZN7rocprim17ROCPRIM_400000_NS6detail17trampoline_kernelINS0_14default_configENS1_35radix_sort_onesweep_config_selectorIfNS0_10empty_typeEEEZZNS1_29radix_sort_onesweep_iterationIS3_Lb0EN6thrust23THRUST_200600_302600_NS6detail15normal_iteratorINS9_10device_ptrIfEEEESE_PS5_SF_jNS0_19identity_decomposerENS1_16block_id_wrapperIjLb0EEEEE10hipError_tT1_PNSt15iterator_traitsISK_E10value_typeET2_T3_PNSL_ISQ_E10value_typeET4_T5_PSV_SW_PNS1_23onesweep_lookback_stateEbbT6_jjT7_P12ihipStream_tbENKUlT_T0_SK_SP_E_clISE_PfSF_SF_EEDaS13_S14_SK_SP_EUlS13_E_NS1_11comp_targetILNS1_3genE5ELNS1_11target_archE942ELNS1_3gpuE9ELNS1_3repE0EEENS1_47radix_sort_onesweep_sort_config_static_selectorELNS0_4arch9wavefront6targetE1EEEvSK_ ; -- Begin function _ZN7rocprim17ROCPRIM_400000_NS6detail17trampoline_kernelINS0_14default_configENS1_35radix_sort_onesweep_config_selectorIfNS0_10empty_typeEEEZZNS1_29radix_sort_onesweep_iterationIS3_Lb0EN6thrust23THRUST_200600_302600_NS6detail15normal_iteratorINS9_10device_ptrIfEEEESE_PS5_SF_jNS0_19identity_decomposerENS1_16block_id_wrapperIjLb0EEEEE10hipError_tT1_PNSt15iterator_traitsISK_E10value_typeET2_T3_PNSL_ISQ_E10value_typeET4_T5_PSV_SW_PNS1_23onesweep_lookback_stateEbbT6_jjT7_P12ihipStream_tbENKUlT_T0_SK_SP_E_clISE_PfSF_SF_EEDaS13_S14_SK_SP_EUlS13_E_NS1_11comp_targetILNS1_3genE5ELNS1_11target_archE942ELNS1_3gpuE9ELNS1_3repE0EEENS1_47radix_sort_onesweep_sort_config_static_selectorELNS0_4arch9wavefront6targetE1EEEvSK_
	.globl	_ZN7rocprim17ROCPRIM_400000_NS6detail17trampoline_kernelINS0_14default_configENS1_35radix_sort_onesweep_config_selectorIfNS0_10empty_typeEEEZZNS1_29radix_sort_onesweep_iterationIS3_Lb0EN6thrust23THRUST_200600_302600_NS6detail15normal_iteratorINS9_10device_ptrIfEEEESE_PS5_SF_jNS0_19identity_decomposerENS1_16block_id_wrapperIjLb0EEEEE10hipError_tT1_PNSt15iterator_traitsISK_E10value_typeET2_T3_PNSL_ISQ_E10value_typeET4_T5_PSV_SW_PNS1_23onesweep_lookback_stateEbbT6_jjT7_P12ihipStream_tbENKUlT_T0_SK_SP_E_clISE_PfSF_SF_EEDaS13_S14_SK_SP_EUlS13_E_NS1_11comp_targetILNS1_3genE5ELNS1_11target_archE942ELNS1_3gpuE9ELNS1_3repE0EEENS1_47radix_sort_onesweep_sort_config_static_selectorELNS0_4arch9wavefront6targetE1EEEvSK_
	.p2align	8
	.type	_ZN7rocprim17ROCPRIM_400000_NS6detail17trampoline_kernelINS0_14default_configENS1_35radix_sort_onesweep_config_selectorIfNS0_10empty_typeEEEZZNS1_29radix_sort_onesweep_iterationIS3_Lb0EN6thrust23THRUST_200600_302600_NS6detail15normal_iteratorINS9_10device_ptrIfEEEESE_PS5_SF_jNS0_19identity_decomposerENS1_16block_id_wrapperIjLb0EEEEE10hipError_tT1_PNSt15iterator_traitsISK_E10value_typeET2_T3_PNSL_ISQ_E10value_typeET4_T5_PSV_SW_PNS1_23onesweep_lookback_stateEbbT6_jjT7_P12ihipStream_tbENKUlT_T0_SK_SP_E_clISE_PfSF_SF_EEDaS13_S14_SK_SP_EUlS13_E_NS1_11comp_targetILNS1_3genE5ELNS1_11target_archE942ELNS1_3gpuE9ELNS1_3repE0EEENS1_47radix_sort_onesweep_sort_config_static_selectorELNS0_4arch9wavefront6targetE1EEEvSK_,@function
_ZN7rocprim17ROCPRIM_400000_NS6detail17trampoline_kernelINS0_14default_configENS1_35radix_sort_onesweep_config_selectorIfNS0_10empty_typeEEEZZNS1_29radix_sort_onesweep_iterationIS3_Lb0EN6thrust23THRUST_200600_302600_NS6detail15normal_iteratorINS9_10device_ptrIfEEEESE_PS5_SF_jNS0_19identity_decomposerENS1_16block_id_wrapperIjLb0EEEEE10hipError_tT1_PNSt15iterator_traitsISK_E10value_typeET2_T3_PNSL_ISQ_E10value_typeET4_T5_PSV_SW_PNS1_23onesweep_lookback_stateEbbT6_jjT7_P12ihipStream_tbENKUlT_T0_SK_SP_E_clISE_PfSF_SF_EEDaS13_S14_SK_SP_EUlS13_E_NS1_11comp_targetILNS1_3genE5ELNS1_11target_archE942ELNS1_3gpuE9ELNS1_3repE0EEENS1_47radix_sort_onesweep_sort_config_static_selectorELNS0_4arch9wavefront6targetE1EEEvSK_: ; @_ZN7rocprim17ROCPRIM_400000_NS6detail17trampoline_kernelINS0_14default_configENS1_35radix_sort_onesweep_config_selectorIfNS0_10empty_typeEEEZZNS1_29radix_sort_onesweep_iterationIS3_Lb0EN6thrust23THRUST_200600_302600_NS6detail15normal_iteratorINS9_10device_ptrIfEEEESE_PS5_SF_jNS0_19identity_decomposerENS1_16block_id_wrapperIjLb0EEEEE10hipError_tT1_PNSt15iterator_traitsISK_E10value_typeET2_T3_PNSL_ISQ_E10value_typeET4_T5_PSV_SW_PNS1_23onesweep_lookback_stateEbbT6_jjT7_P12ihipStream_tbENKUlT_T0_SK_SP_E_clISE_PfSF_SF_EEDaS13_S14_SK_SP_EUlS13_E_NS1_11comp_targetILNS1_3genE5ELNS1_11target_archE942ELNS1_3gpuE9ELNS1_3repE0EEENS1_47radix_sort_onesweep_sort_config_static_selectorELNS0_4arch9wavefront6targetE1EEEvSK_
; %bb.0:
	.section	.rodata,"a",@progbits
	.p2align	6, 0x0
	.amdhsa_kernel _ZN7rocprim17ROCPRIM_400000_NS6detail17trampoline_kernelINS0_14default_configENS1_35radix_sort_onesweep_config_selectorIfNS0_10empty_typeEEEZZNS1_29radix_sort_onesweep_iterationIS3_Lb0EN6thrust23THRUST_200600_302600_NS6detail15normal_iteratorINS9_10device_ptrIfEEEESE_PS5_SF_jNS0_19identity_decomposerENS1_16block_id_wrapperIjLb0EEEEE10hipError_tT1_PNSt15iterator_traitsISK_E10value_typeET2_T3_PNSL_ISQ_E10value_typeET4_T5_PSV_SW_PNS1_23onesweep_lookback_stateEbbT6_jjT7_P12ihipStream_tbENKUlT_T0_SK_SP_E_clISE_PfSF_SF_EEDaS13_S14_SK_SP_EUlS13_E_NS1_11comp_targetILNS1_3genE5ELNS1_11target_archE942ELNS1_3gpuE9ELNS1_3repE0EEENS1_47radix_sort_onesweep_sort_config_static_selectorELNS0_4arch9wavefront6targetE1EEEvSK_
		.amdhsa_group_segment_fixed_size 0
		.amdhsa_private_segment_fixed_size 0
		.amdhsa_kernarg_size 88
		.amdhsa_user_sgpr_count 2
		.amdhsa_user_sgpr_dispatch_ptr 0
		.amdhsa_user_sgpr_queue_ptr 0
		.amdhsa_user_sgpr_kernarg_segment_ptr 1
		.amdhsa_user_sgpr_dispatch_id 0
		.amdhsa_user_sgpr_kernarg_preload_length 0
		.amdhsa_user_sgpr_kernarg_preload_offset 0
		.amdhsa_user_sgpr_private_segment_size 0
		.amdhsa_uses_dynamic_stack 0
		.amdhsa_enable_private_segment 0
		.amdhsa_system_sgpr_workgroup_id_x 1
		.amdhsa_system_sgpr_workgroup_id_y 0
		.amdhsa_system_sgpr_workgroup_id_z 0
		.amdhsa_system_sgpr_workgroup_info 0
		.amdhsa_system_vgpr_workitem_id 0
		.amdhsa_next_free_vgpr 1
		.amdhsa_next_free_sgpr 0
		.amdhsa_accum_offset 4
		.amdhsa_reserve_vcc 0
		.amdhsa_float_round_mode_32 0
		.amdhsa_float_round_mode_16_64 0
		.amdhsa_float_denorm_mode_32 3
		.amdhsa_float_denorm_mode_16_64 3
		.amdhsa_dx10_clamp 1
		.amdhsa_ieee_mode 1
		.amdhsa_fp16_overflow 0
		.amdhsa_tg_split 0
		.amdhsa_exception_fp_ieee_invalid_op 0
		.amdhsa_exception_fp_denorm_src 0
		.amdhsa_exception_fp_ieee_div_zero 0
		.amdhsa_exception_fp_ieee_overflow 0
		.amdhsa_exception_fp_ieee_underflow 0
		.amdhsa_exception_fp_ieee_inexact 0
		.amdhsa_exception_int_div_zero 0
	.end_amdhsa_kernel
	.section	.text._ZN7rocprim17ROCPRIM_400000_NS6detail17trampoline_kernelINS0_14default_configENS1_35radix_sort_onesweep_config_selectorIfNS0_10empty_typeEEEZZNS1_29radix_sort_onesweep_iterationIS3_Lb0EN6thrust23THRUST_200600_302600_NS6detail15normal_iteratorINS9_10device_ptrIfEEEESE_PS5_SF_jNS0_19identity_decomposerENS1_16block_id_wrapperIjLb0EEEEE10hipError_tT1_PNSt15iterator_traitsISK_E10value_typeET2_T3_PNSL_ISQ_E10value_typeET4_T5_PSV_SW_PNS1_23onesweep_lookback_stateEbbT6_jjT7_P12ihipStream_tbENKUlT_T0_SK_SP_E_clISE_PfSF_SF_EEDaS13_S14_SK_SP_EUlS13_E_NS1_11comp_targetILNS1_3genE5ELNS1_11target_archE942ELNS1_3gpuE9ELNS1_3repE0EEENS1_47radix_sort_onesweep_sort_config_static_selectorELNS0_4arch9wavefront6targetE1EEEvSK_,"axG",@progbits,_ZN7rocprim17ROCPRIM_400000_NS6detail17trampoline_kernelINS0_14default_configENS1_35radix_sort_onesweep_config_selectorIfNS0_10empty_typeEEEZZNS1_29radix_sort_onesweep_iterationIS3_Lb0EN6thrust23THRUST_200600_302600_NS6detail15normal_iteratorINS9_10device_ptrIfEEEESE_PS5_SF_jNS0_19identity_decomposerENS1_16block_id_wrapperIjLb0EEEEE10hipError_tT1_PNSt15iterator_traitsISK_E10value_typeET2_T3_PNSL_ISQ_E10value_typeET4_T5_PSV_SW_PNS1_23onesweep_lookback_stateEbbT6_jjT7_P12ihipStream_tbENKUlT_T0_SK_SP_E_clISE_PfSF_SF_EEDaS13_S14_SK_SP_EUlS13_E_NS1_11comp_targetILNS1_3genE5ELNS1_11target_archE942ELNS1_3gpuE9ELNS1_3repE0EEENS1_47radix_sort_onesweep_sort_config_static_selectorELNS0_4arch9wavefront6targetE1EEEvSK_,comdat
.Lfunc_end597:
	.size	_ZN7rocprim17ROCPRIM_400000_NS6detail17trampoline_kernelINS0_14default_configENS1_35radix_sort_onesweep_config_selectorIfNS0_10empty_typeEEEZZNS1_29radix_sort_onesweep_iterationIS3_Lb0EN6thrust23THRUST_200600_302600_NS6detail15normal_iteratorINS9_10device_ptrIfEEEESE_PS5_SF_jNS0_19identity_decomposerENS1_16block_id_wrapperIjLb0EEEEE10hipError_tT1_PNSt15iterator_traitsISK_E10value_typeET2_T3_PNSL_ISQ_E10value_typeET4_T5_PSV_SW_PNS1_23onesweep_lookback_stateEbbT6_jjT7_P12ihipStream_tbENKUlT_T0_SK_SP_E_clISE_PfSF_SF_EEDaS13_S14_SK_SP_EUlS13_E_NS1_11comp_targetILNS1_3genE5ELNS1_11target_archE942ELNS1_3gpuE9ELNS1_3repE0EEENS1_47radix_sort_onesweep_sort_config_static_selectorELNS0_4arch9wavefront6targetE1EEEvSK_, .Lfunc_end597-_ZN7rocprim17ROCPRIM_400000_NS6detail17trampoline_kernelINS0_14default_configENS1_35radix_sort_onesweep_config_selectorIfNS0_10empty_typeEEEZZNS1_29radix_sort_onesweep_iterationIS3_Lb0EN6thrust23THRUST_200600_302600_NS6detail15normal_iteratorINS9_10device_ptrIfEEEESE_PS5_SF_jNS0_19identity_decomposerENS1_16block_id_wrapperIjLb0EEEEE10hipError_tT1_PNSt15iterator_traitsISK_E10value_typeET2_T3_PNSL_ISQ_E10value_typeET4_T5_PSV_SW_PNS1_23onesweep_lookback_stateEbbT6_jjT7_P12ihipStream_tbENKUlT_T0_SK_SP_E_clISE_PfSF_SF_EEDaS13_S14_SK_SP_EUlS13_E_NS1_11comp_targetILNS1_3genE5ELNS1_11target_archE942ELNS1_3gpuE9ELNS1_3repE0EEENS1_47radix_sort_onesweep_sort_config_static_selectorELNS0_4arch9wavefront6targetE1EEEvSK_
                                        ; -- End function
	.set _ZN7rocprim17ROCPRIM_400000_NS6detail17trampoline_kernelINS0_14default_configENS1_35radix_sort_onesweep_config_selectorIfNS0_10empty_typeEEEZZNS1_29radix_sort_onesweep_iterationIS3_Lb0EN6thrust23THRUST_200600_302600_NS6detail15normal_iteratorINS9_10device_ptrIfEEEESE_PS5_SF_jNS0_19identity_decomposerENS1_16block_id_wrapperIjLb0EEEEE10hipError_tT1_PNSt15iterator_traitsISK_E10value_typeET2_T3_PNSL_ISQ_E10value_typeET4_T5_PSV_SW_PNS1_23onesweep_lookback_stateEbbT6_jjT7_P12ihipStream_tbENKUlT_T0_SK_SP_E_clISE_PfSF_SF_EEDaS13_S14_SK_SP_EUlS13_E_NS1_11comp_targetILNS1_3genE5ELNS1_11target_archE942ELNS1_3gpuE9ELNS1_3repE0EEENS1_47radix_sort_onesweep_sort_config_static_selectorELNS0_4arch9wavefront6targetE1EEEvSK_.num_vgpr, 0
	.set _ZN7rocprim17ROCPRIM_400000_NS6detail17trampoline_kernelINS0_14default_configENS1_35radix_sort_onesweep_config_selectorIfNS0_10empty_typeEEEZZNS1_29radix_sort_onesweep_iterationIS3_Lb0EN6thrust23THRUST_200600_302600_NS6detail15normal_iteratorINS9_10device_ptrIfEEEESE_PS5_SF_jNS0_19identity_decomposerENS1_16block_id_wrapperIjLb0EEEEE10hipError_tT1_PNSt15iterator_traitsISK_E10value_typeET2_T3_PNSL_ISQ_E10value_typeET4_T5_PSV_SW_PNS1_23onesweep_lookback_stateEbbT6_jjT7_P12ihipStream_tbENKUlT_T0_SK_SP_E_clISE_PfSF_SF_EEDaS13_S14_SK_SP_EUlS13_E_NS1_11comp_targetILNS1_3genE5ELNS1_11target_archE942ELNS1_3gpuE9ELNS1_3repE0EEENS1_47radix_sort_onesweep_sort_config_static_selectorELNS0_4arch9wavefront6targetE1EEEvSK_.num_agpr, 0
	.set _ZN7rocprim17ROCPRIM_400000_NS6detail17trampoline_kernelINS0_14default_configENS1_35radix_sort_onesweep_config_selectorIfNS0_10empty_typeEEEZZNS1_29radix_sort_onesweep_iterationIS3_Lb0EN6thrust23THRUST_200600_302600_NS6detail15normal_iteratorINS9_10device_ptrIfEEEESE_PS5_SF_jNS0_19identity_decomposerENS1_16block_id_wrapperIjLb0EEEEE10hipError_tT1_PNSt15iterator_traitsISK_E10value_typeET2_T3_PNSL_ISQ_E10value_typeET4_T5_PSV_SW_PNS1_23onesweep_lookback_stateEbbT6_jjT7_P12ihipStream_tbENKUlT_T0_SK_SP_E_clISE_PfSF_SF_EEDaS13_S14_SK_SP_EUlS13_E_NS1_11comp_targetILNS1_3genE5ELNS1_11target_archE942ELNS1_3gpuE9ELNS1_3repE0EEENS1_47radix_sort_onesweep_sort_config_static_selectorELNS0_4arch9wavefront6targetE1EEEvSK_.numbered_sgpr, 0
	.set _ZN7rocprim17ROCPRIM_400000_NS6detail17trampoline_kernelINS0_14default_configENS1_35radix_sort_onesweep_config_selectorIfNS0_10empty_typeEEEZZNS1_29radix_sort_onesweep_iterationIS3_Lb0EN6thrust23THRUST_200600_302600_NS6detail15normal_iteratorINS9_10device_ptrIfEEEESE_PS5_SF_jNS0_19identity_decomposerENS1_16block_id_wrapperIjLb0EEEEE10hipError_tT1_PNSt15iterator_traitsISK_E10value_typeET2_T3_PNSL_ISQ_E10value_typeET4_T5_PSV_SW_PNS1_23onesweep_lookback_stateEbbT6_jjT7_P12ihipStream_tbENKUlT_T0_SK_SP_E_clISE_PfSF_SF_EEDaS13_S14_SK_SP_EUlS13_E_NS1_11comp_targetILNS1_3genE5ELNS1_11target_archE942ELNS1_3gpuE9ELNS1_3repE0EEENS1_47radix_sort_onesweep_sort_config_static_selectorELNS0_4arch9wavefront6targetE1EEEvSK_.num_named_barrier, 0
	.set _ZN7rocprim17ROCPRIM_400000_NS6detail17trampoline_kernelINS0_14default_configENS1_35radix_sort_onesweep_config_selectorIfNS0_10empty_typeEEEZZNS1_29radix_sort_onesweep_iterationIS3_Lb0EN6thrust23THRUST_200600_302600_NS6detail15normal_iteratorINS9_10device_ptrIfEEEESE_PS5_SF_jNS0_19identity_decomposerENS1_16block_id_wrapperIjLb0EEEEE10hipError_tT1_PNSt15iterator_traitsISK_E10value_typeET2_T3_PNSL_ISQ_E10value_typeET4_T5_PSV_SW_PNS1_23onesweep_lookback_stateEbbT6_jjT7_P12ihipStream_tbENKUlT_T0_SK_SP_E_clISE_PfSF_SF_EEDaS13_S14_SK_SP_EUlS13_E_NS1_11comp_targetILNS1_3genE5ELNS1_11target_archE942ELNS1_3gpuE9ELNS1_3repE0EEENS1_47radix_sort_onesweep_sort_config_static_selectorELNS0_4arch9wavefront6targetE1EEEvSK_.private_seg_size, 0
	.set _ZN7rocprim17ROCPRIM_400000_NS6detail17trampoline_kernelINS0_14default_configENS1_35radix_sort_onesweep_config_selectorIfNS0_10empty_typeEEEZZNS1_29radix_sort_onesweep_iterationIS3_Lb0EN6thrust23THRUST_200600_302600_NS6detail15normal_iteratorINS9_10device_ptrIfEEEESE_PS5_SF_jNS0_19identity_decomposerENS1_16block_id_wrapperIjLb0EEEEE10hipError_tT1_PNSt15iterator_traitsISK_E10value_typeET2_T3_PNSL_ISQ_E10value_typeET4_T5_PSV_SW_PNS1_23onesweep_lookback_stateEbbT6_jjT7_P12ihipStream_tbENKUlT_T0_SK_SP_E_clISE_PfSF_SF_EEDaS13_S14_SK_SP_EUlS13_E_NS1_11comp_targetILNS1_3genE5ELNS1_11target_archE942ELNS1_3gpuE9ELNS1_3repE0EEENS1_47radix_sort_onesweep_sort_config_static_selectorELNS0_4arch9wavefront6targetE1EEEvSK_.uses_vcc, 0
	.set _ZN7rocprim17ROCPRIM_400000_NS6detail17trampoline_kernelINS0_14default_configENS1_35radix_sort_onesweep_config_selectorIfNS0_10empty_typeEEEZZNS1_29radix_sort_onesweep_iterationIS3_Lb0EN6thrust23THRUST_200600_302600_NS6detail15normal_iteratorINS9_10device_ptrIfEEEESE_PS5_SF_jNS0_19identity_decomposerENS1_16block_id_wrapperIjLb0EEEEE10hipError_tT1_PNSt15iterator_traitsISK_E10value_typeET2_T3_PNSL_ISQ_E10value_typeET4_T5_PSV_SW_PNS1_23onesweep_lookback_stateEbbT6_jjT7_P12ihipStream_tbENKUlT_T0_SK_SP_E_clISE_PfSF_SF_EEDaS13_S14_SK_SP_EUlS13_E_NS1_11comp_targetILNS1_3genE5ELNS1_11target_archE942ELNS1_3gpuE9ELNS1_3repE0EEENS1_47radix_sort_onesweep_sort_config_static_selectorELNS0_4arch9wavefront6targetE1EEEvSK_.uses_flat_scratch, 0
	.set _ZN7rocprim17ROCPRIM_400000_NS6detail17trampoline_kernelINS0_14default_configENS1_35radix_sort_onesweep_config_selectorIfNS0_10empty_typeEEEZZNS1_29radix_sort_onesweep_iterationIS3_Lb0EN6thrust23THRUST_200600_302600_NS6detail15normal_iteratorINS9_10device_ptrIfEEEESE_PS5_SF_jNS0_19identity_decomposerENS1_16block_id_wrapperIjLb0EEEEE10hipError_tT1_PNSt15iterator_traitsISK_E10value_typeET2_T3_PNSL_ISQ_E10value_typeET4_T5_PSV_SW_PNS1_23onesweep_lookback_stateEbbT6_jjT7_P12ihipStream_tbENKUlT_T0_SK_SP_E_clISE_PfSF_SF_EEDaS13_S14_SK_SP_EUlS13_E_NS1_11comp_targetILNS1_3genE5ELNS1_11target_archE942ELNS1_3gpuE9ELNS1_3repE0EEENS1_47radix_sort_onesweep_sort_config_static_selectorELNS0_4arch9wavefront6targetE1EEEvSK_.has_dyn_sized_stack, 0
	.set _ZN7rocprim17ROCPRIM_400000_NS6detail17trampoline_kernelINS0_14default_configENS1_35radix_sort_onesweep_config_selectorIfNS0_10empty_typeEEEZZNS1_29radix_sort_onesweep_iterationIS3_Lb0EN6thrust23THRUST_200600_302600_NS6detail15normal_iteratorINS9_10device_ptrIfEEEESE_PS5_SF_jNS0_19identity_decomposerENS1_16block_id_wrapperIjLb0EEEEE10hipError_tT1_PNSt15iterator_traitsISK_E10value_typeET2_T3_PNSL_ISQ_E10value_typeET4_T5_PSV_SW_PNS1_23onesweep_lookback_stateEbbT6_jjT7_P12ihipStream_tbENKUlT_T0_SK_SP_E_clISE_PfSF_SF_EEDaS13_S14_SK_SP_EUlS13_E_NS1_11comp_targetILNS1_3genE5ELNS1_11target_archE942ELNS1_3gpuE9ELNS1_3repE0EEENS1_47radix_sort_onesweep_sort_config_static_selectorELNS0_4arch9wavefront6targetE1EEEvSK_.has_recursion, 0
	.set _ZN7rocprim17ROCPRIM_400000_NS6detail17trampoline_kernelINS0_14default_configENS1_35radix_sort_onesweep_config_selectorIfNS0_10empty_typeEEEZZNS1_29radix_sort_onesweep_iterationIS3_Lb0EN6thrust23THRUST_200600_302600_NS6detail15normal_iteratorINS9_10device_ptrIfEEEESE_PS5_SF_jNS0_19identity_decomposerENS1_16block_id_wrapperIjLb0EEEEE10hipError_tT1_PNSt15iterator_traitsISK_E10value_typeET2_T3_PNSL_ISQ_E10value_typeET4_T5_PSV_SW_PNS1_23onesweep_lookback_stateEbbT6_jjT7_P12ihipStream_tbENKUlT_T0_SK_SP_E_clISE_PfSF_SF_EEDaS13_S14_SK_SP_EUlS13_E_NS1_11comp_targetILNS1_3genE5ELNS1_11target_archE942ELNS1_3gpuE9ELNS1_3repE0EEENS1_47radix_sort_onesweep_sort_config_static_selectorELNS0_4arch9wavefront6targetE1EEEvSK_.has_indirect_call, 0
	.section	.AMDGPU.csdata,"",@progbits
; Kernel info:
; codeLenInByte = 0
; TotalNumSgprs: 6
; NumVgprs: 0
; NumAgprs: 0
; TotalNumVgprs: 0
; ScratchSize: 0
; MemoryBound: 0
; FloatMode: 240
; IeeeMode: 1
; LDSByteSize: 0 bytes/workgroup (compile time only)
; SGPRBlocks: 0
; VGPRBlocks: 0
; NumSGPRsForWavesPerEU: 6
; NumVGPRsForWavesPerEU: 1
; AccumOffset: 4
; Occupancy: 8
; WaveLimiterHint : 0
; COMPUTE_PGM_RSRC2:SCRATCH_EN: 0
; COMPUTE_PGM_RSRC2:USER_SGPR: 2
; COMPUTE_PGM_RSRC2:TRAP_HANDLER: 0
; COMPUTE_PGM_RSRC2:TGID_X_EN: 1
; COMPUTE_PGM_RSRC2:TGID_Y_EN: 0
; COMPUTE_PGM_RSRC2:TGID_Z_EN: 0
; COMPUTE_PGM_RSRC2:TIDIG_COMP_CNT: 0
; COMPUTE_PGM_RSRC3_GFX90A:ACCUM_OFFSET: 0
; COMPUTE_PGM_RSRC3_GFX90A:TG_SPLIT: 0
	.section	.text._ZN7rocprim17ROCPRIM_400000_NS6detail17trampoline_kernelINS0_14default_configENS1_35radix_sort_onesweep_config_selectorIfNS0_10empty_typeEEEZZNS1_29radix_sort_onesweep_iterationIS3_Lb0EN6thrust23THRUST_200600_302600_NS6detail15normal_iteratorINS9_10device_ptrIfEEEESE_PS5_SF_jNS0_19identity_decomposerENS1_16block_id_wrapperIjLb0EEEEE10hipError_tT1_PNSt15iterator_traitsISK_E10value_typeET2_T3_PNSL_ISQ_E10value_typeET4_T5_PSV_SW_PNS1_23onesweep_lookback_stateEbbT6_jjT7_P12ihipStream_tbENKUlT_T0_SK_SP_E_clISE_PfSF_SF_EEDaS13_S14_SK_SP_EUlS13_E_NS1_11comp_targetILNS1_3genE2ELNS1_11target_archE906ELNS1_3gpuE6ELNS1_3repE0EEENS1_47radix_sort_onesweep_sort_config_static_selectorELNS0_4arch9wavefront6targetE1EEEvSK_,"axG",@progbits,_ZN7rocprim17ROCPRIM_400000_NS6detail17trampoline_kernelINS0_14default_configENS1_35radix_sort_onesweep_config_selectorIfNS0_10empty_typeEEEZZNS1_29radix_sort_onesweep_iterationIS3_Lb0EN6thrust23THRUST_200600_302600_NS6detail15normal_iteratorINS9_10device_ptrIfEEEESE_PS5_SF_jNS0_19identity_decomposerENS1_16block_id_wrapperIjLb0EEEEE10hipError_tT1_PNSt15iterator_traitsISK_E10value_typeET2_T3_PNSL_ISQ_E10value_typeET4_T5_PSV_SW_PNS1_23onesweep_lookback_stateEbbT6_jjT7_P12ihipStream_tbENKUlT_T0_SK_SP_E_clISE_PfSF_SF_EEDaS13_S14_SK_SP_EUlS13_E_NS1_11comp_targetILNS1_3genE2ELNS1_11target_archE906ELNS1_3gpuE6ELNS1_3repE0EEENS1_47radix_sort_onesweep_sort_config_static_selectorELNS0_4arch9wavefront6targetE1EEEvSK_,comdat
	.protected	_ZN7rocprim17ROCPRIM_400000_NS6detail17trampoline_kernelINS0_14default_configENS1_35radix_sort_onesweep_config_selectorIfNS0_10empty_typeEEEZZNS1_29radix_sort_onesweep_iterationIS3_Lb0EN6thrust23THRUST_200600_302600_NS6detail15normal_iteratorINS9_10device_ptrIfEEEESE_PS5_SF_jNS0_19identity_decomposerENS1_16block_id_wrapperIjLb0EEEEE10hipError_tT1_PNSt15iterator_traitsISK_E10value_typeET2_T3_PNSL_ISQ_E10value_typeET4_T5_PSV_SW_PNS1_23onesweep_lookback_stateEbbT6_jjT7_P12ihipStream_tbENKUlT_T0_SK_SP_E_clISE_PfSF_SF_EEDaS13_S14_SK_SP_EUlS13_E_NS1_11comp_targetILNS1_3genE2ELNS1_11target_archE906ELNS1_3gpuE6ELNS1_3repE0EEENS1_47radix_sort_onesweep_sort_config_static_selectorELNS0_4arch9wavefront6targetE1EEEvSK_ ; -- Begin function _ZN7rocprim17ROCPRIM_400000_NS6detail17trampoline_kernelINS0_14default_configENS1_35radix_sort_onesweep_config_selectorIfNS0_10empty_typeEEEZZNS1_29radix_sort_onesweep_iterationIS3_Lb0EN6thrust23THRUST_200600_302600_NS6detail15normal_iteratorINS9_10device_ptrIfEEEESE_PS5_SF_jNS0_19identity_decomposerENS1_16block_id_wrapperIjLb0EEEEE10hipError_tT1_PNSt15iterator_traitsISK_E10value_typeET2_T3_PNSL_ISQ_E10value_typeET4_T5_PSV_SW_PNS1_23onesweep_lookback_stateEbbT6_jjT7_P12ihipStream_tbENKUlT_T0_SK_SP_E_clISE_PfSF_SF_EEDaS13_S14_SK_SP_EUlS13_E_NS1_11comp_targetILNS1_3genE2ELNS1_11target_archE906ELNS1_3gpuE6ELNS1_3repE0EEENS1_47radix_sort_onesweep_sort_config_static_selectorELNS0_4arch9wavefront6targetE1EEEvSK_
	.globl	_ZN7rocprim17ROCPRIM_400000_NS6detail17trampoline_kernelINS0_14default_configENS1_35radix_sort_onesweep_config_selectorIfNS0_10empty_typeEEEZZNS1_29radix_sort_onesweep_iterationIS3_Lb0EN6thrust23THRUST_200600_302600_NS6detail15normal_iteratorINS9_10device_ptrIfEEEESE_PS5_SF_jNS0_19identity_decomposerENS1_16block_id_wrapperIjLb0EEEEE10hipError_tT1_PNSt15iterator_traitsISK_E10value_typeET2_T3_PNSL_ISQ_E10value_typeET4_T5_PSV_SW_PNS1_23onesweep_lookback_stateEbbT6_jjT7_P12ihipStream_tbENKUlT_T0_SK_SP_E_clISE_PfSF_SF_EEDaS13_S14_SK_SP_EUlS13_E_NS1_11comp_targetILNS1_3genE2ELNS1_11target_archE906ELNS1_3gpuE6ELNS1_3repE0EEENS1_47radix_sort_onesweep_sort_config_static_selectorELNS0_4arch9wavefront6targetE1EEEvSK_
	.p2align	8
	.type	_ZN7rocprim17ROCPRIM_400000_NS6detail17trampoline_kernelINS0_14default_configENS1_35radix_sort_onesweep_config_selectorIfNS0_10empty_typeEEEZZNS1_29radix_sort_onesweep_iterationIS3_Lb0EN6thrust23THRUST_200600_302600_NS6detail15normal_iteratorINS9_10device_ptrIfEEEESE_PS5_SF_jNS0_19identity_decomposerENS1_16block_id_wrapperIjLb0EEEEE10hipError_tT1_PNSt15iterator_traitsISK_E10value_typeET2_T3_PNSL_ISQ_E10value_typeET4_T5_PSV_SW_PNS1_23onesweep_lookback_stateEbbT6_jjT7_P12ihipStream_tbENKUlT_T0_SK_SP_E_clISE_PfSF_SF_EEDaS13_S14_SK_SP_EUlS13_E_NS1_11comp_targetILNS1_3genE2ELNS1_11target_archE906ELNS1_3gpuE6ELNS1_3repE0EEENS1_47radix_sort_onesweep_sort_config_static_selectorELNS0_4arch9wavefront6targetE1EEEvSK_,@function
_ZN7rocprim17ROCPRIM_400000_NS6detail17trampoline_kernelINS0_14default_configENS1_35radix_sort_onesweep_config_selectorIfNS0_10empty_typeEEEZZNS1_29radix_sort_onesweep_iterationIS3_Lb0EN6thrust23THRUST_200600_302600_NS6detail15normal_iteratorINS9_10device_ptrIfEEEESE_PS5_SF_jNS0_19identity_decomposerENS1_16block_id_wrapperIjLb0EEEEE10hipError_tT1_PNSt15iterator_traitsISK_E10value_typeET2_T3_PNSL_ISQ_E10value_typeET4_T5_PSV_SW_PNS1_23onesweep_lookback_stateEbbT6_jjT7_P12ihipStream_tbENKUlT_T0_SK_SP_E_clISE_PfSF_SF_EEDaS13_S14_SK_SP_EUlS13_E_NS1_11comp_targetILNS1_3genE2ELNS1_11target_archE906ELNS1_3gpuE6ELNS1_3repE0EEENS1_47radix_sort_onesweep_sort_config_static_selectorELNS0_4arch9wavefront6targetE1EEEvSK_: ; @_ZN7rocprim17ROCPRIM_400000_NS6detail17trampoline_kernelINS0_14default_configENS1_35radix_sort_onesweep_config_selectorIfNS0_10empty_typeEEEZZNS1_29radix_sort_onesweep_iterationIS3_Lb0EN6thrust23THRUST_200600_302600_NS6detail15normal_iteratorINS9_10device_ptrIfEEEESE_PS5_SF_jNS0_19identity_decomposerENS1_16block_id_wrapperIjLb0EEEEE10hipError_tT1_PNSt15iterator_traitsISK_E10value_typeET2_T3_PNSL_ISQ_E10value_typeET4_T5_PSV_SW_PNS1_23onesweep_lookback_stateEbbT6_jjT7_P12ihipStream_tbENKUlT_T0_SK_SP_E_clISE_PfSF_SF_EEDaS13_S14_SK_SP_EUlS13_E_NS1_11comp_targetILNS1_3genE2ELNS1_11target_archE906ELNS1_3gpuE6ELNS1_3repE0EEENS1_47radix_sort_onesweep_sort_config_static_selectorELNS0_4arch9wavefront6targetE1EEEvSK_
; %bb.0:
	.section	.rodata,"a",@progbits
	.p2align	6, 0x0
	.amdhsa_kernel _ZN7rocprim17ROCPRIM_400000_NS6detail17trampoline_kernelINS0_14default_configENS1_35radix_sort_onesweep_config_selectorIfNS0_10empty_typeEEEZZNS1_29radix_sort_onesweep_iterationIS3_Lb0EN6thrust23THRUST_200600_302600_NS6detail15normal_iteratorINS9_10device_ptrIfEEEESE_PS5_SF_jNS0_19identity_decomposerENS1_16block_id_wrapperIjLb0EEEEE10hipError_tT1_PNSt15iterator_traitsISK_E10value_typeET2_T3_PNSL_ISQ_E10value_typeET4_T5_PSV_SW_PNS1_23onesweep_lookback_stateEbbT6_jjT7_P12ihipStream_tbENKUlT_T0_SK_SP_E_clISE_PfSF_SF_EEDaS13_S14_SK_SP_EUlS13_E_NS1_11comp_targetILNS1_3genE2ELNS1_11target_archE906ELNS1_3gpuE6ELNS1_3repE0EEENS1_47radix_sort_onesweep_sort_config_static_selectorELNS0_4arch9wavefront6targetE1EEEvSK_
		.amdhsa_group_segment_fixed_size 0
		.amdhsa_private_segment_fixed_size 0
		.amdhsa_kernarg_size 88
		.amdhsa_user_sgpr_count 2
		.amdhsa_user_sgpr_dispatch_ptr 0
		.amdhsa_user_sgpr_queue_ptr 0
		.amdhsa_user_sgpr_kernarg_segment_ptr 1
		.amdhsa_user_sgpr_dispatch_id 0
		.amdhsa_user_sgpr_kernarg_preload_length 0
		.amdhsa_user_sgpr_kernarg_preload_offset 0
		.amdhsa_user_sgpr_private_segment_size 0
		.amdhsa_uses_dynamic_stack 0
		.amdhsa_enable_private_segment 0
		.amdhsa_system_sgpr_workgroup_id_x 1
		.amdhsa_system_sgpr_workgroup_id_y 0
		.amdhsa_system_sgpr_workgroup_id_z 0
		.amdhsa_system_sgpr_workgroup_info 0
		.amdhsa_system_vgpr_workitem_id 0
		.amdhsa_next_free_vgpr 1
		.amdhsa_next_free_sgpr 0
		.amdhsa_accum_offset 4
		.amdhsa_reserve_vcc 0
		.amdhsa_float_round_mode_32 0
		.amdhsa_float_round_mode_16_64 0
		.amdhsa_float_denorm_mode_32 3
		.amdhsa_float_denorm_mode_16_64 3
		.amdhsa_dx10_clamp 1
		.amdhsa_ieee_mode 1
		.amdhsa_fp16_overflow 0
		.amdhsa_tg_split 0
		.amdhsa_exception_fp_ieee_invalid_op 0
		.amdhsa_exception_fp_denorm_src 0
		.amdhsa_exception_fp_ieee_div_zero 0
		.amdhsa_exception_fp_ieee_overflow 0
		.amdhsa_exception_fp_ieee_underflow 0
		.amdhsa_exception_fp_ieee_inexact 0
		.amdhsa_exception_int_div_zero 0
	.end_amdhsa_kernel
	.section	.text._ZN7rocprim17ROCPRIM_400000_NS6detail17trampoline_kernelINS0_14default_configENS1_35radix_sort_onesweep_config_selectorIfNS0_10empty_typeEEEZZNS1_29radix_sort_onesweep_iterationIS3_Lb0EN6thrust23THRUST_200600_302600_NS6detail15normal_iteratorINS9_10device_ptrIfEEEESE_PS5_SF_jNS0_19identity_decomposerENS1_16block_id_wrapperIjLb0EEEEE10hipError_tT1_PNSt15iterator_traitsISK_E10value_typeET2_T3_PNSL_ISQ_E10value_typeET4_T5_PSV_SW_PNS1_23onesweep_lookback_stateEbbT6_jjT7_P12ihipStream_tbENKUlT_T0_SK_SP_E_clISE_PfSF_SF_EEDaS13_S14_SK_SP_EUlS13_E_NS1_11comp_targetILNS1_3genE2ELNS1_11target_archE906ELNS1_3gpuE6ELNS1_3repE0EEENS1_47radix_sort_onesweep_sort_config_static_selectorELNS0_4arch9wavefront6targetE1EEEvSK_,"axG",@progbits,_ZN7rocprim17ROCPRIM_400000_NS6detail17trampoline_kernelINS0_14default_configENS1_35radix_sort_onesweep_config_selectorIfNS0_10empty_typeEEEZZNS1_29radix_sort_onesweep_iterationIS3_Lb0EN6thrust23THRUST_200600_302600_NS6detail15normal_iteratorINS9_10device_ptrIfEEEESE_PS5_SF_jNS0_19identity_decomposerENS1_16block_id_wrapperIjLb0EEEEE10hipError_tT1_PNSt15iterator_traitsISK_E10value_typeET2_T3_PNSL_ISQ_E10value_typeET4_T5_PSV_SW_PNS1_23onesweep_lookback_stateEbbT6_jjT7_P12ihipStream_tbENKUlT_T0_SK_SP_E_clISE_PfSF_SF_EEDaS13_S14_SK_SP_EUlS13_E_NS1_11comp_targetILNS1_3genE2ELNS1_11target_archE906ELNS1_3gpuE6ELNS1_3repE0EEENS1_47radix_sort_onesweep_sort_config_static_selectorELNS0_4arch9wavefront6targetE1EEEvSK_,comdat
.Lfunc_end598:
	.size	_ZN7rocprim17ROCPRIM_400000_NS6detail17trampoline_kernelINS0_14default_configENS1_35radix_sort_onesweep_config_selectorIfNS0_10empty_typeEEEZZNS1_29radix_sort_onesweep_iterationIS3_Lb0EN6thrust23THRUST_200600_302600_NS6detail15normal_iteratorINS9_10device_ptrIfEEEESE_PS5_SF_jNS0_19identity_decomposerENS1_16block_id_wrapperIjLb0EEEEE10hipError_tT1_PNSt15iterator_traitsISK_E10value_typeET2_T3_PNSL_ISQ_E10value_typeET4_T5_PSV_SW_PNS1_23onesweep_lookback_stateEbbT6_jjT7_P12ihipStream_tbENKUlT_T0_SK_SP_E_clISE_PfSF_SF_EEDaS13_S14_SK_SP_EUlS13_E_NS1_11comp_targetILNS1_3genE2ELNS1_11target_archE906ELNS1_3gpuE6ELNS1_3repE0EEENS1_47radix_sort_onesweep_sort_config_static_selectorELNS0_4arch9wavefront6targetE1EEEvSK_, .Lfunc_end598-_ZN7rocprim17ROCPRIM_400000_NS6detail17trampoline_kernelINS0_14default_configENS1_35radix_sort_onesweep_config_selectorIfNS0_10empty_typeEEEZZNS1_29radix_sort_onesweep_iterationIS3_Lb0EN6thrust23THRUST_200600_302600_NS6detail15normal_iteratorINS9_10device_ptrIfEEEESE_PS5_SF_jNS0_19identity_decomposerENS1_16block_id_wrapperIjLb0EEEEE10hipError_tT1_PNSt15iterator_traitsISK_E10value_typeET2_T3_PNSL_ISQ_E10value_typeET4_T5_PSV_SW_PNS1_23onesweep_lookback_stateEbbT6_jjT7_P12ihipStream_tbENKUlT_T0_SK_SP_E_clISE_PfSF_SF_EEDaS13_S14_SK_SP_EUlS13_E_NS1_11comp_targetILNS1_3genE2ELNS1_11target_archE906ELNS1_3gpuE6ELNS1_3repE0EEENS1_47radix_sort_onesweep_sort_config_static_selectorELNS0_4arch9wavefront6targetE1EEEvSK_
                                        ; -- End function
	.set _ZN7rocprim17ROCPRIM_400000_NS6detail17trampoline_kernelINS0_14default_configENS1_35radix_sort_onesweep_config_selectorIfNS0_10empty_typeEEEZZNS1_29radix_sort_onesweep_iterationIS3_Lb0EN6thrust23THRUST_200600_302600_NS6detail15normal_iteratorINS9_10device_ptrIfEEEESE_PS5_SF_jNS0_19identity_decomposerENS1_16block_id_wrapperIjLb0EEEEE10hipError_tT1_PNSt15iterator_traitsISK_E10value_typeET2_T3_PNSL_ISQ_E10value_typeET4_T5_PSV_SW_PNS1_23onesweep_lookback_stateEbbT6_jjT7_P12ihipStream_tbENKUlT_T0_SK_SP_E_clISE_PfSF_SF_EEDaS13_S14_SK_SP_EUlS13_E_NS1_11comp_targetILNS1_3genE2ELNS1_11target_archE906ELNS1_3gpuE6ELNS1_3repE0EEENS1_47radix_sort_onesweep_sort_config_static_selectorELNS0_4arch9wavefront6targetE1EEEvSK_.num_vgpr, 0
	.set _ZN7rocprim17ROCPRIM_400000_NS6detail17trampoline_kernelINS0_14default_configENS1_35radix_sort_onesweep_config_selectorIfNS0_10empty_typeEEEZZNS1_29radix_sort_onesweep_iterationIS3_Lb0EN6thrust23THRUST_200600_302600_NS6detail15normal_iteratorINS9_10device_ptrIfEEEESE_PS5_SF_jNS0_19identity_decomposerENS1_16block_id_wrapperIjLb0EEEEE10hipError_tT1_PNSt15iterator_traitsISK_E10value_typeET2_T3_PNSL_ISQ_E10value_typeET4_T5_PSV_SW_PNS1_23onesweep_lookback_stateEbbT6_jjT7_P12ihipStream_tbENKUlT_T0_SK_SP_E_clISE_PfSF_SF_EEDaS13_S14_SK_SP_EUlS13_E_NS1_11comp_targetILNS1_3genE2ELNS1_11target_archE906ELNS1_3gpuE6ELNS1_3repE0EEENS1_47radix_sort_onesweep_sort_config_static_selectorELNS0_4arch9wavefront6targetE1EEEvSK_.num_agpr, 0
	.set _ZN7rocprim17ROCPRIM_400000_NS6detail17trampoline_kernelINS0_14default_configENS1_35radix_sort_onesweep_config_selectorIfNS0_10empty_typeEEEZZNS1_29radix_sort_onesweep_iterationIS3_Lb0EN6thrust23THRUST_200600_302600_NS6detail15normal_iteratorINS9_10device_ptrIfEEEESE_PS5_SF_jNS0_19identity_decomposerENS1_16block_id_wrapperIjLb0EEEEE10hipError_tT1_PNSt15iterator_traitsISK_E10value_typeET2_T3_PNSL_ISQ_E10value_typeET4_T5_PSV_SW_PNS1_23onesweep_lookback_stateEbbT6_jjT7_P12ihipStream_tbENKUlT_T0_SK_SP_E_clISE_PfSF_SF_EEDaS13_S14_SK_SP_EUlS13_E_NS1_11comp_targetILNS1_3genE2ELNS1_11target_archE906ELNS1_3gpuE6ELNS1_3repE0EEENS1_47radix_sort_onesweep_sort_config_static_selectorELNS0_4arch9wavefront6targetE1EEEvSK_.numbered_sgpr, 0
	.set _ZN7rocprim17ROCPRIM_400000_NS6detail17trampoline_kernelINS0_14default_configENS1_35radix_sort_onesweep_config_selectorIfNS0_10empty_typeEEEZZNS1_29radix_sort_onesweep_iterationIS3_Lb0EN6thrust23THRUST_200600_302600_NS6detail15normal_iteratorINS9_10device_ptrIfEEEESE_PS5_SF_jNS0_19identity_decomposerENS1_16block_id_wrapperIjLb0EEEEE10hipError_tT1_PNSt15iterator_traitsISK_E10value_typeET2_T3_PNSL_ISQ_E10value_typeET4_T5_PSV_SW_PNS1_23onesweep_lookback_stateEbbT6_jjT7_P12ihipStream_tbENKUlT_T0_SK_SP_E_clISE_PfSF_SF_EEDaS13_S14_SK_SP_EUlS13_E_NS1_11comp_targetILNS1_3genE2ELNS1_11target_archE906ELNS1_3gpuE6ELNS1_3repE0EEENS1_47radix_sort_onesweep_sort_config_static_selectorELNS0_4arch9wavefront6targetE1EEEvSK_.num_named_barrier, 0
	.set _ZN7rocprim17ROCPRIM_400000_NS6detail17trampoline_kernelINS0_14default_configENS1_35radix_sort_onesweep_config_selectorIfNS0_10empty_typeEEEZZNS1_29radix_sort_onesweep_iterationIS3_Lb0EN6thrust23THRUST_200600_302600_NS6detail15normal_iteratorINS9_10device_ptrIfEEEESE_PS5_SF_jNS0_19identity_decomposerENS1_16block_id_wrapperIjLb0EEEEE10hipError_tT1_PNSt15iterator_traitsISK_E10value_typeET2_T3_PNSL_ISQ_E10value_typeET4_T5_PSV_SW_PNS1_23onesweep_lookback_stateEbbT6_jjT7_P12ihipStream_tbENKUlT_T0_SK_SP_E_clISE_PfSF_SF_EEDaS13_S14_SK_SP_EUlS13_E_NS1_11comp_targetILNS1_3genE2ELNS1_11target_archE906ELNS1_3gpuE6ELNS1_3repE0EEENS1_47radix_sort_onesweep_sort_config_static_selectorELNS0_4arch9wavefront6targetE1EEEvSK_.private_seg_size, 0
	.set _ZN7rocprim17ROCPRIM_400000_NS6detail17trampoline_kernelINS0_14default_configENS1_35radix_sort_onesweep_config_selectorIfNS0_10empty_typeEEEZZNS1_29radix_sort_onesweep_iterationIS3_Lb0EN6thrust23THRUST_200600_302600_NS6detail15normal_iteratorINS9_10device_ptrIfEEEESE_PS5_SF_jNS0_19identity_decomposerENS1_16block_id_wrapperIjLb0EEEEE10hipError_tT1_PNSt15iterator_traitsISK_E10value_typeET2_T3_PNSL_ISQ_E10value_typeET4_T5_PSV_SW_PNS1_23onesweep_lookback_stateEbbT6_jjT7_P12ihipStream_tbENKUlT_T0_SK_SP_E_clISE_PfSF_SF_EEDaS13_S14_SK_SP_EUlS13_E_NS1_11comp_targetILNS1_3genE2ELNS1_11target_archE906ELNS1_3gpuE6ELNS1_3repE0EEENS1_47radix_sort_onesweep_sort_config_static_selectorELNS0_4arch9wavefront6targetE1EEEvSK_.uses_vcc, 0
	.set _ZN7rocprim17ROCPRIM_400000_NS6detail17trampoline_kernelINS0_14default_configENS1_35radix_sort_onesweep_config_selectorIfNS0_10empty_typeEEEZZNS1_29radix_sort_onesweep_iterationIS3_Lb0EN6thrust23THRUST_200600_302600_NS6detail15normal_iteratorINS9_10device_ptrIfEEEESE_PS5_SF_jNS0_19identity_decomposerENS1_16block_id_wrapperIjLb0EEEEE10hipError_tT1_PNSt15iterator_traitsISK_E10value_typeET2_T3_PNSL_ISQ_E10value_typeET4_T5_PSV_SW_PNS1_23onesweep_lookback_stateEbbT6_jjT7_P12ihipStream_tbENKUlT_T0_SK_SP_E_clISE_PfSF_SF_EEDaS13_S14_SK_SP_EUlS13_E_NS1_11comp_targetILNS1_3genE2ELNS1_11target_archE906ELNS1_3gpuE6ELNS1_3repE0EEENS1_47radix_sort_onesweep_sort_config_static_selectorELNS0_4arch9wavefront6targetE1EEEvSK_.uses_flat_scratch, 0
	.set _ZN7rocprim17ROCPRIM_400000_NS6detail17trampoline_kernelINS0_14default_configENS1_35radix_sort_onesweep_config_selectorIfNS0_10empty_typeEEEZZNS1_29radix_sort_onesweep_iterationIS3_Lb0EN6thrust23THRUST_200600_302600_NS6detail15normal_iteratorINS9_10device_ptrIfEEEESE_PS5_SF_jNS0_19identity_decomposerENS1_16block_id_wrapperIjLb0EEEEE10hipError_tT1_PNSt15iterator_traitsISK_E10value_typeET2_T3_PNSL_ISQ_E10value_typeET4_T5_PSV_SW_PNS1_23onesweep_lookback_stateEbbT6_jjT7_P12ihipStream_tbENKUlT_T0_SK_SP_E_clISE_PfSF_SF_EEDaS13_S14_SK_SP_EUlS13_E_NS1_11comp_targetILNS1_3genE2ELNS1_11target_archE906ELNS1_3gpuE6ELNS1_3repE0EEENS1_47radix_sort_onesweep_sort_config_static_selectorELNS0_4arch9wavefront6targetE1EEEvSK_.has_dyn_sized_stack, 0
	.set _ZN7rocprim17ROCPRIM_400000_NS6detail17trampoline_kernelINS0_14default_configENS1_35radix_sort_onesweep_config_selectorIfNS0_10empty_typeEEEZZNS1_29radix_sort_onesweep_iterationIS3_Lb0EN6thrust23THRUST_200600_302600_NS6detail15normal_iteratorINS9_10device_ptrIfEEEESE_PS5_SF_jNS0_19identity_decomposerENS1_16block_id_wrapperIjLb0EEEEE10hipError_tT1_PNSt15iterator_traitsISK_E10value_typeET2_T3_PNSL_ISQ_E10value_typeET4_T5_PSV_SW_PNS1_23onesweep_lookback_stateEbbT6_jjT7_P12ihipStream_tbENKUlT_T0_SK_SP_E_clISE_PfSF_SF_EEDaS13_S14_SK_SP_EUlS13_E_NS1_11comp_targetILNS1_3genE2ELNS1_11target_archE906ELNS1_3gpuE6ELNS1_3repE0EEENS1_47radix_sort_onesweep_sort_config_static_selectorELNS0_4arch9wavefront6targetE1EEEvSK_.has_recursion, 0
	.set _ZN7rocprim17ROCPRIM_400000_NS6detail17trampoline_kernelINS0_14default_configENS1_35radix_sort_onesweep_config_selectorIfNS0_10empty_typeEEEZZNS1_29radix_sort_onesweep_iterationIS3_Lb0EN6thrust23THRUST_200600_302600_NS6detail15normal_iteratorINS9_10device_ptrIfEEEESE_PS5_SF_jNS0_19identity_decomposerENS1_16block_id_wrapperIjLb0EEEEE10hipError_tT1_PNSt15iterator_traitsISK_E10value_typeET2_T3_PNSL_ISQ_E10value_typeET4_T5_PSV_SW_PNS1_23onesweep_lookback_stateEbbT6_jjT7_P12ihipStream_tbENKUlT_T0_SK_SP_E_clISE_PfSF_SF_EEDaS13_S14_SK_SP_EUlS13_E_NS1_11comp_targetILNS1_3genE2ELNS1_11target_archE906ELNS1_3gpuE6ELNS1_3repE0EEENS1_47radix_sort_onesweep_sort_config_static_selectorELNS0_4arch9wavefront6targetE1EEEvSK_.has_indirect_call, 0
	.section	.AMDGPU.csdata,"",@progbits
; Kernel info:
; codeLenInByte = 0
; TotalNumSgprs: 6
; NumVgprs: 0
; NumAgprs: 0
; TotalNumVgprs: 0
; ScratchSize: 0
; MemoryBound: 0
; FloatMode: 240
; IeeeMode: 1
; LDSByteSize: 0 bytes/workgroup (compile time only)
; SGPRBlocks: 0
; VGPRBlocks: 0
; NumSGPRsForWavesPerEU: 6
; NumVGPRsForWavesPerEU: 1
; AccumOffset: 4
; Occupancy: 8
; WaveLimiterHint : 0
; COMPUTE_PGM_RSRC2:SCRATCH_EN: 0
; COMPUTE_PGM_RSRC2:USER_SGPR: 2
; COMPUTE_PGM_RSRC2:TRAP_HANDLER: 0
; COMPUTE_PGM_RSRC2:TGID_X_EN: 1
; COMPUTE_PGM_RSRC2:TGID_Y_EN: 0
; COMPUTE_PGM_RSRC2:TGID_Z_EN: 0
; COMPUTE_PGM_RSRC2:TIDIG_COMP_CNT: 0
; COMPUTE_PGM_RSRC3_GFX90A:ACCUM_OFFSET: 0
; COMPUTE_PGM_RSRC3_GFX90A:TG_SPLIT: 0
	.section	.text._ZN7rocprim17ROCPRIM_400000_NS6detail17trampoline_kernelINS0_14default_configENS1_35radix_sort_onesweep_config_selectorIfNS0_10empty_typeEEEZZNS1_29radix_sort_onesweep_iterationIS3_Lb0EN6thrust23THRUST_200600_302600_NS6detail15normal_iteratorINS9_10device_ptrIfEEEESE_PS5_SF_jNS0_19identity_decomposerENS1_16block_id_wrapperIjLb0EEEEE10hipError_tT1_PNSt15iterator_traitsISK_E10value_typeET2_T3_PNSL_ISQ_E10value_typeET4_T5_PSV_SW_PNS1_23onesweep_lookback_stateEbbT6_jjT7_P12ihipStream_tbENKUlT_T0_SK_SP_E_clISE_PfSF_SF_EEDaS13_S14_SK_SP_EUlS13_E_NS1_11comp_targetILNS1_3genE4ELNS1_11target_archE910ELNS1_3gpuE8ELNS1_3repE0EEENS1_47radix_sort_onesweep_sort_config_static_selectorELNS0_4arch9wavefront6targetE1EEEvSK_,"axG",@progbits,_ZN7rocprim17ROCPRIM_400000_NS6detail17trampoline_kernelINS0_14default_configENS1_35radix_sort_onesweep_config_selectorIfNS0_10empty_typeEEEZZNS1_29radix_sort_onesweep_iterationIS3_Lb0EN6thrust23THRUST_200600_302600_NS6detail15normal_iteratorINS9_10device_ptrIfEEEESE_PS5_SF_jNS0_19identity_decomposerENS1_16block_id_wrapperIjLb0EEEEE10hipError_tT1_PNSt15iterator_traitsISK_E10value_typeET2_T3_PNSL_ISQ_E10value_typeET4_T5_PSV_SW_PNS1_23onesweep_lookback_stateEbbT6_jjT7_P12ihipStream_tbENKUlT_T0_SK_SP_E_clISE_PfSF_SF_EEDaS13_S14_SK_SP_EUlS13_E_NS1_11comp_targetILNS1_3genE4ELNS1_11target_archE910ELNS1_3gpuE8ELNS1_3repE0EEENS1_47radix_sort_onesweep_sort_config_static_selectorELNS0_4arch9wavefront6targetE1EEEvSK_,comdat
	.protected	_ZN7rocprim17ROCPRIM_400000_NS6detail17trampoline_kernelINS0_14default_configENS1_35radix_sort_onesweep_config_selectorIfNS0_10empty_typeEEEZZNS1_29radix_sort_onesweep_iterationIS3_Lb0EN6thrust23THRUST_200600_302600_NS6detail15normal_iteratorINS9_10device_ptrIfEEEESE_PS5_SF_jNS0_19identity_decomposerENS1_16block_id_wrapperIjLb0EEEEE10hipError_tT1_PNSt15iterator_traitsISK_E10value_typeET2_T3_PNSL_ISQ_E10value_typeET4_T5_PSV_SW_PNS1_23onesweep_lookback_stateEbbT6_jjT7_P12ihipStream_tbENKUlT_T0_SK_SP_E_clISE_PfSF_SF_EEDaS13_S14_SK_SP_EUlS13_E_NS1_11comp_targetILNS1_3genE4ELNS1_11target_archE910ELNS1_3gpuE8ELNS1_3repE0EEENS1_47radix_sort_onesweep_sort_config_static_selectorELNS0_4arch9wavefront6targetE1EEEvSK_ ; -- Begin function _ZN7rocprim17ROCPRIM_400000_NS6detail17trampoline_kernelINS0_14default_configENS1_35radix_sort_onesweep_config_selectorIfNS0_10empty_typeEEEZZNS1_29radix_sort_onesweep_iterationIS3_Lb0EN6thrust23THRUST_200600_302600_NS6detail15normal_iteratorINS9_10device_ptrIfEEEESE_PS5_SF_jNS0_19identity_decomposerENS1_16block_id_wrapperIjLb0EEEEE10hipError_tT1_PNSt15iterator_traitsISK_E10value_typeET2_T3_PNSL_ISQ_E10value_typeET4_T5_PSV_SW_PNS1_23onesweep_lookback_stateEbbT6_jjT7_P12ihipStream_tbENKUlT_T0_SK_SP_E_clISE_PfSF_SF_EEDaS13_S14_SK_SP_EUlS13_E_NS1_11comp_targetILNS1_3genE4ELNS1_11target_archE910ELNS1_3gpuE8ELNS1_3repE0EEENS1_47radix_sort_onesweep_sort_config_static_selectorELNS0_4arch9wavefront6targetE1EEEvSK_
	.globl	_ZN7rocprim17ROCPRIM_400000_NS6detail17trampoline_kernelINS0_14default_configENS1_35radix_sort_onesweep_config_selectorIfNS0_10empty_typeEEEZZNS1_29radix_sort_onesweep_iterationIS3_Lb0EN6thrust23THRUST_200600_302600_NS6detail15normal_iteratorINS9_10device_ptrIfEEEESE_PS5_SF_jNS0_19identity_decomposerENS1_16block_id_wrapperIjLb0EEEEE10hipError_tT1_PNSt15iterator_traitsISK_E10value_typeET2_T3_PNSL_ISQ_E10value_typeET4_T5_PSV_SW_PNS1_23onesweep_lookback_stateEbbT6_jjT7_P12ihipStream_tbENKUlT_T0_SK_SP_E_clISE_PfSF_SF_EEDaS13_S14_SK_SP_EUlS13_E_NS1_11comp_targetILNS1_3genE4ELNS1_11target_archE910ELNS1_3gpuE8ELNS1_3repE0EEENS1_47radix_sort_onesweep_sort_config_static_selectorELNS0_4arch9wavefront6targetE1EEEvSK_
	.p2align	8
	.type	_ZN7rocprim17ROCPRIM_400000_NS6detail17trampoline_kernelINS0_14default_configENS1_35radix_sort_onesweep_config_selectorIfNS0_10empty_typeEEEZZNS1_29radix_sort_onesweep_iterationIS3_Lb0EN6thrust23THRUST_200600_302600_NS6detail15normal_iteratorINS9_10device_ptrIfEEEESE_PS5_SF_jNS0_19identity_decomposerENS1_16block_id_wrapperIjLb0EEEEE10hipError_tT1_PNSt15iterator_traitsISK_E10value_typeET2_T3_PNSL_ISQ_E10value_typeET4_T5_PSV_SW_PNS1_23onesweep_lookback_stateEbbT6_jjT7_P12ihipStream_tbENKUlT_T0_SK_SP_E_clISE_PfSF_SF_EEDaS13_S14_SK_SP_EUlS13_E_NS1_11comp_targetILNS1_3genE4ELNS1_11target_archE910ELNS1_3gpuE8ELNS1_3repE0EEENS1_47radix_sort_onesweep_sort_config_static_selectorELNS0_4arch9wavefront6targetE1EEEvSK_,@function
_ZN7rocprim17ROCPRIM_400000_NS6detail17trampoline_kernelINS0_14default_configENS1_35radix_sort_onesweep_config_selectorIfNS0_10empty_typeEEEZZNS1_29radix_sort_onesweep_iterationIS3_Lb0EN6thrust23THRUST_200600_302600_NS6detail15normal_iteratorINS9_10device_ptrIfEEEESE_PS5_SF_jNS0_19identity_decomposerENS1_16block_id_wrapperIjLb0EEEEE10hipError_tT1_PNSt15iterator_traitsISK_E10value_typeET2_T3_PNSL_ISQ_E10value_typeET4_T5_PSV_SW_PNS1_23onesweep_lookback_stateEbbT6_jjT7_P12ihipStream_tbENKUlT_T0_SK_SP_E_clISE_PfSF_SF_EEDaS13_S14_SK_SP_EUlS13_E_NS1_11comp_targetILNS1_3genE4ELNS1_11target_archE910ELNS1_3gpuE8ELNS1_3repE0EEENS1_47radix_sort_onesweep_sort_config_static_selectorELNS0_4arch9wavefront6targetE1EEEvSK_: ; @_ZN7rocprim17ROCPRIM_400000_NS6detail17trampoline_kernelINS0_14default_configENS1_35radix_sort_onesweep_config_selectorIfNS0_10empty_typeEEEZZNS1_29radix_sort_onesweep_iterationIS3_Lb0EN6thrust23THRUST_200600_302600_NS6detail15normal_iteratorINS9_10device_ptrIfEEEESE_PS5_SF_jNS0_19identity_decomposerENS1_16block_id_wrapperIjLb0EEEEE10hipError_tT1_PNSt15iterator_traitsISK_E10value_typeET2_T3_PNSL_ISQ_E10value_typeET4_T5_PSV_SW_PNS1_23onesweep_lookback_stateEbbT6_jjT7_P12ihipStream_tbENKUlT_T0_SK_SP_E_clISE_PfSF_SF_EEDaS13_S14_SK_SP_EUlS13_E_NS1_11comp_targetILNS1_3genE4ELNS1_11target_archE910ELNS1_3gpuE8ELNS1_3repE0EEENS1_47radix_sort_onesweep_sort_config_static_selectorELNS0_4arch9wavefront6targetE1EEEvSK_
; %bb.0:
	.section	.rodata,"a",@progbits
	.p2align	6, 0x0
	.amdhsa_kernel _ZN7rocprim17ROCPRIM_400000_NS6detail17trampoline_kernelINS0_14default_configENS1_35radix_sort_onesweep_config_selectorIfNS0_10empty_typeEEEZZNS1_29radix_sort_onesweep_iterationIS3_Lb0EN6thrust23THRUST_200600_302600_NS6detail15normal_iteratorINS9_10device_ptrIfEEEESE_PS5_SF_jNS0_19identity_decomposerENS1_16block_id_wrapperIjLb0EEEEE10hipError_tT1_PNSt15iterator_traitsISK_E10value_typeET2_T3_PNSL_ISQ_E10value_typeET4_T5_PSV_SW_PNS1_23onesweep_lookback_stateEbbT6_jjT7_P12ihipStream_tbENKUlT_T0_SK_SP_E_clISE_PfSF_SF_EEDaS13_S14_SK_SP_EUlS13_E_NS1_11comp_targetILNS1_3genE4ELNS1_11target_archE910ELNS1_3gpuE8ELNS1_3repE0EEENS1_47radix_sort_onesweep_sort_config_static_selectorELNS0_4arch9wavefront6targetE1EEEvSK_
		.amdhsa_group_segment_fixed_size 0
		.amdhsa_private_segment_fixed_size 0
		.amdhsa_kernarg_size 88
		.amdhsa_user_sgpr_count 2
		.amdhsa_user_sgpr_dispatch_ptr 0
		.amdhsa_user_sgpr_queue_ptr 0
		.amdhsa_user_sgpr_kernarg_segment_ptr 1
		.amdhsa_user_sgpr_dispatch_id 0
		.amdhsa_user_sgpr_kernarg_preload_length 0
		.amdhsa_user_sgpr_kernarg_preload_offset 0
		.amdhsa_user_sgpr_private_segment_size 0
		.amdhsa_uses_dynamic_stack 0
		.amdhsa_enable_private_segment 0
		.amdhsa_system_sgpr_workgroup_id_x 1
		.amdhsa_system_sgpr_workgroup_id_y 0
		.amdhsa_system_sgpr_workgroup_id_z 0
		.amdhsa_system_sgpr_workgroup_info 0
		.amdhsa_system_vgpr_workitem_id 0
		.amdhsa_next_free_vgpr 1
		.amdhsa_next_free_sgpr 0
		.amdhsa_accum_offset 4
		.amdhsa_reserve_vcc 0
		.amdhsa_float_round_mode_32 0
		.amdhsa_float_round_mode_16_64 0
		.amdhsa_float_denorm_mode_32 3
		.amdhsa_float_denorm_mode_16_64 3
		.amdhsa_dx10_clamp 1
		.amdhsa_ieee_mode 1
		.amdhsa_fp16_overflow 0
		.amdhsa_tg_split 0
		.amdhsa_exception_fp_ieee_invalid_op 0
		.amdhsa_exception_fp_denorm_src 0
		.amdhsa_exception_fp_ieee_div_zero 0
		.amdhsa_exception_fp_ieee_overflow 0
		.amdhsa_exception_fp_ieee_underflow 0
		.amdhsa_exception_fp_ieee_inexact 0
		.amdhsa_exception_int_div_zero 0
	.end_amdhsa_kernel
	.section	.text._ZN7rocprim17ROCPRIM_400000_NS6detail17trampoline_kernelINS0_14default_configENS1_35radix_sort_onesweep_config_selectorIfNS0_10empty_typeEEEZZNS1_29radix_sort_onesweep_iterationIS3_Lb0EN6thrust23THRUST_200600_302600_NS6detail15normal_iteratorINS9_10device_ptrIfEEEESE_PS5_SF_jNS0_19identity_decomposerENS1_16block_id_wrapperIjLb0EEEEE10hipError_tT1_PNSt15iterator_traitsISK_E10value_typeET2_T3_PNSL_ISQ_E10value_typeET4_T5_PSV_SW_PNS1_23onesweep_lookback_stateEbbT6_jjT7_P12ihipStream_tbENKUlT_T0_SK_SP_E_clISE_PfSF_SF_EEDaS13_S14_SK_SP_EUlS13_E_NS1_11comp_targetILNS1_3genE4ELNS1_11target_archE910ELNS1_3gpuE8ELNS1_3repE0EEENS1_47radix_sort_onesweep_sort_config_static_selectorELNS0_4arch9wavefront6targetE1EEEvSK_,"axG",@progbits,_ZN7rocprim17ROCPRIM_400000_NS6detail17trampoline_kernelINS0_14default_configENS1_35radix_sort_onesweep_config_selectorIfNS0_10empty_typeEEEZZNS1_29radix_sort_onesweep_iterationIS3_Lb0EN6thrust23THRUST_200600_302600_NS6detail15normal_iteratorINS9_10device_ptrIfEEEESE_PS5_SF_jNS0_19identity_decomposerENS1_16block_id_wrapperIjLb0EEEEE10hipError_tT1_PNSt15iterator_traitsISK_E10value_typeET2_T3_PNSL_ISQ_E10value_typeET4_T5_PSV_SW_PNS1_23onesweep_lookback_stateEbbT6_jjT7_P12ihipStream_tbENKUlT_T0_SK_SP_E_clISE_PfSF_SF_EEDaS13_S14_SK_SP_EUlS13_E_NS1_11comp_targetILNS1_3genE4ELNS1_11target_archE910ELNS1_3gpuE8ELNS1_3repE0EEENS1_47radix_sort_onesweep_sort_config_static_selectorELNS0_4arch9wavefront6targetE1EEEvSK_,comdat
.Lfunc_end599:
	.size	_ZN7rocprim17ROCPRIM_400000_NS6detail17trampoline_kernelINS0_14default_configENS1_35radix_sort_onesweep_config_selectorIfNS0_10empty_typeEEEZZNS1_29radix_sort_onesweep_iterationIS3_Lb0EN6thrust23THRUST_200600_302600_NS6detail15normal_iteratorINS9_10device_ptrIfEEEESE_PS5_SF_jNS0_19identity_decomposerENS1_16block_id_wrapperIjLb0EEEEE10hipError_tT1_PNSt15iterator_traitsISK_E10value_typeET2_T3_PNSL_ISQ_E10value_typeET4_T5_PSV_SW_PNS1_23onesweep_lookback_stateEbbT6_jjT7_P12ihipStream_tbENKUlT_T0_SK_SP_E_clISE_PfSF_SF_EEDaS13_S14_SK_SP_EUlS13_E_NS1_11comp_targetILNS1_3genE4ELNS1_11target_archE910ELNS1_3gpuE8ELNS1_3repE0EEENS1_47radix_sort_onesweep_sort_config_static_selectorELNS0_4arch9wavefront6targetE1EEEvSK_, .Lfunc_end599-_ZN7rocprim17ROCPRIM_400000_NS6detail17trampoline_kernelINS0_14default_configENS1_35radix_sort_onesweep_config_selectorIfNS0_10empty_typeEEEZZNS1_29radix_sort_onesweep_iterationIS3_Lb0EN6thrust23THRUST_200600_302600_NS6detail15normal_iteratorINS9_10device_ptrIfEEEESE_PS5_SF_jNS0_19identity_decomposerENS1_16block_id_wrapperIjLb0EEEEE10hipError_tT1_PNSt15iterator_traitsISK_E10value_typeET2_T3_PNSL_ISQ_E10value_typeET4_T5_PSV_SW_PNS1_23onesweep_lookback_stateEbbT6_jjT7_P12ihipStream_tbENKUlT_T0_SK_SP_E_clISE_PfSF_SF_EEDaS13_S14_SK_SP_EUlS13_E_NS1_11comp_targetILNS1_3genE4ELNS1_11target_archE910ELNS1_3gpuE8ELNS1_3repE0EEENS1_47radix_sort_onesweep_sort_config_static_selectorELNS0_4arch9wavefront6targetE1EEEvSK_
                                        ; -- End function
	.set _ZN7rocprim17ROCPRIM_400000_NS6detail17trampoline_kernelINS0_14default_configENS1_35radix_sort_onesweep_config_selectorIfNS0_10empty_typeEEEZZNS1_29radix_sort_onesweep_iterationIS3_Lb0EN6thrust23THRUST_200600_302600_NS6detail15normal_iteratorINS9_10device_ptrIfEEEESE_PS5_SF_jNS0_19identity_decomposerENS1_16block_id_wrapperIjLb0EEEEE10hipError_tT1_PNSt15iterator_traitsISK_E10value_typeET2_T3_PNSL_ISQ_E10value_typeET4_T5_PSV_SW_PNS1_23onesweep_lookback_stateEbbT6_jjT7_P12ihipStream_tbENKUlT_T0_SK_SP_E_clISE_PfSF_SF_EEDaS13_S14_SK_SP_EUlS13_E_NS1_11comp_targetILNS1_3genE4ELNS1_11target_archE910ELNS1_3gpuE8ELNS1_3repE0EEENS1_47radix_sort_onesweep_sort_config_static_selectorELNS0_4arch9wavefront6targetE1EEEvSK_.num_vgpr, 0
	.set _ZN7rocprim17ROCPRIM_400000_NS6detail17trampoline_kernelINS0_14default_configENS1_35radix_sort_onesweep_config_selectorIfNS0_10empty_typeEEEZZNS1_29radix_sort_onesweep_iterationIS3_Lb0EN6thrust23THRUST_200600_302600_NS6detail15normal_iteratorINS9_10device_ptrIfEEEESE_PS5_SF_jNS0_19identity_decomposerENS1_16block_id_wrapperIjLb0EEEEE10hipError_tT1_PNSt15iterator_traitsISK_E10value_typeET2_T3_PNSL_ISQ_E10value_typeET4_T5_PSV_SW_PNS1_23onesweep_lookback_stateEbbT6_jjT7_P12ihipStream_tbENKUlT_T0_SK_SP_E_clISE_PfSF_SF_EEDaS13_S14_SK_SP_EUlS13_E_NS1_11comp_targetILNS1_3genE4ELNS1_11target_archE910ELNS1_3gpuE8ELNS1_3repE0EEENS1_47radix_sort_onesweep_sort_config_static_selectorELNS0_4arch9wavefront6targetE1EEEvSK_.num_agpr, 0
	.set _ZN7rocprim17ROCPRIM_400000_NS6detail17trampoline_kernelINS0_14default_configENS1_35radix_sort_onesweep_config_selectorIfNS0_10empty_typeEEEZZNS1_29radix_sort_onesweep_iterationIS3_Lb0EN6thrust23THRUST_200600_302600_NS6detail15normal_iteratorINS9_10device_ptrIfEEEESE_PS5_SF_jNS0_19identity_decomposerENS1_16block_id_wrapperIjLb0EEEEE10hipError_tT1_PNSt15iterator_traitsISK_E10value_typeET2_T3_PNSL_ISQ_E10value_typeET4_T5_PSV_SW_PNS1_23onesweep_lookback_stateEbbT6_jjT7_P12ihipStream_tbENKUlT_T0_SK_SP_E_clISE_PfSF_SF_EEDaS13_S14_SK_SP_EUlS13_E_NS1_11comp_targetILNS1_3genE4ELNS1_11target_archE910ELNS1_3gpuE8ELNS1_3repE0EEENS1_47radix_sort_onesweep_sort_config_static_selectorELNS0_4arch9wavefront6targetE1EEEvSK_.numbered_sgpr, 0
	.set _ZN7rocprim17ROCPRIM_400000_NS6detail17trampoline_kernelINS0_14default_configENS1_35radix_sort_onesweep_config_selectorIfNS0_10empty_typeEEEZZNS1_29radix_sort_onesweep_iterationIS3_Lb0EN6thrust23THRUST_200600_302600_NS6detail15normal_iteratorINS9_10device_ptrIfEEEESE_PS5_SF_jNS0_19identity_decomposerENS1_16block_id_wrapperIjLb0EEEEE10hipError_tT1_PNSt15iterator_traitsISK_E10value_typeET2_T3_PNSL_ISQ_E10value_typeET4_T5_PSV_SW_PNS1_23onesweep_lookback_stateEbbT6_jjT7_P12ihipStream_tbENKUlT_T0_SK_SP_E_clISE_PfSF_SF_EEDaS13_S14_SK_SP_EUlS13_E_NS1_11comp_targetILNS1_3genE4ELNS1_11target_archE910ELNS1_3gpuE8ELNS1_3repE0EEENS1_47radix_sort_onesweep_sort_config_static_selectorELNS0_4arch9wavefront6targetE1EEEvSK_.num_named_barrier, 0
	.set _ZN7rocprim17ROCPRIM_400000_NS6detail17trampoline_kernelINS0_14default_configENS1_35radix_sort_onesweep_config_selectorIfNS0_10empty_typeEEEZZNS1_29radix_sort_onesweep_iterationIS3_Lb0EN6thrust23THRUST_200600_302600_NS6detail15normal_iteratorINS9_10device_ptrIfEEEESE_PS5_SF_jNS0_19identity_decomposerENS1_16block_id_wrapperIjLb0EEEEE10hipError_tT1_PNSt15iterator_traitsISK_E10value_typeET2_T3_PNSL_ISQ_E10value_typeET4_T5_PSV_SW_PNS1_23onesweep_lookback_stateEbbT6_jjT7_P12ihipStream_tbENKUlT_T0_SK_SP_E_clISE_PfSF_SF_EEDaS13_S14_SK_SP_EUlS13_E_NS1_11comp_targetILNS1_3genE4ELNS1_11target_archE910ELNS1_3gpuE8ELNS1_3repE0EEENS1_47radix_sort_onesweep_sort_config_static_selectorELNS0_4arch9wavefront6targetE1EEEvSK_.private_seg_size, 0
	.set _ZN7rocprim17ROCPRIM_400000_NS6detail17trampoline_kernelINS0_14default_configENS1_35radix_sort_onesweep_config_selectorIfNS0_10empty_typeEEEZZNS1_29radix_sort_onesweep_iterationIS3_Lb0EN6thrust23THRUST_200600_302600_NS6detail15normal_iteratorINS9_10device_ptrIfEEEESE_PS5_SF_jNS0_19identity_decomposerENS1_16block_id_wrapperIjLb0EEEEE10hipError_tT1_PNSt15iterator_traitsISK_E10value_typeET2_T3_PNSL_ISQ_E10value_typeET4_T5_PSV_SW_PNS1_23onesweep_lookback_stateEbbT6_jjT7_P12ihipStream_tbENKUlT_T0_SK_SP_E_clISE_PfSF_SF_EEDaS13_S14_SK_SP_EUlS13_E_NS1_11comp_targetILNS1_3genE4ELNS1_11target_archE910ELNS1_3gpuE8ELNS1_3repE0EEENS1_47radix_sort_onesweep_sort_config_static_selectorELNS0_4arch9wavefront6targetE1EEEvSK_.uses_vcc, 0
	.set _ZN7rocprim17ROCPRIM_400000_NS6detail17trampoline_kernelINS0_14default_configENS1_35radix_sort_onesweep_config_selectorIfNS0_10empty_typeEEEZZNS1_29radix_sort_onesweep_iterationIS3_Lb0EN6thrust23THRUST_200600_302600_NS6detail15normal_iteratorINS9_10device_ptrIfEEEESE_PS5_SF_jNS0_19identity_decomposerENS1_16block_id_wrapperIjLb0EEEEE10hipError_tT1_PNSt15iterator_traitsISK_E10value_typeET2_T3_PNSL_ISQ_E10value_typeET4_T5_PSV_SW_PNS1_23onesweep_lookback_stateEbbT6_jjT7_P12ihipStream_tbENKUlT_T0_SK_SP_E_clISE_PfSF_SF_EEDaS13_S14_SK_SP_EUlS13_E_NS1_11comp_targetILNS1_3genE4ELNS1_11target_archE910ELNS1_3gpuE8ELNS1_3repE0EEENS1_47radix_sort_onesweep_sort_config_static_selectorELNS0_4arch9wavefront6targetE1EEEvSK_.uses_flat_scratch, 0
	.set _ZN7rocprim17ROCPRIM_400000_NS6detail17trampoline_kernelINS0_14default_configENS1_35radix_sort_onesweep_config_selectorIfNS0_10empty_typeEEEZZNS1_29radix_sort_onesweep_iterationIS3_Lb0EN6thrust23THRUST_200600_302600_NS6detail15normal_iteratorINS9_10device_ptrIfEEEESE_PS5_SF_jNS0_19identity_decomposerENS1_16block_id_wrapperIjLb0EEEEE10hipError_tT1_PNSt15iterator_traitsISK_E10value_typeET2_T3_PNSL_ISQ_E10value_typeET4_T5_PSV_SW_PNS1_23onesweep_lookback_stateEbbT6_jjT7_P12ihipStream_tbENKUlT_T0_SK_SP_E_clISE_PfSF_SF_EEDaS13_S14_SK_SP_EUlS13_E_NS1_11comp_targetILNS1_3genE4ELNS1_11target_archE910ELNS1_3gpuE8ELNS1_3repE0EEENS1_47radix_sort_onesweep_sort_config_static_selectorELNS0_4arch9wavefront6targetE1EEEvSK_.has_dyn_sized_stack, 0
	.set _ZN7rocprim17ROCPRIM_400000_NS6detail17trampoline_kernelINS0_14default_configENS1_35radix_sort_onesweep_config_selectorIfNS0_10empty_typeEEEZZNS1_29radix_sort_onesweep_iterationIS3_Lb0EN6thrust23THRUST_200600_302600_NS6detail15normal_iteratorINS9_10device_ptrIfEEEESE_PS5_SF_jNS0_19identity_decomposerENS1_16block_id_wrapperIjLb0EEEEE10hipError_tT1_PNSt15iterator_traitsISK_E10value_typeET2_T3_PNSL_ISQ_E10value_typeET4_T5_PSV_SW_PNS1_23onesweep_lookback_stateEbbT6_jjT7_P12ihipStream_tbENKUlT_T0_SK_SP_E_clISE_PfSF_SF_EEDaS13_S14_SK_SP_EUlS13_E_NS1_11comp_targetILNS1_3genE4ELNS1_11target_archE910ELNS1_3gpuE8ELNS1_3repE0EEENS1_47radix_sort_onesweep_sort_config_static_selectorELNS0_4arch9wavefront6targetE1EEEvSK_.has_recursion, 0
	.set _ZN7rocprim17ROCPRIM_400000_NS6detail17trampoline_kernelINS0_14default_configENS1_35radix_sort_onesweep_config_selectorIfNS0_10empty_typeEEEZZNS1_29radix_sort_onesweep_iterationIS3_Lb0EN6thrust23THRUST_200600_302600_NS6detail15normal_iteratorINS9_10device_ptrIfEEEESE_PS5_SF_jNS0_19identity_decomposerENS1_16block_id_wrapperIjLb0EEEEE10hipError_tT1_PNSt15iterator_traitsISK_E10value_typeET2_T3_PNSL_ISQ_E10value_typeET4_T5_PSV_SW_PNS1_23onesweep_lookback_stateEbbT6_jjT7_P12ihipStream_tbENKUlT_T0_SK_SP_E_clISE_PfSF_SF_EEDaS13_S14_SK_SP_EUlS13_E_NS1_11comp_targetILNS1_3genE4ELNS1_11target_archE910ELNS1_3gpuE8ELNS1_3repE0EEENS1_47radix_sort_onesweep_sort_config_static_selectorELNS0_4arch9wavefront6targetE1EEEvSK_.has_indirect_call, 0
	.section	.AMDGPU.csdata,"",@progbits
; Kernel info:
; codeLenInByte = 0
; TotalNumSgprs: 6
; NumVgprs: 0
; NumAgprs: 0
; TotalNumVgprs: 0
; ScratchSize: 0
; MemoryBound: 0
; FloatMode: 240
; IeeeMode: 1
; LDSByteSize: 0 bytes/workgroup (compile time only)
; SGPRBlocks: 0
; VGPRBlocks: 0
; NumSGPRsForWavesPerEU: 6
; NumVGPRsForWavesPerEU: 1
; AccumOffset: 4
; Occupancy: 8
; WaveLimiterHint : 0
; COMPUTE_PGM_RSRC2:SCRATCH_EN: 0
; COMPUTE_PGM_RSRC2:USER_SGPR: 2
; COMPUTE_PGM_RSRC2:TRAP_HANDLER: 0
; COMPUTE_PGM_RSRC2:TGID_X_EN: 1
; COMPUTE_PGM_RSRC2:TGID_Y_EN: 0
; COMPUTE_PGM_RSRC2:TGID_Z_EN: 0
; COMPUTE_PGM_RSRC2:TIDIG_COMP_CNT: 0
; COMPUTE_PGM_RSRC3_GFX90A:ACCUM_OFFSET: 0
; COMPUTE_PGM_RSRC3_GFX90A:TG_SPLIT: 0
	.section	.text._ZN7rocprim17ROCPRIM_400000_NS6detail17trampoline_kernelINS0_14default_configENS1_35radix_sort_onesweep_config_selectorIfNS0_10empty_typeEEEZZNS1_29radix_sort_onesweep_iterationIS3_Lb0EN6thrust23THRUST_200600_302600_NS6detail15normal_iteratorINS9_10device_ptrIfEEEESE_PS5_SF_jNS0_19identity_decomposerENS1_16block_id_wrapperIjLb0EEEEE10hipError_tT1_PNSt15iterator_traitsISK_E10value_typeET2_T3_PNSL_ISQ_E10value_typeET4_T5_PSV_SW_PNS1_23onesweep_lookback_stateEbbT6_jjT7_P12ihipStream_tbENKUlT_T0_SK_SP_E_clISE_PfSF_SF_EEDaS13_S14_SK_SP_EUlS13_E_NS1_11comp_targetILNS1_3genE3ELNS1_11target_archE908ELNS1_3gpuE7ELNS1_3repE0EEENS1_47radix_sort_onesweep_sort_config_static_selectorELNS0_4arch9wavefront6targetE1EEEvSK_,"axG",@progbits,_ZN7rocprim17ROCPRIM_400000_NS6detail17trampoline_kernelINS0_14default_configENS1_35radix_sort_onesweep_config_selectorIfNS0_10empty_typeEEEZZNS1_29radix_sort_onesweep_iterationIS3_Lb0EN6thrust23THRUST_200600_302600_NS6detail15normal_iteratorINS9_10device_ptrIfEEEESE_PS5_SF_jNS0_19identity_decomposerENS1_16block_id_wrapperIjLb0EEEEE10hipError_tT1_PNSt15iterator_traitsISK_E10value_typeET2_T3_PNSL_ISQ_E10value_typeET4_T5_PSV_SW_PNS1_23onesweep_lookback_stateEbbT6_jjT7_P12ihipStream_tbENKUlT_T0_SK_SP_E_clISE_PfSF_SF_EEDaS13_S14_SK_SP_EUlS13_E_NS1_11comp_targetILNS1_3genE3ELNS1_11target_archE908ELNS1_3gpuE7ELNS1_3repE0EEENS1_47radix_sort_onesweep_sort_config_static_selectorELNS0_4arch9wavefront6targetE1EEEvSK_,comdat
	.protected	_ZN7rocprim17ROCPRIM_400000_NS6detail17trampoline_kernelINS0_14default_configENS1_35radix_sort_onesweep_config_selectorIfNS0_10empty_typeEEEZZNS1_29radix_sort_onesweep_iterationIS3_Lb0EN6thrust23THRUST_200600_302600_NS6detail15normal_iteratorINS9_10device_ptrIfEEEESE_PS5_SF_jNS0_19identity_decomposerENS1_16block_id_wrapperIjLb0EEEEE10hipError_tT1_PNSt15iterator_traitsISK_E10value_typeET2_T3_PNSL_ISQ_E10value_typeET4_T5_PSV_SW_PNS1_23onesweep_lookback_stateEbbT6_jjT7_P12ihipStream_tbENKUlT_T0_SK_SP_E_clISE_PfSF_SF_EEDaS13_S14_SK_SP_EUlS13_E_NS1_11comp_targetILNS1_3genE3ELNS1_11target_archE908ELNS1_3gpuE7ELNS1_3repE0EEENS1_47radix_sort_onesweep_sort_config_static_selectorELNS0_4arch9wavefront6targetE1EEEvSK_ ; -- Begin function _ZN7rocprim17ROCPRIM_400000_NS6detail17trampoline_kernelINS0_14default_configENS1_35radix_sort_onesweep_config_selectorIfNS0_10empty_typeEEEZZNS1_29radix_sort_onesweep_iterationIS3_Lb0EN6thrust23THRUST_200600_302600_NS6detail15normal_iteratorINS9_10device_ptrIfEEEESE_PS5_SF_jNS0_19identity_decomposerENS1_16block_id_wrapperIjLb0EEEEE10hipError_tT1_PNSt15iterator_traitsISK_E10value_typeET2_T3_PNSL_ISQ_E10value_typeET4_T5_PSV_SW_PNS1_23onesweep_lookback_stateEbbT6_jjT7_P12ihipStream_tbENKUlT_T0_SK_SP_E_clISE_PfSF_SF_EEDaS13_S14_SK_SP_EUlS13_E_NS1_11comp_targetILNS1_3genE3ELNS1_11target_archE908ELNS1_3gpuE7ELNS1_3repE0EEENS1_47radix_sort_onesweep_sort_config_static_selectorELNS0_4arch9wavefront6targetE1EEEvSK_
	.globl	_ZN7rocprim17ROCPRIM_400000_NS6detail17trampoline_kernelINS0_14default_configENS1_35radix_sort_onesweep_config_selectorIfNS0_10empty_typeEEEZZNS1_29radix_sort_onesweep_iterationIS3_Lb0EN6thrust23THRUST_200600_302600_NS6detail15normal_iteratorINS9_10device_ptrIfEEEESE_PS5_SF_jNS0_19identity_decomposerENS1_16block_id_wrapperIjLb0EEEEE10hipError_tT1_PNSt15iterator_traitsISK_E10value_typeET2_T3_PNSL_ISQ_E10value_typeET4_T5_PSV_SW_PNS1_23onesweep_lookback_stateEbbT6_jjT7_P12ihipStream_tbENKUlT_T0_SK_SP_E_clISE_PfSF_SF_EEDaS13_S14_SK_SP_EUlS13_E_NS1_11comp_targetILNS1_3genE3ELNS1_11target_archE908ELNS1_3gpuE7ELNS1_3repE0EEENS1_47radix_sort_onesweep_sort_config_static_selectorELNS0_4arch9wavefront6targetE1EEEvSK_
	.p2align	8
	.type	_ZN7rocprim17ROCPRIM_400000_NS6detail17trampoline_kernelINS0_14default_configENS1_35radix_sort_onesweep_config_selectorIfNS0_10empty_typeEEEZZNS1_29radix_sort_onesweep_iterationIS3_Lb0EN6thrust23THRUST_200600_302600_NS6detail15normal_iteratorINS9_10device_ptrIfEEEESE_PS5_SF_jNS0_19identity_decomposerENS1_16block_id_wrapperIjLb0EEEEE10hipError_tT1_PNSt15iterator_traitsISK_E10value_typeET2_T3_PNSL_ISQ_E10value_typeET4_T5_PSV_SW_PNS1_23onesweep_lookback_stateEbbT6_jjT7_P12ihipStream_tbENKUlT_T0_SK_SP_E_clISE_PfSF_SF_EEDaS13_S14_SK_SP_EUlS13_E_NS1_11comp_targetILNS1_3genE3ELNS1_11target_archE908ELNS1_3gpuE7ELNS1_3repE0EEENS1_47radix_sort_onesweep_sort_config_static_selectorELNS0_4arch9wavefront6targetE1EEEvSK_,@function
_ZN7rocprim17ROCPRIM_400000_NS6detail17trampoline_kernelINS0_14default_configENS1_35radix_sort_onesweep_config_selectorIfNS0_10empty_typeEEEZZNS1_29radix_sort_onesweep_iterationIS3_Lb0EN6thrust23THRUST_200600_302600_NS6detail15normal_iteratorINS9_10device_ptrIfEEEESE_PS5_SF_jNS0_19identity_decomposerENS1_16block_id_wrapperIjLb0EEEEE10hipError_tT1_PNSt15iterator_traitsISK_E10value_typeET2_T3_PNSL_ISQ_E10value_typeET4_T5_PSV_SW_PNS1_23onesweep_lookback_stateEbbT6_jjT7_P12ihipStream_tbENKUlT_T0_SK_SP_E_clISE_PfSF_SF_EEDaS13_S14_SK_SP_EUlS13_E_NS1_11comp_targetILNS1_3genE3ELNS1_11target_archE908ELNS1_3gpuE7ELNS1_3repE0EEENS1_47radix_sort_onesweep_sort_config_static_selectorELNS0_4arch9wavefront6targetE1EEEvSK_: ; @_ZN7rocprim17ROCPRIM_400000_NS6detail17trampoline_kernelINS0_14default_configENS1_35radix_sort_onesweep_config_selectorIfNS0_10empty_typeEEEZZNS1_29radix_sort_onesweep_iterationIS3_Lb0EN6thrust23THRUST_200600_302600_NS6detail15normal_iteratorINS9_10device_ptrIfEEEESE_PS5_SF_jNS0_19identity_decomposerENS1_16block_id_wrapperIjLb0EEEEE10hipError_tT1_PNSt15iterator_traitsISK_E10value_typeET2_T3_PNSL_ISQ_E10value_typeET4_T5_PSV_SW_PNS1_23onesweep_lookback_stateEbbT6_jjT7_P12ihipStream_tbENKUlT_T0_SK_SP_E_clISE_PfSF_SF_EEDaS13_S14_SK_SP_EUlS13_E_NS1_11comp_targetILNS1_3genE3ELNS1_11target_archE908ELNS1_3gpuE7ELNS1_3repE0EEENS1_47radix_sort_onesweep_sort_config_static_selectorELNS0_4arch9wavefront6targetE1EEEvSK_
; %bb.0:
	.section	.rodata,"a",@progbits
	.p2align	6, 0x0
	.amdhsa_kernel _ZN7rocprim17ROCPRIM_400000_NS6detail17trampoline_kernelINS0_14default_configENS1_35radix_sort_onesweep_config_selectorIfNS0_10empty_typeEEEZZNS1_29radix_sort_onesweep_iterationIS3_Lb0EN6thrust23THRUST_200600_302600_NS6detail15normal_iteratorINS9_10device_ptrIfEEEESE_PS5_SF_jNS0_19identity_decomposerENS1_16block_id_wrapperIjLb0EEEEE10hipError_tT1_PNSt15iterator_traitsISK_E10value_typeET2_T3_PNSL_ISQ_E10value_typeET4_T5_PSV_SW_PNS1_23onesweep_lookback_stateEbbT6_jjT7_P12ihipStream_tbENKUlT_T0_SK_SP_E_clISE_PfSF_SF_EEDaS13_S14_SK_SP_EUlS13_E_NS1_11comp_targetILNS1_3genE3ELNS1_11target_archE908ELNS1_3gpuE7ELNS1_3repE0EEENS1_47radix_sort_onesweep_sort_config_static_selectorELNS0_4arch9wavefront6targetE1EEEvSK_
		.amdhsa_group_segment_fixed_size 0
		.amdhsa_private_segment_fixed_size 0
		.amdhsa_kernarg_size 88
		.amdhsa_user_sgpr_count 2
		.amdhsa_user_sgpr_dispatch_ptr 0
		.amdhsa_user_sgpr_queue_ptr 0
		.amdhsa_user_sgpr_kernarg_segment_ptr 1
		.amdhsa_user_sgpr_dispatch_id 0
		.amdhsa_user_sgpr_kernarg_preload_length 0
		.amdhsa_user_sgpr_kernarg_preload_offset 0
		.amdhsa_user_sgpr_private_segment_size 0
		.amdhsa_uses_dynamic_stack 0
		.amdhsa_enable_private_segment 0
		.amdhsa_system_sgpr_workgroup_id_x 1
		.amdhsa_system_sgpr_workgroup_id_y 0
		.amdhsa_system_sgpr_workgroup_id_z 0
		.amdhsa_system_sgpr_workgroup_info 0
		.amdhsa_system_vgpr_workitem_id 0
		.amdhsa_next_free_vgpr 1
		.amdhsa_next_free_sgpr 0
		.amdhsa_accum_offset 4
		.amdhsa_reserve_vcc 0
		.amdhsa_float_round_mode_32 0
		.amdhsa_float_round_mode_16_64 0
		.amdhsa_float_denorm_mode_32 3
		.amdhsa_float_denorm_mode_16_64 3
		.amdhsa_dx10_clamp 1
		.amdhsa_ieee_mode 1
		.amdhsa_fp16_overflow 0
		.amdhsa_tg_split 0
		.amdhsa_exception_fp_ieee_invalid_op 0
		.amdhsa_exception_fp_denorm_src 0
		.amdhsa_exception_fp_ieee_div_zero 0
		.amdhsa_exception_fp_ieee_overflow 0
		.amdhsa_exception_fp_ieee_underflow 0
		.amdhsa_exception_fp_ieee_inexact 0
		.amdhsa_exception_int_div_zero 0
	.end_amdhsa_kernel
	.section	.text._ZN7rocprim17ROCPRIM_400000_NS6detail17trampoline_kernelINS0_14default_configENS1_35radix_sort_onesweep_config_selectorIfNS0_10empty_typeEEEZZNS1_29radix_sort_onesweep_iterationIS3_Lb0EN6thrust23THRUST_200600_302600_NS6detail15normal_iteratorINS9_10device_ptrIfEEEESE_PS5_SF_jNS0_19identity_decomposerENS1_16block_id_wrapperIjLb0EEEEE10hipError_tT1_PNSt15iterator_traitsISK_E10value_typeET2_T3_PNSL_ISQ_E10value_typeET4_T5_PSV_SW_PNS1_23onesweep_lookback_stateEbbT6_jjT7_P12ihipStream_tbENKUlT_T0_SK_SP_E_clISE_PfSF_SF_EEDaS13_S14_SK_SP_EUlS13_E_NS1_11comp_targetILNS1_3genE3ELNS1_11target_archE908ELNS1_3gpuE7ELNS1_3repE0EEENS1_47radix_sort_onesweep_sort_config_static_selectorELNS0_4arch9wavefront6targetE1EEEvSK_,"axG",@progbits,_ZN7rocprim17ROCPRIM_400000_NS6detail17trampoline_kernelINS0_14default_configENS1_35radix_sort_onesweep_config_selectorIfNS0_10empty_typeEEEZZNS1_29radix_sort_onesweep_iterationIS3_Lb0EN6thrust23THRUST_200600_302600_NS6detail15normal_iteratorINS9_10device_ptrIfEEEESE_PS5_SF_jNS0_19identity_decomposerENS1_16block_id_wrapperIjLb0EEEEE10hipError_tT1_PNSt15iterator_traitsISK_E10value_typeET2_T3_PNSL_ISQ_E10value_typeET4_T5_PSV_SW_PNS1_23onesweep_lookback_stateEbbT6_jjT7_P12ihipStream_tbENKUlT_T0_SK_SP_E_clISE_PfSF_SF_EEDaS13_S14_SK_SP_EUlS13_E_NS1_11comp_targetILNS1_3genE3ELNS1_11target_archE908ELNS1_3gpuE7ELNS1_3repE0EEENS1_47radix_sort_onesweep_sort_config_static_selectorELNS0_4arch9wavefront6targetE1EEEvSK_,comdat
.Lfunc_end600:
	.size	_ZN7rocprim17ROCPRIM_400000_NS6detail17trampoline_kernelINS0_14default_configENS1_35radix_sort_onesweep_config_selectorIfNS0_10empty_typeEEEZZNS1_29radix_sort_onesweep_iterationIS3_Lb0EN6thrust23THRUST_200600_302600_NS6detail15normal_iteratorINS9_10device_ptrIfEEEESE_PS5_SF_jNS0_19identity_decomposerENS1_16block_id_wrapperIjLb0EEEEE10hipError_tT1_PNSt15iterator_traitsISK_E10value_typeET2_T3_PNSL_ISQ_E10value_typeET4_T5_PSV_SW_PNS1_23onesweep_lookback_stateEbbT6_jjT7_P12ihipStream_tbENKUlT_T0_SK_SP_E_clISE_PfSF_SF_EEDaS13_S14_SK_SP_EUlS13_E_NS1_11comp_targetILNS1_3genE3ELNS1_11target_archE908ELNS1_3gpuE7ELNS1_3repE0EEENS1_47radix_sort_onesweep_sort_config_static_selectorELNS0_4arch9wavefront6targetE1EEEvSK_, .Lfunc_end600-_ZN7rocprim17ROCPRIM_400000_NS6detail17trampoline_kernelINS0_14default_configENS1_35radix_sort_onesweep_config_selectorIfNS0_10empty_typeEEEZZNS1_29radix_sort_onesweep_iterationIS3_Lb0EN6thrust23THRUST_200600_302600_NS6detail15normal_iteratorINS9_10device_ptrIfEEEESE_PS5_SF_jNS0_19identity_decomposerENS1_16block_id_wrapperIjLb0EEEEE10hipError_tT1_PNSt15iterator_traitsISK_E10value_typeET2_T3_PNSL_ISQ_E10value_typeET4_T5_PSV_SW_PNS1_23onesweep_lookback_stateEbbT6_jjT7_P12ihipStream_tbENKUlT_T0_SK_SP_E_clISE_PfSF_SF_EEDaS13_S14_SK_SP_EUlS13_E_NS1_11comp_targetILNS1_3genE3ELNS1_11target_archE908ELNS1_3gpuE7ELNS1_3repE0EEENS1_47radix_sort_onesweep_sort_config_static_selectorELNS0_4arch9wavefront6targetE1EEEvSK_
                                        ; -- End function
	.set _ZN7rocprim17ROCPRIM_400000_NS6detail17trampoline_kernelINS0_14default_configENS1_35radix_sort_onesweep_config_selectorIfNS0_10empty_typeEEEZZNS1_29radix_sort_onesweep_iterationIS3_Lb0EN6thrust23THRUST_200600_302600_NS6detail15normal_iteratorINS9_10device_ptrIfEEEESE_PS5_SF_jNS0_19identity_decomposerENS1_16block_id_wrapperIjLb0EEEEE10hipError_tT1_PNSt15iterator_traitsISK_E10value_typeET2_T3_PNSL_ISQ_E10value_typeET4_T5_PSV_SW_PNS1_23onesweep_lookback_stateEbbT6_jjT7_P12ihipStream_tbENKUlT_T0_SK_SP_E_clISE_PfSF_SF_EEDaS13_S14_SK_SP_EUlS13_E_NS1_11comp_targetILNS1_3genE3ELNS1_11target_archE908ELNS1_3gpuE7ELNS1_3repE0EEENS1_47radix_sort_onesweep_sort_config_static_selectorELNS0_4arch9wavefront6targetE1EEEvSK_.num_vgpr, 0
	.set _ZN7rocprim17ROCPRIM_400000_NS6detail17trampoline_kernelINS0_14default_configENS1_35radix_sort_onesweep_config_selectorIfNS0_10empty_typeEEEZZNS1_29radix_sort_onesweep_iterationIS3_Lb0EN6thrust23THRUST_200600_302600_NS6detail15normal_iteratorINS9_10device_ptrIfEEEESE_PS5_SF_jNS0_19identity_decomposerENS1_16block_id_wrapperIjLb0EEEEE10hipError_tT1_PNSt15iterator_traitsISK_E10value_typeET2_T3_PNSL_ISQ_E10value_typeET4_T5_PSV_SW_PNS1_23onesweep_lookback_stateEbbT6_jjT7_P12ihipStream_tbENKUlT_T0_SK_SP_E_clISE_PfSF_SF_EEDaS13_S14_SK_SP_EUlS13_E_NS1_11comp_targetILNS1_3genE3ELNS1_11target_archE908ELNS1_3gpuE7ELNS1_3repE0EEENS1_47radix_sort_onesweep_sort_config_static_selectorELNS0_4arch9wavefront6targetE1EEEvSK_.num_agpr, 0
	.set _ZN7rocprim17ROCPRIM_400000_NS6detail17trampoline_kernelINS0_14default_configENS1_35radix_sort_onesweep_config_selectorIfNS0_10empty_typeEEEZZNS1_29radix_sort_onesweep_iterationIS3_Lb0EN6thrust23THRUST_200600_302600_NS6detail15normal_iteratorINS9_10device_ptrIfEEEESE_PS5_SF_jNS0_19identity_decomposerENS1_16block_id_wrapperIjLb0EEEEE10hipError_tT1_PNSt15iterator_traitsISK_E10value_typeET2_T3_PNSL_ISQ_E10value_typeET4_T5_PSV_SW_PNS1_23onesweep_lookback_stateEbbT6_jjT7_P12ihipStream_tbENKUlT_T0_SK_SP_E_clISE_PfSF_SF_EEDaS13_S14_SK_SP_EUlS13_E_NS1_11comp_targetILNS1_3genE3ELNS1_11target_archE908ELNS1_3gpuE7ELNS1_3repE0EEENS1_47radix_sort_onesweep_sort_config_static_selectorELNS0_4arch9wavefront6targetE1EEEvSK_.numbered_sgpr, 0
	.set _ZN7rocprim17ROCPRIM_400000_NS6detail17trampoline_kernelINS0_14default_configENS1_35radix_sort_onesweep_config_selectorIfNS0_10empty_typeEEEZZNS1_29radix_sort_onesweep_iterationIS3_Lb0EN6thrust23THRUST_200600_302600_NS6detail15normal_iteratorINS9_10device_ptrIfEEEESE_PS5_SF_jNS0_19identity_decomposerENS1_16block_id_wrapperIjLb0EEEEE10hipError_tT1_PNSt15iterator_traitsISK_E10value_typeET2_T3_PNSL_ISQ_E10value_typeET4_T5_PSV_SW_PNS1_23onesweep_lookback_stateEbbT6_jjT7_P12ihipStream_tbENKUlT_T0_SK_SP_E_clISE_PfSF_SF_EEDaS13_S14_SK_SP_EUlS13_E_NS1_11comp_targetILNS1_3genE3ELNS1_11target_archE908ELNS1_3gpuE7ELNS1_3repE0EEENS1_47radix_sort_onesweep_sort_config_static_selectorELNS0_4arch9wavefront6targetE1EEEvSK_.num_named_barrier, 0
	.set _ZN7rocprim17ROCPRIM_400000_NS6detail17trampoline_kernelINS0_14default_configENS1_35radix_sort_onesweep_config_selectorIfNS0_10empty_typeEEEZZNS1_29radix_sort_onesweep_iterationIS3_Lb0EN6thrust23THRUST_200600_302600_NS6detail15normal_iteratorINS9_10device_ptrIfEEEESE_PS5_SF_jNS0_19identity_decomposerENS1_16block_id_wrapperIjLb0EEEEE10hipError_tT1_PNSt15iterator_traitsISK_E10value_typeET2_T3_PNSL_ISQ_E10value_typeET4_T5_PSV_SW_PNS1_23onesweep_lookback_stateEbbT6_jjT7_P12ihipStream_tbENKUlT_T0_SK_SP_E_clISE_PfSF_SF_EEDaS13_S14_SK_SP_EUlS13_E_NS1_11comp_targetILNS1_3genE3ELNS1_11target_archE908ELNS1_3gpuE7ELNS1_3repE0EEENS1_47radix_sort_onesweep_sort_config_static_selectorELNS0_4arch9wavefront6targetE1EEEvSK_.private_seg_size, 0
	.set _ZN7rocprim17ROCPRIM_400000_NS6detail17trampoline_kernelINS0_14default_configENS1_35radix_sort_onesweep_config_selectorIfNS0_10empty_typeEEEZZNS1_29radix_sort_onesweep_iterationIS3_Lb0EN6thrust23THRUST_200600_302600_NS6detail15normal_iteratorINS9_10device_ptrIfEEEESE_PS5_SF_jNS0_19identity_decomposerENS1_16block_id_wrapperIjLb0EEEEE10hipError_tT1_PNSt15iterator_traitsISK_E10value_typeET2_T3_PNSL_ISQ_E10value_typeET4_T5_PSV_SW_PNS1_23onesweep_lookback_stateEbbT6_jjT7_P12ihipStream_tbENKUlT_T0_SK_SP_E_clISE_PfSF_SF_EEDaS13_S14_SK_SP_EUlS13_E_NS1_11comp_targetILNS1_3genE3ELNS1_11target_archE908ELNS1_3gpuE7ELNS1_3repE0EEENS1_47radix_sort_onesweep_sort_config_static_selectorELNS0_4arch9wavefront6targetE1EEEvSK_.uses_vcc, 0
	.set _ZN7rocprim17ROCPRIM_400000_NS6detail17trampoline_kernelINS0_14default_configENS1_35radix_sort_onesweep_config_selectorIfNS0_10empty_typeEEEZZNS1_29radix_sort_onesweep_iterationIS3_Lb0EN6thrust23THRUST_200600_302600_NS6detail15normal_iteratorINS9_10device_ptrIfEEEESE_PS5_SF_jNS0_19identity_decomposerENS1_16block_id_wrapperIjLb0EEEEE10hipError_tT1_PNSt15iterator_traitsISK_E10value_typeET2_T3_PNSL_ISQ_E10value_typeET4_T5_PSV_SW_PNS1_23onesweep_lookback_stateEbbT6_jjT7_P12ihipStream_tbENKUlT_T0_SK_SP_E_clISE_PfSF_SF_EEDaS13_S14_SK_SP_EUlS13_E_NS1_11comp_targetILNS1_3genE3ELNS1_11target_archE908ELNS1_3gpuE7ELNS1_3repE0EEENS1_47radix_sort_onesweep_sort_config_static_selectorELNS0_4arch9wavefront6targetE1EEEvSK_.uses_flat_scratch, 0
	.set _ZN7rocprim17ROCPRIM_400000_NS6detail17trampoline_kernelINS0_14default_configENS1_35radix_sort_onesweep_config_selectorIfNS0_10empty_typeEEEZZNS1_29radix_sort_onesweep_iterationIS3_Lb0EN6thrust23THRUST_200600_302600_NS6detail15normal_iteratorINS9_10device_ptrIfEEEESE_PS5_SF_jNS0_19identity_decomposerENS1_16block_id_wrapperIjLb0EEEEE10hipError_tT1_PNSt15iterator_traitsISK_E10value_typeET2_T3_PNSL_ISQ_E10value_typeET4_T5_PSV_SW_PNS1_23onesweep_lookback_stateEbbT6_jjT7_P12ihipStream_tbENKUlT_T0_SK_SP_E_clISE_PfSF_SF_EEDaS13_S14_SK_SP_EUlS13_E_NS1_11comp_targetILNS1_3genE3ELNS1_11target_archE908ELNS1_3gpuE7ELNS1_3repE0EEENS1_47radix_sort_onesweep_sort_config_static_selectorELNS0_4arch9wavefront6targetE1EEEvSK_.has_dyn_sized_stack, 0
	.set _ZN7rocprim17ROCPRIM_400000_NS6detail17trampoline_kernelINS0_14default_configENS1_35radix_sort_onesweep_config_selectorIfNS0_10empty_typeEEEZZNS1_29radix_sort_onesweep_iterationIS3_Lb0EN6thrust23THRUST_200600_302600_NS6detail15normal_iteratorINS9_10device_ptrIfEEEESE_PS5_SF_jNS0_19identity_decomposerENS1_16block_id_wrapperIjLb0EEEEE10hipError_tT1_PNSt15iterator_traitsISK_E10value_typeET2_T3_PNSL_ISQ_E10value_typeET4_T5_PSV_SW_PNS1_23onesweep_lookback_stateEbbT6_jjT7_P12ihipStream_tbENKUlT_T0_SK_SP_E_clISE_PfSF_SF_EEDaS13_S14_SK_SP_EUlS13_E_NS1_11comp_targetILNS1_3genE3ELNS1_11target_archE908ELNS1_3gpuE7ELNS1_3repE0EEENS1_47radix_sort_onesweep_sort_config_static_selectorELNS0_4arch9wavefront6targetE1EEEvSK_.has_recursion, 0
	.set _ZN7rocprim17ROCPRIM_400000_NS6detail17trampoline_kernelINS0_14default_configENS1_35radix_sort_onesweep_config_selectorIfNS0_10empty_typeEEEZZNS1_29radix_sort_onesweep_iterationIS3_Lb0EN6thrust23THRUST_200600_302600_NS6detail15normal_iteratorINS9_10device_ptrIfEEEESE_PS5_SF_jNS0_19identity_decomposerENS1_16block_id_wrapperIjLb0EEEEE10hipError_tT1_PNSt15iterator_traitsISK_E10value_typeET2_T3_PNSL_ISQ_E10value_typeET4_T5_PSV_SW_PNS1_23onesweep_lookback_stateEbbT6_jjT7_P12ihipStream_tbENKUlT_T0_SK_SP_E_clISE_PfSF_SF_EEDaS13_S14_SK_SP_EUlS13_E_NS1_11comp_targetILNS1_3genE3ELNS1_11target_archE908ELNS1_3gpuE7ELNS1_3repE0EEENS1_47radix_sort_onesweep_sort_config_static_selectorELNS0_4arch9wavefront6targetE1EEEvSK_.has_indirect_call, 0
	.section	.AMDGPU.csdata,"",@progbits
; Kernel info:
; codeLenInByte = 0
; TotalNumSgprs: 6
; NumVgprs: 0
; NumAgprs: 0
; TotalNumVgprs: 0
; ScratchSize: 0
; MemoryBound: 0
; FloatMode: 240
; IeeeMode: 1
; LDSByteSize: 0 bytes/workgroup (compile time only)
; SGPRBlocks: 0
; VGPRBlocks: 0
; NumSGPRsForWavesPerEU: 6
; NumVGPRsForWavesPerEU: 1
; AccumOffset: 4
; Occupancy: 8
; WaveLimiterHint : 0
; COMPUTE_PGM_RSRC2:SCRATCH_EN: 0
; COMPUTE_PGM_RSRC2:USER_SGPR: 2
; COMPUTE_PGM_RSRC2:TRAP_HANDLER: 0
; COMPUTE_PGM_RSRC2:TGID_X_EN: 1
; COMPUTE_PGM_RSRC2:TGID_Y_EN: 0
; COMPUTE_PGM_RSRC2:TGID_Z_EN: 0
; COMPUTE_PGM_RSRC2:TIDIG_COMP_CNT: 0
; COMPUTE_PGM_RSRC3_GFX90A:ACCUM_OFFSET: 0
; COMPUTE_PGM_RSRC3_GFX90A:TG_SPLIT: 0
	.section	.text._ZN7rocprim17ROCPRIM_400000_NS6detail17trampoline_kernelINS0_14default_configENS1_35radix_sort_onesweep_config_selectorIfNS0_10empty_typeEEEZZNS1_29radix_sort_onesweep_iterationIS3_Lb0EN6thrust23THRUST_200600_302600_NS6detail15normal_iteratorINS9_10device_ptrIfEEEESE_PS5_SF_jNS0_19identity_decomposerENS1_16block_id_wrapperIjLb0EEEEE10hipError_tT1_PNSt15iterator_traitsISK_E10value_typeET2_T3_PNSL_ISQ_E10value_typeET4_T5_PSV_SW_PNS1_23onesweep_lookback_stateEbbT6_jjT7_P12ihipStream_tbENKUlT_T0_SK_SP_E_clISE_PfSF_SF_EEDaS13_S14_SK_SP_EUlS13_E_NS1_11comp_targetILNS1_3genE10ELNS1_11target_archE1201ELNS1_3gpuE5ELNS1_3repE0EEENS1_47radix_sort_onesweep_sort_config_static_selectorELNS0_4arch9wavefront6targetE1EEEvSK_,"axG",@progbits,_ZN7rocprim17ROCPRIM_400000_NS6detail17trampoline_kernelINS0_14default_configENS1_35radix_sort_onesweep_config_selectorIfNS0_10empty_typeEEEZZNS1_29radix_sort_onesweep_iterationIS3_Lb0EN6thrust23THRUST_200600_302600_NS6detail15normal_iteratorINS9_10device_ptrIfEEEESE_PS5_SF_jNS0_19identity_decomposerENS1_16block_id_wrapperIjLb0EEEEE10hipError_tT1_PNSt15iterator_traitsISK_E10value_typeET2_T3_PNSL_ISQ_E10value_typeET4_T5_PSV_SW_PNS1_23onesweep_lookback_stateEbbT6_jjT7_P12ihipStream_tbENKUlT_T0_SK_SP_E_clISE_PfSF_SF_EEDaS13_S14_SK_SP_EUlS13_E_NS1_11comp_targetILNS1_3genE10ELNS1_11target_archE1201ELNS1_3gpuE5ELNS1_3repE0EEENS1_47radix_sort_onesweep_sort_config_static_selectorELNS0_4arch9wavefront6targetE1EEEvSK_,comdat
	.protected	_ZN7rocprim17ROCPRIM_400000_NS6detail17trampoline_kernelINS0_14default_configENS1_35radix_sort_onesweep_config_selectorIfNS0_10empty_typeEEEZZNS1_29radix_sort_onesweep_iterationIS3_Lb0EN6thrust23THRUST_200600_302600_NS6detail15normal_iteratorINS9_10device_ptrIfEEEESE_PS5_SF_jNS0_19identity_decomposerENS1_16block_id_wrapperIjLb0EEEEE10hipError_tT1_PNSt15iterator_traitsISK_E10value_typeET2_T3_PNSL_ISQ_E10value_typeET4_T5_PSV_SW_PNS1_23onesweep_lookback_stateEbbT6_jjT7_P12ihipStream_tbENKUlT_T0_SK_SP_E_clISE_PfSF_SF_EEDaS13_S14_SK_SP_EUlS13_E_NS1_11comp_targetILNS1_3genE10ELNS1_11target_archE1201ELNS1_3gpuE5ELNS1_3repE0EEENS1_47radix_sort_onesweep_sort_config_static_selectorELNS0_4arch9wavefront6targetE1EEEvSK_ ; -- Begin function _ZN7rocprim17ROCPRIM_400000_NS6detail17trampoline_kernelINS0_14default_configENS1_35radix_sort_onesweep_config_selectorIfNS0_10empty_typeEEEZZNS1_29radix_sort_onesweep_iterationIS3_Lb0EN6thrust23THRUST_200600_302600_NS6detail15normal_iteratorINS9_10device_ptrIfEEEESE_PS5_SF_jNS0_19identity_decomposerENS1_16block_id_wrapperIjLb0EEEEE10hipError_tT1_PNSt15iterator_traitsISK_E10value_typeET2_T3_PNSL_ISQ_E10value_typeET4_T5_PSV_SW_PNS1_23onesweep_lookback_stateEbbT6_jjT7_P12ihipStream_tbENKUlT_T0_SK_SP_E_clISE_PfSF_SF_EEDaS13_S14_SK_SP_EUlS13_E_NS1_11comp_targetILNS1_3genE10ELNS1_11target_archE1201ELNS1_3gpuE5ELNS1_3repE0EEENS1_47radix_sort_onesweep_sort_config_static_selectorELNS0_4arch9wavefront6targetE1EEEvSK_
	.globl	_ZN7rocprim17ROCPRIM_400000_NS6detail17trampoline_kernelINS0_14default_configENS1_35radix_sort_onesweep_config_selectorIfNS0_10empty_typeEEEZZNS1_29radix_sort_onesweep_iterationIS3_Lb0EN6thrust23THRUST_200600_302600_NS6detail15normal_iteratorINS9_10device_ptrIfEEEESE_PS5_SF_jNS0_19identity_decomposerENS1_16block_id_wrapperIjLb0EEEEE10hipError_tT1_PNSt15iterator_traitsISK_E10value_typeET2_T3_PNSL_ISQ_E10value_typeET4_T5_PSV_SW_PNS1_23onesweep_lookback_stateEbbT6_jjT7_P12ihipStream_tbENKUlT_T0_SK_SP_E_clISE_PfSF_SF_EEDaS13_S14_SK_SP_EUlS13_E_NS1_11comp_targetILNS1_3genE10ELNS1_11target_archE1201ELNS1_3gpuE5ELNS1_3repE0EEENS1_47radix_sort_onesweep_sort_config_static_selectorELNS0_4arch9wavefront6targetE1EEEvSK_
	.p2align	8
	.type	_ZN7rocprim17ROCPRIM_400000_NS6detail17trampoline_kernelINS0_14default_configENS1_35radix_sort_onesweep_config_selectorIfNS0_10empty_typeEEEZZNS1_29radix_sort_onesweep_iterationIS3_Lb0EN6thrust23THRUST_200600_302600_NS6detail15normal_iteratorINS9_10device_ptrIfEEEESE_PS5_SF_jNS0_19identity_decomposerENS1_16block_id_wrapperIjLb0EEEEE10hipError_tT1_PNSt15iterator_traitsISK_E10value_typeET2_T3_PNSL_ISQ_E10value_typeET4_T5_PSV_SW_PNS1_23onesweep_lookback_stateEbbT6_jjT7_P12ihipStream_tbENKUlT_T0_SK_SP_E_clISE_PfSF_SF_EEDaS13_S14_SK_SP_EUlS13_E_NS1_11comp_targetILNS1_3genE10ELNS1_11target_archE1201ELNS1_3gpuE5ELNS1_3repE0EEENS1_47radix_sort_onesweep_sort_config_static_selectorELNS0_4arch9wavefront6targetE1EEEvSK_,@function
_ZN7rocprim17ROCPRIM_400000_NS6detail17trampoline_kernelINS0_14default_configENS1_35radix_sort_onesweep_config_selectorIfNS0_10empty_typeEEEZZNS1_29radix_sort_onesweep_iterationIS3_Lb0EN6thrust23THRUST_200600_302600_NS6detail15normal_iteratorINS9_10device_ptrIfEEEESE_PS5_SF_jNS0_19identity_decomposerENS1_16block_id_wrapperIjLb0EEEEE10hipError_tT1_PNSt15iterator_traitsISK_E10value_typeET2_T3_PNSL_ISQ_E10value_typeET4_T5_PSV_SW_PNS1_23onesweep_lookback_stateEbbT6_jjT7_P12ihipStream_tbENKUlT_T0_SK_SP_E_clISE_PfSF_SF_EEDaS13_S14_SK_SP_EUlS13_E_NS1_11comp_targetILNS1_3genE10ELNS1_11target_archE1201ELNS1_3gpuE5ELNS1_3repE0EEENS1_47radix_sort_onesweep_sort_config_static_selectorELNS0_4arch9wavefront6targetE1EEEvSK_: ; @_ZN7rocprim17ROCPRIM_400000_NS6detail17trampoline_kernelINS0_14default_configENS1_35radix_sort_onesweep_config_selectorIfNS0_10empty_typeEEEZZNS1_29radix_sort_onesweep_iterationIS3_Lb0EN6thrust23THRUST_200600_302600_NS6detail15normal_iteratorINS9_10device_ptrIfEEEESE_PS5_SF_jNS0_19identity_decomposerENS1_16block_id_wrapperIjLb0EEEEE10hipError_tT1_PNSt15iterator_traitsISK_E10value_typeET2_T3_PNSL_ISQ_E10value_typeET4_T5_PSV_SW_PNS1_23onesweep_lookback_stateEbbT6_jjT7_P12ihipStream_tbENKUlT_T0_SK_SP_E_clISE_PfSF_SF_EEDaS13_S14_SK_SP_EUlS13_E_NS1_11comp_targetILNS1_3genE10ELNS1_11target_archE1201ELNS1_3gpuE5ELNS1_3repE0EEENS1_47radix_sort_onesweep_sort_config_static_selectorELNS0_4arch9wavefront6targetE1EEEvSK_
; %bb.0:
	.section	.rodata,"a",@progbits
	.p2align	6, 0x0
	.amdhsa_kernel _ZN7rocprim17ROCPRIM_400000_NS6detail17trampoline_kernelINS0_14default_configENS1_35radix_sort_onesweep_config_selectorIfNS0_10empty_typeEEEZZNS1_29radix_sort_onesweep_iterationIS3_Lb0EN6thrust23THRUST_200600_302600_NS6detail15normal_iteratorINS9_10device_ptrIfEEEESE_PS5_SF_jNS0_19identity_decomposerENS1_16block_id_wrapperIjLb0EEEEE10hipError_tT1_PNSt15iterator_traitsISK_E10value_typeET2_T3_PNSL_ISQ_E10value_typeET4_T5_PSV_SW_PNS1_23onesweep_lookback_stateEbbT6_jjT7_P12ihipStream_tbENKUlT_T0_SK_SP_E_clISE_PfSF_SF_EEDaS13_S14_SK_SP_EUlS13_E_NS1_11comp_targetILNS1_3genE10ELNS1_11target_archE1201ELNS1_3gpuE5ELNS1_3repE0EEENS1_47radix_sort_onesweep_sort_config_static_selectorELNS0_4arch9wavefront6targetE1EEEvSK_
		.amdhsa_group_segment_fixed_size 0
		.amdhsa_private_segment_fixed_size 0
		.amdhsa_kernarg_size 88
		.amdhsa_user_sgpr_count 2
		.amdhsa_user_sgpr_dispatch_ptr 0
		.amdhsa_user_sgpr_queue_ptr 0
		.amdhsa_user_sgpr_kernarg_segment_ptr 1
		.amdhsa_user_sgpr_dispatch_id 0
		.amdhsa_user_sgpr_kernarg_preload_length 0
		.amdhsa_user_sgpr_kernarg_preload_offset 0
		.amdhsa_user_sgpr_private_segment_size 0
		.amdhsa_uses_dynamic_stack 0
		.amdhsa_enable_private_segment 0
		.amdhsa_system_sgpr_workgroup_id_x 1
		.amdhsa_system_sgpr_workgroup_id_y 0
		.amdhsa_system_sgpr_workgroup_id_z 0
		.amdhsa_system_sgpr_workgroup_info 0
		.amdhsa_system_vgpr_workitem_id 0
		.amdhsa_next_free_vgpr 1
		.amdhsa_next_free_sgpr 0
		.amdhsa_accum_offset 4
		.amdhsa_reserve_vcc 0
		.amdhsa_float_round_mode_32 0
		.amdhsa_float_round_mode_16_64 0
		.amdhsa_float_denorm_mode_32 3
		.amdhsa_float_denorm_mode_16_64 3
		.amdhsa_dx10_clamp 1
		.amdhsa_ieee_mode 1
		.amdhsa_fp16_overflow 0
		.amdhsa_tg_split 0
		.amdhsa_exception_fp_ieee_invalid_op 0
		.amdhsa_exception_fp_denorm_src 0
		.amdhsa_exception_fp_ieee_div_zero 0
		.amdhsa_exception_fp_ieee_overflow 0
		.amdhsa_exception_fp_ieee_underflow 0
		.amdhsa_exception_fp_ieee_inexact 0
		.amdhsa_exception_int_div_zero 0
	.end_amdhsa_kernel
	.section	.text._ZN7rocprim17ROCPRIM_400000_NS6detail17trampoline_kernelINS0_14default_configENS1_35radix_sort_onesweep_config_selectorIfNS0_10empty_typeEEEZZNS1_29radix_sort_onesweep_iterationIS3_Lb0EN6thrust23THRUST_200600_302600_NS6detail15normal_iteratorINS9_10device_ptrIfEEEESE_PS5_SF_jNS0_19identity_decomposerENS1_16block_id_wrapperIjLb0EEEEE10hipError_tT1_PNSt15iterator_traitsISK_E10value_typeET2_T3_PNSL_ISQ_E10value_typeET4_T5_PSV_SW_PNS1_23onesweep_lookback_stateEbbT6_jjT7_P12ihipStream_tbENKUlT_T0_SK_SP_E_clISE_PfSF_SF_EEDaS13_S14_SK_SP_EUlS13_E_NS1_11comp_targetILNS1_3genE10ELNS1_11target_archE1201ELNS1_3gpuE5ELNS1_3repE0EEENS1_47radix_sort_onesweep_sort_config_static_selectorELNS0_4arch9wavefront6targetE1EEEvSK_,"axG",@progbits,_ZN7rocprim17ROCPRIM_400000_NS6detail17trampoline_kernelINS0_14default_configENS1_35radix_sort_onesweep_config_selectorIfNS0_10empty_typeEEEZZNS1_29radix_sort_onesweep_iterationIS3_Lb0EN6thrust23THRUST_200600_302600_NS6detail15normal_iteratorINS9_10device_ptrIfEEEESE_PS5_SF_jNS0_19identity_decomposerENS1_16block_id_wrapperIjLb0EEEEE10hipError_tT1_PNSt15iterator_traitsISK_E10value_typeET2_T3_PNSL_ISQ_E10value_typeET4_T5_PSV_SW_PNS1_23onesweep_lookback_stateEbbT6_jjT7_P12ihipStream_tbENKUlT_T0_SK_SP_E_clISE_PfSF_SF_EEDaS13_S14_SK_SP_EUlS13_E_NS1_11comp_targetILNS1_3genE10ELNS1_11target_archE1201ELNS1_3gpuE5ELNS1_3repE0EEENS1_47radix_sort_onesweep_sort_config_static_selectorELNS0_4arch9wavefront6targetE1EEEvSK_,comdat
.Lfunc_end601:
	.size	_ZN7rocprim17ROCPRIM_400000_NS6detail17trampoline_kernelINS0_14default_configENS1_35radix_sort_onesweep_config_selectorIfNS0_10empty_typeEEEZZNS1_29radix_sort_onesweep_iterationIS3_Lb0EN6thrust23THRUST_200600_302600_NS6detail15normal_iteratorINS9_10device_ptrIfEEEESE_PS5_SF_jNS0_19identity_decomposerENS1_16block_id_wrapperIjLb0EEEEE10hipError_tT1_PNSt15iterator_traitsISK_E10value_typeET2_T3_PNSL_ISQ_E10value_typeET4_T5_PSV_SW_PNS1_23onesweep_lookback_stateEbbT6_jjT7_P12ihipStream_tbENKUlT_T0_SK_SP_E_clISE_PfSF_SF_EEDaS13_S14_SK_SP_EUlS13_E_NS1_11comp_targetILNS1_3genE10ELNS1_11target_archE1201ELNS1_3gpuE5ELNS1_3repE0EEENS1_47radix_sort_onesweep_sort_config_static_selectorELNS0_4arch9wavefront6targetE1EEEvSK_, .Lfunc_end601-_ZN7rocprim17ROCPRIM_400000_NS6detail17trampoline_kernelINS0_14default_configENS1_35radix_sort_onesweep_config_selectorIfNS0_10empty_typeEEEZZNS1_29radix_sort_onesweep_iterationIS3_Lb0EN6thrust23THRUST_200600_302600_NS6detail15normal_iteratorINS9_10device_ptrIfEEEESE_PS5_SF_jNS0_19identity_decomposerENS1_16block_id_wrapperIjLb0EEEEE10hipError_tT1_PNSt15iterator_traitsISK_E10value_typeET2_T3_PNSL_ISQ_E10value_typeET4_T5_PSV_SW_PNS1_23onesweep_lookback_stateEbbT6_jjT7_P12ihipStream_tbENKUlT_T0_SK_SP_E_clISE_PfSF_SF_EEDaS13_S14_SK_SP_EUlS13_E_NS1_11comp_targetILNS1_3genE10ELNS1_11target_archE1201ELNS1_3gpuE5ELNS1_3repE0EEENS1_47radix_sort_onesweep_sort_config_static_selectorELNS0_4arch9wavefront6targetE1EEEvSK_
                                        ; -- End function
	.set _ZN7rocprim17ROCPRIM_400000_NS6detail17trampoline_kernelINS0_14default_configENS1_35radix_sort_onesweep_config_selectorIfNS0_10empty_typeEEEZZNS1_29radix_sort_onesweep_iterationIS3_Lb0EN6thrust23THRUST_200600_302600_NS6detail15normal_iteratorINS9_10device_ptrIfEEEESE_PS5_SF_jNS0_19identity_decomposerENS1_16block_id_wrapperIjLb0EEEEE10hipError_tT1_PNSt15iterator_traitsISK_E10value_typeET2_T3_PNSL_ISQ_E10value_typeET4_T5_PSV_SW_PNS1_23onesweep_lookback_stateEbbT6_jjT7_P12ihipStream_tbENKUlT_T0_SK_SP_E_clISE_PfSF_SF_EEDaS13_S14_SK_SP_EUlS13_E_NS1_11comp_targetILNS1_3genE10ELNS1_11target_archE1201ELNS1_3gpuE5ELNS1_3repE0EEENS1_47radix_sort_onesweep_sort_config_static_selectorELNS0_4arch9wavefront6targetE1EEEvSK_.num_vgpr, 0
	.set _ZN7rocprim17ROCPRIM_400000_NS6detail17trampoline_kernelINS0_14default_configENS1_35radix_sort_onesweep_config_selectorIfNS0_10empty_typeEEEZZNS1_29radix_sort_onesweep_iterationIS3_Lb0EN6thrust23THRUST_200600_302600_NS6detail15normal_iteratorINS9_10device_ptrIfEEEESE_PS5_SF_jNS0_19identity_decomposerENS1_16block_id_wrapperIjLb0EEEEE10hipError_tT1_PNSt15iterator_traitsISK_E10value_typeET2_T3_PNSL_ISQ_E10value_typeET4_T5_PSV_SW_PNS1_23onesweep_lookback_stateEbbT6_jjT7_P12ihipStream_tbENKUlT_T0_SK_SP_E_clISE_PfSF_SF_EEDaS13_S14_SK_SP_EUlS13_E_NS1_11comp_targetILNS1_3genE10ELNS1_11target_archE1201ELNS1_3gpuE5ELNS1_3repE0EEENS1_47radix_sort_onesweep_sort_config_static_selectorELNS0_4arch9wavefront6targetE1EEEvSK_.num_agpr, 0
	.set _ZN7rocprim17ROCPRIM_400000_NS6detail17trampoline_kernelINS0_14default_configENS1_35radix_sort_onesweep_config_selectorIfNS0_10empty_typeEEEZZNS1_29radix_sort_onesweep_iterationIS3_Lb0EN6thrust23THRUST_200600_302600_NS6detail15normal_iteratorINS9_10device_ptrIfEEEESE_PS5_SF_jNS0_19identity_decomposerENS1_16block_id_wrapperIjLb0EEEEE10hipError_tT1_PNSt15iterator_traitsISK_E10value_typeET2_T3_PNSL_ISQ_E10value_typeET4_T5_PSV_SW_PNS1_23onesweep_lookback_stateEbbT6_jjT7_P12ihipStream_tbENKUlT_T0_SK_SP_E_clISE_PfSF_SF_EEDaS13_S14_SK_SP_EUlS13_E_NS1_11comp_targetILNS1_3genE10ELNS1_11target_archE1201ELNS1_3gpuE5ELNS1_3repE0EEENS1_47radix_sort_onesweep_sort_config_static_selectorELNS0_4arch9wavefront6targetE1EEEvSK_.numbered_sgpr, 0
	.set _ZN7rocprim17ROCPRIM_400000_NS6detail17trampoline_kernelINS0_14default_configENS1_35radix_sort_onesweep_config_selectorIfNS0_10empty_typeEEEZZNS1_29radix_sort_onesweep_iterationIS3_Lb0EN6thrust23THRUST_200600_302600_NS6detail15normal_iteratorINS9_10device_ptrIfEEEESE_PS5_SF_jNS0_19identity_decomposerENS1_16block_id_wrapperIjLb0EEEEE10hipError_tT1_PNSt15iterator_traitsISK_E10value_typeET2_T3_PNSL_ISQ_E10value_typeET4_T5_PSV_SW_PNS1_23onesweep_lookback_stateEbbT6_jjT7_P12ihipStream_tbENKUlT_T0_SK_SP_E_clISE_PfSF_SF_EEDaS13_S14_SK_SP_EUlS13_E_NS1_11comp_targetILNS1_3genE10ELNS1_11target_archE1201ELNS1_3gpuE5ELNS1_3repE0EEENS1_47radix_sort_onesweep_sort_config_static_selectorELNS0_4arch9wavefront6targetE1EEEvSK_.num_named_barrier, 0
	.set _ZN7rocprim17ROCPRIM_400000_NS6detail17trampoline_kernelINS0_14default_configENS1_35radix_sort_onesweep_config_selectorIfNS0_10empty_typeEEEZZNS1_29radix_sort_onesweep_iterationIS3_Lb0EN6thrust23THRUST_200600_302600_NS6detail15normal_iteratorINS9_10device_ptrIfEEEESE_PS5_SF_jNS0_19identity_decomposerENS1_16block_id_wrapperIjLb0EEEEE10hipError_tT1_PNSt15iterator_traitsISK_E10value_typeET2_T3_PNSL_ISQ_E10value_typeET4_T5_PSV_SW_PNS1_23onesweep_lookback_stateEbbT6_jjT7_P12ihipStream_tbENKUlT_T0_SK_SP_E_clISE_PfSF_SF_EEDaS13_S14_SK_SP_EUlS13_E_NS1_11comp_targetILNS1_3genE10ELNS1_11target_archE1201ELNS1_3gpuE5ELNS1_3repE0EEENS1_47radix_sort_onesweep_sort_config_static_selectorELNS0_4arch9wavefront6targetE1EEEvSK_.private_seg_size, 0
	.set _ZN7rocprim17ROCPRIM_400000_NS6detail17trampoline_kernelINS0_14default_configENS1_35radix_sort_onesweep_config_selectorIfNS0_10empty_typeEEEZZNS1_29radix_sort_onesweep_iterationIS3_Lb0EN6thrust23THRUST_200600_302600_NS6detail15normal_iteratorINS9_10device_ptrIfEEEESE_PS5_SF_jNS0_19identity_decomposerENS1_16block_id_wrapperIjLb0EEEEE10hipError_tT1_PNSt15iterator_traitsISK_E10value_typeET2_T3_PNSL_ISQ_E10value_typeET4_T5_PSV_SW_PNS1_23onesweep_lookback_stateEbbT6_jjT7_P12ihipStream_tbENKUlT_T0_SK_SP_E_clISE_PfSF_SF_EEDaS13_S14_SK_SP_EUlS13_E_NS1_11comp_targetILNS1_3genE10ELNS1_11target_archE1201ELNS1_3gpuE5ELNS1_3repE0EEENS1_47radix_sort_onesweep_sort_config_static_selectorELNS0_4arch9wavefront6targetE1EEEvSK_.uses_vcc, 0
	.set _ZN7rocprim17ROCPRIM_400000_NS6detail17trampoline_kernelINS0_14default_configENS1_35radix_sort_onesweep_config_selectorIfNS0_10empty_typeEEEZZNS1_29radix_sort_onesweep_iterationIS3_Lb0EN6thrust23THRUST_200600_302600_NS6detail15normal_iteratorINS9_10device_ptrIfEEEESE_PS5_SF_jNS0_19identity_decomposerENS1_16block_id_wrapperIjLb0EEEEE10hipError_tT1_PNSt15iterator_traitsISK_E10value_typeET2_T3_PNSL_ISQ_E10value_typeET4_T5_PSV_SW_PNS1_23onesweep_lookback_stateEbbT6_jjT7_P12ihipStream_tbENKUlT_T0_SK_SP_E_clISE_PfSF_SF_EEDaS13_S14_SK_SP_EUlS13_E_NS1_11comp_targetILNS1_3genE10ELNS1_11target_archE1201ELNS1_3gpuE5ELNS1_3repE0EEENS1_47radix_sort_onesweep_sort_config_static_selectorELNS0_4arch9wavefront6targetE1EEEvSK_.uses_flat_scratch, 0
	.set _ZN7rocprim17ROCPRIM_400000_NS6detail17trampoline_kernelINS0_14default_configENS1_35radix_sort_onesweep_config_selectorIfNS0_10empty_typeEEEZZNS1_29radix_sort_onesweep_iterationIS3_Lb0EN6thrust23THRUST_200600_302600_NS6detail15normal_iteratorINS9_10device_ptrIfEEEESE_PS5_SF_jNS0_19identity_decomposerENS1_16block_id_wrapperIjLb0EEEEE10hipError_tT1_PNSt15iterator_traitsISK_E10value_typeET2_T3_PNSL_ISQ_E10value_typeET4_T5_PSV_SW_PNS1_23onesweep_lookback_stateEbbT6_jjT7_P12ihipStream_tbENKUlT_T0_SK_SP_E_clISE_PfSF_SF_EEDaS13_S14_SK_SP_EUlS13_E_NS1_11comp_targetILNS1_3genE10ELNS1_11target_archE1201ELNS1_3gpuE5ELNS1_3repE0EEENS1_47radix_sort_onesweep_sort_config_static_selectorELNS0_4arch9wavefront6targetE1EEEvSK_.has_dyn_sized_stack, 0
	.set _ZN7rocprim17ROCPRIM_400000_NS6detail17trampoline_kernelINS0_14default_configENS1_35radix_sort_onesweep_config_selectorIfNS0_10empty_typeEEEZZNS1_29radix_sort_onesweep_iterationIS3_Lb0EN6thrust23THRUST_200600_302600_NS6detail15normal_iteratorINS9_10device_ptrIfEEEESE_PS5_SF_jNS0_19identity_decomposerENS1_16block_id_wrapperIjLb0EEEEE10hipError_tT1_PNSt15iterator_traitsISK_E10value_typeET2_T3_PNSL_ISQ_E10value_typeET4_T5_PSV_SW_PNS1_23onesweep_lookback_stateEbbT6_jjT7_P12ihipStream_tbENKUlT_T0_SK_SP_E_clISE_PfSF_SF_EEDaS13_S14_SK_SP_EUlS13_E_NS1_11comp_targetILNS1_3genE10ELNS1_11target_archE1201ELNS1_3gpuE5ELNS1_3repE0EEENS1_47radix_sort_onesweep_sort_config_static_selectorELNS0_4arch9wavefront6targetE1EEEvSK_.has_recursion, 0
	.set _ZN7rocprim17ROCPRIM_400000_NS6detail17trampoline_kernelINS0_14default_configENS1_35radix_sort_onesweep_config_selectorIfNS0_10empty_typeEEEZZNS1_29radix_sort_onesweep_iterationIS3_Lb0EN6thrust23THRUST_200600_302600_NS6detail15normal_iteratorINS9_10device_ptrIfEEEESE_PS5_SF_jNS0_19identity_decomposerENS1_16block_id_wrapperIjLb0EEEEE10hipError_tT1_PNSt15iterator_traitsISK_E10value_typeET2_T3_PNSL_ISQ_E10value_typeET4_T5_PSV_SW_PNS1_23onesweep_lookback_stateEbbT6_jjT7_P12ihipStream_tbENKUlT_T0_SK_SP_E_clISE_PfSF_SF_EEDaS13_S14_SK_SP_EUlS13_E_NS1_11comp_targetILNS1_3genE10ELNS1_11target_archE1201ELNS1_3gpuE5ELNS1_3repE0EEENS1_47radix_sort_onesweep_sort_config_static_selectorELNS0_4arch9wavefront6targetE1EEEvSK_.has_indirect_call, 0
	.section	.AMDGPU.csdata,"",@progbits
; Kernel info:
; codeLenInByte = 0
; TotalNumSgprs: 6
; NumVgprs: 0
; NumAgprs: 0
; TotalNumVgprs: 0
; ScratchSize: 0
; MemoryBound: 0
; FloatMode: 240
; IeeeMode: 1
; LDSByteSize: 0 bytes/workgroup (compile time only)
; SGPRBlocks: 0
; VGPRBlocks: 0
; NumSGPRsForWavesPerEU: 6
; NumVGPRsForWavesPerEU: 1
; AccumOffset: 4
; Occupancy: 8
; WaveLimiterHint : 0
; COMPUTE_PGM_RSRC2:SCRATCH_EN: 0
; COMPUTE_PGM_RSRC2:USER_SGPR: 2
; COMPUTE_PGM_RSRC2:TRAP_HANDLER: 0
; COMPUTE_PGM_RSRC2:TGID_X_EN: 1
; COMPUTE_PGM_RSRC2:TGID_Y_EN: 0
; COMPUTE_PGM_RSRC2:TGID_Z_EN: 0
; COMPUTE_PGM_RSRC2:TIDIG_COMP_CNT: 0
; COMPUTE_PGM_RSRC3_GFX90A:ACCUM_OFFSET: 0
; COMPUTE_PGM_RSRC3_GFX90A:TG_SPLIT: 0
	.section	.text._ZN7rocprim17ROCPRIM_400000_NS6detail17trampoline_kernelINS0_14default_configENS1_35radix_sort_onesweep_config_selectorIfNS0_10empty_typeEEEZZNS1_29radix_sort_onesweep_iterationIS3_Lb0EN6thrust23THRUST_200600_302600_NS6detail15normal_iteratorINS9_10device_ptrIfEEEESE_PS5_SF_jNS0_19identity_decomposerENS1_16block_id_wrapperIjLb0EEEEE10hipError_tT1_PNSt15iterator_traitsISK_E10value_typeET2_T3_PNSL_ISQ_E10value_typeET4_T5_PSV_SW_PNS1_23onesweep_lookback_stateEbbT6_jjT7_P12ihipStream_tbENKUlT_T0_SK_SP_E_clISE_PfSF_SF_EEDaS13_S14_SK_SP_EUlS13_E_NS1_11comp_targetILNS1_3genE9ELNS1_11target_archE1100ELNS1_3gpuE3ELNS1_3repE0EEENS1_47radix_sort_onesweep_sort_config_static_selectorELNS0_4arch9wavefront6targetE1EEEvSK_,"axG",@progbits,_ZN7rocprim17ROCPRIM_400000_NS6detail17trampoline_kernelINS0_14default_configENS1_35radix_sort_onesweep_config_selectorIfNS0_10empty_typeEEEZZNS1_29radix_sort_onesweep_iterationIS3_Lb0EN6thrust23THRUST_200600_302600_NS6detail15normal_iteratorINS9_10device_ptrIfEEEESE_PS5_SF_jNS0_19identity_decomposerENS1_16block_id_wrapperIjLb0EEEEE10hipError_tT1_PNSt15iterator_traitsISK_E10value_typeET2_T3_PNSL_ISQ_E10value_typeET4_T5_PSV_SW_PNS1_23onesweep_lookback_stateEbbT6_jjT7_P12ihipStream_tbENKUlT_T0_SK_SP_E_clISE_PfSF_SF_EEDaS13_S14_SK_SP_EUlS13_E_NS1_11comp_targetILNS1_3genE9ELNS1_11target_archE1100ELNS1_3gpuE3ELNS1_3repE0EEENS1_47radix_sort_onesweep_sort_config_static_selectorELNS0_4arch9wavefront6targetE1EEEvSK_,comdat
	.protected	_ZN7rocprim17ROCPRIM_400000_NS6detail17trampoline_kernelINS0_14default_configENS1_35radix_sort_onesweep_config_selectorIfNS0_10empty_typeEEEZZNS1_29radix_sort_onesweep_iterationIS3_Lb0EN6thrust23THRUST_200600_302600_NS6detail15normal_iteratorINS9_10device_ptrIfEEEESE_PS5_SF_jNS0_19identity_decomposerENS1_16block_id_wrapperIjLb0EEEEE10hipError_tT1_PNSt15iterator_traitsISK_E10value_typeET2_T3_PNSL_ISQ_E10value_typeET4_T5_PSV_SW_PNS1_23onesweep_lookback_stateEbbT6_jjT7_P12ihipStream_tbENKUlT_T0_SK_SP_E_clISE_PfSF_SF_EEDaS13_S14_SK_SP_EUlS13_E_NS1_11comp_targetILNS1_3genE9ELNS1_11target_archE1100ELNS1_3gpuE3ELNS1_3repE0EEENS1_47radix_sort_onesweep_sort_config_static_selectorELNS0_4arch9wavefront6targetE1EEEvSK_ ; -- Begin function _ZN7rocprim17ROCPRIM_400000_NS6detail17trampoline_kernelINS0_14default_configENS1_35radix_sort_onesweep_config_selectorIfNS0_10empty_typeEEEZZNS1_29radix_sort_onesweep_iterationIS3_Lb0EN6thrust23THRUST_200600_302600_NS6detail15normal_iteratorINS9_10device_ptrIfEEEESE_PS5_SF_jNS0_19identity_decomposerENS1_16block_id_wrapperIjLb0EEEEE10hipError_tT1_PNSt15iterator_traitsISK_E10value_typeET2_T3_PNSL_ISQ_E10value_typeET4_T5_PSV_SW_PNS1_23onesweep_lookback_stateEbbT6_jjT7_P12ihipStream_tbENKUlT_T0_SK_SP_E_clISE_PfSF_SF_EEDaS13_S14_SK_SP_EUlS13_E_NS1_11comp_targetILNS1_3genE9ELNS1_11target_archE1100ELNS1_3gpuE3ELNS1_3repE0EEENS1_47radix_sort_onesweep_sort_config_static_selectorELNS0_4arch9wavefront6targetE1EEEvSK_
	.globl	_ZN7rocprim17ROCPRIM_400000_NS6detail17trampoline_kernelINS0_14default_configENS1_35radix_sort_onesweep_config_selectorIfNS0_10empty_typeEEEZZNS1_29radix_sort_onesweep_iterationIS3_Lb0EN6thrust23THRUST_200600_302600_NS6detail15normal_iteratorINS9_10device_ptrIfEEEESE_PS5_SF_jNS0_19identity_decomposerENS1_16block_id_wrapperIjLb0EEEEE10hipError_tT1_PNSt15iterator_traitsISK_E10value_typeET2_T3_PNSL_ISQ_E10value_typeET4_T5_PSV_SW_PNS1_23onesweep_lookback_stateEbbT6_jjT7_P12ihipStream_tbENKUlT_T0_SK_SP_E_clISE_PfSF_SF_EEDaS13_S14_SK_SP_EUlS13_E_NS1_11comp_targetILNS1_3genE9ELNS1_11target_archE1100ELNS1_3gpuE3ELNS1_3repE0EEENS1_47radix_sort_onesweep_sort_config_static_selectorELNS0_4arch9wavefront6targetE1EEEvSK_
	.p2align	8
	.type	_ZN7rocprim17ROCPRIM_400000_NS6detail17trampoline_kernelINS0_14default_configENS1_35radix_sort_onesweep_config_selectorIfNS0_10empty_typeEEEZZNS1_29radix_sort_onesweep_iterationIS3_Lb0EN6thrust23THRUST_200600_302600_NS6detail15normal_iteratorINS9_10device_ptrIfEEEESE_PS5_SF_jNS0_19identity_decomposerENS1_16block_id_wrapperIjLb0EEEEE10hipError_tT1_PNSt15iterator_traitsISK_E10value_typeET2_T3_PNSL_ISQ_E10value_typeET4_T5_PSV_SW_PNS1_23onesweep_lookback_stateEbbT6_jjT7_P12ihipStream_tbENKUlT_T0_SK_SP_E_clISE_PfSF_SF_EEDaS13_S14_SK_SP_EUlS13_E_NS1_11comp_targetILNS1_3genE9ELNS1_11target_archE1100ELNS1_3gpuE3ELNS1_3repE0EEENS1_47radix_sort_onesweep_sort_config_static_selectorELNS0_4arch9wavefront6targetE1EEEvSK_,@function
_ZN7rocprim17ROCPRIM_400000_NS6detail17trampoline_kernelINS0_14default_configENS1_35radix_sort_onesweep_config_selectorIfNS0_10empty_typeEEEZZNS1_29radix_sort_onesweep_iterationIS3_Lb0EN6thrust23THRUST_200600_302600_NS6detail15normal_iteratorINS9_10device_ptrIfEEEESE_PS5_SF_jNS0_19identity_decomposerENS1_16block_id_wrapperIjLb0EEEEE10hipError_tT1_PNSt15iterator_traitsISK_E10value_typeET2_T3_PNSL_ISQ_E10value_typeET4_T5_PSV_SW_PNS1_23onesweep_lookback_stateEbbT6_jjT7_P12ihipStream_tbENKUlT_T0_SK_SP_E_clISE_PfSF_SF_EEDaS13_S14_SK_SP_EUlS13_E_NS1_11comp_targetILNS1_3genE9ELNS1_11target_archE1100ELNS1_3gpuE3ELNS1_3repE0EEENS1_47radix_sort_onesweep_sort_config_static_selectorELNS0_4arch9wavefront6targetE1EEEvSK_: ; @_ZN7rocprim17ROCPRIM_400000_NS6detail17trampoline_kernelINS0_14default_configENS1_35radix_sort_onesweep_config_selectorIfNS0_10empty_typeEEEZZNS1_29radix_sort_onesweep_iterationIS3_Lb0EN6thrust23THRUST_200600_302600_NS6detail15normal_iteratorINS9_10device_ptrIfEEEESE_PS5_SF_jNS0_19identity_decomposerENS1_16block_id_wrapperIjLb0EEEEE10hipError_tT1_PNSt15iterator_traitsISK_E10value_typeET2_T3_PNSL_ISQ_E10value_typeET4_T5_PSV_SW_PNS1_23onesweep_lookback_stateEbbT6_jjT7_P12ihipStream_tbENKUlT_T0_SK_SP_E_clISE_PfSF_SF_EEDaS13_S14_SK_SP_EUlS13_E_NS1_11comp_targetILNS1_3genE9ELNS1_11target_archE1100ELNS1_3gpuE3ELNS1_3repE0EEENS1_47radix_sort_onesweep_sort_config_static_selectorELNS0_4arch9wavefront6targetE1EEEvSK_
; %bb.0:
	.section	.rodata,"a",@progbits
	.p2align	6, 0x0
	.amdhsa_kernel _ZN7rocprim17ROCPRIM_400000_NS6detail17trampoline_kernelINS0_14default_configENS1_35radix_sort_onesweep_config_selectorIfNS0_10empty_typeEEEZZNS1_29radix_sort_onesweep_iterationIS3_Lb0EN6thrust23THRUST_200600_302600_NS6detail15normal_iteratorINS9_10device_ptrIfEEEESE_PS5_SF_jNS0_19identity_decomposerENS1_16block_id_wrapperIjLb0EEEEE10hipError_tT1_PNSt15iterator_traitsISK_E10value_typeET2_T3_PNSL_ISQ_E10value_typeET4_T5_PSV_SW_PNS1_23onesweep_lookback_stateEbbT6_jjT7_P12ihipStream_tbENKUlT_T0_SK_SP_E_clISE_PfSF_SF_EEDaS13_S14_SK_SP_EUlS13_E_NS1_11comp_targetILNS1_3genE9ELNS1_11target_archE1100ELNS1_3gpuE3ELNS1_3repE0EEENS1_47radix_sort_onesweep_sort_config_static_selectorELNS0_4arch9wavefront6targetE1EEEvSK_
		.amdhsa_group_segment_fixed_size 0
		.amdhsa_private_segment_fixed_size 0
		.amdhsa_kernarg_size 88
		.amdhsa_user_sgpr_count 2
		.amdhsa_user_sgpr_dispatch_ptr 0
		.amdhsa_user_sgpr_queue_ptr 0
		.amdhsa_user_sgpr_kernarg_segment_ptr 1
		.amdhsa_user_sgpr_dispatch_id 0
		.amdhsa_user_sgpr_kernarg_preload_length 0
		.amdhsa_user_sgpr_kernarg_preload_offset 0
		.amdhsa_user_sgpr_private_segment_size 0
		.amdhsa_uses_dynamic_stack 0
		.amdhsa_enable_private_segment 0
		.amdhsa_system_sgpr_workgroup_id_x 1
		.amdhsa_system_sgpr_workgroup_id_y 0
		.amdhsa_system_sgpr_workgroup_id_z 0
		.amdhsa_system_sgpr_workgroup_info 0
		.amdhsa_system_vgpr_workitem_id 0
		.amdhsa_next_free_vgpr 1
		.amdhsa_next_free_sgpr 0
		.amdhsa_accum_offset 4
		.amdhsa_reserve_vcc 0
		.amdhsa_float_round_mode_32 0
		.amdhsa_float_round_mode_16_64 0
		.amdhsa_float_denorm_mode_32 3
		.amdhsa_float_denorm_mode_16_64 3
		.amdhsa_dx10_clamp 1
		.amdhsa_ieee_mode 1
		.amdhsa_fp16_overflow 0
		.amdhsa_tg_split 0
		.amdhsa_exception_fp_ieee_invalid_op 0
		.amdhsa_exception_fp_denorm_src 0
		.amdhsa_exception_fp_ieee_div_zero 0
		.amdhsa_exception_fp_ieee_overflow 0
		.amdhsa_exception_fp_ieee_underflow 0
		.amdhsa_exception_fp_ieee_inexact 0
		.amdhsa_exception_int_div_zero 0
	.end_amdhsa_kernel
	.section	.text._ZN7rocprim17ROCPRIM_400000_NS6detail17trampoline_kernelINS0_14default_configENS1_35radix_sort_onesweep_config_selectorIfNS0_10empty_typeEEEZZNS1_29radix_sort_onesweep_iterationIS3_Lb0EN6thrust23THRUST_200600_302600_NS6detail15normal_iteratorINS9_10device_ptrIfEEEESE_PS5_SF_jNS0_19identity_decomposerENS1_16block_id_wrapperIjLb0EEEEE10hipError_tT1_PNSt15iterator_traitsISK_E10value_typeET2_T3_PNSL_ISQ_E10value_typeET4_T5_PSV_SW_PNS1_23onesweep_lookback_stateEbbT6_jjT7_P12ihipStream_tbENKUlT_T0_SK_SP_E_clISE_PfSF_SF_EEDaS13_S14_SK_SP_EUlS13_E_NS1_11comp_targetILNS1_3genE9ELNS1_11target_archE1100ELNS1_3gpuE3ELNS1_3repE0EEENS1_47radix_sort_onesweep_sort_config_static_selectorELNS0_4arch9wavefront6targetE1EEEvSK_,"axG",@progbits,_ZN7rocprim17ROCPRIM_400000_NS6detail17trampoline_kernelINS0_14default_configENS1_35radix_sort_onesweep_config_selectorIfNS0_10empty_typeEEEZZNS1_29radix_sort_onesweep_iterationIS3_Lb0EN6thrust23THRUST_200600_302600_NS6detail15normal_iteratorINS9_10device_ptrIfEEEESE_PS5_SF_jNS0_19identity_decomposerENS1_16block_id_wrapperIjLb0EEEEE10hipError_tT1_PNSt15iterator_traitsISK_E10value_typeET2_T3_PNSL_ISQ_E10value_typeET4_T5_PSV_SW_PNS1_23onesweep_lookback_stateEbbT6_jjT7_P12ihipStream_tbENKUlT_T0_SK_SP_E_clISE_PfSF_SF_EEDaS13_S14_SK_SP_EUlS13_E_NS1_11comp_targetILNS1_3genE9ELNS1_11target_archE1100ELNS1_3gpuE3ELNS1_3repE0EEENS1_47radix_sort_onesweep_sort_config_static_selectorELNS0_4arch9wavefront6targetE1EEEvSK_,comdat
.Lfunc_end602:
	.size	_ZN7rocprim17ROCPRIM_400000_NS6detail17trampoline_kernelINS0_14default_configENS1_35radix_sort_onesweep_config_selectorIfNS0_10empty_typeEEEZZNS1_29radix_sort_onesweep_iterationIS3_Lb0EN6thrust23THRUST_200600_302600_NS6detail15normal_iteratorINS9_10device_ptrIfEEEESE_PS5_SF_jNS0_19identity_decomposerENS1_16block_id_wrapperIjLb0EEEEE10hipError_tT1_PNSt15iterator_traitsISK_E10value_typeET2_T3_PNSL_ISQ_E10value_typeET4_T5_PSV_SW_PNS1_23onesweep_lookback_stateEbbT6_jjT7_P12ihipStream_tbENKUlT_T0_SK_SP_E_clISE_PfSF_SF_EEDaS13_S14_SK_SP_EUlS13_E_NS1_11comp_targetILNS1_3genE9ELNS1_11target_archE1100ELNS1_3gpuE3ELNS1_3repE0EEENS1_47radix_sort_onesweep_sort_config_static_selectorELNS0_4arch9wavefront6targetE1EEEvSK_, .Lfunc_end602-_ZN7rocprim17ROCPRIM_400000_NS6detail17trampoline_kernelINS0_14default_configENS1_35radix_sort_onesweep_config_selectorIfNS0_10empty_typeEEEZZNS1_29radix_sort_onesweep_iterationIS3_Lb0EN6thrust23THRUST_200600_302600_NS6detail15normal_iteratorINS9_10device_ptrIfEEEESE_PS5_SF_jNS0_19identity_decomposerENS1_16block_id_wrapperIjLb0EEEEE10hipError_tT1_PNSt15iterator_traitsISK_E10value_typeET2_T3_PNSL_ISQ_E10value_typeET4_T5_PSV_SW_PNS1_23onesweep_lookback_stateEbbT6_jjT7_P12ihipStream_tbENKUlT_T0_SK_SP_E_clISE_PfSF_SF_EEDaS13_S14_SK_SP_EUlS13_E_NS1_11comp_targetILNS1_3genE9ELNS1_11target_archE1100ELNS1_3gpuE3ELNS1_3repE0EEENS1_47radix_sort_onesweep_sort_config_static_selectorELNS0_4arch9wavefront6targetE1EEEvSK_
                                        ; -- End function
	.set _ZN7rocprim17ROCPRIM_400000_NS6detail17trampoline_kernelINS0_14default_configENS1_35radix_sort_onesweep_config_selectorIfNS0_10empty_typeEEEZZNS1_29radix_sort_onesweep_iterationIS3_Lb0EN6thrust23THRUST_200600_302600_NS6detail15normal_iteratorINS9_10device_ptrIfEEEESE_PS5_SF_jNS0_19identity_decomposerENS1_16block_id_wrapperIjLb0EEEEE10hipError_tT1_PNSt15iterator_traitsISK_E10value_typeET2_T3_PNSL_ISQ_E10value_typeET4_T5_PSV_SW_PNS1_23onesweep_lookback_stateEbbT6_jjT7_P12ihipStream_tbENKUlT_T0_SK_SP_E_clISE_PfSF_SF_EEDaS13_S14_SK_SP_EUlS13_E_NS1_11comp_targetILNS1_3genE9ELNS1_11target_archE1100ELNS1_3gpuE3ELNS1_3repE0EEENS1_47radix_sort_onesweep_sort_config_static_selectorELNS0_4arch9wavefront6targetE1EEEvSK_.num_vgpr, 0
	.set _ZN7rocprim17ROCPRIM_400000_NS6detail17trampoline_kernelINS0_14default_configENS1_35radix_sort_onesweep_config_selectorIfNS0_10empty_typeEEEZZNS1_29radix_sort_onesweep_iterationIS3_Lb0EN6thrust23THRUST_200600_302600_NS6detail15normal_iteratorINS9_10device_ptrIfEEEESE_PS5_SF_jNS0_19identity_decomposerENS1_16block_id_wrapperIjLb0EEEEE10hipError_tT1_PNSt15iterator_traitsISK_E10value_typeET2_T3_PNSL_ISQ_E10value_typeET4_T5_PSV_SW_PNS1_23onesweep_lookback_stateEbbT6_jjT7_P12ihipStream_tbENKUlT_T0_SK_SP_E_clISE_PfSF_SF_EEDaS13_S14_SK_SP_EUlS13_E_NS1_11comp_targetILNS1_3genE9ELNS1_11target_archE1100ELNS1_3gpuE3ELNS1_3repE0EEENS1_47radix_sort_onesweep_sort_config_static_selectorELNS0_4arch9wavefront6targetE1EEEvSK_.num_agpr, 0
	.set _ZN7rocprim17ROCPRIM_400000_NS6detail17trampoline_kernelINS0_14default_configENS1_35radix_sort_onesweep_config_selectorIfNS0_10empty_typeEEEZZNS1_29radix_sort_onesweep_iterationIS3_Lb0EN6thrust23THRUST_200600_302600_NS6detail15normal_iteratorINS9_10device_ptrIfEEEESE_PS5_SF_jNS0_19identity_decomposerENS1_16block_id_wrapperIjLb0EEEEE10hipError_tT1_PNSt15iterator_traitsISK_E10value_typeET2_T3_PNSL_ISQ_E10value_typeET4_T5_PSV_SW_PNS1_23onesweep_lookback_stateEbbT6_jjT7_P12ihipStream_tbENKUlT_T0_SK_SP_E_clISE_PfSF_SF_EEDaS13_S14_SK_SP_EUlS13_E_NS1_11comp_targetILNS1_3genE9ELNS1_11target_archE1100ELNS1_3gpuE3ELNS1_3repE0EEENS1_47radix_sort_onesweep_sort_config_static_selectorELNS0_4arch9wavefront6targetE1EEEvSK_.numbered_sgpr, 0
	.set _ZN7rocprim17ROCPRIM_400000_NS6detail17trampoline_kernelINS0_14default_configENS1_35radix_sort_onesweep_config_selectorIfNS0_10empty_typeEEEZZNS1_29radix_sort_onesweep_iterationIS3_Lb0EN6thrust23THRUST_200600_302600_NS6detail15normal_iteratorINS9_10device_ptrIfEEEESE_PS5_SF_jNS0_19identity_decomposerENS1_16block_id_wrapperIjLb0EEEEE10hipError_tT1_PNSt15iterator_traitsISK_E10value_typeET2_T3_PNSL_ISQ_E10value_typeET4_T5_PSV_SW_PNS1_23onesweep_lookback_stateEbbT6_jjT7_P12ihipStream_tbENKUlT_T0_SK_SP_E_clISE_PfSF_SF_EEDaS13_S14_SK_SP_EUlS13_E_NS1_11comp_targetILNS1_3genE9ELNS1_11target_archE1100ELNS1_3gpuE3ELNS1_3repE0EEENS1_47radix_sort_onesweep_sort_config_static_selectorELNS0_4arch9wavefront6targetE1EEEvSK_.num_named_barrier, 0
	.set _ZN7rocprim17ROCPRIM_400000_NS6detail17trampoline_kernelINS0_14default_configENS1_35radix_sort_onesweep_config_selectorIfNS0_10empty_typeEEEZZNS1_29radix_sort_onesweep_iterationIS3_Lb0EN6thrust23THRUST_200600_302600_NS6detail15normal_iteratorINS9_10device_ptrIfEEEESE_PS5_SF_jNS0_19identity_decomposerENS1_16block_id_wrapperIjLb0EEEEE10hipError_tT1_PNSt15iterator_traitsISK_E10value_typeET2_T3_PNSL_ISQ_E10value_typeET4_T5_PSV_SW_PNS1_23onesweep_lookback_stateEbbT6_jjT7_P12ihipStream_tbENKUlT_T0_SK_SP_E_clISE_PfSF_SF_EEDaS13_S14_SK_SP_EUlS13_E_NS1_11comp_targetILNS1_3genE9ELNS1_11target_archE1100ELNS1_3gpuE3ELNS1_3repE0EEENS1_47radix_sort_onesweep_sort_config_static_selectorELNS0_4arch9wavefront6targetE1EEEvSK_.private_seg_size, 0
	.set _ZN7rocprim17ROCPRIM_400000_NS6detail17trampoline_kernelINS0_14default_configENS1_35radix_sort_onesweep_config_selectorIfNS0_10empty_typeEEEZZNS1_29radix_sort_onesweep_iterationIS3_Lb0EN6thrust23THRUST_200600_302600_NS6detail15normal_iteratorINS9_10device_ptrIfEEEESE_PS5_SF_jNS0_19identity_decomposerENS1_16block_id_wrapperIjLb0EEEEE10hipError_tT1_PNSt15iterator_traitsISK_E10value_typeET2_T3_PNSL_ISQ_E10value_typeET4_T5_PSV_SW_PNS1_23onesweep_lookback_stateEbbT6_jjT7_P12ihipStream_tbENKUlT_T0_SK_SP_E_clISE_PfSF_SF_EEDaS13_S14_SK_SP_EUlS13_E_NS1_11comp_targetILNS1_3genE9ELNS1_11target_archE1100ELNS1_3gpuE3ELNS1_3repE0EEENS1_47radix_sort_onesweep_sort_config_static_selectorELNS0_4arch9wavefront6targetE1EEEvSK_.uses_vcc, 0
	.set _ZN7rocprim17ROCPRIM_400000_NS6detail17trampoline_kernelINS0_14default_configENS1_35radix_sort_onesweep_config_selectorIfNS0_10empty_typeEEEZZNS1_29radix_sort_onesweep_iterationIS3_Lb0EN6thrust23THRUST_200600_302600_NS6detail15normal_iteratorINS9_10device_ptrIfEEEESE_PS5_SF_jNS0_19identity_decomposerENS1_16block_id_wrapperIjLb0EEEEE10hipError_tT1_PNSt15iterator_traitsISK_E10value_typeET2_T3_PNSL_ISQ_E10value_typeET4_T5_PSV_SW_PNS1_23onesweep_lookback_stateEbbT6_jjT7_P12ihipStream_tbENKUlT_T0_SK_SP_E_clISE_PfSF_SF_EEDaS13_S14_SK_SP_EUlS13_E_NS1_11comp_targetILNS1_3genE9ELNS1_11target_archE1100ELNS1_3gpuE3ELNS1_3repE0EEENS1_47radix_sort_onesweep_sort_config_static_selectorELNS0_4arch9wavefront6targetE1EEEvSK_.uses_flat_scratch, 0
	.set _ZN7rocprim17ROCPRIM_400000_NS6detail17trampoline_kernelINS0_14default_configENS1_35radix_sort_onesweep_config_selectorIfNS0_10empty_typeEEEZZNS1_29radix_sort_onesweep_iterationIS3_Lb0EN6thrust23THRUST_200600_302600_NS6detail15normal_iteratorINS9_10device_ptrIfEEEESE_PS5_SF_jNS0_19identity_decomposerENS1_16block_id_wrapperIjLb0EEEEE10hipError_tT1_PNSt15iterator_traitsISK_E10value_typeET2_T3_PNSL_ISQ_E10value_typeET4_T5_PSV_SW_PNS1_23onesweep_lookback_stateEbbT6_jjT7_P12ihipStream_tbENKUlT_T0_SK_SP_E_clISE_PfSF_SF_EEDaS13_S14_SK_SP_EUlS13_E_NS1_11comp_targetILNS1_3genE9ELNS1_11target_archE1100ELNS1_3gpuE3ELNS1_3repE0EEENS1_47radix_sort_onesweep_sort_config_static_selectorELNS0_4arch9wavefront6targetE1EEEvSK_.has_dyn_sized_stack, 0
	.set _ZN7rocprim17ROCPRIM_400000_NS6detail17trampoline_kernelINS0_14default_configENS1_35radix_sort_onesweep_config_selectorIfNS0_10empty_typeEEEZZNS1_29radix_sort_onesweep_iterationIS3_Lb0EN6thrust23THRUST_200600_302600_NS6detail15normal_iteratorINS9_10device_ptrIfEEEESE_PS5_SF_jNS0_19identity_decomposerENS1_16block_id_wrapperIjLb0EEEEE10hipError_tT1_PNSt15iterator_traitsISK_E10value_typeET2_T3_PNSL_ISQ_E10value_typeET4_T5_PSV_SW_PNS1_23onesweep_lookback_stateEbbT6_jjT7_P12ihipStream_tbENKUlT_T0_SK_SP_E_clISE_PfSF_SF_EEDaS13_S14_SK_SP_EUlS13_E_NS1_11comp_targetILNS1_3genE9ELNS1_11target_archE1100ELNS1_3gpuE3ELNS1_3repE0EEENS1_47radix_sort_onesweep_sort_config_static_selectorELNS0_4arch9wavefront6targetE1EEEvSK_.has_recursion, 0
	.set _ZN7rocprim17ROCPRIM_400000_NS6detail17trampoline_kernelINS0_14default_configENS1_35radix_sort_onesweep_config_selectorIfNS0_10empty_typeEEEZZNS1_29radix_sort_onesweep_iterationIS3_Lb0EN6thrust23THRUST_200600_302600_NS6detail15normal_iteratorINS9_10device_ptrIfEEEESE_PS5_SF_jNS0_19identity_decomposerENS1_16block_id_wrapperIjLb0EEEEE10hipError_tT1_PNSt15iterator_traitsISK_E10value_typeET2_T3_PNSL_ISQ_E10value_typeET4_T5_PSV_SW_PNS1_23onesweep_lookback_stateEbbT6_jjT7_P12ihipStream_tbENKUlT_T0_SK_SP_E_clISE_PfSF_SF_EEDaS13_S14_SK_SP_EUlS13_E_NS1_11comp_targetILNS1_3genE9ELNS1_11target_archE1100ELNS1_3gpuE3ELNS1_3repE0EEENS1_47radix_sort_onesweep_sort_config_static_selectorELNS0_4arch9wavefront6targetE1EEEvSK_.has_indirect_call, 0
	.section	.AMDGPU.csdata,"",@progbits
; Kernel info:
; codeLenInByte = 0
; TotalNumSgprs: 6
; NumVgprs: 0
; NumAgprs: 0
; TotalNumVgprs: 0
; ScratchSize: 0
; MemoryBound: 0
; FloatMode: 240
; IeeeMode: 1
; LDSByteSize: 0 bytes/workgroup (compile time only)
; SGPRBlocks: 0
; VGPRBlocks: 0
; NumSGPRsForWavesPerEU: 6
; NumVGPRsForWavesPerEU: 1
; AccumOffset: 4
; Occupancy: 8
; WaveLimiterHint : 0
; COMPUTE_PGM_RSRC2:SCRATCH_EN: 0
; COMPUTE_PGM_RSRC2:USER_SGPR: 2
; COMPUTE_PGM_RSRC2:TRAP_HANDLER: 0
; COMPUTE_PGM_RSRC2:TGID_X_EN: 1
; COMPUTE_PGM_RSRC2:TGID_Y_EN: 0
; COMPUTE_PGM_RSRC2:TGID_Z_EN: 0
; COMPUTE_PGM_RSRC2:TIDIG_COMP_CNT: 0
; COMPUTE_PGM_RSRC3_GFX90A:ACCUM_OFFSET: 0
; COMPUTE_PGM_RSRC3_GFX90A:TG_SPLIT: 0
	.section	.text._ZN7rocprim17ROCPRIM_400000_NS6detail17trampoline_kernelINS0_14default_configENS1_35radix_sort_onesweep_config_selectorIfNS0_10empty_typeEEEZZNS1_29radix_sort_onesweep_iterationIS3_Lb0EN6thrust23THRUST_200600_302600_NS6detail15normal_iteratorINS9_10device_ptrIfEEEESE_PS5_SF_jNS0_19identity_decomposerENS1_16block_id_wrapperIjLb0EEEEE10hipError_tT1_PNSt15iterator_traitsISK_E10value_typeET2_T3_PNSL_ISQ_E10value_typeET4_T5_PSV_SW_PNS1_23onesweep_lookback_stateEbbT6_jjT7_P12ihipStream_tbENKUlT_T0_SK_SP_E_clISE_PfSF_SF_EEDaS13_S14_SK_SP_EUlS13_E_NS1_11comp_targetILNS1_3genE8ELNS1_11target_archE1030ELNS1_3gpuE2ELNS1_3repE0EEENS1_47radix_sort_onesweep_sort_config_static_selectorELNS0_4arch9wavefront6targetE1EEEvSK_,"axG",@progbits,_ZN7rocprim17ROCPRIM_400000_NS6detail17trampoline_kernelINS0_14default_configENS1_35radix_sort_onesweep_config_selectorIfNS0_10empty_typeEEEZZNS1_29radix_sort_onesweep_iterationIS3_Lb0EN6thrust23THRUST_200600_302600_NS6detail15normal_iteratorINS9_10device_ptrIfEEEESE_PS5_SF_jNS0_19identity_decomposerENS1_16block_id_wrapperIjLb0EEEEE10hipError_tT1_PNSt15iterator_traitsISK_E10value_typeET2_T3_PNSL_ISQ_E10value_typeET4_T5_PSV_SW_PNS1_23onesweep_lookback_stateEbbT6_jjT7_P12ihipStream_tbENKUlT_T0_SK_SP_E_clISE_PfSF_SF_EEDaS13_S14_SK_SP_EUlS13_E_NS1_11comp_targetILNS1_3genE8ELNS1_11target_archE1030ELNS1_3gpuE2ELNS1_3repE0EEENS1_47radix_sort_onesweep_sort_config_static_selectorELNS0_4arch9wavefront6targetE1EEEvSK_,comdat
	.protected	_ZN7rocprim17ROCPRIM_400000_NS6detail17trampoline_kernelINS0_14default_configENS1_35radix_sort_onesweep_config_selectorIfNS0_10empty_typeEEEZZNS1_29radix_sort_onesweep_iterationIS3_Lb0EN6thrust23THRUST_200600_302600_NS6detail15normal_iteratorINS9_10device_ptrIfEEEESE_PS5_SF_jNS0_19identity_decomposerENS1_16block_id_wrapperIjLb0EEEEE10hipError_tT1_PNSt15iterator_traitsISK_E10value_typeET2_T3_PNSL_ISQ_E10value_typeET4_T5_PSV_SW_PNS1_23onesweep_lookback_stateEbbT6_jjT7_P12ihipStream_tbENKUlT_T0_SK_SP_E_clISE_PfSF_SF_EEDaS13_S14_SK_SP_EUlS13_E_NS1_11comp_targetILNS1_3genE8ELNS1_11target_archE1030ELNS1_3gpuE2ELNS1_3repE0EEENS1_47radix_sort_onesweep_sort_config_static_selectorELNS0_4arch9wavefront6targetE1EEEvSK_ ; -- Begin function _ZN7rocprim17ROCPRIM_400000_NS6detail17trampoline_kernelINS0_14default_configENS1_35radix_sort_onesweep_config_selectorIfNS0_10empty_typeEEEZZNS1_29radix_sort_onesweep_iterationIS3_Lb0EN6thrust23THRUST_200600_302600_NS6detail15normal_iteratorINS9_10device_ptrIfEEEESE_PS5_SF_jNS0_19identity_decomposerENS1_16block_id_wrapperIjLb0EEEEE10hipError_tT1_PNSt15iterator_traitsISK_E10value_typeET2_T3_PNSL_ISQ_E10value_typeET4_T5_PSV_SW_PNS1_23onesweep_lookback_stateEbbT6_jjT7_P12ihipStream_tbENKUlT_T0_SK_SP_E_clISE_PfSF_SF_EEDaS13_S14_SK_SP_EUlS13_E_NS1_11comp_targetILNS1_3genE8ELNS1_11target_archE1030ELNS1_3gpuE2ELNS1_3repE0EEENS1_47radix_sort_onesweep_sort_config_static_selectorELNS0_4arch9wavefront6targetE1EEEvSK_
	.globl	_ZN7rocprim17ROCPRIM_400000_NS6detail17trampoline_kernelINS0_14default_configENS1_35radix_sort_onesweep_config_selectorIfNS0_10empty_typeEEEZZNS1_29radix_sort_onesweep_iterationIS3_Lb0EN6thrust23THRUST_200600_302600_NS6detail15normal_iteratorINS9_10device_ptrIfEEEESE_PS5_SF_jNS0_19identity_decomposerENS1_16block_id_wrapperIjLb0EEEEE10hipError_tT1_PNSt15iterator_traitsISK_E10value_typeET2_T3_PNSL_ISQ_E10value_typeET4_T5_PSV_SW_PNS1_23onesweep_lookback_stateEbbT6_jjT7_P12ihipStream_tbENKUlT_T0_SK_SP_E_clISE_PfSF_SF_EEDaS13_S14_SK_SP_EUlS13_E_NS1_11comp_targetILNS1_3genE8ELNS1_11target_archE1030ELNS1_3gpuE2ELNS1_3repE0EEENS1_47radix_sort_onesweep_sort_config_static_selectorELNS0_4arch9wavefront6targetE1EEEvSK_
	.p2align	8
	.type	_ZN7rocprim17ROCPRIM_400000_NS6detail17trampoline_kernelINS0_14default_configENS1_35radix_sort_onesweep_config_selectorIfNS0_10empty_typeEEEZZNS1_29radix_sort_onesweep_iterationIS3_Lb0EN6thrust23THRUST_200600_302600_NS6detail15normal_iteratorINS9_10device_ptrIfEEEESE_PS5_SF_jNS0_19identity_decomposerENS1_16block_id_wrapperIjLb0EEEEE10hipError_tT1_PNSt15iterator_traitsISK_E10value_typeET2_T3_PNSL_ISQ_E10value_typeET4_T5_PSV_SW_PNS1_23onesweep_lookback_stateEbbT6_jjT7_P12ihipStream_tbENKUlT_T0_SK_SP_E_clISE_PfSF_SF_EEDaS13_S14_SK_SP_EUlS13_E_NS1_11comp_targetILNS1_3genE8ELNS1_11target_archE1030ELNS1_3gpuE2ELNS1_3repE0EEENS1_47radix_sort_onesweep_sort_config_static_selectorELNS0_4arch9wavefront6targetE1EEEvSK_,@function
_ZN7rocprim17ROCPRIM_400000_NS6detail17trampoline_kernelINS0_14default_configENS1_35radix_sort_onesweep_config_selectorIfNS0_10empty_typeEEEZZNS1_29radix_sort_onesweep_iterationIS3_Lb0EN6thrust23THRUST_200600_302600_NS6detail15normal_iteratorINS9_10device_ptrIfEEEESE_PS5_SF_jNS0_19identity_decomposerENS1_16block_id_wrapperIjLb0EEEEE10hipError_tT1_PNSt15iterator_traitsISK_E10value_typeET2_T3_PNSL_ISQ_E10value_typeET4_T5_PSV_SW_PNS1_23onesweep_lookback_stateEbbT6_jjT7_P12ihipStream_tbENKUlT_T0_SK_SP_E_clISE_PfSF_SF_EEDaS13_S14_SK_SP_EUlS13_E_NS1_11comp_targetILNS1_3genE8ELNS1_11target_archE1030ELNS1_3gpuE2ELNS1_3repE0EEENS1_47radix_sort_onesweep_sort_config_static_selectorELNS0_4arch9wavefront6targetE1EEEvSK_: ; @_ZN7rocprim17ROCPRIM_400000_NS6detail17trampoline_kernelINS0_14default_configENS1_35radix_sort_onesweep_config_selectorIfNS0_10empty_typeEEEZZNS1_29radix_sort_onesweep_iterationIS3_Lb0EN6thrust23THRUST_200600_302600_NS6detail15normal_iteratorINS9_10device_ptrIfEEEESE_PS5_SF_jNS0_19identity_decomposerENS1_16block_id_wrapperIjLb0EEEEE10hipError_tT1_PNSt15iterator_traitsISK_E10value_typeET2_T3_PNSL_ISQ_E10value_typeET4_T5_PSV_SW_PNS1_23onesweep_lookback_stateEbbT6_jjT7_P12ihipStream_tbENKUlT_T0_SK_SP_E_clISE_PfSF_SF_EEDaS13_S14_SK_SP_EUlS13_E_NS1_11comp_targetILNS1_3genE8ELNS1_11target_archE1030ELNS1_3gpuE2ELNS1_3repE0EEENS1_47radix_sort_onesweep_sort_config_static_selectorELNS0_4arch9wavefront6targetE1EEEvSK_
; %bb.0:
	.section	.rodata,"a",@progbits
	.p2align	6, 0x0
	.amdhsa_kernel _ZN7rocprim17ROCPRIM_400000_NS6detail17trampoline_kernelINS0_14default_configENS1_35radix_sort_onesweep_config_selectorIfNS0_10empty_typeEEEZZNS1_29radix_sort_onesweep_iterationIS3_Lb0EN6thrust23THRUST_200600_302600_NS6detail15normal_iteratorINS9_10device_ptrIfEEEESE_PS5_SF_jNS0_19identity_decomposerENS1_16block_id_wrapperIjLb0EEEEE10hipError_tT1_PNSt15iterator_traitsISK_E10value_typeET2_T3_PNSL_ISQ_E10value_typeET4_T5_PSV_SW_PNS1_23onesweep_lookback_stateEbbT6_jjT7_P12ihipStream_tbENKUlT_T0_SK_SP_E_clISE_PfSF_SF_EEDaS13_S14_SK_SP_EUlS13_E_NS1_11comp_targetILNS1_3genE8ELNS1_11target_archE1030ELNS1_3gpuE2ELNS1_3repE0EEENS1_47radix_sort_onesweep_sort_config_static_selectorELNS0_4arch9wavefront6targetE1EEEvSK_
		.amdhsa_group_segment_fixed_size 0
		.amdhsa_private_segment_fixed_size 0
		.amdhsa_kernarg_size 88
		.amdhsa_user_sgpr_count 2
		.amdhsa_user_sgpr_dispatch_ptr 0
		.amdhsa_user_sgpr_queue_ptr 0
		.amdhsa_user_sgpr_kernarg_segment_ptr 1
		.amdhsa_user_sgpr_dispatch_id 0
		.amdhsa_user_sgpr_kernarg_preload_length 0
		.amdhsa_user_sgpr_kernarg_preload_offset 0
		.amdhsa_user_sgpr_private_segment_size 0
		.amdhsa_uses_dynamic_stack 0
		.amdhsa_enable_private_segment 0
		.amdhsa_system_sgpr_workgroup_id_x 1
		.amdhsa_system_sgpr_workgroup_id_y 0
		.amdhsa_system_sgpr_workgroup_id_z 0
		.amdhsa_system_sgpr_workgroup_info 0
		.amdhsa_system_vgpr_workitem_id 0
		.amdhsa_next_free_vgpr 1
		.amdhsa_next_free_sgpr 0
		.amdhsa_accum_offset 4
		.amdhsa_reserve_vcc 0
		.amdhsa_float_round_mode_32 0
		.amdhsa_float_round_mode_16_64 0
		.amdhsa_float_denorm_mode_32 3
		.amdhsa_float_denorm_mode_16_64 3
		.amdhsa_dx10_clamp 1
		.amdhsa_ieee_mode 1
		.amdhsa_fp16_overflow 0
		.amdhsa_tg_split 0
		.amdhsa_exception_fp_ieee_invalid_op 0
		.amdhsa_exception_fp_denorm_src 0
		.amdhsa_exception_fp_ieee_div_zero 0
		.amdhsa_exception_fp_ieee_overflow 0
		.amdhsa_exception_fp_ieee_underflow 0
		.amdhsa_exception_fp_ieee_inexact 0
		.amdhsa_exception_int_div_zero 0
	.end_amdhsa_kernel
	.section	.text._ZN7rocprim17ROCPRIM_400000_NS6detail17trampoline_kernelINS0_14default_configENS1_35radix_sort_onesweep_config_selectorIfNS0_10empty_typeEEEZZNS1_29radix_sort_onesweep_iterationIS3_Lb0EN6thrust23THRUST_200600_302600_NS6detail15normal_iteratorINS9_10device_ptrIfEEEESE_PS5_SF_jNS0_19identity_decomposerENS1_16block_id_wrapperIjLb0EEEEE10hipError_tT1_PNSt15iterator_traitsISK_E10value_typeET2_T3_PNSL_ISQ_E10value_typeET4_T5_PSV_SW_PNS1_23onesweep_lookback_stateEbbT6_jjT7_P12ihipStream_tbENKUlT_T0_SK_SP_E_clISE_PfSF_SF_EEDaS13_S14_SK_SP_EUlS13_E_NS1_11comp_targetILNS1_3genE8ELNS1_11target_archE1030ELNS1_3gpuE2ELNS1_3repE0EEENS1_47radix_sort_onesweep_sort_config_static_selectorELNS0_4arch9wavefront6targetE1EEEvSK_,"axG",@progbits,_ZN7rocprim17ROCPRIM_400000_NS6detail17trampoline_kernelINS0_14default_configENS1_35radix_sort_onesweep_config_selectorIfNS0_10empty_typeEEEZZNS1_29radix_sort_onesweep_iterationIS3_Lb0EN6thrust23THRUST_200600_302600_NS6detail15normal_iteratorINS9_10device_ptrIfEEEESE_PS5_SF_jNS0_19identity_decomposerENS1_16block_id_wrapperIjLb0EEEEE10hipError_tT1_PNSt15iterator_traitsISK_E10value_typeET2_T3_PNSL_ISQ_E10value_typeET4_T5_PSV_SW_PNS1_23onesweep_lookback_stateEbbT6_jjT7_P12ihipStream_tbENKUlT_T0_SK_SP_E_clISE_PfSF_SF_EEDaS13_S14_SK_SP_EUlS13_E_NS1_11comp_targetILNS1_3genE8ELNS1_11target_archE1030ELNS1_3gpuE2ELNS1_3repE0EEENS1_47radix_sort_onesweep_sort_config_static_selectorELNS0_4arch9wavefront6targetE1EEEvSK_,comdat
.Lfunc_end603:
	.size	_ZN7rocprim17ROCPRIM_400000_NS6detail17trampoline_kernelINS0_14default_configENS1_35radix_sort_onesweep_config_selectorIfNS0_10empty_typeEEEZZNS1_29radix_sort_onesweep_iterationIS3_Lb0EN6thrust23THRUST_200600_302600_NS6detail15normal_iteratorINS9_10device_ptrIfEEEESE_PS5_SF_jNS0_19identity_decomposerENS1_16block_id_wrapperIjLb0EEEEE10hipError_tT1_PNSt15iterator_traitsISK_E10value_typeET2_T3_PNSL_ISQ_E10value_typeET4_T5_PSV_SW_PNS1_23onesweep_lookback_stateEbbT6_jjT7_P12ihipStream_tbENKUlT_T0_SK_SP_E_clISE_PfSF_SF_EEDaS13_S14_SK_SP_EUlS13_E_NS1_11comp_targetILNS1_3genE8ELNS1_11target_archE1030ELNS1_3gpuE2ELNS1_3repE0EEENS1_47radix_sort_onesweep_sort_config_static_selectorELNS0_4arch9wavefront6targetE1EEEvSK_, .Lfunc_end603-_ZN7rocprim17ROCPRIM_400000_NS6detail17trampoline_kernelINS0_14default_configENS1_35radix_sort_onesweep_config_selectorIfNS0_10empty_typeEEEZZNS1_29radix_sort_onesweep_iterationIS3_Lb0EN6thrust23THRUST_200600_302600_NS6detail15normal_iteratorINS9_10device_ptrIfEEEESE_PS5_SF_jNS0_19identity_decomposerENS1_16block_id_wrapperIjLb0EEEEE10hipError_tT1_PNSt15iterator_traitsISK_E10value_typeET2_T3_PNSL_ISQ_E10value_typeET4_T5_PSV_SW_PNS1_23onesweep_lookback_stateEbbT6_jjT7_P12ihipStream_tbENKUlT_T0_SK_SP_E_clISE_PfSF_SF_EEDaS13_S14_SK_SP_EUlS13_E_NS1_11comp_targetILNS1_3genE8ELNS1_11target_archE1030ELNS1_3gpuE2ELNS1_3repE0EEENS1_47radix_sort_onesweep_sort_config_static_selectorELNS0_4arch9wavefront6targetE1EEEvSK_
                                        ; -- End function
	.set _ZN7rocprim17ROCPRIM_400000_NS6detail17trampoline_kernelINS0_14default_configENS1_35radix_sort_onesweep_config_selectorIfNS0_10empty_typeEEEZZNS1_29radix_sort_onesweep_iterationIS3_Lb0EN6thrust23THRUST_200600_302600_NS6detail15normal_iteratorINS9_10device_ptrIfEEEESE_PS5_SF_jNS0_19identity_decomposerENS1_16block_id_wrapperIjLb0EEEEE10hipError_tT1_PNSt15iterator_traitsISK_E10value_typeET2_T3_PNSL_ISQ_E10value_typeET4_T5_PSV_SW_PNS1_23onesweep_lookback_stateEbbT6_jjT7_P12ihipStream_tbENKUlT_T0_SK_SP_E_clISE_PfSF_SF_EEDaS13_S14_SK_SP_EUlS13_E_NS1_11comp_targetILNS1_3genE8ELNS1_11target_archE1030ELNS1_3gpuE2ELNS1_3repE0EEENS1_47radix_sort_onesweep_sort_config_static_selectorELNS0_4arch9wavefront6targetE1EEEvSK_.num_vgpr, 0
	.set _ZN7rocprim17ROCPRIM_400000_NS6detail17trampoline_kernelINS0_14default_configENS1_35radix_sort_onesweep_config_selectorIfNS0_10empty_typeEEEZZNS1_29radix_sort_onesweep_iterationIS3_Lb0EN6thrust23THRUST_200600_302600_NS6detail15normal_iteratorINS9_10device_ptrIfEEEESE_PS5_SF_jNS0_19identity_decomposerENS1_16block_id_wrapperIjLb0EEEEE10hipError_tT1_PNSt15iterator_traitsISK_E10value_typeET2_T3_PNSL_ISQ_E10value_typeET4_T5_PSV_SW_PNS1_23onesweep_lookback_stateEbbT6_jjT7_P12ihipStream_tbENKUlT_T0_SK_SP_E_clISE_PfSF_SF_EEDaS13_S14_SK_SP_EUlS13_E_NS1_11comp_targetILNS1_3genE8ELNS1_11target_archE1030ELNS1_3gpuE2ELNS1_3repE0EEENS1_47radix_sort_onesweep_sort_config_static_selectorELNS0_4arch9wavefront6targetE1EEEvSK_.num_agpr, 0
	.set _ZN7rocprim17ROCPRIM_400000_NS6detail17trampoline_kernelINS0_14default_configENS1_35radix_sort_onesweep_config_selectorIfNS0_10empty_typeEEEZZNS1_29radix_sort_onesweep_iterationIS3_Lb0EN6thrust23THRUST_200600_302600_NS6detail15normal_iteratorINS9_10device_ptrIfEEEESE_PS5_SF_jNS0_19identity_decomposerENS1_16block_id_wrapperIjLb0EEEEE10hipError_tT1_PNSt15iterator_traitsISK_E10value_typeET2_T3_PNSL_ISQ_E10value_typeET4_T5_PSV_SW_PNS1_23onesweep_lookback_stateEbbT6_jjT7_P12ihipStream_tbENKUlT_T0_SK_SP_E_clISE_PfSF_SF_EEDaS13_S14_SK_SP_EUlS13_E_NS1_11comp_targetILNS1_3genE8ELNS1_11target_archE1030ELNS1_3gpuE2ELNS1_3repE0EEENS1_47radix_sort_onesweep_sort_config_static_selectorELNS0_4arch9wavefront6targetE1EEEvSK_.numbered_sgpr, 0
	.set _ZN7rocprim17ROCPRIM_400000_NS6detail17trampoline_kernelINS0_14default_configENS1_35radix_sort_onesweep_config_selectorIfNS0_10empty_typeEEEZZNS1_29radix_sort_onesweep_iterationIS3_Lb0EN6thrust23THRUST_200600_302600_NS6detail15normal_iteratorINS9_10device_ptrIfEEEESE_PS5_SF_jNS0_19identity_decomposerENS1_16block_id_wrapperIjLb0EEEEE10hipError_tT1_PNSt15iterator_traitsISK_E10value_typeET2_T3_PNSL_ISQ_E10value_typeET4_T5_PSV_SW_PNS1_23onesweep_lookback_stateEbbT6_jjT7_P12ihipStream_tbENKUlT_T0_SK_SP_E_clISE_PfSF_SF_EEDaS13_S14_SK_SP_EUlS13_E_NS1_11comp_targetILNS1_3genE8ELNS1_11target_archE1030ELNS1_3gpuE2ELNS1_3repE0EEENS1_47radix_sort_onesweep_sort_config_static_selectorELNS0_4arch9wavefront6targetE1EEEvSK_.num_named_barrier, 0
	.set _ZN7rocprim17ROCPRIM_400000_NS6detail17trampoline_kernelINS0_14default_configENS1_35radix_sort_onesweep_config_selectorIfNS0_10empty_typeEEEZZNS1_29radix_sort_onesweep_iterationIS3_Lb0EN6thrust23THRUST_200600_302600_NS6detail15normal_iteratorINS9_10device_ptrIfEEEESE_PS5_SF_jNS0_19identity_decomposerENS1_16block_id_wrapperIjLb0EEEEE10hipError_tT1_PNSt15iterator_traitsISK_E10value_typeET2_T3_PNSL_ISQ_E10value_typeET4_T5_PSV_SW_PNS1_23onesweep_lookback_stateEbbT6_jjT7_P12ihipStream_tbENKUlT_T0_SK_SP_E_clISE_PfSF_SF_EEDaS13_S14_SK_SP_EUlS13_E_NS1_11comp_targetILNS1_3genE8ELNS1_11target_archE1030ELNS1_3gpuE2ELNS1_3repE0EEENS1_47radix_sort_onesweep_sort_config_static_selectorELNS0_4arch9wavefront6targetE1EEEvSK_.private_seg_size, 0
	.set _ZN7rocprim17ROCPRIM_400000_NS6detail17trampoline_kernelINS0_14default_configENS1_35radix_sort_onesweep_config_selectorIfNS0_10empty_typeEEEZZNS1_29radix_sort_onesweep_iterationIS3_Lb0EN6thrust23THRUST_200600_302600_NS6detail15normal_iteratorINS9_10device_ptrIfEEEESE_PS5_SF_jNS0_19identity_decomposerENS1_16block_id_wrapperIjLb0EEEEE10hipError_tT1_PNSt15iterator_traitsISK_E10value_typeET2_T3_PNSL_ISQ_E10value_typeET4_T5_PSV_SW_PNS1_23onesweep_lookback_stateEbbT6_jjT7_P12ihipStream_tbENKUlT_T0_SK_SP_E_clISE_PfSF_SF_EEDaS13_S14_SK_SP_EUlS13_E_NS1_11comp_targetILNS1_3genE8ELNS1_11target_archE1030ELNS1_3gpuE2ELNS1_3repE0EEENS1_47radix_sort_onesweep_sort_config_static_selectorELNS0_4arch9wavefront6targetE1EEEvSK_.uses_vcc, 0
	.set _ZN7rocprim17ROCPRIM_400000_NS6detail17trampoline_kernelINS0_14default_configENS1_35radix_sort_onesweep_config_selectorIfNS0_10empty_typeEEEZZNS1_29radix_sort_onesweep_iterationIS3_Lb0EN6thrust23THRUST_200600_302600_NS6detail15normal_iteratorINS9_10device_ptrIfEEEESE_PS5_SF_jNS0_19identity_decomposerENS1_16block_id_wrapperIjLb0EEEEE10hipError_tT1_PNSt15iterator_traitsISK_E10value_typeET2_T3_PNSL_ISQ_E10value_typeET4_T5_PSV_SW_PNS1_23onesweep_lookback_stateEbbT6_jjT7_P12ihipStream_tbENKUlT_T0_SK_SP_E_clISE_PfSF_SF_EEDaS13_S14_SK_SP_EUlS13_E_NS1_11comp_targetILNS1_3genE8ELNS1_11target_archE1030ELNS1_3gpuE2ELNS1_3repE0EEENS1_47radix_sort_onesweep_sort_config_static_selectorELNS0_4arch9wavefront6targetE1EEEvSK_.uses_flat_scratch, 0
	.set _ZN7rocprim17ROCPRIM_400000_NS6detail17trampoline_kernelINS0_14default_configENS1_35radix_sort_onesweep_config_selectorIfNS0_10empty_typeEEEZZNS1_29radix_sort_onesweep_iterationIS3_Lb0EN6thrust23THRUST_200600_302600_NS6detail15normal_iteratorINS9_10device_ptrIfEEEESE_PS5_SF_jNS0_19identity_decomposerENS1_16block_id_wrapperIjLb0EEEEE10hipError_tT1_PNSt15iterator_traitsISK_E10value_typeET2_T3_PNSL_ISQ_E10value_typeET4_T5_PSV_SW_PNS1_23onesweep_lookback_stateEbbT6_jjT7_P12ihipStream_tbENKUlT_T0_SK_SP_E_clISE_PfSF_SF_EEDaS13_S14_SK_SP_EUlS13_E_NS1_11comp_targetILNS1_3genE8ELNS1_11target_archE1030ELNS1_3gpuE2ELNS1_3repE0EEENS1_47radix_sort_onesweep_sort_config_static_selectorELNS0_4arch9wavefront6targetE1EEEvSK_.has_dyn_sized_stack, 0
	.set _ZN7rocprim17ROCPRIM_400000_NS6detail17trampoline_kernelINS0_14default_configENS1_35radix_sort_onesweep_config_selectorIfNS0_10empty_typeEEEZZNS1_29radix_sort_onesweep_iterationIS3_Lb0EN6thrust23THRUST_200600_302600_NS6detail15normal_iteratorINS9_10device_ptrIfEEEESE_PS5_SF_jNS0_19identity_decomposerENS1_16block_id_wrapperIjLb0EEEEE10hipError_tT1_PNSt15iterator_traitsISK_E10value_typeET2_T3_PNSL_ISQ_E10value_typeET4_T5_PSV_SW_PNS1_23onesweep_lookback_stateEbbT6_jjT7_P12ihipStream_tbENKUlT_T0_SK_SP_E_clISE_PfSF_SF_EEDaS13_S14_SK_SP_EUlS13_E_NS1_11comp_targetILNS1_3genE8ELNS1_11target_archE1030ELNS1_3gpuE2ELNS1_3repE0EEENS1_47radix_sort_onesweep_sort_config_static_selectorELNS0_4arch9wavefront6targetE1EEEvSK_.has_recursion, 0
	.set _ZN7rocprim17ROCPRIM_400000_NS6detail17trampoline_kernelINS0_14default_configENS1_35radix_sort_onesweep_config_selectorIfNS0_10empty_typeEEEZZNS1_29radix_sort_onesweep_iterationIS3_Lb0EN6thrust23THRUST_200600_302600_NS6detail15normal_iteratorINS9_10device_ptrIfEEEESE_PS5_SF_jNS0_19identity_decomposerENS1_16block_id_wrapperIjLb0EEEEE10hipError_tT1_PNSt15iterator_traitsISK_E10value_typeET2_T3_PNSL_ISQ_E10value_typeET4_T5_PSV_SW_PNS1_23onesweep_lookback_stateEbbT6_jjT7_P12ihipStream_tbENKUlT_T0_SK_SP_E_clISE_PfSF_SF_EEDaS13_S14_SK_SP_EUlS13_E_NS1_11comp_targetILNS1_3genE8ELNS1_11target_archE1030ELNS1_3gpuE2ELNS1_3repE0EEENS1_47radix_sort_onesweep_sort_config_static_selectorELNS0_4arch9wavefront6targetE1EEEvSK_.has_indirect_call, 0
	.section	.AMDGPU.csdata,"",@progbits
; Kernel info:
; codeLenInByte = 0
; TotalNumSgprs: 6
; NumVgprs: 0
; NumAgprs: 0
; TotalNumVgprs: 0
; ScratchSize: 0
; MemoryBound: 0
; FloatMode: 240
; IeeeMode: 1
; LDSByteSize: 0 bytes/workgroup (compile time only)
; SGPRBlocks: 0
; VGPRBlocks: 0
; NumSGPRsForWavesPerEU: 6
; NumVGPRsForWavesPerEU: 1
; AccumOffset: 4
; Occupancy: 8
; WaveLimiterHint : 0
; COMPUTE_PGM_RSRC2:SCRATCH_EN: 0
; COMPUTE_PGM_RSRC2:USER_SGPR: 2
; COMPUTE_PGM_RSRC2:TRAP_HANDLER: 0
; COMPUTE_PGM_RSRC2:TGID_X_EN: 1
; COMPUTE_PGM_RSRC2:TGID_Y_EN: 0
; COMPUTE_PGM_RSRC2:TGID_Z_EN: 0
; COMPUTE_PGM_RSRC2:TIDIG_COMP_CNT: 0
; COMPUTE_PGM_RSRC3_GFX90A:ACCUM_OFFSET: 0
; COMPUTE_PGM_RSRC3_GFX90A:TG_SPLIT: 0
	.section	.text._ZN7rocprim17ROCPRIM_400000_NS6detail17trampoline_kernelINS0_14default_configENS1_35radix_sort_onesweep_config_selectorIfNS0_10empty_typeEEEZZNS1_29radix_sort_onesweep_iterationIS3_Lb0EN6thrust23THRUST_200600_302600_NS6detail15normal_iteratorINS9_10device_ptrIfEEEESE_PS5_SF_jNS0_19identity_decomposerENS1_16block_id_wrapperIjLb0EEEEE10hipError_tT1_PNSt15iterator_traitsISK_E10value_typeET2_T3_PNSL_ISQ_E10value_typeET4_T5_PSV_SW_PNS1_23onesweep_lookback_stateEbbT6_jjT7_P12ihipStream_tbENKUlT_T0_SK_SP_E_clIPfSE_SF_SF_EEDaS13_S14_SK_SP_EUlS13_E_NS1_11comp_targetILNS1_3genE0ELNS1_11target_archE4294967295ELNS1_3gpuE0ELNS1_3repE0EEENS1_47radix_sort_onesweep_sort_config_static_selectorELNS0_4arch9wavefront6targetE1EEEvSK_,"axG",@progbits,_ZN7rocprim17ROCPRIM_400000_NS6detail17trampoline_kernelINS0_14default_configENS1_35radix_sort_onesweep_config_selectorIfNS0_10empty_typeEEEZZNS1_29radix_sort_onesweep_iterationIS3_Lb0EN6thrust23THRUST_200600_302600_NS6detail15normal_iteratorINS9_10device_ptrIfEEEESE_PS5_SF_jNS0_19identity_decomposerENS1_16block_id_wrapperIjLb0EEEEE10hipError_tT1_PNSt15iterator_traitsISK_E10value_typeET2_T3_PNSL_ISQ_E10value_typeET4_T5_PSV_SW_PNS1_23onesweep_lookback_stateEbbT6_jjT7_P12ihipStream_tbENKUlT_T0_SK_SP_E_clIPfSE_SF_SF_EEDaS13_S14_SK_SP_EUlS13_E_NS1_11comp_targetILNS1_3genE0ELNS1_11target_archE4294967295ELNS1_3gpuE0ELNS1_3repE0EEENS1_47radix_sort_onesweep_sort_config_static_selectorELNS0_4arch9wavefront6targetE1EEEvSK_,comdat
	.protected	_ZN7rocprim17ROCPRIM_400000_NS6detail17trampoline_kernelINS0_14default_configENS1_35radix_sort_onesweep_config_selectorIfNS0_10empty_typeEEEZZNS1_29radix_sort_onesweep_iterationIS3_Lb0EN6thrust23THRUST_200600_302600_NS6detail15normal_iteratorINS9_10device_ptrIfEEEESE_PS5_SF_jNS0_19identity_decomposerENS1_16block_id_wrapperIjLb0EEEEE10hipError_tT1_PNSt15iterator_traitsISK_E10value_typeET2_T3_PNSL_ISQ_E10value_typeET4_T5_PSV_SW_PNS1_23onesweep_lookback_stateEbbT6_jjT7_P12ihipStream_tbENKUlT_T0_SK_SP_E_clIPfSE_SF_SF_EEDaS13_S14_SK_SP_EUlS13_E_NS1_11comp_targetILNS1_3genE0ELNS1_11target_archE4294967295ELNS1_3gpuE0ELNS1_3repE0EEENS1_47radix_sort_onesweep_sort_config_static_selectorELNS0_4arch9wavefront6targetE1EEEvSK_ ; -- Begin function _ZN7rocprim17ROCPRIM_400000_NS6detail17trampoline_kernelINS0_14default_configENS1_35radix_sort_onesweep_config_selectorIfNS0_10empty_typeEEEZZNS1_29radix_sort_onesweep_iterationIS3_Lb0EN6thrust23THRUST_200600_302600_NS6detail15normal_iteratorINS9_10device_ptrIfEEEESE_PS5_SF_jNS0_19identity_decomposerENS1_16block_id_wrapperIjLb0EEEEE10hipError_tT1_PNSt15iterator_traitsISK_E10value_typeET2_T3_PNSL_ISQ_E10value_typeET4_T5_PSV_SW_PNS1_23onesweep_lookback_stateEbbT6_jjT7_P12ihipStream_tbENKUlT_T0_SK_SP_E_clIPfSE_SF_SF_EEDaS13_S14_SK_SP_EUlS13_E_NS1_11comp_targetILNS1_3genE0ELNS1_11target_archE4294967295ELNS1_3gpuE0ELNS1_3repE0EEENS1_47radix_sort_onesweep_sort_config_static_selectorELNS0_4arch9wavefront6targetE1EEEvSK_
	.globl	_ZN7rocprim17ROCPRIM_400000_NS6detail17trampoline_kernelINS0_14default_configENS1_35radix_sort_onesweep_config_selectorIfNS0_10empty_typeEEEZZNS1_29radix_sort_onesweep_iterationIS3_Lb0EN6thrust23THRUST_200600_302600_NS6detail15normal_iteratorINS9_10device_ptrIfEEEESE_PS5_SF_jNS0_19identity_decomposerENS1_16block_id_wrapperIjLb0EEEEE10hipError_tT1_PNSt15iterator_traitsISK_E10value_typeET2_T3_PNSL_ISQ_E10value_typeET4_T5_PSV_SW_PNS1_23onesweep_lookback_stateEbbT6_jjT7_P12ihipStream_tbENKUlT_T0_SK_SP_E_clIPfSE_SF_SF_EEDaS13_S14_SK_SP_EUlS13_E_NS1_11comp_targetILNS1_3genE0ELNS1_11target_archE4294967295ELNS1_3gpuE0ELNS1_3repE0EEENS1_47radix_sort_onesweep_sort_config_static_selectorELNS0_4arch9wavefront6targetE1EEEvSK_
	.p2align	8
	.type	_ZN7rocprim17ROCPRIM_400000_NS6detail17trampoline_kernelINS0_14default_configENS1_35radix_sort_onesweep_config_selectorIfNS0_10empty_typeEEEZZNS1_29radix_sort_onesweep_iterationIS3_Lb0EN6thrust23THRUST_200600_302600_NS6detail15normal_iteratorINS9_10device_ptrIfEEEESE_PS5_SF_jNS0_19identity_decomposerENS1_16block_id_wrapperIjLb0EEEEE10hipError_tT1_PNSt15iterator_traitsISK_E10value_typeET2_T3_PNSL_ISQ_E10value_typeET4_T5_PSV_SW_PNS1_23onesweep_lookback_stateEbbT6_jjT7_P12ihipStream_tbENKUlT_T0_SK_SP_E_clIPfSE_SF_SF_EEDaS13_S14_SK_SP_EUlS13_E_NS1_11comp_targetILNS1_3genE0ELNS1_11target_archE4294967295ELNS1_3gpuE0ELNS1_3repE0EEENS1_47radix_sort_onesweep_sort_config_static_selectorELNS0_4arch9wavefront6targetE1EEEvSK_,@function
_ZN7rocprim17ROCPRIM_400000_NS6detail17trampoline_kernelINS0_14default_configENS1_35radix_sort_onesweep_config_selectorIfNS0_10empty_typeEEEZZNS1_29radix_sort_onesweep_iterationIS3_Lb0EN6thrust23THRUST_200600_302600_NS6detail15normal_iteratorINS9_10device_ptrIfEEEESE_PS5_SF_jNS0_19identity_decomposerENS1_16block_id_wrapperIjLb0EEEEE10hipError_tT1_PNSt15iterator_traitsISK_E10value_typeET2_T3_PNSL_ISQ_E10value_typeET4_T5_PSV_SW_PNS1_23onesweep_lookback_stateEbbT6_jjT7_P12ihipStream_tbENKUlT_T0_SK_SP_E_clIPfSE_SF_SF_EEDaS13_S14_SK_SP_EUlS13_E_NS1_11comp_targetILNS1_3genE0ELNS1_11target_archE4294967295ELNS1_3gpuE0ELNS1_3repE0EEENS1_47radix_sort_onesweep_sort_config_static_selectorELNS0_4arch9wavefront6targetE1EEEvSK_: ; @_ZN7rocprim17ROCPRIM_400000_NS6detail17trampoline_kernelINS0_14default_configENS1_35radix_sort_onesweep_config_selectorIfNS0_10empty_typeEEEZZNS1_29radix_sort_onesweep_iterationIS3_Lb0EN6thrust23THRUST_200600_302600_NS6detail15normal_iteratorINS9_10device_ptrIfEEEESE_PS5_SF_jNS0_19identity_decomposerENS1_16block_id_wrapperIjLb0EEEEE10hipError_tT1_PNSt15iterator_traitsISK_E10value_typeET2_T3_PNSL_ISQ_E10value_typeET4_T5_PSV_SW_PNS1_23onesweep_lookback_stateEbbT6_jjT7_P12ihipStream_tbENKUlT_T0_SK_SP_E_clIPfSE_SF_SF_EEDaS13_S14_SK_SP_EUlS13_E_NS1_11comp_targetILNS1_3genE0ELNS1_11target_archE4294967295ELNS1_3gpuE0ELNS1_3repE0EEENS1_47radix_sort_onesweep_sort_config_static_selectorELNS0_4arch9wavefront6targetE1EEEvSK_
; %bb.0:
	.section	.rodata,"a",@progbits
	.p2align	6, 0x0
	.amdhsa_kernel _ZN7rocprim17ROCPRIM_400000_NS6detail17trampoline_kernelINS0_14default_configENS1_35radix_sort_onesweep_config_selectorIfNS0_10empty_typeEEEZZNS1_29radix_sort_onesweep_iterationIS3_Lb0EN6thrust23THRUST_200600_302600_NS6detail15normal_iteratorINS9_10device_ptrIfEEEESE_PS5_SF_jNS0_19identity_decomposerENS1_16block_id_wrapperIjLb0EEEEE10hipError_tT1_PNSt15iterator_traitsISK_E10value_typeET2_T3_PNSL_ISQ_E10value_typeET4_T5_PSV_SW_PNS1_23onesweep_lookback_stateEbbT6_jjT7_P12ihipStream_tbENKUlT_T0_SK_SP_E_clIPfSE_SF_SF_EEDaS13_S14_SK_SP_EUlS13_E_NS1_11comp_targetILNS1_3genE0ELNS1_11target_archE4294967295ELNS1_3gpuE0ELNS1_3repE0EEENS1_47radix_sort_onesweep_sort_config_static_selectorELNS0_4arch9wavefront6targetE1EEEvSK_
		.amdhsa_group_segment_fixed_size 0
		.amdhsa_private_segment_fixed_size 0
		.amdhsa_kernarg_size 88
		.amdhsa_user_sgpr_count 2
		.amdhsa_user_sgpr_dispatch_ptr 0
		.amdhsa_user_sgpr_queue_ptr 0
		.amdhsa_user_sgpr_kernarg_segment_ptr 1
		.amdhsa_user_sgpr_dispatch_id 0
		.amdhsa_user_sgpr_kernarg_preload_length 0
		.amdhsa_user_sgpr_kernarg_preload_offset 0
		.amdhsa_user_sgpr_private_segment_size 0
		.amdhsa_uses_dynamic_stack 0
		.amdhsa_enable_private_segment 0
		.amdhsa_system_sgpr_workgroup_id_x 1
		.amdhsa_system_sgpr_workgroup_id_y 0
		.amdhsa_system_sgpr_workgroup_id_z 0
		.amdhsa_system_sgpr_workgroup_info 0
		.amdhsa_system_vgpr_workitem_id 0
		.amdhsa_next_free_vgpr 1
		.amdhsa_next_free_sgpr 0
		.amdhsa_accum_offset 4
		.amdhsa_reserve_vcc 0
		.amdhsa_float_round_mode_32 0
		.amdhsa_float_round_mode_16_64 0
		.amdhsa_float_denorm_mode_32 3
		.amdhsa_float_denorm_mode_16_64 3
		.amdhsa_dx10_clamp 1
		.amdhsa_ieee_mode 1
		.amdhsa_fp16_overflow 0
		.amdhsa_tg_split 0
		.amdhsa_exception_fp_ieee_invalid_op 0
		.amdhsa_exception_fp_denorm_src 0
		.amdhsa_exception_fp_ieee_div_zero 0
		.amdhsa_exception_fp_ieee_overflow 0
		.amdhsa_exception_fp_ieee_underflow 0
		.amdhsa_exception_fp_ieee_inexact 0
		.amdhsa_exception_int_div_zero 0
	.end_amdhsa_kernel
	.section	.text._ZN7rocprim17ROCPRIM_400000_NS6detail17trampoline_kernelINS0_14default_configENS1_35radix_sort_onesweep_config_selectorIfNS0_10empty_typeEEEZZNS1_29radix_sort_onesweep_iterationIS3_Lb0EN6thrust23THRUST_200600_302600_NS6detail15normal_iteratorINS9_10device_ptrIfEEEESE_PS5_SF_jNS0_19identity_decomposerENS1_16block_id_wrapperIjLb0EEEEE10hipError_tT1_PNSt15iterator_traitsISK_E10value_typeET2_T3_PNSL_ISQ_E10value_typeET4_T5_PSV_SW_PNS1_23onesweep_lookback_stateEbbT6_jjT7_P12ihipStream_tbENKUlT_T0_SK_SP_E_clIPfSE_SF_SF_EEDaS13_S14_SK_SP_EUlS13_E_NS1_11comp_targetILNS1_3genE0ELNS1_11target_archE4294967295ELNS1_3gpuE0ELNS1_3repE0EEENS1_47radix_sort_onesweep_sort_config_static_selectorELNS0_4arch9wavefront6targetE1EEEvSK_,"axG",@progbits,_ZN7rocprim17ROCPRIM_400000_NS6detail17trampoline_kernelINS0_14default_configENS1_35radix_sort_onesweep_config_selectorIfNS0_10empty_typeEEEZZNS1_29radix_sort_onesweep_iterationIS3_Lb0EN6thrust23THRUST_200600_302600_NS6detail15normal_iteratorINS9_10device_ptrIfEEEESE_PS5_SF_jNS0_19identity_decomposerENS1_16block_id_wrapperIjLb0EEEEE10hipError_tT1_PNSt15iterator_traitsISK_E10value_typeET2_T3_PNSL_ISQ_E10value_typeET4_T5_PSV_SW_PNS1_23onesweep_lookback_stateEbbT6_jjT7_P12ihipStream_tbENKUlT_T0_SK_SP_E_clIPfSE_SF_SF_EEDaS13_S14_SK_SP_EUlS13_E_NS1_11comp_targetILNS1_3genE0ELNS1_11target_archE4294967295ELNS1_3gpuE0ELNS1_3repE0EEENS1_47radix_sort_onesweep_sort_config_static_selectorELNS0_4arch9wavefront6targetE1EEEvSK_,comdat
.Lfunc_end604:
	.size	_ZN7rocprim17ROCPRIM_400000_NS6detail17trampoline_kernelINS0_14default_configENS1_35radix_sort_onesweep_config_selectorIfNS0_10empty_typeEEEZZNS1_29radix_sort_onesweep_iterationIS3_Lb0EN6thrust23THRUST_200600_302600_NS6detail15normal_iteratorINS9_10device_ptrIfEEEESE_PS5_SF_jNS0_19identity_decomposerENS1_16block_id_wrapperIjLb0EEEEE10hipError_tT1_PNSt15iterator_traitsISK_E10value_typeET2_T3_PNSL_ISQ_E10value_typeET4_T5_PSV_SW_PNS1_23onesweep_lookback_stateEbbT6_jjT7_P12ihipStream_tbENKUlT_T0_SK_SP_E_clIPfSE_SF_SF_EEDaS13_S14_SK_SP_EUlS13_E_NS1_11comp_targetILNS1_3genE0ELNS1_11target_archE4294967295ELNS1_3gpuE0ELNS1_3repE0EEENS1_47radix_sort_onesweep_sort_config_static_selectorELNS0_4arch9wavefront6targetE1EEEvSK_, .Lfunc_end604-_ZN7rocprim17ROCPRIM_400000_NS6detail17trampoline_kernelINS0_14default_configENS1_35radix_sort_onesweep_config_selectorIfNS0_10empty_typeEEEZZNS1_29radix_sort_onesweep_iterationIS3_Lb0EN6thrust23THRUST_200600_302600_NS6detail15normal_iteratorINS9_10device_ptrIfEEEESE_PS5_SF_jNS0_19identity_decomposerENS1_16block_id_wrapperIjLb0EEEEE10hipError_tT1_PNSt15iterator_traitsISK_E10value_typeET2_T3_PNSL_ISQ_E10value_typeET4_T5_PSV_SW_PNS1_23onesweep_lookback_stateEbbT6_jjT7_P12ihipStream_tbENKUlT_T0_SK_SP_E_clIPfSE_SF_SF_EEDaS13_S14_SK_SP_EUlS13_E_NS1_11comp_targetILNS1_3genE0ELNS1_11target_archE4294967295ELNS1_3gpuE0ELNS1_3repE0EEENS1_47radix_sort_onesweep_sort_config_static_selectorELNS0_4arch9wavefront6targetE1EEEvSK_
                                        ; -- End function
	.set _ZN7rocprim17ROCPRIM_400000_NS6detail17trampoline_kernelINS0_14default_configENS1_35radix_sort_onesweep_config_selectorIfNS0_10empty_typeEEEZZNS1_29radix_sort_onesweep_iterationIS3_Lb0EN6thrust23THRUST_200600_302600_NS6detail15normal_iteratorINS9_10device_ptrIfEEEESE_PS5_SF_jNS0_19identity_decomposerENS1_16block_id_wrapperIjLb0EEEEE10hipError_tT1_PNSt15iterator_traitsISK_E10value_typeET2_T3_PNSL_ISQ_E10value_typeET4_T5_PSV_SW_PNS1_23onesweep_lookback_stateEbbT6_jjT7_P12ihipStream_tbENKUlT_T0_SK_SP_E_clIPfSE_SF_SF_EEDaS13_S14_SK_SP_EUlS13_E_NS1_11comp_targetILNS1_3genE0ELNS1_11target_archE4294967295ELNS1_3gpuE0ELNS1_3repE0EEENS1_47radix_sort_onesweep_sort_config_static_selectorELNS0_4arch9wavefront6targetE1EEEvSK_.num_vgpr, 0
	.set _ZN7rocprim17ROCPRIM_400000_NS6detail17trampoline_kernelINS0_14default_configENS1_35radix_sort_onesweep_config_selectorIfNS0_10empty_typeEEEZZNS1_29radix_sort_onesweep_iterationIS3_Lb0EN6thrust23THRUST_200600_302600_NS6detail15normal_iteratorINS9_10device_ptrIfEEEESE_PS5_SF_jNS0_19identity_decomposerENS1_16block_id_wrapperIjLb0EEEEE10hipError_tT1_PNSt15iterator_traitsISK_E10value_typeET2_T3_PNSL_ISQ_E10value_typeET4_T5_PSV_SW_PNS1_23onesweep_lookback_stateEbbT6_jjT7_P12ihipStream_tbENKUlT_T0_SK_SP_E_clIPfSE_SF_SF_EEDaS13_S14_SK_SP_EUlS13_E_NS1_11comp_targetILNS1_3genE0ELNS1_11target_archE4294967295ELNS1_3gpuE0ELNS1_3repE0EEENS1_47radix_sort_onesweep_sort_config_static_selectorELNS0_4arch9wavefront6targetE1EEEvSK_.num_agpr, 0
	.set _ZN7rocprim17ROCPRIM_400000_NS6detail17trampoline_kernelINS0_14default_configENS1_35radix_sort_onesweep_config_selectorIfNS0_10empty_typeEEEZZNS1_29radix_sort_onesweep_iterationIS3_Lb0EN6thrust23THRUST_200600_302600_NS6detail15normal_iteratorINS9_10device_ptrIfEEEESE_PS5_SF_jNS0_19identity_decomposerENS1_16block_id_wrapperIjLb0EEEEE10hipError_tT1_PNSt15iterator_traitsISK_E10value_typeET2_T3_PNSL_ISQ_E10value_typeET4_T5_PSV_SW_PNS1_23onesweep_lookback_stateEbbT6_jjT7_P12ihipStream_tbENKUlT_T0_SK_SP_E_clIPfSE_SF_SF_EEDaS13_S14_SK_SP_EUlS13_E_NS1_11comp_targetILNS1_3genE0ELNS1_11target_archE4294967295ELNS1_3gpuE0ELNS1_3repE0EEENS1_47radix_sort_onesweep_sort_config_static_selectorELNS0_4arch9wavefront6targetE1EEEvSK_.numbered_sgpr, 0
	.set _ZN7rocprim17ROCPRIM_400000_NS6detail17trampoline_kernelINS0_14default_configENS1_35radix_sort_onesweep_config_selectorIfNS0_10empty_typeEEEZZNS1_29radix_sort_onesweep_iterationIS3_Lb0EN6thrust23THRUST_200600_302600_NS6detail15normal_iteratorINS9_10device_ptrIfEEEESE_PS5_SF_jNS0_19identity_decomposerENS1_16block_id_wrapperIjLb0EEEEE10hipError_tT1_PNSt15iterator_traitsISK_E10value_typeET2_T3_PNSL_ISQ_E10value_typeET4_T5_PSV_SW_PNS1_23onesweep_lookback_stateEbbT6_jjT7_P12ihipStream_tbENKUlT_T0_SK_SP_E_clIPfSE_SF_SF_EEDaS13_S14_SK_SP_EUlS13_E_NS1_11comp_targetILNS1_3genE0ELNS1_11target_archE4294967295ELNS1_3gpuE0ELNS1_3repE0EEENS1_47radix_sort_onesweep_sort_config_static_selectorELNS0_4arch9wavefront6targetE1EEEvSK_.num_named_barrier, 0
	.set _ZN7rocprim17ROCPRIM_400000_NS6detail17trampoline_kernelINS0_14default_configENS1_35radix_sort_onesweep_config_selectorIfNS0_10empty_typeEEEZZNS1_29radix_sort_onesweep_iterationIS3_Lb0EN6thrust23THRUST_200600_302600_NS6detail15normal_iteratorINS9_10device_ptrIfEEEESE_PS5_SF_jNS0_19identity_decomposerENS1_16block_id_wrapperIjLb0EEEEE10hipError_tT1_PNSt15iterator_traitsISK_E10value_typeET2_T3_PNSL_ISQ_E10value_typeET4_T5_PSV_SW_PNS1_23onesweep_lookback_stateEbbT6_jjT7_P12ihipStream_tbENKUlT_T0_SK_SP_E_clIPfSE_SF_SF_EEDaS13_S14_SK_SP_EUlS13_E_NS1_11comp_targetILNS1_3genE0ELNS1_11target_archE4294967295ELNS1_3gpuE0ELNS1_3repE0EEENS1_47radix_sort_onesweep_sort_config_static_selectorELNS0_4arch9wavefront6targetE1EEEvSK_.private_seg_size, 0
	.set _ZN7rocprim17ROCPRIM_400000_NS6detail17trampoline_kernelINS0_14default_configENS1_35radix_sort_onesweep_config_selectorIfNS0_10empty_typeEEEZZNS1_29radix_sort_onesweep_iterationIS3_Lb0EN6thrust23THRUST_200600_302600_NS6detail15normal_iteratorINS9_10device_ptrIfEEEESE_PS5_SF_jNS0_19identity_decomposerENS1_16block_id_wrapperIjLb0EEEEE10hipError_tT1_PNSt15iterator_traitsISK_E10value_typeET2_T3_PNSL_ISQ_E10value_typeET4_T5_PSV_SW_PNS1_23onesweep_lookback_stateEbbT6_jjT7_P12ihipStream_tbENKUlT_T0_SK_SP_E_clIPfSE_SF_SF_EEDaS13_S14_SK_SP_EUlS13_E_NS1_11comp_targetILNS1_3genE0ELNS1_11target_archE4294967295ELNS1_3gpuE0ELNS1_3repE0EEENS1_47radix_sort_onesweep_sort_config_static_selectorELNS0_4arch9wavefront6targetE1EEEvSK_.uses_vcc, 0
	.set _ZN7rocprim17ROCPRIM_400000_NS6detail17trampoline_kernelINS0_14default_configENS1_35radix_sort_onesweep_config_selectorIfNS0_10empty_typeEEEZZNS1_29radix_sort_onesweep_iterationIS3_Lb0EN6thrust23THRUST_200600_302600_NS6detail15normal_iteratorINS9_10device_ptrIfEEEESE_PS5_SF_jNS0_19identity_decomposerENS1_16block_id_wrapperIjLb0EEEEE10hipError_tT1_PNSt15iterator_traitsISK_E10value_typeET2_T3_PNSL_ISQ_E10value_typeET4_T5_PSV_SW_PNS1_23onesweep_lookback_stateEbbT6_jjT7_P12ihipStream_tbENKUlT_T0_SK_SP_E_clIPfSE_SF_SF_EEDaS13_S14_SK_SP_EUlS13_E_NS1_11comp_targetILNS1_3genE0ELNS1_11target_archE4294967295ELNS1_3gpuE0ELNS1_3repE0EEENS1_47radix_sort_onesweep_sort_config_static_selectorELNS0_4arch9wavefront6targetE1EEEvSK_.uses_flat_scratch, 0
	.set _ZN7rocprim17ROCPRIM_400000_NS6detail17trampoline_kernelINS0_14default_configENS1_35radix_sort_onesweep_config_selectorIfNS0_10empty_typeEEEZZNS1_29radix_sort_onesweep_iterationIS3_Lb0EN6thrust23THRUST_200600_302600_NS6detail15normal_iteratorINS9_10device_ptrIfEEEESE_PS5_SF_jNS0_19identity_decomposerENS1_16block_id_wrapperIjLb0EEEEE10hipError_tT1_PNSt15iterator_traitsISK_E10value_typeET2_T3_PNSL_ISQ_E10value_typeET4_T5_PSV_SW_PNS1_23onesweep_lookback_stateEbbT6_jjT7_P12ihipStream_tbENKUlT_T0_SK_SP_E_clIPfSE_SF_SF_EEDaS13_S14_SK_SP_EUlS13_E_NS1_11comp_targetILNS1_3genE0ELNS1_11target_archE4294967295ELNS1_3gpuE0ELNS1_3repE0EEENS1_47radix_sort_onesweep_sort_config_static_selectorELNS0_4arch9wavefront6targetE1EEEvSK_.has_dyn_sized_stack, 0
	.set _ZN7rocprim17ROCPRIM_400000_NS6detail17trampoline_kernelINS0_14default_configENS1_35radix_sort_onesweep_config_selectorIfNS0_10empty_typeEEEZZNS1_29radix_sort_onesweep_iterationIS3_Lb0EN6thrust23THRUST_200600_302600_NS6detail15normal_iteratorINS9_10device_ptrIfEEEESE_PS5_SF_jNS0_19identity_decomposerENS1_16block_id_wrapperIjLb0EEEEE10hipError_tT1_PNSt15iterator_traitsISK_E10value_typeET2_T3_PNSL_ISQ_E10value_typeET4_T5_PSV_SW_PNS1_23onesweep_lookback_stateEbbT6_jjT7_P12ihipStream_tbENKUlT_T0_SK_SP_E_clIPfSE_SF_SF_EEDaS13_S14_SK_SP_EUlS13_E_NS1_11comp_targetILNS1_3genE0ELNS1_11target_archE4294967295ELNS1_3gpuE0ELNS1_3repE0EEENS1_47radix_sort_onesweep_sort_config_static_selectorELNS0_4arch9wavefront6targetE1EEEvSK_.has_recursion, 0
	.set _ZN7rocprim17ROCPRIM_400000_NS6detail17trampoline_kernelINS0_14default_configENS1_35radix_sort_onesweep_config_selectorIfNS0_10empty_typeEEEZZNS1_29radix_sort_onesweep_iterationIS3_Lb0EN6thrust23THRUST_200600_302600_NS6detail15normal_iteratorINS9_10device_ptrIfEEEESE_PS5_SF_jNS0_19identity_decomposerENS1_16block_id_wrapperIjLb0EEEEE10hipError_tT1_PNSt15iterator_traitsISK_E10value_typeET2_T3_PNSL_ISQ_E10value_typeET4_T5_PSV_SW_PNS1_23onesweep_lookback_stateEbbT6_jjT7_P12ihipStream_tbENKUlT_T0_SK_SP_E_clIPfSE_SF_SF_EEDaS13_S14_SK_SP_EUlS13_E_NS1_11comp_targetILNS1_3genE0ELNS1_11target_archE4294967295ELNS1_3gpuE0ELNS1_3repE0EEENS1_47radix_sort_onesweep_sort_config_static_selectorELNS0_4arch9wavefront6targetE1EEEvSK_.has_indirect_call, 0
	.section	.AMDGPU.csdata,"",@progbits
; Kernel info:
; codeLenInByte = 0
; TotalNumSgprs: 6
; NumVgprs: 0
; NumAgprs: 0
; TotalNumVgprs: 0
; ScratchSize: 0
; MemoryBound: 0
; FloatMode: 240
; IeeeMode: 1
; LDSByteSize: 0 bytes/workgroup (compile time only)
; SGPRBlocks: 0
; VGPRBlocks: 0
; NumSGPRsForWavesPerEU: 6
; NumVGPRsForWavesPerEU: 1
; AccumOffset: 4
; Occupancy: 8
; WaveLimiterHint : 0
; COMPUTE_PGM_RSRC2:SCRATCH_EN: 0
; COMPUTE_PGM_RSRC2:USER_SGPR: 2
; COMPUTE_PGM_RSRC2:TRAP_HANDLER: 0
; COMPUTE_PGM_RSRC2:TGID_X_EN: 1
; COMPUTE_PGM_RSRC2:TGID_Y_EN: 0
; COMPUTE_PGM_RSRC2:TGID_Z_EN: 0
; COMPUTE_PGM_RSRC2:TIDIG_COMP_CNT: 0
; COMPUTE_PGM_RSRC3_GFX90A:ACCUM_OFFSET: 0
; COMPUTE_PGM_RSRC3_GFX90A:TG_SPLIT: 0
	.section	.text._ZN7rocprim17ROCPRIM_400000_NS6detail17trampoline_kernelINS0_14default_configENS1_35radix_sort_onesweep_config_selectorIfNS0_10empty_typeEEEZZNS1_29radix_sort_onesweep_iterationIS3_Lb0EN6thrust23THRUST_200600_302600_NS6detail15normal_iteratorINS9_10device_ptrIfEEEESE_PS5_SF_jNS0_19identity_decomposerENS1_16block_id_wrapperIjLb0EEEEE10hipError_tT1_PNSt15iterator_traitsISK_E10value_typeET2_T3_PNSL_ISQ_E10value_typeET4_T5_PSV_SW_PNS1_23onesweep_lookback_stateEbbT6_jjT7_P12ihipStream_tbENKUlT_T0_SK_SP_E_clIPfSE_SF_SF_EEDaS13_S14_SK_SP_EUlS13_E_NS1_11comp_targetILNS1_3genE6ELNS1_11target_archE950ELNS1_3gpuE13ELNS1_3repE0EEENS1_47radix_sort_onesweep_sort_config_static_selectorELNS0_4arch9wavefront6targetE1EEEvSK_,"axG",@progbits,_ZN7rocprim17ROCPRIM_400000_NS6detail17trampoline_kernelINS0_14default_configENS1_35radix_sort_onesweep_config_selectorIfNS0_10empty_typeEEEZZNS1_29radix_sort_onesweep_iterationIS3_Lb0EN6thrust23THRUST_200600_302600_NS6detail15normal_iteratorINS9_10device_ptrIfEEEESE_PS5_SF_jNS0_19identity_decomposerENS1_16block_id_wrapperIjLb0EEEEE10hipError_tT1_PNSt15iterator_traitsISK_E10value_typeET2_T3_PNSL_ISQ_E10value_typeET4_T5_PSV_SW_PNS1_23onesweep_lookback_stateEbbT6_jjT7_P12ihipStream_tbENKUlT_T0_SK_SP_E_clIPfSE_SF_SF_EEDaS13_S14_SK_SP_EUlS13_E_NS1_11comp_targetILNS1_3genE6ELNS1_11target_archE950ELNS1_3gpuE13ELNS1_3repE0EEENS1_47radix_sort_onesweep_sort_config_static_selectorELNS0_4arch9wavefront6targetE1EEEvSK_,comdat
	.protected	_ZN7rocprim17ROCPRIM_400000_NS6detail17trampoline_kernelINS0_14default_configENS1_35radix_sort_onesweep_config_selectorIfNS0_10empty_typeEEEZZNS1_29radix_sort_onesweep_iterationIS3_Lb0EN6thrust23THRUST_200600_302600_NS6detail15normal_iteratorINS9_10device_ptrIfEEEESE_PS5_SF_jNS0_19identity_decomposerENS1_16block_id_wrapperIjLb0EEEEE10hipError_tT1_PNSt15iterator_traitsISK_E10value_typeET2_T3_PNSL_ISQ_E10value_typeET4_T5_PSV_SW_PNS1_23onesweep_lookback_stateEbbT6_jjT7_P12ihipStream_tbENKUlT_T0_SK_SP_E_clIPfSE_SF_SF_EEDaS13_S14_SK_SP_EUlS13_E_NS1_11comp_targetILNS1_3genE6ELNS1_11target_archE950ELNS1_3gpuE13ELNS1_3repE0EEENS1_47radix_sort_onesweep_sort_config_static_selectorELNS0_4arch9wavefront6targetE1EEEvSK_ ; -- Begin function _ZN7rocprim17ROCPRIM_400000_NS6detail17trampoline_kernelINS0_14default_configENS1_35radix_sort_onesweep_config_selectorIfNS0_10empty_typeEEEZZNS1_29radix_sort_onesweep_iterationIS3_Lb0EN6thrust23THRUST_200600_302600_NS6detail15normal_iteratorINS9_10device_ptrIfEEEESE_PS5_SF_jNS0_19identity_decomposerENS1_16block_id_wrapperIjLb0EEEEE10hipError_tT1_PNSt15iterator_traitsISK_E10value_typeET2_T3_PNSL_ISQ_E10value_typeET4_T5_PSV_SW_PNS1_23onesweep_lookback_stateEbbT6_jjT7_P12ihipStream_tbENKUlT_T0_SK_SP_E_clIPfSE_SF_SF_EEDaS13_S14_SK_SP_EUlS13_E_NS1_11comp_targetILNS1_3genE6ELNS1_11target_archE950ELNS1_3gpuE13ELNS1_3repE0EEENS1_47radix_sort_onesweep_sort_config_static_selectorELNS0_4arch9wavefront6targetE1EEEvSK_
	.globl	_ZN7rocprim17ROCPRIM_400000_NS6detail17trampoline_kernelINS0_14default_configENS1_35radix_sort_onesweep_config_selectorIfNS0_10empty_typeEEEZZNS1_29radix_sort_onesweep_iterationIS3_Lb0EN6thrust23THRUST_200600_302600_NS6detail15normal_iteratorINS9_10device_ptrIfEEEESE_PS5_SF_jNS0_19identity_decomposerENS1_16block_id_wrapperIjLb0EEEEE10hipError_tT1_PNSt15iterator_traitsISK_E10value_typeET2_T3_PNSL_ISQ_E10value_typeET4_T5_PSV_SW_PNS1_23onesweep_lookback_stateEbbT6_jjT7_P12ihipStream_tbENKUlT_T0_SK_SP_E_clIPfSE_SF_SF_EEDaS13_S14_SK_SP_EUlS13_E_NS1_11comp_targetILNS1_3genE6ELNS1_11target_archE950ELNS1_3gpuE13ELNS1_3repE0EEENS1_47radix_sort_onesweep_sort_config_static_selectorELNS0_4arch9wavefront6targetE1EEEvSK_
	.p2align	8
	.type	_ZN7rocprim17ROCPRIM_400000_NS6detail17trampoline_kernelINS0_14default_configENS1_35radix_sort_onesweep_config_selectorIfNS0_10empty_typeEEEZZNS1_29radix_sort_onesweep_iterationIS3_Lb0EN6thrust23THRUST_200600_302600_NS6detail15normal_iteratorINS9_10device_ptrIfEEEESE_PS5_SF_jNS0_19identity_decomposerENS1_16block_id_wrapperIjLb0EEEEE10hipError_tT1_PNSt15iterator_traitsISK_E10value_typeET2_T3_PNSL_ISQ_E10value_typeET4_T5_PSV_SW_PNS1_23onesweep_lookback_stateEbbT6_jjT7_P12ihipStream_tbENKUlT_T0_SK_SP_E_clIPfSE_SF_SF_EEDaS13_S14_SK_SP_EUlS13_E_NS1_11comp_targetILNS1_3genE6ELNS1_11target_archE950ELNS1_3gpuE13ELNS1_3repE0EEENS1_47radix_sort_onesweep_sort_config_static_selectorELNS0_4arch9wavefront6targetE1EEEvSK_,@function
_ZN7rocprim17ROCPRIM_400000_NS6detail17trampoline_kernelINS0_14default_configENS1_35radix_sort_onesweep_config_selectorIfNS0_10empty_typeEEEZZNS1_29radix_sort_onesweep_iterationIS3_Lb0EN6thrust23THRUST_200600_302600_NS6detail15normal_iteratorINS9_10device_ptrIfEEEESE_PS5_SF_jNS0_19identity_decomposerENS1_16block_id_wrapperIjLb0EEEEE10hipError_tT1_PNSt15iterator_traitsISK_E10value_typeET2_T3_PNSL_ISQ_E10value_typeET4_T5_PSV_SW_PNS1_23onesweep_lookback_stateEbbT6_jjT7_P12ihipStream_tbENKUlT_T0_SK_SP_E_clIPfSE_SF_SF_EEDaS13_S14_SK_SP_EUlS13_E_NS1_11comp_targetILNS1_3genE6ELNS1_11target_archE950ELNS1_3gpuE13ELNS1_3repE0EEENS1_47radix_sort_onesweep_sort_config_static_selectorELNS0_4arch9wavefront6targetE1EEEvSK_: ; @_ZN7rocprim17ROCPRIM_400000_NS6detail17trampoline_kernelINS0_14default_configENS1_35radix_sort_onesweep_config_selectorIfNS0_10empty_typeEEEZZNS1_29radix_sort_onesweep_iterationIS3_Lb0EN6thrust23THRUST_200600_302600_NS6detail15normal_iteratorINS9_10device_ptrIfEEEESE_PS5_SF_jNS0_19identity_decomposerENS1_16block_id_wrapperIjLb0EEEEE10hipError_tT1_PNSt15iterator_traitsISK_E10value_typeET2_T3_PNSL_ISQ_E10value_typeET4_T5_PSV_SW_PNS1_23onesweep_lookback_stateEbbT6_jjT7_P12ihipStream_tbENKUlT_T0_SK_SP_E_clIPfSE_SF_SF_EEDaS13_S14_SK_SP_EUlS13_E_NS1_11comp_targetILNS1_3genE6ELNS1_11target_archE950ELNS1_3gpuE13ELNS1_3repE0EEENS1_47radix_sort_onesweep_sort_config_static_selectorELNS0_4arch9wavefront6targetE1EEEvSK_
; %bb.0:
	s_load_dwordx2 s[28:29], s[0:1], 0x38
	s_load_dwordx4 s[20:23], s[0:1], 0x44
	s_load_dwordx4 s[24:27], s[0:1], 0x0
	;; [unrolled: 1-line block ×3, first 2 shown]
	s_mov_b64 s[4:5], -1
	v_mbcnt_lo_u32_b32 v1, -1, 0
	s_waitcnt lgkmcnt(0)
	s_cmp_ge_u32 s2, s22
	s_cbranch_scc0 .LBB605_82
; %bb.1:
	s_load_dword s3, s[0:1], 0x20
	s_lshl_b32 s6, s22, 13
	s_lshl_b32 s4, s2, 13
	s_mov_b32 s5, 0
	v_and_b32_e32 v10, 0x3ff, v0
	s_waitcnt lgkmcnt(0)
	s_sub_i32 s3, s3, s6
	s_lshl_b64 s[4:5], s[4:5], 2
	v_mbcnt_hi_u32_b32 v16, -1, v1
	s_add_u32 s4, s24, s4
	v_and_b32_e32 v6, 63, v16
	v_lshlrev_b32_e32 v2, 3, v10
	s_addc_u32 s5, s25, s5
	v_and_b32_e32 v7, 0x1e00, v2
	v_lshlrev_b32_e32 v2, 2, v6
	v_mov_b32_e32 v3, 0
	v_lshl_add_u64 v[4:5], s[4:5], 0, v[2:3]
	v_lshlrev_b32_e32 v2, 2, v7
	v_lshl_add_u64 v[12:13], v[4:5], 0, v[2:3]
	v_or_b32_e32 v11, v6, v7
	v_bfrev_b32_e32 v2, -2
	v_cmp_gt_u32_e32 vcc, s3, v11
	v_mov_b32_e32 v3, v2
	v_mov_b32_e32 v4, v2
	;; [unrolled: 1-line block ×7, first 2 shown]
	s_and_saveexec_b64 s[4:5], vcc
	s_cbranch_execz .LBB605_3
; %bb.2:
	global_load_dword v18, v[12:13], off
	v_mov_b32_e32 v19, v2
	v_mov_b32_e32 v20, v2
	;; [unrolled: 1-line block ×7, first 2 shown]
	s_waitcnt vmcnt(0)
	v_mov_b64_e32 v[2:3], v[18:19]
	v_mov_b64_e32 v[4:5], v[20:21]
	;; [unrolled: 1-line block ×4, first 2 shown]
.LBB605_3:
	s_or_b64 exec, exec, s[4:5]
	v_or_b32_e32 v14, 64, v11
	v_cmp_gt_u32_e32 vcc, s3, v14
	s_and_saveexec_b64 s[4:5], vcc
	s_cbranch_execz .LBB605_5
; %bb.4:
	global_load_dword v3, v[12:13], off offset:256
.LBB605_5:
	s_or_b64 exec, exec, s[4:5]
	v_or_b32_e32 v14, 0x80, v11
	v_cmp_gt_u32_e32 vcc, s3, v14
	s_and_saveexec_b64 s[4:5], vcc
	s_cbranch_execz .LBB605_7
; %bb.6:
	global_load_dword v4, v[12:13], off offset:512
.LBB605_7:
	;; [unrolled: 8-line block ×7, first 2 shown]
	s_or_b64 exec, exec, s[4:5]
	s_load_dword s4, s[0:1], 0x64
	s_load_dword s22, s[0:1], 0x58
	s_add_u32 s5, s0, 0x58
	s_addc_u32 s6, s1, 0
	v_mov_b32_e32 v13, 0
	s_waitcnt lgkmcnt(0)
	s_lshr_b32 s7, s4, 16
	s_cmp_lt_u32 s2, s22
	s_cselect_b32 s4, 12, 18
	s_add_u32 s4, s5, s4
	s_addc_u32 s5, s6, 0
	global_load_ushort v18, v13, s[4:5]
	v_bfrev_b32_e32 v19, 1
	v_cmp_lt_i32_e32 vcc, -1, v2
	s_brev_b32 s30, -2
	s_lshl_b32 s4, -1, s21
	v_cndmask_b32_e32 v11, -1, v19, vcc
	v_xor_b32_e32 v11, v11, v2
	v_cmp_ne_u32_e32 vcc, s30, v11
	v_bfe_u32 v12, v0, 10, 10
	v_bfe_u32 v15, v0, 20, 10
	v_cndmask_b32_e32 v2, v19, v11, vcc
	v_lshrrev_b32_e32 v2, s20, v2
	v_bitop3_b32 v2, v2, s4, v2 bitop3:0x30
	v_mad_u32_u24 v32, v15, s7, v12
	v_and_b32_e32 v12, 1, v2
	v_lshlrev_b32_e32 v15, 30, v2
	v_mov_b32_e32 v14, v13
	v_mov_b32_e32 v22, v13
	v_lshlrev_b32_e32 v21, 29, v2
	v_lshlrev_b32_e32 v23, 28, v2
	v_lshl_add_u64 v[28:29], v[12:13], 0, -1
	v_cmp_ne_u32_e32 vcc, 0, v12
	v_not_b32_e32 v12, v15
	v_mov_b32_e32 v20, v13
	v_mov_b32_e32 v24, v13
	s_not_b32 s23, s4
	v_lshlrev_b32_e32 v25, 27, v2
	v_cmp_gt_i64_e64 s[4:5], 0, v[14:15]
	v_not_b32_e32 v14, v21
	v_cmp_gt_i64_e64 s[8:9], 0, v[22:23]
	v_xor_b32_e32 v22, vcc_hi, v29
	v_ashrrev_i32_e32 v12, 31, v12
	v_cmp_gt_i64_e64 s[6:7], 0, v[20:21]
	v_not_b32_e32 v15, v23
	v_cmp_gt_i64_e64 s[10:11], 0, v[24:25]
	v_xor_b32_e32 v23, vcc_lo, v28
	v_ashrrev_i32_e32 v14, 31, v14
	v_and_b32_e32 v22, exec_hi, v22
	v_xor_b32_e32 v24, s5, v12
	v_mov_b32_e32 v26, v13
	v_lshlrev_b32_e32 v27, 26, v2
	v_not_b32_e32 v20, v25
	v_ashrrev_i32_e32 v15, 31, v15
	v_and_b32_e32 v23, exec_lo, v23
	v_xor_b32_e32 v12, s4, v12
	v_xor_b32_e32 v25, s7, v14
	v_and_b32_e32 v22, v22, v24
	v_cmp_gt_i64_e64 s[12:13], 0, v[26:27]
	v_not_b32_e32 v21, v27
	v_ashrrev_i32_e32 v20, 31, v20
	v_xor_b32_e32 v14, s6, v14
	v_xor_b32_e32 v26, s9, v15
	v_and_b32_e32 v12, v23, v12
	v_and_b32_e32 v22, v22, v25
	v_ashrrev_i32_e32 v21, 31, v21
	v_xor_b32_e32 v15, s8, v15
	v_xor_b32_e32 v27, s11, v20
	v_and_b32_e32 v12, v12, v14
	v_and_b32_e32 v14, v22, v26
	v_xor_b32_e32 v20, s10, v20
	v_xor_b32_e32 v28, s13, v21
	v_and_b32_e32 v12, v12, v15
	v_and_b32_e32 v14, v14, v27
	;; [unrolled: 1-line block ×4, first 2 shown]
	v_lshlrev_b32_e32 v31, 25, v2
	v_mov_b32_e32 v30, v13
	v_cmp_gt_i64_e64 s[14:15], 0, v[30:31]
	v_xor_b32_e32 v21, s12, v21
	s_movk_i32 s31, 0x44
	v_and_b32_e32 v12, v12, v21
	v_mul_lo_u32 v33, v2, s31
	v_mul_u32_u24_e32 v17, 20, v10
	ds_write2_b32 v17, v13, v13 offset0:16 offset1:17
	ds_write2_b32 v17, v13, v13 offset0:18 offset1:19
	ds_write_b32 v17, v13 offset:80
	s_waitcnt lgkmcnt(0)
	s_barrier
	s_waitcnt vmcnt(0)
	; wave barrier
	v_mad_u64_u32 v[14:15], s[4:5], v32, v18, v[10:11]
	v_lshrrev_b32_e32 v14, 4, v14
	v_and_b32_e32 v29, 0xffffffc, v14
	v_not_b32_e32 v14, v31
	v_ashrrev_i32_e32 v14, 31, v14
	v_xor_b32_e32 v15, s15, v14
	v_xor_b32_e32 v14, s14, v14
	v_and_b32_e32 v18, v20, v15
	v_lshlrev_b32_e32 v15, 24, v2
	v_and_b32_e32 v12, v12, v14
	v_mov_b32_e32 v14, v13
	v_not_b32_e32 v2, v15
	v_cmp_gt_i64_e32 vcc, 0, v[14:15]
	v_ashrrev_i32_e32 v2, 31, v2
	v_add_u32_e32 v22, v29, v33
	v_xor_b32_e32 v14, vcc_hi, v2
	v_xor_b32_e32 v2, vcc_lo, v2
	v_and_b32_e32 v15, v18, v14
	v_and_b32_e32 v14, v12, v2
	v_mbcnt_lo_u32_b32 v2, v14, 0
	v_mbcnt_hi_u32_b32 v18, v15, v2
	v_cmp_eq_u32_e32 vcc, 0, v18
	v_cmp_ne_u64_e64 s[4:5], 0, v[14:15]
	s_and_b64 s[6:7], s[4:5], vcc
	s_and_saveexec_b64 s[4:5], s[6:7]
; %bb.18:
	v_bcnt_u32_b32 v2, v14, 0
	v_bcnt_u32_b32 v2, v15, v2
	ds_write_b32 v22, v2 offset:64
; %bb.19:
	s_or_b64 exec, exec, s[4:5]
	v_cmp_lt_i32_e32 vcc, -1, v3
	; wave barrier
	s_nop 1
	v_cndmask_b32_e32 v2, -1, v19, vcc
	v_xor_b32_e32 v14, v2, v3
	v_cmp_ne_u32_e32 vcc, s30, v14
	s_nop 1
	v_cndmask_b32_e32 v2, v19, v14, vcc
	v_lshrrev_b32_e32 v2, s20, v2
	v_and_b32_e32 v15, s23, v2
	v_mul_lo_u32 v2, v15, s31
	v_and_b32_e32 v12, 1, v15
	v_add_u32_e32 v23, v29, v2
	v_lshl_add_u64 v[2:3], v[12:13], 0, -1
	v_cmp_ne_u32_e32 vcc, 0, v12
	ds_read_b32 v19, v23 offset:64
	s_nop 0
	v_xor_b32_e32 v3, vcc_hi, v3
	v_xor_b32_e32 v2, vcc_lo, v2
	v_and_b32_e32 v12, exec_hi, v3
	v_and_b32_e32 v20, exec_lo, v2
	v_lshlrev_b32_e32 v3, 30, v15
	v_mov_b32_e32 v2, v13
	v_cmp_gt_i64_e32 vcc, 0, v[2:3]
	v_not_b32_e32 v2, v3
	v_ashrrev_i32_e32 v2, 31, v2
	v_xor_b32_e32 v3, vcc_hi, v2
	v_xor_b32_e32 v2, vcc_lo, v2
	v_and_b32_e32 v12, v12, v3
	v_and_b32_e32 v20, v20, v2
	v_lshlrev_b32_e32 v3, 29, v15
	v_mov_b32_e32 v2, v13
	v_cmp_gt_i64_e32 vcc, 0, v[2:3]
	v_not_b32_e32 v2, v3
	v_ashrrev_i32_e32 v2, 31, v2
	v_xor_b32_e32 v3, vcc_hi, v2
	v_xor_b32_e32 v2, vcc_lo, v2
	v_and_b32_e32 v12, v12, v3
	v_and_b32_e32 v20, v20, v2
	;; [unrolled: 9-line block ×7, first 2 shown]
	v_mbcnt_lo_u32_b32 v12, v2, 0
	v_mbcnt_hi_u32_b32 v20, v3, v12
	v_cmp_eq_u32_e32 vcc, 0, v20
	v_cmp_ne_u64_e64 s[4:5], 0, v[2:3]
	s_and_b64 s[6:7], s[4:5], vcc
	; wave barrier
	s_and_saveexec_b64 s[4:5], s[6:7]
	s_cbranch_execz .LBB605_21
; %bb.20:
	v_bcnt_u32_b32 v2, v2, 0
	v_bcnt_u32_b32 v2, v3, v2
	s_waitcnt lgkmcnt(0)
	v_add_u32_e32 v2, v19, v2
	ds_write_b32 v23, v2 offset:64
.LBB605_21:
	s_or_b64 exec, exec, s[4:5]
	v_bfrev_b32_e32 v24, 1
	v_cmp_lt_i32_e32 vcc, -1, v4
	s_brev_b32 s6, -2
	s_movk_i32 s7, 0x44
	v_cndmask_b32_e32 v2, -1, v24, vcc
	v_xor_b32_e32 v15, v2, v4
	v_cmp_ne_u32_e32 vcc, s6, v15
	v_mov_b32_e32 v3, 0
	s_nop 0
	v_cndmask_b32_e32 v2, v24, v15, vcc
	v_lshrrev_b32_e32 v2, s20, v2
	v_and_b32_e32 v4, s23, v2
	v_mul_lo_u32 v2, v4, s7
	v_add_u32_e32 v27, v29, v2
	v_and_b32_e32 v2, 1, v4
	v_lshl_add_u64 v[12:13], v[2:3], 0, -1
	v_cmp_ne_u32_e32 vcc, 0, v2
	; wave barrier
	ds_read_b32 v21, v27 offset:64
	s_nop 0
	v_xor_b32_e32 v12, vcc_lo, v12
	v_xor_b32_e32 v2, vcc_hi, v13
	v_and_b32_e32 v25, exec_lo, v12
	v_lshlrev_b32_e32 v13, 30, v4
	v_mov_b32_e32 v12, v3
	v_cmp_gt_i64_e32 vcc, 0, v[12:13]
	v_not_b32_e32 v12, v13
	v_ashrrev_i32_e32 v12, 31, v12
	v_and_b32_e32 v2, exec_hi, v2
	v_xor_b32_e32 v13, vcc_hi, v12
	v_xor_b32_e32 v12, vcc_lo, v12
	v_and_b32_e32 v2, v2, v13
	v_and_b32_e32 v25, v25, v12
	v_lshlrev_b32_e32 v13, 29, v4
	v_mov_b32_e32 v12, v3
	v_cmp_gt_i64_e32 vcc, 0, v[12:13]
	v_not_b32_e32 v12, v13
	v_ashrrev_i32_e32 v12, 31, v12
	v_xor_b32_e32 v13, vcc_hi, v12
	v_xor_b32_e32 v12, vcc_lo, v12
	v_and_b32_e32 v2, v2, v13
	v_and_b32_e32 v25, v25, v12
	v_lshlrev_b32_e32 v13, 28, v4
	v_mov_b32_e32 v12, v3
	v_cmp_gt_i64_e32 vcc, 0, v[12:13]
	v_not_b32_e32 v12, v13
	v_ashrrev_i32_e32 v12, 31, v12
	v_xor_b32_e32 v13, vcc_hi, v12
	v_xor_b32_e32 v12, vcc_lo, v12
	v_and_b32_e32 v2, v2, v13
	v_and_b32_e32 v25, v25, v12
	v_lshlrev_b32_e32 v13, 27, v4
	v_mov_b32_e32 v12, v3
	v_cmp_gt_i64_e32 vcc, 0, v[12:13]
	v_not_b32_e32 v12, v13
	v_ashrrev_i32_e32 v12, 31, v12
	v_xor_b32_e32 v13, vcc_hi, v12
	v_xor_b32_e32 v12, vcc_lo, v12
	v_and_b32_e32 v2, v2, v13
	v_and_b32_e32 v25, v25, v12
	v_lshlrev_b32_e32 v13, 26, v4
	v_mov_b32_e32 v12, v3
	v_cmp_gt_i64_e32 vcc, 0, v[12:13]
	v_not_b32_e32 v12, v13
	v_ashrrev_i32_e32 v12, 31, v12
	v_xor_b32_e32 v13, vcc_hi, v12
	v_xor_b32_e32 v12, vcc_lo, v12
	v_and_b32_e32 v2, v2, v13
	v_and_b32_e32 v25, v25, v12
	v_lshlrev_b32_e32 v13, 25, v4
	v_mov_b32_e32 v12, v3
	v_cmp_gt_i64_e32 vcc, 0, v[12:13]
	v_not_b32_e32 v12, v13
	v_ashrrev_i32_e32 v12, 31, v12
	v_xor_b32_e32 v13, vcc_hi, v12
	v_xor_b32_e32 v12, vcc_lo, v12
	v_and_b32_e32 v2, v2, v13
	v_lshlrev_b32_e32 v13, 24, v4
	v_and_b32_e32 v25, v25, v12
	v_mov_b32_e32 v12, v3
	v_not_b32_e32 v4, v13
	v_cmp_gt_i64_e32 vcc, 0, v[12:13]
	v_ashrrev_i32_e32 v4, 31, v4
	s_nop 0
	v_xor_b32_e32 v12, vcc_hi, v4
	v_xor_b32_e32 v4, vcc_lo, v4
	v_and_b32_e32 v13, v2, v12
	v_and_b32_e32 v12, v25, v4
	v_mbcnt_lo_u32_b32 v2, v12, 0
	v_mbcnt_hi_u32_b32 v25, v13, v2
	v_cmp_eq_u32_e32 vcc, 0, v25
	v_cmp_ne_u64_e64 s[4:5], 0, v[12:13]
	s_and_b64 s[8:9], s[4:5], vcc
	; wave barrier
	s_and_saveexec_b64 s[4:5], s[8:9]
	s_cbranch_execz .LBB605_23
; %bb.22:
	v_bcnt_u32_b32 v2, v12, 0
	v_bcnt_u32_b32 v2, v13, v2
	s_waitcnt lgkmcnt(0)
	v_add_u32_e32 v2, v21, v2
	ds_write_b32 v27, v2 offset:64
.LBB605_23:
	s_or_b64 exec, exec, s[4:5]
	v_cmp_lt_i32_e32 vcc, -1, v5
	; wave barrier
	s_nop 1
	v_cndmask_b32_e32 v2, -1, v24, vcc
	v_xor_b32_e32 v12, v2, v5
	v_cmp_ne_u32_e32 vcc, s6, v12
	s_nop 1
	v_cndmask_b32_e32 v2, v24, v12, vcc
	v_lshrrev_b32_e32 v2, s20, v2
	v_and_b32_e32 v13, s23, v2
	v_mul_lo_u32 v2, v13, s7
	v_add_u32_e32 v31, v29, v2
	v_and_b32_e32 v2, 1, v13
	v_lshl_add_u64 v[4:5], v[2:3], 0, -1
	v_cmp_ne_u32_e32 vcc, 0, v2
	ds_read_b32 v26, v31 offset:64
	s_nop 0
	v_xor_b32_e32 v4, vcc_lo, v4
	v_xor_b32_e32 v2, vcc_hi, v5
	v_and_b32_e32 v24, exec_lo, v4
	v_lshlrev_b32_e32 v5, 30, v13
	v_mov_b32_e32 v4, v3
	v_cmp_gt_i64_e32 vcc, 0, v[4:5]
	v_not_b32_e32 v4, v5
	v_ashrrev_i32_e32 v4, 31, v4
	v_and_b32_e32 v2, exec_hi, v2
	v_xor_b32_e32 v5, vcc_hi, v4
	v_xor_b32_e32 v4, vcc_lo, v4
	v_and_b32_e32 v2, v2, v5
	v_and_b32_e32 v24, v24, v4
	v_lshlrev_b32_e32 v5, 29, v13
	v_mov_b32_e32 v4, v3
	v_cmp_gt_i64_e32 vcc, 0, v[4:5]
	v_not_b32_e32 v4, v5
	v_ashrrev_i32_e32 v4, 31, v4
	v_xor_b32_e32 v5, vcc_hi, v4
	v_xor_b32_e32 v4, vcc_lo, v4
	v_and_b32_e32 v2, v2, v5
	v_and_b32_e32 v24, v24, v4
	v_lshlrev_b32_e32 v5, 28, v13
	v_mov_b32_e32 v4, v3
	v_cmp_gt_i64_e32 vcc, 0, v[4:5]
	v_not_b32_e32 v4, v5
	v_ashrrev_i32_e32 v4, 31, v4
	;; [unrolled: 9-line block ×5, first 2 shown]
	v_xor_b32_e32 v5, vcc_hi, v4
	v_xor_b32_e32 v4, vcc_lo, v4
	v_and_b32_e32 v2, v2, v5
	v_lshlrev_b32_e32 v5, 24, v13
	v_and_b32_e32 v24, v24, v4
	v_mov_b32_e32 v4, v3
	v_not_b32_e32 v3, v5
	v_cmp_gt_i64_e32 vcc, 0, v[4:5]
	v_ashrrev_i32_e32 v3, 31, v3
	; wave barrier
	s_nop 0
	v_xor_b32_e32 v4, vcc_hi, v3
	v_xor_b32_e32 v5, vcc_lo, v3
	v_and_b32_e32 v3, v2, v4
	v_and_b32_e32 v2, v24, v5
	v_mbcnt_lo_u32_b32 v4, v2, 0
	v_mbcnt_hi_u32_b32 v28, v3, v4
	v_cmp_eq_u32_e32 vcc, 0, v28
	v_cmp_ne_u64_e64 s[4:5], 0, v[2:3]
	s_and_b64 s[6:7], s[4:5], vcc
	s_and_saveexec_b64 s[4:5], s[6:7]
	s_cbranch_execz .LBB605_25
; %bb.24:
	v_bcnt_u32_b32 v2, v2, 0
	v_bcnt_u32_b32 v2, v3, v2
	s_waitcnt lgkmcnt(0)
	v_add_u32_e32 v2, v26, v2
	ds_write_b32 v31, v2 offset:64
.LBB605_25:
	s_or_b64 exec, exec, s[4:5]
	v_bfrev_b32_e32 v33, 1
	v_cmp_lt_i32_e32 vcc, -1, v6
	s_brev_b32 s6, -2
	s_movk_i32 s7, 0x44
	v_cndmask_b32_e32 v2, -1, v33, vcc
	v_xor_b32_e32 v13, v2, v6
	v_cmp_ne_u32_e32 vcc, s6, v13
	v_mov_b32_e32 v3, 0
	s_nop 0
	v_cndmask_b32_e32 v2, v33, v13, vcc
	v_lshrrev_b32_e32 v2, s20, v2
	v_and_b32_e32 v24, s23, v2
	v_mul_lo_u32 v2, v24, s7
	v_add_u32_e32 v6, v29, v2
	v_and_b32_e32 v2, 1, v24
	v_lshl_add_u64 v[4:5], v[2:3], 0, -1
	v_cmp_ne_u32_e32 vcc, 0, v2
	; wave barrier
	ds_read_b32 v30, v6 offset:64
	s_nop 0
	v_xor_b32_e32 v4, vcc_lo, v4
	v_xor_b32_e32 v2, vcc_hi, v5
	v_and_b32_e32 v32, exec_lo, v4
	v_lshlrev_b32_e32 v5, 30, v24
	v_mov_b32_e32 v4, v3
	v_cmp_gt_i64_e32 vcc, 0, v[4:5]
	v_not_b32_e32 v4, v5
	v_ashrrev_i32_e32 v4, 31, v4
	v_and_b32_e32 v2, exec_hi, v2
	v_xor_b32_e32 v5, vcc_hi, v4
	v_xor_b32_e32 v4, vcc_lo, v4
	v_and_b32_e32 v2, v2, v5
	v_and_b32_e32 v32, v32, v4
	v_lshlrev_b32_e32 v5, 29, v24
	v_mov_b32_e32 v4, v3
	v_cmp_gt_i64_e32 vcc, 0, v[4:5]
	v_not_b32_e32 v4, v5
	v_ashrrev_i32_e32 v4, 31, v4
	v_xor_b32_e32 v5, vcc_hi, v4
	v_xor_b32_e32 v4, vcc_lo, v4
	v_and_b32_e32 v2, v2, v5
	v_and_b32_e32 v32, v32, v4
	v_lshlrev_b32_e32 v5, 28, v24
	v_mov_b32_e32 v4, v3
	v_cmp_gt_i64_e32 vcc, 0, v[4:5]
	v_not_b32_e32 v4, v5
	v_ashrrev_i32_e32 v4, 31, v4
	;; [unrolled: 9-line block ×6, first 2 shown]
	v_xor_b32_e32 v5, vcc_hi, v4
	v_xor_b32_e32 v4, vcc_lo, v4
	v_and_b32_e32 v4, v32, v4
	v_and_b32_e32 v5, v2, v5
	v_mbcnt_lo_u32_b32 v2, v4, 0
	v_mbcnt_hi_u32_b32 v32, v5, v2
	v_cmp_eq_u32_e32 vcc, 0, v32
	v_cmp_ne_u64_e64 s[4:5], 0, v[4:5]
	s_and_b64 s[8:9], s[4:5], vcc
	; wave barrier
	s_and_saveexec_b64 s[4:5], s[8:9]
	s_cbranch_execz .LBB605_27
; %bb.26:
	v_bcnt_u32_b32 v2, v4, 0
	v_bcnt_u32_b32 v2, v5, v2
	s_waitcnt lgkmcnt(0)
	v_add_u32_e32 v2, v30, v2
	ds_write_b32 v6, v2 offset:64
.LBB605_27:
	s_or_b64 exec, exec, s[4:5]
	v_cmp_lt_i32_e32 vcc, -1, v7
	; wave barrier
	s_nop 1
	v_cndmask_b32_e32 v2, -1, v33, vcc
	v_xor_b32_e32 v24, v2, v7
	v_cmp_ne_u32_e32 vcc, s6, v24
	s_nop 1
	v_cndmask_b32_e32 v2, v33, v24, vcc
	v_lshrrev_b32_e32 v2, s20, v2
	v_and_b32_e32 v34, s23, v2
	v_mul_lo_u32 v2, v34, s7
	v_add_u32_e32 v7, v29, v2
	v_and_b32_e32 v2, 1, v34
	v_lshl_add_u64 v[4:5], v[2:3], 0, -1
	v_cmp_ne_u32_e32 vcc, 0, v2
	ds_read_b32 v33, v7 offset:64
	s_nop 0
	v_xor_b32_e32 v4, vcc_lo, v4
	v_xor_b32_e32 v2, vcc_hi, v5
	v_and_b32_e32 v35, exec_lo, v4
	v_lshlrev_b32_e32 v5, 30, v34
	v_mov_b32_e32 v4, v3
	v_cmp_gt_i64_e32 vcc, 0, v[4:5]
	v_not_b32_e32 v4, v5
	v_ashrrev_i32_e32 v4, 31, v4
	v_and_b32_e32 v2, exec_hi, v2
	v_xor_b32_e32 v5, vcc_hi, v4
	v_xor_b32_e32 v4, vcc_lo, v4
	v_and_b32_e32 v2, v2, v5
	v_and_b32_e32 v35, v35, v4
	v_lshlrev_b32_e32 v5, 29, v34
	v_mov_b32_e32 v4, v3
	v_cmp_gt_i64_e32 vcc, 0, v[4:5]
	v_not_b32_e32 v4, v5
	v_ashrrev_i32_e32 v4, 31, v4
	v_xor_b32_e32 v5, vcc_hi, v4
	v_xor_b32_e32 v4, vcc_lo, v4
	v_and_b32_e32 v2, v2, v5
	v_and_b32_e32 v35, v35, v4
	v_lshlrev_b32_e32 v5, 28, v34
	v_mov_b32_e32 v4, v3
	v_cmp_gt_i64_e32 vcc, 0, v[4:5]
	v_not_b32_e32 v4, v5
	v_ashrrev_i32_e32 v4, 31, v4
	v_xor_b32_e32 v5, vcc_hi, v4
	v_xor_b32_e32 v4, vcc_lo, v4
	v_and_b32_e32 v2, v2, v5
	v_and_b32_e32 v35, v35, v4
	v_lshlrev_b32_e32 v5, 27, v34
	v_mov_b32_e32 v4, v3
	v_cmp_gt_i64_e32 vcc, 0, v[4:5]
	v_not_b32_e32 v4, v5
	v_ashrrev_i32_e32 v4, 31, v4
	v_xor_b32_e32 v5, vcc_hi, v4
	v_xor_b32_e32 v4, vcc_lo, v4
	v_and_b32_e32 v2, v2, v5
	v_and_b32_e32 v35, v35, v4
	v_lshlrev_b32_e32 v5, 26, v34
	v_mov_b32_e32 v4, v3
	v_cmp_gt_i64_e32 vcc, 0, v[4:5]
	v_not_b32_e32 v4, v5
	v_ashrrev_i32_e32 v4, 31, v4
	v_xor_b32_e32 v5, vcc_hi, v4
	v_xor_b32_e32 v4, vcc_lo, v4
	v_and_b32_e32 v2, v2, v5
	v_and_b32_e32 v35, v35, v4
	v_lshlrev_b32_e32 v5, 25, v34
	v_mov_b32_e32 v4, v3
	v_cmp_gt_i64_e32 vcc, 0, v[4:5]
	v_not_b32_e32 v4, v5
	v_ashrrev_i32_e32 v4, 31, v4
	v_xor_b32_e32 v5, vcc_hi, v4
	v_xor_b32_e32 v4, vcc_lo, v4
	v_and_b32_e32 v2, v2, v5
	v_lshlrev_b32_e32 v5, 24, v34
	v_and_b32_e32 v35, v35, v4
	v_mov_b32_e32 v4, v3
	v_not_b32_e32 v3, v5
	v_cmp_gt_i64_e32 vcc, 0, v[4:5]
	v_ashrrev_i32_e32 v3, 31, v3
	; wave barrier
	s_nop 0
	v_xor_b32_e32 v4, vcc_hi, v3
	v_xor_b32_e32 v5, vcc_lo, v3
	v_and_b32_e32 v3, v2, v4
	v_and_b32_e32 v2, v35, v5
	v_mbcnt_lo_u32_b32 v4, v2, 0
	v_mbcnt_hi_u32_b32 v34, v3, v4
	v_cmp_eq_u32_e32 vcc, 0, v34
	v_cmp_ne_u64_e64 s[4:5], 0, v[2:3]
	s_and_b64 s[6:7], s[4:5], vcc
	s_and_saveexec_b64 s[4:5], s[6:7]
	s_cbranch_execz .LBB605_29
; %bb.28:
	v_bcnt_u32_b32 v2, v2, 0
	v_bcnt_u32_b32 v2, v3, v2
	s_waitcnt lgkmcnt(0)
	v_add_u32_e32 v2, v33, v2
	ds_write_b32 v7, v2 offset:64
.LBB605_29:
	s_or_b64 exec, exec, s[4:5]
	v_bfrev_b32_e32 v37, 1
	v_cmp_lt_i32_e32 vcc, -1, v8
	s_brev_b32 s6, -2
	s_movk_i32 s7, 0x44
	v_cndmask_b32_e32 v2, -1, v37, vcc
	v_xor_b32_e32 v8, v2, v8
	v_cmp_ne_u32_e32 vcc, s6, v8
	v_mov_b32_e32 v3, 0
	s_nop 0
	v_cndmask_b32_e32 v2, v37, v8, vcc
	v_lshrrev_b32_e32 v2, s20, v2
	v_and_b32_e32 v36, s23, v2
	v_mul_lo_u32 v2, v36, s7
	v_add_u32_e32 v38, v29, v2
	v_and_b32_e32 v2, 1, v36
	v_lshl_add_u64 v[4:5], v[2:3], 0, -1
	v_cmp_ne_u32_e32 vcc, 0, v2
	; wave barrier
	ds_read_b32 v35, v38 offset:64
	s_nop 0
	v_xor_b32_e32 v4, vcc_lo, v4
	v_xor_b32_e32 v2, vcc_hi, v5
	v_and_b32_e32 v39, exec_lo, v4
	v_lshlrev_b32_e32 v5, 30, v36
	v_mov_b32_e32 v4, v3
	v_cmp_gt_i64_e32 vcc, 0, v[4:5]
	v_not_b32_e32 v4, v5
	v_ashrrev_i32_e32 v4, 31, v4
	v_and_b32_e32 v2, exec_hi, v2
	v_xor_b32_e32 v5, vcc_hi, v4
	v_xor_b32_e32 v4, vcc_lo, v4
	v_and_b32_e32 v2, v2, v5
	v_and_b32_e32 v39, v39, v4
	v_lshlrev_b32_e32 v5, 29, v36
	v_mov_b32_e32 v4, v3
	v_cmp_gt_i64_e32 vcc, 0, v[4:5]
	v_not_b32_e32 v4, v5
	v_ashrrev_i32_e32 v4, 31, v4
	v_xor_b32_e32 v5, vcc_hi, v4
	v_xor_b32_e32 v4, vcc_lo, v4
	v_and_b32_e32 v2, v2, v5
	v_and_b32_e32 v39, v39, v4
	v_lshlrev_b32_e32 v5, 28, v36
	v_mov_b32_e32 v4, v3
	v_cmp_gt_i64_e32 vcc, 0, v[4:5]
	v_not_b32_e32 v4, v5
	v_ashrrev_i32_e32 v4, 31, v4
	;; [unrolled: 9-line block ×6, first 2 shown]
	v_xor_b32_e32 v5, vcc_hi, v4
	v_xor_b32_e32 v4, vcc_lo, v4
	v_and_b32_e32 v4, v39, v4
	v_and_b32_e32 v5, v2, v5
	v_mbcnt_lo_u32_b32 v2, v4, 0
	v_mbcnt_hi_u32_b32 v36, v5, v2
	v_cmp_eq_u32_e32 vcc, 0, v36
	v_cmp_ne_u64_e64 s[4:5], 0, v[4:5]
	s_and_b64 s[8:9], s[4:5], vcc
	; wave barrier
	s_and_saveexec_b64 s[4:5], s[8:9]
	s_cbranch_execz .LBB605_31
; %bb.30:
	v_bcnt_u32_b32 v2, v4, 0
	v_bcnt_u32_b32 v2, v5, v2
	s_waitcnt lgkmcnt(0)
	v_add_u32_e32 v2, v35, v2
	ds_write_b32 v38, v2 offset:64
.LBB605_31:
	s_or_b64 exec, exec, s[4:5]
	v_cmp_lt_i32_e32 vcc, -1, v9
	; wave barrier
	s_nop 1
	v_cndmask_b32_e32 v2, -1, v37, vcc
	v_xor_b32_e32 v9, v2, v9
	v_cmp_ne_u32_e32 vcc, s6, v9
	s_nop 1
	v_cndmask_b32_e32 v2, v37, v9, vcc
	v_lshrrev_b32_e32 v2, s20, v2
	v_and_b32_e32 v39, s23, v2
	v_mul_lo_u32 v2, v39, s7
	v_add_u32_e32 v40, v29, v2
	v_and_b32_e32 v2, 1, v39
	v_lshl_add_u64 v[4:5], v[2:3], 0, -1
	v_cmp_ne_u32_e32 vcc, 0, v2
	ds_read_b32 v37, v40 offset:64
	s_nop 0
	v_xor_b32_e32 v4, vcc_lo, v4
	v_xor_b32_e32 v2, vcc_hi, v5
	v_and_b32_e32 v29, exec_lo, v4
	v_lshlrev_b32_e32 v5, 30, v39
	v_mov_b32_e32 v4, v3
	v_cmp_gt_i64_e32 vcc, 0, v[4:5]
	v_not_b32_e32 v4, v5
	v_ashrrev_i32_e32 v4, 31, v4
	v_and_b32_e32 v2, exec_hi, v2
	v_xor_b32_e32 v5, vcc_hi, v4
	v_xor_b32_e32 v4, vcc_lo, v4
	v_and_b32_e32 v2, v2, v5
	v_and_b32_e32 v29, v29, v4
	v_lshlrev_b32_e32 v5, 29, v39
	v_mov_b32_e32 v4, v3
	v_cmp_gt_i64_e32 vcc, 0, v[4:5]
	v_not_b32_e32 v4, v5
	v_ashrrev_i32_e32 v4, 31, v4
	v_xor_b32_e32 v5, vcc_hi, v4
	v_xor_b32_e32 v4, vcc_lo, v4
	v_and_b32_e32 v2, v2, v5
	v_and_b32_e32 v29, v29, v4
	v_lshlrev_b32_e32 v5, 28, v39
	v_mov_b32_e32 v4, v3
	v_cmp_gt_i64_e32 vcc, 0, v[4:5]
	v_not_b32_e32 v4, v5
	v_ashrrev_i32_e32 v4, 31, v4
	;; [unrolled: 9-line block ×5, first 2 shown]
	v_xor_b32_e32 v5, vcc_hi, v4
	v_xor_b32_e32 v4, vcc_lo, v4
	v_and_b32_e32 v2, v2, v5
	v_lshlrev_b32_e32 v5, 24, v39
	v_and_b32_e32 v29, v29, v4
	v_mov_b32_e32 v4, v3
	v_not_b32_e32 v3, v5
	v_cmp_gt_i64_e32 vcc, 0, v[4:5]
	v_ashrrev_i32_e32 v3, 31, v3
	; wave barrier
	s_nop 0
	v_xor_b32_e32 v4, vcc_hi, v3
	v_xor_b32_e32 v5, vcc_lo, v3
	v_and_b32_e32 v3, v2, v4
	v_and_b32_e32 v2, v29, v5
	v_mbcnt_lo_u32_b32 v4, v2, 0
	v_mbcnt_hi_u32_b32 v39, v3, v4
	v_cmp_eq_u32_e32 vcc, 0, v39
	v_cmp_ne_u64_e64 s[4:5], 0, v[2:3]
	s_and_b64 s[6:7], s[4:5], vcc
	s_and_saveexec_b64 s[4:5], s[6:7]
	s_cbranch_execz .LBB605_33
; %bb.32:
	v_bcnt_u32_b32 v2, v2, 0
	v_bcnt_u32_b32 v2, v3, v2
	s_waitcnt lgkmcnt(0)
	v_add_u32_e32 v2, v37, v2
	ds_write_b32 v40, v2 offset:64
.LBB605_33:
	s_or_b64 exec, exec, s[4:5]
	; wave barrier
	s_waitcnt lgkmcnt(0)
	s_barrier
	ds_read2_b32 v[4:5], v17 offset0:16 offset1:17
	ds_read2_b32 v[2:3], v17 offset0:18 offset1:19
	ds_read_b32 v29, v17 offset:80
	v_cmp_lt_u32_e64 s[10:11], 31, v16
	s_waitcnt lgkmcnt(1)
	v_add3_u32 v41, v5, v4, v2
	s_waitcnt lgkmcnt(0)
	v_add3_u32 v29, v41, v3, v29
	v_and_b32_e32 v41, 15, v16
	v_cmp_eq_u32_e32 vcc, 0, v41
	v_mov_b32_dpp v42, v29 row_shr:1 row_mask:0xf bank_mask:0xf
	v_cmp_lt_u32_e64 s[8:9], 1, v41
	v_cndmask_b32_e64 v42, v42, 0, vcc
	v_add_u32_e32 v29, v42, v29
	v_cmp_lt_u32_e64 s[4:5], 3, v41
	v_cmp_lt_u32_e64 s[6:7], 7, v41
	v_mov_b32_dpp v42, v29 row_shr:2 row_mask:0xf bank_mask:0xf
	v_cndmask_b32_e64 v42, 0, v42, s[8:9]
	v_add_u32_e32 v29, v29, v42
	s_nop 1
	v_mov_b32_dpp v42, v29 row_shr:4 row_mask:0xf bank_mask:0xf
	v_cndmask_b32_e64 v42, 0, v42, s[4:5]
	v_add_u32_e32 v29, v29, v42
	s_nop 1
	v_mov_b32_dpp v42, v29 row_shr:8 row_mask:0xf bank_mask:0xf
	v_cndmask_b32_e64 v41, 0, v42, s[6:7]
	v_add_u32_e32 v29, v29, v41
	v_bfe_i32 v42, v16, 4, 1
	s_nop 0
	v_mov_b32_dpp v41, v29 row_bcast:15 row_mask:0xf bank_mask:0xf
	v_and_b32_e32 v41, v42, v41
	v_add_u32_e32 v29, v29, v41
	v_lshrrev_b32_e32 v42, 6, v10
	s_nop 0
	v_mov_b32_dpp v41, v29 row_bcast:31 row_mask:0xf bank_mask:0xf
	v_cndmask_b32_e64 v41, 0, v41, s[10:11]
	v_add_u32_e32 v41, v29, v41
	v_and_b32_e32 v29, 63, v10
	v_cmp_eq_u32_e64 s[10:11], 63, v29
	s_and_saveexec_b64 s[12:13], s[10:11]
; %bb.34:
	v_lshlrev_b32_e32 v29, 2, v42
	ds_write_b32 v29, v41
; %bb.35:
	s_or_b64 exec, exec, s[12:13]
	v_cmp_gt_u32_e64 s[10:11], 16, v10
	v_lshlrev_b32_e32 v29, 2, v10
	s_waitcnt lgkmcnt(0)
	s_barrier
	s_and_saveexec_b64 s[12:13], s[10:11]
	s_cbranch_execz .LBB605_37
; %bb.36:
	ds_read_b32 v43, v29
	s_waitcnt lgkmcnt(0)
	s_nop 0
	v_mov_b32_dpp v44, v43 row_shr:1 row_mask:0xf bank_mask:0xf
	v_cndmask_b32_e64 v44, v44, 0, vcc
	v_add_u32_e32 v43, v44, v43
	s_nop 1
	v_mov_b32_dpp v44, v43 row_shr:2 row_mask:0xf bank_mask:0xf
	v_cndmask_b32_e64 v44, 0, v44, s[8:9]
	v_add_u32_e32 v43, v43, v44
	s_nop 1
	v_mov_b32_dpp v44, v43 row_shr:4 row_mask:0xf bank_mask:0xf
	v_cndmask_b32_e64 v44, 0, v44, s[4:5]
	;; [unrolled: 4-line block ×3, first 2 shown]
	v_add_u32_e32 v43, v43, v44
	ds_write_b32 v29, v43
.LBB605_37:
	s_or_b64 exec, exec, s[12:13]
	v_cmp_lt_u32_e32 vcc, 63, v10
	v_mov_b32_e32 v43, 0
	s_waitcnt lgkmcnt(0)
	s_barrier
	s_and_saveexec_b64 s[4:5], vcc
; %bb.38:
	v_lshl_add_u32 v42, v42, 2, -4
	ds_read_b32 v43, v42
; %bb.39:
	s_or_b64 exec, exec, s[4:5]
	v_subrev_co_u32_e32 v42, vcc, 1, v16
	v_and_b32_e32 v44, 64, v16
	v_cmp_lt_i32_e64 s[4:5], v42, v44
	s_waitcnt lgkmcnt(0)
	v_add_u32_e32 v41, v43, v41
	s_movk_i32 s6, 0x100
	v_cndmask_b32_e64 v16, v42, v16, s[4:5]
	v_lshlrev_b32_e32 v16, 2, v16
	ds_bpermute_b32 v16, v16, v41
	s_movk_i32 s4, 0xff
	v_cmp_lt_u32_e64 s[4:5], s4, v10
	s_waitcnt lgkmcnt(0)
	v_cndmask_b32_e32 v16, v16, v43, vcc
	v_cmp_ne_u32_e32 vcc, 0, v10
	s_nop 1
	v_cndmask_b32_e32 v16, 0, v16, vcc
	v_add_u32_e32 v4, v16, v4
	v_add_u32_e32 v5, v4, v5
	;; [unrolled: 1-line block ×4, first 2 shown]
	ds_write2_b32 v17, v16, v4 offset0:16 offset1:17
	ds_write2_b32 v17, v5, v2 offset0:18 offset1:19
	ds_write_b32 v17, v3 offset:80
	s_waitcnt lgkmcnt(0)
	s_barrier
	ds_read_b32 v22, v22 offset:64
	ds_read_b32 v23, v23 offset:64
	;; [unrolled: 1-line block ×8, first 2 shown]
	v_cmp_gt_u32_e32 vcc, s6, v10
                                        ; implicit-def: $vgpr16
                                        ; implicit-def: $vgpr17
	s_and_saveexec_b64 s[8:9], vcc
	s_cbranch_execz .LBB605_43
; %bb.40:
	v_mul_u32_u24_e32 v2, 0x44, v10
	ds_read_b32 v16, v2 offset:64
	v_add_u32_e32 v3, 1, v10
	v_cmp_ne_u32_e64 s[6:7], s6, v3
	v_mov_b32_e32 v2, 0x2000
	s_and_saveexec_b64 s[10:11], s[6:7]
; %bb.41:
	v_mul_u32_u24_e32 v2, 0x44, v3
	ds_read_b32 v2, v2 offset:64
; %bb.42:
	s_or_b64 exec, exec, s[10:11]
	s_waitcnt lgkmcnt(0)
	v_sub_u32_e32 v17, v2, v16
.LBB605_43:
	s_or_b64 exec, exec, s[8:9]
	v_mov_b32_e32 v3, 0
	s_waitcnt lgkmcnt(0)
	s_barrier
	s_and_saveexec_b64 s[6:7], vcc
	s_cbranch_execz .LBB605_53
; %bb.44:
	v_lshl_add_u32 v2, s2, 8, v10
	v_lshl_add_u64 v[4:5], v[2:3], 2, s[28:29]
	v_or_b32_e32 v2, 2.0, v17
	s_mov_b64 s[8:9], 0
	s_brev_b32 s14, -4
	s_mov_b32 s15, s2
	v_mov_b32_e32 v43, 0
	global_store_dword v[4:5], v2, off sc1
                                        ; implicit-def: $sgpr10_sgpr11
	s_branch .LBB605_47
.LBB605_45:                             ;   in Loop: Header=BB605_47 Depth=1
	s_or_b64 exec, exec, s[12:13]
.LBB605_46:                             ;   in Loop: Header=BB605_47 Depth=1
	s_or_b64 exec, exec, s[10:11]
	v_and_b32_e32 v6, 0x3fffffff, v2
	v_add_u32_e32 v43, v6, v43
	v_cmp_gt_i32_e64 s[10:11], -2.0, v2
	s_and_b64 s[12:13], exec, s[10:11]
	s_or_b64 s[8:9], s[12:13], s[8:9]
	s_andn2_b64 exec, exec, s[8:9]
	s_cbranch_execz .LBB605_52
.LBB605_47:                             ; =>This Loop Header: Depth=1
                                        ;     Child Loop BB605_50 Depth 2
	s_or_b64 s[10:11], s[10:11], exec
	s_cmp_eq_u32 s15, 0
	s_cbranch_scc1 .LBB605_51
; %bb.48:                               ;   in Loop: Header=BB605_47 Depth=1
	s_add_i32 s15, s15, -1
	v_lshl_or_b32 v2, s15, 8, v10
	v_lshl_add_u64 v[6:7], v[2:3], 2, s[28:29]
	global_load_dword v2, v[6:7], off sc1
	s_waitcnt vmcnt(0)
	v_cmp_gt_u32_e32 vcc, 2.0, v2
	s_and_saveexec_b64 s[10:11], vcc
	s_cbranch_execz .LBB605_46
; %bb.49:                               ;   in Loop: Header=BB605_47 Depth=1
	s_mov_b64 s[12:13], 0
.LBB605_50:                             ;   Parent Loop BB605_47 Depth=1
                                        ; =>  This Inner Loop Header: Depth=2
	global_load_dword v2, v[6:7], off sc1
	s_waitcnt vmcnt(0)
	v_cmp_lt_u32_e32 vcc, s14, v2
	s_or_b64 s[12:13], vcc, s[12:13]
	s_andn2_b64 exec, exec, s[12:13]
	s_cbranch_execnz .LBB605_50
	s_branch .LBB605_45
.LBB605_51:                             ;   in Loop: Header=BB605_47 Depth=1
                                        ; implicit-def: $sgpr15
	s_and_b64 s[12:13], exec, s[10:11]
	s_or_b64 s[8:9], s[12:13], s[8:9]
	s_andn2_b64 exec, exec, s[8:9]
	s_cbranch_execnz .LBB605_47
.LBB605_52:
	s_or_b64 exec, exec, s[8:9]
	v_add_u32_e32 v2, v43, v17
	v_or_b32_e32 v2, 0x80000000, v2
	global_store_dword v[4:5], v2, off sc1
	global_load_dword v2, v29, s[16:17]
	v_sub_u32_e32 v3, v43, v16
	s_waitcnt vmcnt(0)
	v_add_u32_e32 v2, v3, v2
	ds_write_b32 v29, v2
.LBB605_53:
	s_or_b64 exec, exec, s[6:7]
	v_add_u32_e32 v4, v22, v18
	v_add3_u32 v5, v20, v19, v23
	v_add3_u32 v6, v25, v21, v27
	;; [unrolled: 1-line block ×7, first 2 shown]
	v_lshlrev_b32_e32 v22, 2, v21
	v_lshlrev_b32_e32 v23, 2, v20
	;; [unrolled: 1-line block ×8, first 2 shown]
	s_mov_b64 s[6:7], -1
	s_mov_b32 s10, 0
	s_brev_b32 s11, -2
	v_mov_b32_e32 v3, 0
	s_movk_i32 s12, 0x400
	s_movk_i32 s13, 0x800
	;; [unrolled: 1-line block ×3, first 2 shown]
	v_bfrev_b32_e32 v32, 1
	s_branch .LBB605_55
.LBB605_54:                             ;   in Loop: Header=BB605_55 Depth=1
	s_or_b64 exec, exec, s[8:9]
	s_xor_b64 s[8:9], s[6:7], -1
	s_addk_i32 s10, 0xc000
	v_add_u32_e32 v10, 0x1000, v10
	s_mov_b64 s[6:7], 0
	s_and_b64 vcc, exec, s[8:9]
	s_barrier
	s_cbranch_vccnz .LBB605_79
.LBB605_55:                             ; =>This Inner Loop Header: Depth=1
	v_subrev_co_u32_e32 v4, vcc, 0x1000, v4
	s_and_saveexec_b64 s[8:9], vcc
	s_cbranch_execz .LBB605_63
; %bb.56:                               ;   in Loop: Header=BB605_55 Depth=1
	v_add_u32_e32 v2, s10, v31
	ds_write_b32 v2, v11 offset:1024
	s_or_b64 exec, exec, s[8:9]
	v_subrev_co_u32_e32 v5, vcc, 0x1000, v5
	s_and_saveexec_b64 s[8:9], vcc
	s_cbranch_execnz .LBB605_64
.LBB605_57:                             ;   in Loop: Header=BB605_55 Depth=1
	s_or_b64 exec, exec, s[8:9]
	v_subrev_co_u32_e32 v6, vcc, 0x1000, v6
	s_and_saveexec_b64 s[8:9], vcc
	s_cbranch_execz .LBB605_65
.LBB605_58:                             ;   in Loop: Header=BB605_55 Depth=1
	v_add_u32_e32 v2, s10, v28
	ds_write_b32 v2, v15 offset:1024
	s_or_b64 exec, exec, s[8:9]
	v_subrev_co_u32_e32 v7, vcc, 0x1000, v7
	s_and_saveexec_b64 s[8:9], vcc
	s_cbranch_execnz .LBB605_66
.LBB605_59:                             ;   in Loop: Header=BB605_55 Depth=1
	s_or_b64 exec, exec, s[8:9]
	v_subrev_co_u32_e32 v18, vcc, 0x1000, v18
	s_and_saveexec_b64 s[8:9], vcc
	s_cbranch_execz .LBB605_67
.LBB605_60:                             ;   in Loop: Header=BB605_55 Depth=1
	v_add_u32_e32 v2, s10, v26
	ds_write_b32 v2, v13 offset:1024
	s_or_b64 exec, exec, s[8:9]
	v_subrev_co_u32_e32 v19, vcc, 0x1000, v19
	s_and_saveexec_b64 s[8:9], vcc
	s_cbranch_execnz .LBB605_68
.LBB605_61:                             ;   in Loop: Header=BB605_55 Depth=1
	s_or_b64 exec, exec, s[8:9]
	v_subrev_co_u32_e32 v20, vcc, 0x1000, v20
	s_and_saveexec_b64 s[8:9], vcc
	s_cbranch_execz .LBB605_69
.LBB605_62:                             ;   in Loop: Header=BB605_55 Depth=1
	v_add_u32_e32 v2, s10, v23
	ds_write_b32 v2, v8 offset:1024
	s_or_b64 exec, exec, s[8:9]
	v_subrev_co_u32_e32 v21, vcc, 0x1000, v21
	s_and_saveexec_b64 s[8:9], vcc
	s_cbranch_execnz .LBB605_70
	s_branch .LBB605_71
.LBB605_63:                             ;   in Loop: Header=BB605_55 Depth=1
	s_or_b64 exec, exec, s[8:9]
	v_subrev_co_u32_e32 v5, vcc, 0x1000, v5
	s_and_saveexec_b64 s[8:9], vcc
	s_cbranch_execz .LBB605_57
.LBB605_64:                             ;   in Loop: Header=BB605_55 Depth=1
	v_add_u32_e32 v2, s10, v30
	ds_write_b32 v2, v14 offset:1024
	s_or_b64 exec, exec, s[8:9]
	v_subrev_co_u32_e32 v6, vcc, 0x1000, v6
	s_and_saveexec_b64 s[8:9], vcc
	s_cbranch_execnz .LBB605_58
.LBB605_65:                             ;   in Loop: Header=BB605_55 Depth=1
	s_or_b64 exec, exec, s[8:9]
	v_subrev_co_u32_e32 v7, vcc, 0x1000, v7
	s_and_saveexec_b64 s[8:9], vcc
	s_cbranch_execz .LBB605_59
.LBB605_66:                             ;   in Loop: Header=BB605_55 Depth=1
	v_add_u32_e32 v2, s10, v27
	ds_write_b32 v2, v12 offset:1024
	s_or_b64 exec, exec, s[8:9]
	v_subrev_co_u32_e32 v18, vcc, 0x1000, v18
	s_and_saveexec_b64 s[8:9], vcc
	s_cbranch_execnz .LBB605_60
.LBB605_67:                             ;   in Loop: Header=BB605_55 Depth=1
	s_or_b64 exec, exec, s[8:9]
	v_subrev_co_u32_e32 v19, vcc, 0x1000, v19
	s_and_saveexec_b64 s[8:9], vcc
	s_cbranch_execz .LBB605_61
.LBB605_68:                             ;   in Loop: Header=BB605_55 Depth=1
	v_add_u32_e32 v2, s10, v25
	ds_write_b32 v2, v24 offset:1024
	s_or_b64 exec, exec, s[8:9]
	v_subrev_co_u32_e32 v20, vcc, 0x1000, v20
	s_and_saveexec_b64 s[8:9], vcc
	s_cbranch_execnz .LBB605_62
.LBB605_69:                             ;   in Loop: Header=BB605_55 Depth=1
	s_or_b64 exec, exec, s[8:9]
	v_subrev_co_u32_e32 v21, vcc, 0x1000, v21
	s_and_saveexec_b64 s[8:9], vcc
.LBB605_70:                             ;   in Loop: Header=BB605_55 Depth=1
	v_add_u32_e32 v2, s10, v22
	ds_write_b32 v2, v9 offset:1024
.LBB605_71:                             ;   in Loop: Header=BB605_55 Depth=1
	s_or_b64 exec, exec, s[8:9]
	v_cmp_gt_u32_e32 vcc, s3, v10
	s_waitcnt lgkmcnt(0)
	s_barrier
	s_and_saveexec_b64 s[8:9], vcc
	s_cbranch_execz .LBB605_73
; %bb.72:                               ;   in Loop: Header=BB605_55 Depth=1
	ds_read_b32 v2, v29 offset:1024
	s_waitcnt lgkmcnt(0)
	v_cmp_ne_u32_e32 vcc, s11, v2
	s_nop 1
	v_cndmask_b32_e32 v33, v32, v2, vcc
	v_lshrrev_b32_e32 v33, s20, v33
	v_and_b32_e32 v33, s23, v33
	v_lshlrev_b32_e32 v33, 2, v33
	ds_read_b32 v33, v33
	v_cmp_lt_i32_e32 vcc, -1, v2
	s_nop 1
	v_cndmask_b32_e64 v34, v32, -1, vcc
	v_xor_b32_e32 v36, v34, v2
	s_waitcnt lgkmcnt(0)
	v_add_u32_e32 v2, v10, v33
	v_lshl_add_u64 v[34:35], v[2:3], 2, s[26:27]
	global_store_dword v[34:35], v36, off
.LBB605_73:                             ;   in Loop: Header=BB605_55 Depth=1
	s_or_b64 exec, exec, s[8:9]
	v_add_u32_e32 v2, 0x400, v10
	v_cmp_gt_u32_e32 vcc, s3, v2
	s_and_saveexec_b64 s[8:9], vcc
	s_cbranch_execz .LBB605_75
; %bb.74:                               ;   in Loop: Header=BB605_55 Depth=1
	ds_read_b32 v2, v29 offset:5120
	s_waitcnt lgkmcnt(0)
	v_cmp_ne_u32_e32 vcc, s11, v2
	s_nop 1
	v_cndmask_b32_e32 v33, v32, v2, vcc
	v_lshrrev_b32_e32 v33, s20, v33
	v_and_b32_e32 v33, s23, v33
	v_lshlrev_b32_e32 v33, 2, v33
	ds_read_b32 v33, v33
	v_cmp_lt_i32_e32 vcc, -1, v2
	s_nop 1
	v_cndmask_b32_e64 v34, v32, -1, vcc
	v_xor_b32_e32 v36, v34, v2
	s_waitcnt lgkmcnt(0)
	v_add3_u32 v2, v10, v33, s12
	v_lshl_add_u64 v[34:35], v[2:3], 2, s[26:27]
	global_store_dword v[34:35], v36, off
.LBB605_75:                             ;   in Loop: Header=BB605_55 Depth=1
	s_or_b64 exec, exec, s[8:9]
	v_add_u32_e32 v2, 0x800, v10
	v_cmp_gt_u32_e32 vcc, s3, v2
	s_and_saveexec_b64 s[8:9], vcc
	s_cbranch_execz .LBB605_77
; %bb.76:                               ;   in Loop: Header=BB605_55 Depth=1
	ds_read_b32 v2, v29 offset:9216
	s_waitcnt lgkmcnt(0)
	v_cmp_ne_u32_e32 vcc, s11, v2
	s_nop 1
	v_cndmask_b32_e32 v33, v32, v2, vcc
	v_lshrrev_b32_e32 v33, s20, v33
	v_and_b32_e32 v33, s23, v33
	v_lshlrev_b32_e32 v33, 2, v33
	ds_read_b32 v33, v33
	v_cmp_lt_i32_e32 vcc, -1, v2
	s_nop 1
	v_cndmask_b32_e64 v34, v32, -1, vcc
	v_xor_b32_e32 v36, v34, v2
	s_waitcnt lgkmcnt(0)
	v_add3_u32 v2, v10, v33, s13
	v_lshl_add_u64 v[34:35], v[2:3], 2, s[26:27]
	global_store_dword v[34:35], v36, off
.LBB605_77:                             ;   in Loop: Header=BB605_55 Depth=1
	s_or_b64 exec, exec, s[8:9]
	v_add_u32_e32 v2, 0xc00, v10
	v_cmp_gt_u32_e32 vcc, s3, v2
	s_and_saveexec_b64 s[8:9], vcc
	s_cbranch_execz .LBB605_54
; %bb.78:                               ;   in Loop: Header=BB605_55 Depth=1
	ds_read_b32 v2, v29 offset:13312
	s_waitcnt lgkmcnt(0)
	v_cmp_ne_u32_e32 vcc, s11, v2
	s_nop 1
	v_cndmask_b32_e32 v33, v32, v2, vcc
	v_lshrrev_b32_e32 v33, s20, v33
	v_and_b32_e32 v33, s23, v33
	v_lshlrev_b32_e32 v33, 2, v33
	ds_read_b32 v33, v33
	v_cmp_lt_i32_e32 vcc, -1, v2
	s_nop 1
	v_cndmask_b32_e64 v34, v32, -1, vcc
	v_xor_b32_e32 v36, v34, v2
	s_waitcnt lgkmcnt(0)
	v_add3_u32 v2, v10, v33, s14
	v_lshl_add_u64 v[34:35], v[2:3], 2, s[26:27]
	global_store_dword v[34:35], v36, off
	s_branch .LBB605_54
.LBB605_79:
	s_add_i32 s22, s22, -1
	s_cmp_eq_u32 s2, s22
	s_cselect_b64 s[6:7], -1, 0
	s_xor_b64 s[4:5], s[4:5], -1
	s_and_b64 s[6:7], s[4:5], s[6:7]
	s_and_saveexec_b64 s[4:5], s[6:7]
	s_cbranch_execz .LBB605_81
; %bb.80:
	ds_read_b32 v2, v29
	s_waitcnt lgkmcnt(0)
	v_add3_u32 v2, v16, v17, v2
	global_store_dword v29, v2, s[18:19]
.LBB605_81:
	s_or_b64 exec, exec, s[4:5]
	s_mov_b64 s[4:5], 0
.LBB605_82:
	s_and_b64 vcc, exec, s[4:5]
	s_cbranch_vccz .LBB605_139
; %bb.83:
	s_lshl_b32 s4, s2, 13
	s_mov_b32 s5, 0
	s_lshl_b64 s[4:5], s[4:5], 2
	v_mbcnt_hi_u32_b32 v6, -1, v1
	s_add_u32 s4, s24, s4
	v_and_b32_e32 v1, 63, v6
	s_addc_u32 s5, s25, s5
	v_lshlrev_b32_e32 v4, 2, v1
	v_mov_b32_e32 v5, 0
	v_and_b32_e32 v2, 0x3ff, v0
	v_lshl_add_u64 v[8:9], s[4:5], 0, v[4:5]
	s_load_dword s3, s[0:1], 0x58
	s_load_dword s4, s[0:1], 0x64
	v_lshlrev_b32_e32 v1, 5, v2
	v_and_b32_e32 v4, 0x7800, v1
	v_lshl_add_u64 v[16:17], v[8:9], 0, v[4:5]
	global_load_dword v1, v[16:17], off
	s_add_u32 s0, s0, 0x58
	s_addc_u32 s1, s1, 0
	s_waitcnt lgkmcnt(0)
	s_lshr_b32 s4, s4, 16
	s_cmp_lt_u32 s2, s3
	s_cselect_b32 s5, 12, 18
	s_add_u32 s0, s0, s5
	s_addc_u32 s1, s1, 0
	global_load_ushort v4, v5, s[0:1]
	v_mul_u32_u24_e32 v7, 20, v2
	ds_write2_b32 v7, v5, v5 offset0:16 offset1:17
	ds_write2_b32 v7, v5, v5 offset0:18 offset1:19
	ds_write_b32 v7, v5 offset:80
	global_load_dword v8, v[16:17], off offset:256
	global_load_dword v9, v[16:17], off offset:512
	;; [unrolled: 1-line block ×7, first 2 shown]
	v_bfrev_b32_e32 v11, 1
	v_bfe_u32 v3, v0, 10, 10
	v_bfe_u32 v10, v0, 20, 10
	v_mad_u32_u24 v10, v10, s4, v3
	s_brev_b32 s10, -2
	s_lshl_b32 s4, -1, s21
	v_mov_b32_e32 v0, v5
	v_mov_b32_e32 v18, v5
	;; [unrolled: 1-line block ×3, first 2 shown]
	s_not_b32 s12, s4
	v_mov_b32_e32 v28, v5
	s_movk_i32 s11, 0x44
	s_waitcnt lgkmcnt(0)
	s_barrier
	s_waitcnt vmcnt(8)
	; wave barrier
	v_cmp_lt_i32_e32 vcc, -1, v1
	s_nop 1
	v_cndmask_b32_e32 v3, -1, v11, vcc
	v_xor_b32_e32 v3, v3, v1
	v_cmp_ne_u32_e32 vcc, s10, v3
	s_waitcnt vmcnt(7)
	v_mad_u64_u32 v[16:17], s[0:1], v10, v4, v[2:3]
	v_cndmask_b32_e32 v1, v11, v3, vcc
	v_lshrrev_b32_e32 v1, s20, v1
	v_bitop3_b32 v10, v1, s4, v1 bitop3:0x30
	v_and_b32_e32 v4, 1, v10
	v_lshlrev_b32_e32 v1, 30, v10
	v_lshrrev_b32_e32 v13, 4, v16
	v_lshlrev_b32_e32 v19, 29, v10
	v_lshl_add_u64 v[16:17], v[4:5], 0, -1
	v_cmp_ne_u32_e32 vcc, 0, v4
	v_cmp_gt_i64_e64 s[0:1], 0, v[0:1]
	v_not_b32_e32 v0, v1
	v_lshlrev_b32_e32 v27, 28, v10
	v_not_b32_e32 v1, v19
	v_xor_b32_e32 v17, vcc_hi, v17
	v_xor_b32_e32 v16, vcc_lo, v16
	v_ashrrev_i32_e32 v0, 31, v0
	v_lshlrev_b32_e32 v29, 27, v10
	v_cmp_gt_i64_e64 s[4:5], 0, v[18:19]
	v_not_b32_e32 v4, v27
	v_ashrrev_i32_e32 v1, 31, v1
	v_and_b32_e32 v17, exec_hi, v17
	v_and_b32_e32 v16, exec_lo, v16
	v_xor_b32_e32 v18, s1, v0
	v_xor_b32_e32 v0, s0, v0
	v_and_b32_e32 v23, 0xffffffc, v13
	v_cmp_gt_i64_e64 s[6:7], 0, v[26:27]
	v_not_b32_e32 v13, v29
	v_ashrrev_i32_e32 v4, 31, v4
	v_xor_b32_e32 v19, s5, v1
	v_xor_b32_e32 v1, s4, v1
	v_and_b32_e32 v17, v17, v18
	v_and_b32_e32 v0, v16, v0
	v_cmp_gt_i64_e64 s[8:9], 0, v[28:29]
	v_ashrrev_i32_e32 v13, 31, v13
	v_xor_b32_e32 v22, s7, v4
	v_xor_b32_e32 v4, s6, v4
	v_and_b32_e32 v16, v17, v19
	v_and_b32_e32 v0, v0, v1
	;; [unrolled: 1-line block ×4, first 2 shown]
	v_xor_b32_e32 v4, s9, v13
	v_xor_b32_e32 v13, s8, v13
	v_and_b32_e32 v4, v1, v4
	v_and_b32_e32 v13, v0, v13
	v_lshlrev_b32_e32 v1, 26, v10
	v_mov_b32_e32 v0, v5
	v_cmp_gt_i64_e32 vcc, 0, v[0:1]
	v_not_b32_e32 v0, v1
	v_ashrrev_i32_e32 v0, 31, v0
	v_xor_b32_e32 v1, vcc_hi, v0
	v_xor_b32_e32 v0, vcc_lo, v0
	v_and_b32_e32 v4, v4, v1
	v_and_b32_e32 v13, v13, v0
	v_lshlrev_b32_e32 v1, 25, v10
	v_mov_b32_e32 v0, v5
	v_cmp_gt_i64_e32 vcc, 0, v[0:1]
	v_not_b32_e32 v0, v1
	v_ashrrev_i32_e32 v0, 31, v0
	v_xor_b32_e32 v1, vcc_hi, v0
	v_xor_b32_e32 v0, vcc_lo, v0
	;; [unrolled: 9-line block ×3, first 2 shown]
	v_and_b32_e32 v0, v13, v0
	v_and_b32_e32 v1, v4, v1
	v_mbcnt_lo_u32_b32 v4, v0, 0
	v_mul_lo_u32 v14, v10, s11
	v_mbcnt_hi_u32_b32 v10, v1, v4
	v_cmp_eq_u32_e32 vcc, 0, v10
	v_cmp_ne_u64_e64 s[0:1], 0, v[0:1]
	s_and_b64 s[4:5], s[0:1], vcc
	v_add_u32_e32 v16, v23, v14
	s_and_saveexec_b64 s[0:1], s[4:5]
; %bb.84:
	v_bcnt_u32_b32 v0, v0, 0
	v_bcnt_u32_b32 v0, v1, v0
	ds_write_b32 v16, v0 offset:64
; %bb.85:
	s_or_b64 exec, exec, s[0:1]
	s_waitcnt vmcnt(6)
	v_cmp_lt_i32_e32 vcc, -1, v8
	; wave barrier
	s_nop 1
	v_cndmask_b32_e32 v0, -1, v11, vcc
	v_xor_b32_e32 v8, v0, v8
	v_cmp_ne_u32_e32 vcc, s10, v8
	s_nop 1
	v_cndmask_b32_e32 v0, v11, v8, vcc
	v_lshrrev_b32_e32 v0, s20, v0
	v_and_b32_e32 v13, s12, v0
	v_mul_lo_u32 v0, v13, s11
	v_and_b32_e32 v4, 1, v13
	v_add_u32_e32 v17, v23, v0
	v_lshl_add_u64 v[0:1], v[4:5], 0, -1
	v_cmp_ne_u32_e32 vcc, 0, v4
	ds_read_b32 v11, v17 offset:64
	s_nop 0
	v_xor_b32_e32 v1, vcc_hi, v1
	v_xor_b32_e32 v0, vcc_lo, v0
	v_and_b32_e32 v4, exec_hi, v1
	v_and_b32_e32 v14, exec_lo, v0
	v_lshlrev_b32_e32 v1, 30, v13
	v_mov_b32_e32 v0, v5
	v_cmp_gt_i64_e32 vcc, 0, v[0:1]
	v_not_b32_e32 v0, v1
	v_ashrrev_i32_e32 v0, 31, v0
	v_xor_b32_e32 v1, vcc_hi, v0
	v_xor_b32_e32 v0, vcc_lo, v0
	v_and_b32_e32 v4, v4, v1
	v_and_b32_e32 v14, v14, v0
	v_lshlrev_b32_e32 v1, 29, v13
	v_mov_b32_e32 v0, v5
	v_cmp_gt_i64_e32 vcc, 0, v[0:1]
	v_not_b32_e32 v0, v1
	v_ashrrev_i32_e32 v0, 31, v0
	v_xor_b32_e32 v1, vcc_hi, v0
	v_xor_b32_e32 v0, vcc_lo, v0
	v_and_b32_e32 v4, v4, v1
	v_and_b32_e32 v14, v14, v0
	;; [unrolled: 9-line block ×7, first 2 shown]
	v_mbcnt_lo_u32_b32 v4, v0, 0
	v_mbcnt_hi_u32_b32 v13, v1, v4
	v_cmp_eq_u32_e32 vcc, 0, v13
	v_cmp_ne_u64_e64 s[0:1], 0, v[0:1]
	s_and_b64 s[4:5], s[0:1], vcc
	; wave barrier
	s_and_saveexec_b64 s[0:1], s[4:5]
	s_cbranch_execz .LBB605_87
; %bb.86:
	v_bcnt_u32_b32 v0, v0, 0
	v_bcnt_u32_b32 v0, v1, v0
	s_waitcnt lgkmcnt(0)
	v_add_u32_e32 v0, v11, v0
	ds_write_b32 v17, v0 offset:64
.LBB605_87:
	s_or_b64 exec, exec, s[0:1]
	v_bfrev_b32_e32 v19, 1
	s_waitcnt vmcnt(5)
	v_cmp_lt_i32_e32 vcc, -1, v9
	s_brev_b32 s4, -2
	s_movk_i32 s5, 0x44
	v_cndmask_b32_e32 v0, -1, v19, vcc
	v_xor_b32_e32 v9, v0, v9
	v_cmp_ne_u32_e32 vcc, s4, v9
	v_mov_b32_e32 v1, 0
	s_nop 0
	v_cndmask_b32_e32 v0, v19, v9, vcc
	v_lshrrev_b32_e32 v0, s20, v0
	v_and_b32_e32 v18, s12, v0
	v_mul_lo_u32 v0, v18, s5
	v_add_u32_e32 v22, v23, v0
	v_and_b32_e32 v0, 1, v18
	v_lshl_add_u64 v[4:5], v[0:1], 0, -1
	v_cmp_ne_u32_e32 vcc, 0, v0
	; wave barrier
	ds_read_b32 v14, v22 offset:64
	s_nop 0
	v_xor_b32_e32 v4, vcc_lo, v4
	v_xor_b32_e32 v0, vcc_hi, v5
	v_and_b32_e32 v24, exec_lo, v4
	v_lshlrev_b32_e32 v5, 30, v18
	v_mov_b32_e32 v4, v1
	v_cmp_gt_i64_e32 vcc, 0, v[4:5]
	v_not_b32_e32 v4, v5
	v_ashrrev_i32_e32 v4, 31, v4
	v_and_b32_e32 v0, exec_hi, v0
	v_xor_b32_e32 v5, vcc_hi, v4
	v_xor_b32_e32 v4, vcc_lo, v4
	v_and_b32_e32 v0, v0, v5
	v_and_b32_e32 v24, v24, v4
	v_lshlrev_b32_e32 v5, 29, v18
	v_mov_b32_e32 v4, v1
	v_cmp_gt_i64_e32 vcc, 0, v[4:5]
	v_not_b32_e32 v4, v5
	v_ashrrev_i32_e32 v4, 31, v4
	v_xor_b32_e32 v5, vcc_hi, v4
	v_xor_b32_e32 v4, vcc_lo, v4
	v_and_b32_e32 v0, v0, v5
	v_and_b32_e32 v24, v24, v4
	v_lshlrev_b32_e32 v5, 28, v18
	v_mov_b32_e32 v4, v1
	v_cmp_gt_i64_e32 vcc, 0, v[4:5]
	v_not_b32_e32 v4, v5
	v_ashrrev_i32_e32 v4, 31, v4
	;; [unrolled: 9-line block ×6, first 2 shown]
	v_xor_b32_e32 v5, vcc_hi, v4
	v_xor_b32_e32 v4, vcc_lo, v4
	v_and_b32_e32 v4, v24, v4
	v_and_b32_e32 v5, v0, v5
	v_mbcnt_lo_u32_b32 v0, v4, 0
	v_mbcnt_hi_u32_b32 v18, v5, v0
	v_cmp_eq_u32_e32 vcc, 0, v18
	v_cmp_ne_u64_e64 s[0:1], 0, v[4:5]
	s_and_b64 s[6:7], s[0:1], vcc
	; wave barrier
	s_and_saveexec_b64 s[0:1], s[6:7]
	s_cbranch_execz .LBB605_89
; %bb.88:
	v_bcnt_u32_b32 v0, v4, 0
	v_bcnt_u32_b32 v0, v5, v0
	s_waitcnt lgkmcnt(0)
	v_add_u32_e32 v0, v14, v0
	ds_write_b32 v22, v0 offset:64
.LBB605_89:
	s_or_b64 exec, exec, s[0:1]
	s_waitcnt vmcnt(4)
	v_cmp_lt_i32_e32 vcc, -1, v12
	; wave barrier
	s_nop 1
	v_cndmask_b32_e32 v0, -1, v19, vcc
	v_xor_b32_e32 v12, v0, v12
	v_cmp_ne_u32_e32 vcc, s4, v12
	s_nop 1
	v_cndmask_b32_e32 v0, v19, v12, vcc
	v_lshrrev_b32_e32 v0, s20, v0
	v_and_b32_e32 v24, s12, v0
	v_mul_lo_u32 v0, v24, s5
	v_add_u32_e32 v27, v23, v0
	v_and_b32_e32 v0, 1, v24
	v_lshl_add_u64 v[4:5], v[0:1], 0, -1
	v_cmp_ne_u32_e32 vcc, 0, v0
	ds_read_b32 v19, v27 offset:64
	s_nop 0
	v_xor_b32_e32 v4, vcc_lo, v4
	v_xor_b32_e32 v0, vcc_hi, v5
	v_and_b32_e32 v26, exec_lo, v4
	v_lshlrev_b32_e32 v5, 30, v24
	v_mov_b32_e32 v4, v1
	v_cmp_gt_i64_e32 vcc, 0, v[4:5]
	v_not_b32_e32 v4, v5
	v_ashrrev_i32_e32 v4, 31, v4
	v_and_b32_e32 v0, exec_hi, v0
	v_xor_b32_e32 v5, vcc_hi, v4
	v_xor_b32_e32 v4, vcc_lo, v4
	v_and_b32_e32 v0, v0, v5
	v_and_b32_e32 v26, v26, v4
	v_lshlrev_b32_e32 v5, 29, v24
	v_mov_b32_e32 v4, v1
	v_cmp_gt_i64_e32 vcc, 0, v[4:5]
	v_not_b32_e32 v4, v5
	v_ashrrev_i32_e32 v4, 31, v4
	v_xor_b32_e32 v5, vcc_hi, v4
	v_xor_b32_e32 v4, vcc_lo, v4
	v_and_b32_e32 v0, v0, v5
	v_and_b32_e32 v26, v26, v4
	v_lshlrev_b32_e32 v5, 28, v24
	v_mov_b32_e32 v4, v1
	v_cmp_gt_i64_e32 vcc, 0, v[4:5]
	v_not_b32_e32 v4, v5
	v_ashrrev_i32_e32 v4, 31, v4
	;; [unrolled: 9-line block ×5, first 2 shown]
	v_xor_b32_e32 v5, vcc_hi, v4
	v_xor_b32_e32 v4, vcc_lo, v4
	v_and_b32_e32 v0, v0, v5
	v_lshlrev_b32_e32 v5, 24, v24
	v_and_b32_e32 v26, v26, v4
	v_mov_b32_e32 v4, v1
	v_not_b32_e32 v1, v5
	v_cmp_gt_i64_e32 vcc, 0, v[4:5]
	v_ashrrev_i32_e32 v1, 31, v1
	; wave barrier
	s_nop 0
	v_xor_b32_e32 v4, vcc_hi, v1
	v_xor_b32_e32 v5, vcc_lo, v1
	v_and_b32_e32 v1, v0, v4
	v_and_b32_e32 v0, v26, v5
	v_mbcnt_lo_u32_b32 v4, v0, 0
	v_mbcnt_hi_u32_b32 v24, v1, v4
	v_cmp_eq_u32_e32 vcc, 0, v24
	v_cmp_ne_u64_e64 s[0:1], 0, v[0:1]
	s_and_b64 s[4:5], s[0:1], vcc
	s_and_saveexec_b64 s[0:1], s[4:5]
	s_cbranch_execz .LBB605_91
; %bb.90:
	v_bcnt_u32_b32 v0, v0, 0
	v_bcnt_u32_b32 v0, v1, v0
	s_waitcnt lgkmcnt(0)
	v_add_u32_e32 v0, v19, v0
	ds_write_b32 v27, v0 offset:64
.LBB605_91:
	s_or_b64 exec, exec, s[0:1]
	v_bfrev_b32_e32 v29, 1
	s_waitcnt vmcnt(3)
	v_cmp_lt_i32_e32 vcc, -1, v15
	s_brev_b32 s4, -2
	s_movk_i32 s5, 0x44
	v_cndmask_b32_e32 v0, -1, v29, vcc
	v_xor_b32_e32 v15, v0, v15
	v_cmp_ne_u32_e32 vcc, s4, v15
	v_mov_b32_e32 v1, 0
	s_nop 0
	v_cndmask_b32_e32 v0, v29, v15, vcc
	v_lshrrev_b32_e32 v0, s20, v0
	v_and_b32_e32 v28, s12, v0
	v_mul_lo_u32 v0, v28, s5
	v_add_u32_e32 v30, v23, v0
	v_and_b32_e32 v0, 1, v28
	v_lshl_add_u64 v[4:5], v[0:1], 0, -1
	v_cmp_ne_u32_e32 vcc, 0, v0
	; wave barrier
	ds_read_b32 v26, v30 offset:64
	s_nop 0
	v_xor_b32_e32 v4, vcc_lo, v4
	v_xor_b32_e32 v0, vcc_hi, v5
	v_and_b32_e32 v31, exec_lo, v4
	v_lshlrev_b32_e32 v5, 30, v28
	v_mov_b32_e32 v4, v1
	v_cmp_gt_i64_e32 vcc, 0, v[4:5]
	v_not_b32_e32 v4, v5
	v_ashrrev_i32_e32 v4, 31, v4
	v_and_b32_e32 v0, exec_hi, v0
	v_xor_b32_e32 v5, vcc_hi, v4
	v_xor_b32_e32 v4, vcc_lo, v4
	v_and_b32_e32 v0, v0, v5
	v_and_b32_e32 v31, v31, v4
	v_lshlrev_b32_e32 v5, 29, v28
	v_mov_b32_e32 v4, v1
	v_cmp_gt_i64_e32 vcc, 0, v[4:5]
	v_not_b32_e32 v4, v5
	v_ashrrev_i32_e32 v4, 31, v4
	v_xor_b32_e32 v5, vcc_hi, v4
	v_xor_b32_e32 v4, vcc_lo, v4
	v_and_b32_e32 v0, v0, v5
	v_and_b32_e32 v31, v31, v4
	v_lshlrev_b32_e32 v5, 28, v28
	v_mov_b32_e32 v4, v1
	v_cmp_gt_i64_e32 vcc, 0, v[4:5]
	v_not_b32_e32 v4, v5
	v_ashrrev_i32_e32 v4, 31, v4
	;; [unrolled: 9-line block ×6, first 2 shown]
	v_xor_b32_e32 v5, vcc_hi, v4
	v_xor_b32_e32 v4, vcc_lo, v4
	v_and_b32_e32 v4, v31, v4
	v_and_b32_e32 v5, v0, v5
	v_mbcnt_lo_u32_b32 v0, v4, 0
	v_mbcnt_hi_u32_b32 v28, v5, v0
	v_cmp_eq_u32_e32 vcc, 0, v28
	v_cmp_ne_u64_e64 s[0:1], 0, v[4:5]
	s_and_b64 s[6:7], s[0:1], vcc
	; wave barrier
	s_and_saveexec_b64 s[0:1], s[6:7]
	s_cbranch_execz .LBB605_93
; %bb.92:
	v_bcnt_u32_b32 v0, v4, 0
	v_bcnt_u32_b32 v0, v5, v0
	s_waitcnt lgkmcnt(0)
	v_add_u32_e32 v0, v26, v0
	ds_write_b32 v30, v0 offset:64
.LBB605_93:
	s_or_b64 exec, exec, s[0:1]
	s_waitcnt vmcnt(2)
	v_cmp_lt_i32_e32 vcc, -1, v20
	; wave barrier
	s_nop 1
	v_cndmask_b32_e32 v0, -1, v29, vcc
	v_xor_b32_e32 v20, v0, v20
	v_cmp_ne_u32_e32 vcc, s4, v20
	s_nop 1
	v_cndmask_b32_e32 v0, v29, v20, vcc
	v_lshrrev_b32_e32 v0, s20, v0
	v_and_b32_e32 v31, s12, v0
	v_mul_lo_u32 v0, v31, s5
	v_add_u32_e32 v33, v23, v0
	v_and_b32_e32 v0, 1, v31
	v_lshl_add_u64 v[4:5], v[0:1], 0, -1
	v_cmp_ne_u32_e32 vcc, 0, v0
	ds_read_b32 v29, v33 offset:64
	s_nop 0
	v_xor_b32_e32 v4, vcc_lo, v4
	v_xor_b32_e32 v0, vcc_hi, v5
	v_and_b32_e32 v32, exec_lo, v4
	v_lshlrev_b32_e32 v5, 30, v31
	v_mov_b32_e32 v4, v1
	v_cmp_gt_i64_e32 vcc, 0, v[4:5]
	v_not_b32_e32 v4, v5
	v_ashrrev_i32_e32 v4, 31, v4
	v_and_b32_e32 v0, exec_hi, v0
	v_xor_b32_e32 v5, vcc_hi, v4
	v_xor_b32_e32 v4, vcc_lo, v4
	v_and_b32_e32 v0, v0, v5
	v_and_b32_e32 v32, v32, v4
	v_lshlrev_b32_e32 v5, 29, v31
	v_mov_b32_e32 v4, v1
	v_cmp_gt_i64_e32 vcc, 0, v[4:5]
	v_not_b32_e32 v4, v5
	v_ashrrev_i32_e32 v4, 31, v4
	v_xor_b32_e32 v5, vcc_hi, v4
	v_xor_b32_e32 v4, vcc_lo, v4
	v_and_b32_e32 v0, v0, v5
	v_and_b32_e32 v32, v32, v4
	v_lshlrev_b32_e32 v5, 28, v31
	v_mov_b32_e32 v4, v1
	v_cmp_gt_i64_e32 vcc, 0, v[4:5]
	v_not_b32_e32 v4, v5
	v_ashrrev_i32_e32 v4, 31, v4
	;; [unrolled: 9-line block ×5, first 2 shown]
	v_xor_b32_e32 v5, vcc_hi, v4
	v_xor_b32_e32 v4, vcc_lo, v4
	v_and_b32_e32 v0, v0, v5
	v_lshlrev_b32_e32 v5, 24, v31
	v_and_b32_e32 v32, v32, v4
	v_mov_b32_e32 v4, v1
	v_not_b32_e32 v1, v5
	v_cmp_gt_i64_e32 vcc, 0, v[4:5]
	v_ashrrev_i32_e32 v1, 31, v1
	; wave barrier
	s_nop 0
	v_xor_b32_e32 v4, vcc_hi, v1
	v_xor_b32_e32 v5, vcc_lo, v1
	v_and_b32_e32 v1, v0, v4
	v_and_b32_e32 v0, v32, v5
	v_mbcnt_lo_u32_b32 v4, v0, 0
	v_mbcnt_hi_u32_b32 v31, v1, v4
	v_cmp_eq_u32_e32 vcc, 0, v31
	v_cmp_ne_u64_e64 s[0:1], 0, v[0:1]
	s_and_b64 s[4:5], s[0:1], vcc
	s_and_saveexec_b64 s[0:1], s[4:5]
	s_cbranch_execz .LBB605_95
; %bb.94:
	v_bcnt_u32_b32 v0, v0, 0
	v_bcnt_u32_b32 v0, v1, v0
	s_waitcnt lgkmcnt(0)
	v_add_u32_e32 v0, v29, v0
	ds_write_b32 v33, v0 offset:64
.LBB605_95:
	s_or_b64 exec, exec, s[0:1]
	v_bfrev_b32_e32 v35, 1
	s_waitcnt vmcnt(1)
	v_cmp_lt_i32_e32 vcc, -1, v25
	s_brev_b32 s4, -2
	s_movk_i32 s5, 0x44
	v_cndmask_b32_e32 v0, -1, v35, vcc
	v_xor_b32_e32 v25, v0, v25
	v_cmp_ne_u32_e32 vcc, s4, v25
	v_mov_b32_e32 v1, 0
	s_nop 0
	v_cndmask_b32_e32 v0, v35, v25, vcc
	v_lshrrev_b32_e32 v0, s20, v0
	v_and_b32_e32 v34, s12, v0
	v_mul_lo_u32 v0, v34, s5
	v_add_u32_e32 v36, v23, v0
	v_and_b32_e32 v0, 1, v34
	v_lshl_add_u64 v[4:5], v[0:1], 0, -1
	v_cmp_ne_u32_e32 vcc, 0, v0
	; wave barrier
	ds_read_b32 v32, v36 offset:64
	s_nop 0
	v_xor_b32_e32 v4, vcc_lo, v4
	v_xor_b32_e32 v0, vcc_hi, v5
	v_and_b32_e32 v37, exec_lo, v4
	v_lshlrev_b32_e32 v5, 30, v34
	v_mov_b32_e32 v4, v1
	v_cmp_gt_i64_e32 vcc, 0, v[4:5]
	v_not_b32_e32 v4, v5
	v_ashrrev_i32_e32 v4, 31, v4
	v_and_b32_e32 v0, exec_hi, v0
	v_xor_b32_e32 v5, vcc_hi, v4
	v_xor_b32_e32 v4, vcc_lo, v4
	v_and_b32_e32 v0, v0, v5
	v_and_b32_e32 v37, v37, v4
	v_lshlrev_b32_e32 v5, 29, v34
	v_mov_b32_e32 v4, v1
	v_cmp_gt_i64_e32 vcc, 0, v[4:5]
	v_not_b32_e32 v4, v5
	v_ashrrev_i32_e32 v4, 31, v4
	v_xor_b32_e32 v5, vcc_hi, v4
	v_xor_b32_e32 v4, vcc_lo, v4
	v_and_b32_e32 v0, v0, v5
	v_and_b32_e32 v37, v37, v4
	v_lshlrev_b32_e32 v5, 28, v34
	v_mov_b32_e32 v4, v1
	v_cmp_gt_i64_e32 vcc, 0, v[4:5]
	v_not_b32_e32 v4, v5
	v_ashrrev_i32_e32 v4, 31, v4
	;; [unrolled: 9-line block ×6, first 2 shown]
	v_xor_b32_e32 v5, vcc_hi, v4
	v_xor_b32_e32 v4, vcc_lo, v4
	v_and_b32_e32 v4, v37, v4
	v_and_b32_e32 v5, v0, v5
	v_mbcnt_lo_u32_b32 v0, v4, 0
	v_mbcnt_hi_u32_b32 v34, v5, v0
	v_cmp_eq_u32_e32 vcc, 0, v34
	v_cmp_ne_u64_e64 s[0:1], 0, v[4:5]
	s_and_b64 s[6:7], s[0:1], vcc
	; wave barrier
	s_and_saveexec_b64 s[0:1], s[6:7]
	s_cbranch_execz .LBB605_97
; %bb.96:
	v_bcnt_u32_b32 v0, v4, 0
	v_bcnt_u32_b32 v0, v5, v0
	s_waitcnt lgkmcnt(0)
	v_add_u32_e32 v0, v32, v0
	ds_write_b32 v36, v0 offset:64
.LBB605_97:
	s_or_b64 exec, exec, s[0:1]
	s_waitcnt vmcnt(0)
	v_cmp_lt_i32_e32 vcc, -1, v21
	; wave barrier
	s_nop 1
	v_cndmask_b32_e32 v0, -1, v35, vcc
	v_xor_b32_e32 v21, v0, v21
	v_cmp_ne_u32_e32 vcc, s4, v21
	s_nop 1
	v_cndmask_b32_e32 v0, v35, v21, vcc
	v_lshrrev_b32_e32 v0, s20, v0
	v_and_b32_e32 v37, s12, v0
	v_mul_lo_u32 v0, v37, s5
	v_add_u32_e32 v38, v23, v0
	v_and_b32_e32 v0, 1, v37
	v_lshl_add_u64 v[4:5], v[0:1], 0, -1
	v_cmp_ne_u32_e32 vcc, 0, v0
	ds_read_b32 v35, v38 offset:64
	s_nop 0
	v_xor_b32_e32 v4, vcc_lo, v4
	v_xor_b32_e32 v0, vcc_hi, v5
	v_and_b32_e32 v23, exec_lo, v4
	v_lshlrev_b32_e32 v5, 30, v37
	v_mov_b32_e32 v4, v1
	v_cmp_gt_i64_e32 vcc, 0, v[4:5]
	v_not_b32_e32 v4, v5
	v_ashrrev_i32_e32 v4, 31, v4
	v_and_b32_e32 v0, exec_hi, v0
	v_xor_b32_e32 v5, vcc_hi, v4
	v_xor_b32_e32 v4, vcc_lo, v4
	v_and_b32_e32 v0, v0, v5
	v_and_b32_e32 v23, v23, v4
	v_lshlrev_b32_e32 v5, 29, v37
	v_mov_b32_e32 v4, v1
	v_cmp_gt_i64_e32 vcc, 0, v[4:5]
	v_not_b32_e32 v4, v5
	v_ashrrev_i32_e32 v4, 31, v4
	v_xor_b32_e32 v5, vcc_hi, v4
	v_xor_b32_e32 v4, vcc_lo, v4
	v_and_b32_e32 v0, v0, v5
	v_and_b32_e32 v23, v23, v4
	v_lshlrev_b32_e32 v5, 28, v37
	v_mov_b32_e32 v4, v1
	v_cmp_gt_i64_e32 vcc, 0, v[4:5]
	v_not_b32_e32 v4, v5
	v_ashrrev_i32_e32 v4, 31, v4
	;; [unrolled: 9-line block ×5, first 2 shown]
	v_xor_b32_e32 v5, vcc_hi, v4
	v_xor_b32_e32 v4, vcc_lo, v4
	v_and_b32_e32 v0, v0, v5
	v_lshlrev_b32_e32 v5, 24, v37
	v_and_b32_e32 v23, v23, v4
	v_mov_b32_e32 v4, v1
	v_not_b32_e32 v1, v5
	v_cmp_gt_i64_e32 vcc, 0, v[4:5]
	v_ashrrev_i32_e32 v1, 31, v1
	; wave barrier
	s_nop 0
	v_xor_b32_e32 v4, vcc_hi, v1
	v_xor_b32_e32 v5, vcc_lo, v1
	v_and_b32_e32 v1, v0, v4
	v_and_b32_e32 v0, v23, v5
	v_mbcnt_lo_u32_b32 v4, v0, 0
	v_mbcnt_hi_u32_b32 v37, v1, v4
	v_cmp_eq_u32_e32 vcc, 0, v37
	v_cmp_ne_u64_e64 s[0:1], 0, v[0:1]
	s_and_b64 s[4:5], s[0:1], vcc
	s_and_saveexec_b64 s[0:1], s[4:5]
	s_cbranch_execz .LBB605_99
; %bb.98:
	v_bcnt_u32_b32 v0, v0, 0
	v_bcnt_u32_b32 v0, v1, v0
	s_waitcnt lgkmcnt(0)
	v_add_u32_e32 v0, v35, v0
	ds_write_b32 v38, v0 offset:64
.LBB605_99:
	s_or_b64 exec, exec, s[0:1]
	; wave barrier
	s_waitcnt lgkmcnt(0)
	s_barrier
	ds_read2_b32 v[4:5], v7 offset0:16 offset1:17
	ds_read2_b32 v[0:1], v7 offset0:18 offset1:19
	ds_read_b32 v23, v7 offset:80
	v_cmp_lt_u32_e64 s[8:9], 31, v6
	s_waitcnt lgkmcnt(1)
	v_add3_u32 v39, v5, v4, v0
	s_waitcnt lgkmcnt(0)
	v_add3_u32 v23, v39, v1, v23
	v_and_b32_e32 v39, 15, v6
	v_cmp_eq_u32_e32 vcc, 0, v39
	v_mov_b32_dpp v40, v23 row_shr:1 row_mask:0xf bank_mask:0xf
	v_cmp_lt_u32_e64 s[0:1], 1, v39
	v_cndmask_b32_e64 v40, v40, 0, vcc
	v_add_u32_e32 v23, v40, v23
	v_cmp_lt_u32_e64 s[6:7], 3, v39
	v_cmp_lt_u32_e64 s[4:5], 7, v39
	v_mov_b32_dpp v40, v23 row_shr:2 row_mask:0xf bank_mask:0xf
	v_cndmask_b32_e64 v40, 0, v40, s[0:1]
	v_add_u32_e32 v23, v23, v40
	s_nop 1
	v_mov_b32_dpp v40, v23 row_shr:4 row_mask:0xf bank_mask:0xf
	v_cndmask_b32_e64 v40, 0, v40, s[6:7]
	v_add_u32_e32 v23, v23, v40
	s_nop 1
	v_mov_b32_dpp v40, v23 row_shr:8 row_mask:0xf bank_mask:0xf
	v_cndmask_b32_e64 v39, 0, v40, s[4:5]
	v_add_u32_e32 v23, v23, v39
	v_bfe_i32 v40, v6, 4, 1
	s_nop 0
	v_mov_b32_dpp v39, v23 row_bcast:15 row_mask:0xf bank_mask:0xf
	v_and_b32_e32 v39, v40, v39
	v_add_u32_e32 v23, v23, v39
	v_lshrrev_b32_e32 v40, 6, v2
	s_nop 0
	v_mov_b32_dpp v39, v23 row_bcast:31 row_mask:0xf bank_mask:0xf
	v_cndmask_b32_e64 v39, 0, v39, s[8:9]
	v_add_u32_e32 v39, v23, v39
	v_and_b32_e32 v23, 63, v2
	v_cmp_eq_u32_e64 s[8:9], 63, v23
	s_and_saveexec_b64 s[10:11], s[8:9]
; %bb.100:
	v_lshlrev_b32_e32 v23, 2, v40
	ds_write_b32 v23, v39
; %bb.101:
	s_or_b64 exec, exec, s[10:11]
	v_cmp_gt_u32_e64 s[8:9], 16, v2
	v_lshlrev_b32_e32 v23, 2, v2
	s_waitcnt lgkmcnt(0)
	s_barrier
	s_and_saveexec_b64 s[10:11], s[8:9]
	s_cbranch_execz .LBB605_103
; %bb.102:
	ds_read_b32 v41, v23
	s_waitcnt lgkmcnt(0)
	s_nop 0
	v_mov_b32_dpp v42, v41 row_shr:1 row_mask:0xf bank_mask:0xf
	v_cndmask_b32_e64 v42, v42, 0, vcc
	v_add_u32_e32 v41, v42, v41
	s_nop 1
	v_mov_b32_dpp v42, v41 row_shr:2 row_mask:0xf bank_mask:0xf
	v_cndmask_b32_e64 v42, 0, v42, s[0:1]
	v_add_u32_e32 v41, v41, v42
	s_nop 1
	v_mov_b32_dpp v42, v41 row_shr:4 row_mask:0xf bank_mask:0xf
	v_cndmask_b32_e64 v42, 0, v42, s[6:7]
	;; [unrolled: 4-line block ×3, first 2 shown]
	v_add_u32_e32 v41, v41, v42
	ds_write_b32 v23, v41
.LBB605_103:
	s_or_b64 exec, exec, s[10:11]
	v_cmp_lt_u32_e32 vcc, 63, v2
	v_mov_b32_e32 v41, 0
	s_waitcnt lgkmcnt(0)
	s_barrier
	s_and_saveexec_b64 s[0:1], vcc
; %bb.104:
	v_lshl_add_u32 v40, v40, 2, -4
	ds_read_b32 v41, v40
; %bb.105:
	s_or_b64 exec, exec, s[0:1]
	v_subrev_co_u32_e32 v40, vcc, 1, v6
	v_and_b32_e32 v42, 64, v6
	v_cmp_lt_i32_e64 s[0:1], v40, v42
	s_waitcnt lgkmcnt(0)
	v_add_u32_e32 v39, v41, v39
	s_movk_i32 s4, 0x100
	v_cndmask_b32_e64 v6, v40, v6, s[0:1]
	v_lshlrev_b32_e32 v6, 2, v6
	ds_bpermute_b32 v6, v6, v39
	s_movk_i32 s0, 0xff
	v_cmp_lt_u32_e64 s[0:1], s0, v2
	s_waitcnt lgkmcnt(0)
	v_cndmask_b32_e32 v6, v6, v41, vcc
	v_cmp_ne_u32_e32 vcc, 0, v2
	s_nop 1
	v_cndmask_b32_e32 v6, 0, v6, vcc
	v_add_u32_e32 v4, v6, v4
	v_add_u32_e32 v5, v4, v5
	;; [unrolled: 1-line block ×4, first 2 shown]
	ds_write2_b32 v7, v6, v4 offset0:16 offset1:17
	ds_write2_b32 v7, v5, v0 offset0:18 offset1:19
	ds_write_b32 v7, v1 offset:80
	s_waitcnt lgkmcnt(0)
	s_barrier
	ds_read_b32 v42, v16 offset:64
	ds_read_b32 v39, v17 offset:64
	;; [unrolled: 1-line block ×8, first 2 shown]
	v_cmp_gt_u32_e32 vcc, s4, v2
                                        ; implicit-def: $vgpr16
                                        ; implicit-def: $vgpr17
	s_and_saveexec_b64 s[6:7], vcc
	s_cbranch_execz .LBB605_109
; %bb.106:
	v_mul_u32_u24_e32 v0, 0x44, v2
	ds_read_b32 v16, v0 offset:64
	v_add_u32_e32 v1, 1, v2
	v_cmp_ne_u32_e64 s[4:5], s4, v1
	v_mov_b32_e32 v0, 0x2000
	s_and_saveexec_b64 s[8:9], s[4:5]
; %bb.107:
	v_mul_u32_u24_e32 v0, 0x44, v1
	ds_read_b32 v0, v0 offset:64
; %bb.108:
	s_or_b64 exec, exec, s[8:9]
	s_waitcnt lgkmcnt(0)
	v_sub_u32_e32 v17, v0, v16
.LBB605_109:
	s_or_b64 exec, exec, s[6:7]
	v_mov_b32_e32 v1, 0
	s_waitcnt lgkmcnt(0)
	s_barrier
	s_and_saveexec_b64 s[4:5], vcc
	s_cbranch_execz .LBB605_119
; %bb.110:
	v_lshl_add_u32 v0, s2, 8, v2
	v_lshl_add_u64 v[4:5], v[0:1], 2, s[28:29]
	v_or_b32_e32 v0, 2.0, v17
	s_mov_b64 s[6:7], 0
	s_brev_b32 s13, -4
	s_mov_b32 s14, s2
	v_mov_b32_e32 v36, 0
	global_store_dword v[4:5], v0, off sc1
                                        ; implicit-def: $sgpr8_sgpr9
	s_branch .LBB605_113
.LBB605_111:                            ;   in Loop: Header=BB605_113 Depth=1
	s_or_b64 exec, exec, s[10:11]
.LBB605_112:                            ;   in Loop: Header=BB605_113 Depth=1
	s_or_b64 exec, exec, s[8:9]
	v_and_b32_e32 v6, 0x3fffffff, v0
	v_add_u32_e32 v36, v6, v36
	v_cmp_gt_i32_e64 s[8:9], -2.0, v0
	s_and_b64 s[10:11], exec, s[8:9]
	s_or_b64 s[6:7], s[10:11], s[6:7]
	s_andn2_b64 exec, exec, s[6:7]
	s_cbranch_execz .LBB605_118
.LBB605_113:                            ; =>This Loop Header: Depth=1
                                        ;     Child Loop BB605_116 Depth 2
	s_or_b64 s[8:9], s[8:9], exec
	s_cmp_eq_u32 s14, 0
	s_cbranch_scc1 .LBB605_117
; %bb.114:                              ;   in Loop: Header=BB605_113 Depth=1
	s_add_i32 s14, s14, -1
	v_lshl_or_b32 v0, s14, 8, v2
	v_lshl_add_u64 v[6:7], v[0:1], 2, s[28:29]
	global_load_dword v0, v[6:7], off sc1
	s_waitcnt vmcnt(0)
	v_cmp_gt_u32_e32 vcc, 2.0, v0
	s_and_saveexec_b64 s[8:9], vcc
	s_cbranch_execz .LBB605_112
; %bb.115:                              ;   in Loop: Header=BB605_113 Depth=1
	s_mov_b64 s[10:11], 0
.LBB605_116:                            ;   Parent Loop BB605_113 Depth=1
                                        ; =>  This Inner Loop Header: Depth=2
	global_load_dword v0, v[6:7], off sc1
	s_waitcnt vmcnt(0)
	v_cmp_lt_u32_e32 vcc, s13, v0
	s_or_b64 s[10:11], vcc, s[10:11]
	s_andn2_b64 exec, exec, s[10:11]
	s_cbranch_execnz .LBB605_116
	s_branch .LBB605_111
.LBB605_117:                            ;   in Loop: Header=BB605_113 Depth=1
                                        ; implicit-def: $sgpr14
	s_and_b64 s[10:11], exec, s[8:9]
	s_or_b64 s[6:7], s[10:11], s[6:7]
	s_andn2_b64 exec, exec, s[6:7]
	s_cbranch_execnz .LBB605_113
.LBB605_118:
	s_or_b64 exec, exec, s[6:7]
	v_add_u32_e32 v0, v36, v17
	v_or_b32_e32 v0, 0x80000000, v0
	global_store_dword v[4:5], v0, off sc1
	global_load_dword v0, v23, s[16:17]
	v_sub_u32_e32 v1, v36, v16
	s_waitcnt vmcnt(0)
	v_add_u32_e32 v0, v1, v0
	ds_write_b32 v23, v0
.LBB605_119:
	s_or_b64 exec, exec, s[4:5]
	v_add_u32_e32 v0, v37, v35
	v_add_u32_e32 v1, v34, v32
	;; [unrolled: 1-line block ×8, first 2 shown]
	v_add_lshl_u32 v5, v0, v33, 2
	v_add3_u32 v6, v37, v33, v35
	v_add_lshl_u32 v7, v1, v22, 2
	v_add3_u32 v10, v34, v22, v32
	;; [unrolled: 2-line block ×7, first 2 shown]
	v_lshlrev_b32_e32 v13, 2, v4
	s_mov_b64 s[4:5], -1
	s_mov_b32 s8, 0
	s_movk_i32 s9, 0x1000
	s_brev_b32 s10, -2
	v_bfrev_b32_e32 v30, 1
	v_mov_b32_e32 v1, 0
	s_movk_i32 s11, 0x400
	s_movk_i32 s13, 0x800
	;; [unrolled: 1-line block ×3, first 2 shown]
	s_mov_b32 s15, 0
	s_branch .LBB605_121
.LBB605_120:                            ;   in Loop: Header=BB605_121 Depth=1
	s_or_b64 exec, exec, s[6:7]
	s_waitcnt lgkmcnt(0)
	s_barrier
	ds_read2st64_b32 v[32:33], v23 offset0:4 offset1:20
	s_xor_b64 s[6:7], s[4:5], -1
	s_addk_i32 s15, 0xc000
	s_addk_i32 s8, 0xf000
	s_mov_b64 s[4:5], 0
	s_waitcnt lgkmcnt(0)
	v_cmp_ne_u32_e32 vcc, s10, v32
	s_nop 1
	v_cndmask_b32_e32 v0, v30, v32, vcc
	v_lshrrev_b32_e32 v0, s20, v0
	v_and_b32_e32 v0, s12, v0
	v_lshlrev_b32_e32 v0, 2, v0
	ds_read_b32 v0, v0
	ds_read2st64_b32 v[34:35], v23 offset0:36 offset1:52
	v_cmp_lt_i32_e32 vcc, -1, v32
	s_waitcnt lgkmcnt(1)
	v_add_u32_e32 v0, v2, v0
	v_cndmask_b32_e64 v31, v30, -1, vcc
	v_cmp_ne_u32_e32 vcc, s10, v33
	v_xor_b32_e32 v31, v31, v32
	s_nop 0
	v_cndmask_b32_e32 v32, v30, v33, vcc
	s_waitcnt lgkmcnt(0)
	v_cmp_ne_u32_e32 vcc, s10, v34
	v_lshrrev_b32_e32 v32, s20, v32
	v_and_b32_e32 v32, s12, v32
	v_cndmask_b32_e32 v36, v30, v34, vcc
	v_cmp_ne_u32_e32 vcc, s10, v35
	v_lshrrev_b32_e32 v36, s20, v36
	v_lshlrev_b32_e32 v32, 2, v32
	v_cndmask_b32_e32 v37, v30, v35, vcc
	v_lshrrev_b32_e32 v37, s20, v37
	v_and_b32_e32 v36, s12, v36
	v_and_b32_e32 v37, s12, v37
	v_lshlrev_b32_e32 v36, 2, v36
	v_lshlrev_b32_e32 v37, 2, v37
	ds_read_b32 v32, v32
	ds_read_b32 v38, v36
	;; [unrolled: 1-line block ×3, first 2 shown]
	v_cmp_lt_i32_e32 vcc, -1, v33
	v_lshl_add_u64 v[36:37], v[0:1], 2, s[26:27]
	global_store_dword v[36:37], v31, off
	v_cndmask_b32_e64 v0, v30, -1, vcc
	v_xor_b32_e32 v31, v0, v33
	s_waitcnt lgkmcnt(2)
	v_add3_u32 v0, v2, v32, s11
	v_cmp_lt_i32_e32 vcc, -1, v34
	v_lshl_add_u64 v[32:33], v[0:1], 2, s[26:27]
	global_store_dword v[32:33], v31, off
	v_cndmask_b32_e64 v0, v30, -1, vcc
	v_xor_b32_e32 v31, v0, v34
	s_waitcnt lgkmcnt(1)
	v_add3_u32 v0, v2, v38, s13
	;; [unrolled: 7-line block ×3, first 2 shown]
	v_lshl_add_u64 v[32:33], v[0:1], 2, s[26:27]
	v_add_u32_e32 v2, 0x1000, v2
	s_and_b64 vcc, exec, s[6:7]
	global_store_dword v[32:33], v31, off
	s_barrier
	s_cbranch_vccnz .LBB605_137
.LBB605_121:                            ; =>This Inner Loop Header: Depth=1
	v_add_u32_e32 v0, s8, v4
	v_cmp_gt_u32_e32 vcc, s9, v0
	s_and_saveexec_b64 s[6:7], vcc
; %bb.122:                              ;   in Loop: Header=BB605_121 Depth=1
	v_add_u32_e32 v0, s15, v13
	ds_write_b32 v0, v3 offset:1024
; %bb.123:                              ;   in Loop: Header=BB605_121 Depth=1
	s_or_b64 exec, exec, s[6:7]
	v_add_u32_e32 v0, s8, v11
	v_cmp_gt_u32_e32 vcc, s9, v0
	s_and_saveexec_b64 s[6:7], vcc
; %bb.124:                              ;   in Loop: Header=BB605_121 Depth=1
	v_add_u32_e32 v0, s15, v18
	ds_write_b32 v0, v8 offset:1024
; %bb.125:                              ;   in Loop: Header=BB605_121 Depth=1
	s_or_b64 exec, exec, s[6:7]
	;; [unrolled: 8-line block ×7, first 2 shown]
	v_add_u32_e32 v0, s8, v6
	v_cmp_gt_u32_e32 vcc, s9, v0
	s_and_saveexec_b64 s[6:7], vcc
	s_cbranch_execz .LBB605_120
; %bb.136:                              ;   in Loop: Header=BB605_121 Depth=1
	v_add_u32_e32 v0, s15, v5
	ds_write_b32 v0, v21 offset:1024
	s_branch .LBB605_120
.LBB605_137:
	s_add_i32 s3, s3, -1
	s_cmp_eq_u32 s2, s3
	s_cselect_b64 s[2:3], -1, 0
	s_xor_b64 s[0:1], s[0:1], -1
	s_and_b64 s[0:1], s[0:1], s[2:3]
	s_and_saveexec_b64 s[2:3], s[0:1]
	s_cbranch_execz .LBB605_139
; %bb.138:
	ds_read_b32 v0, v23
	s_waitcnt lgkmcnt(0)
	v_add3_u32 v0, v16, v17, v0
	global_store_dword v23, v0, s[18:19]
.LBB605_139:
	s_endpgm
	.section	.rodata,"a",@progbits
	.p2align	6, 0x0
	.amdhsa_kernel _ZN7rocprim17ROCPRIM_400000_NS6detail17trampoline_kernelINS0_14default_configENS1_35radix_sort_onesweep_config_selectorIfNS0_10empty_typeEEEZZNS1_29radix_sort_onesweep_iterationIS3_Lb0EN6thrust23THRUST_200600_302600_NS6detail15normal_iteratorINS9_10device_ptrIfEEEESE_PS5_SF_jNS0_19identity_decomposerENS1_16block_id_wrapperIjLb0EEEEE10hipError_tT1_PNSt15iterator_traitsISK_E10value_typeET2_T3_PNSL_ISQ_E10value_typeET4_T5_PSV_SW_PNS1_23onesweep_lookback_stateEbbT6_jjT7_P12ihipStream_tbENKUlT_T0_SK_SP_E_clIPfSE_SF_SF_EEDaS13_S14_SK_SP_EUlS13_E_NS1_11comp_targetILNS1_3genE6ELNS1_11target_archE950ELNS1_3gpuE13ELNS1_3repE0EEENS1_47radix_sort_onesweep_sort_config_static_selectorELNS0_4arch9wavefront6targetE1EEEvSK_
		.amdhsa_group_segment_fixed_size 20552
		.amdhsa_private_segment_fixed_size 0
		.amdhsa_kernarg_size 344
		.amdhsa_user_sgpr_count 2
		.amdhsa_user_sgpr_dispatch_ptr 0
		.amdhsa_user_sgpr_queue_ptr 0
		.amdhsa_user_sgpr_kernarg_segment_ptr 1
		.amdhsa_user_sgpr_dispatch_id 0
		.amdhsa_user_sgpr_kernarg_preload_length 0
		.amdhsa_user_sgpr_kernarg_preload_offset 0
		.amdhsa_user_sgpr_private_segment_size 0
		.amdhsa_uses_dynamic_stack 0
		.amdhsa_enable_private_segment 0
		.amdhsa_system_sgpr_workgroup_id_x 1
		.amdhsa_system_sgpr_workgroup_id_y 0
		.amdhsa_system_sgpr_workgroup_id_z 0
		.amdhsa_system_sgpr_workgroup_info 0
		.amdhsa_system_vgpr_workitem_id 2
		.amdhsa_next_free_vgpr 46
		.amdhsa_next_free_sgpr 32
		.amdhsa_accum_offset 48
		.amdhsa_reserve_vcc 1
		.amdhsa_float_round_mode_32 0
		.amdhsa_float_round_mode_16_64 0
		.amdhsa_float_denorm_mode_32 3
		.amdhsa_float_denorm_mode_16_64 3
		.amdhsa_dx10_clamp 1
		.amdhsa_ieee_mode 1
		.amdhsa_fp16_overflow 0
		.amdhsa_tg_split 0
		.amdhsa_exception_fp_ieee_invalid_op 0
		.amdhsa_exception_fp_denorm_src 0
		.amdhsa_exception_fp_ieee_div_zero 0
		.amdhsa_exception_fp_ieee_overflow 0
		.amdhsa_exception_fp_ieee_underflow 0
		.amdhsa_exception_fp_ieee_inexact 0
		.amdhsa_exception_int_div_zero 0
	.end_amdhsa_kernel
	.section	.text._ZN7rocprim17ROCPRIM_400000_NS6detail17trampoline_kernelINS0_14default_configENS1_35radix_sort_onesweep_config_selectorIfNS0_10empty_typeEEEZZNS1_29radix_sort_onesweep_iterationIS3_Lb0EN6thrust23THRUST_200600_302600_NS6detail15normal_iteratorINS9_10device_ptrIfEEEESE_PS5_SF_jNS0_19identity_decomposerENS1_16block_id_wrapperIjLb0EEEEE10hipError_tT1_PNSt15iterator_traitsISK_E10value_typeET2_T3_PNSL_ISQ_E10value_typeET4_T5_PSV_SW_PNS1_23onesweep_lookback_stateEbbT6_jjT7_P12ihipStream_tbENKUlT_T0_SK_SP_E_clIPfSE_SF_SF_EEDaS13_S14_SK_SP_EUlS13_E_NS1_11comp_targetILNS1_3genE6ELNS1_11target_archE950ELNS1_3gpuE13ELNS1_3repE0EEENS1_47radix_sort_onesweep_sort_config_static_selectorELNS0_4arch9wavefront6targetE1EEEvSK_,"axG",@progbits,_ZN7rocprim17ROCPRIM_400000_NS6detail17trampoline_kernelINS0_14default_configENS1_35radix_sort_onesweep_config_selectorIfNS0_10empty_typeEEEZZNS1_29radix_sort_onesweep_iterationIS3_Lb0EN6thrust23THRUST_200600_302600_NS6detail15normal_iteratorINS9_10device_ptrIfEEEESE_PS5_SF_jNS0_19identity_decomposerENS1_16block_id_wrapperIjLb0EEEEE10hipError_tT1_PNSt15iterator_traitsISK_E10value_typeET2_T3_PNSL_ISQ_E10value_typeET4_T5_PSV_SW_PNS1_23onesweep_lookback_stateEbbT6_jjT7_P12ihipStream_tbENKUlT_T0_SK_SP_E_clIPfSE_SF_SF_EEDaS13_S14_SK_SP_EUlS13_E_NS1_11comp_targetILNS1_3genE6ELNS1_11target_archE950ELNS1_3gpuE13ELNS1_3repE0EEENS1_47radix_sort_onesweep_sort_config_static_selectorELNS0_4arch9wavefront6targetE1EEEvSK_,comdat
.Lfunc_end605:
	.size	_ZN7rocprim17ROCPRIM_400000_NS6detail17trampoline_kernelINS0_14default_configENS1_35radix_sort_onesweep_config_selectorIfNS0_10empty_typeEEEZZNS1_29radix_sort_onesweep_iterationIS3_Lb0EN6thrust23THRUST_200600_302600_NS6detail15normal_iteratorINS9_10device_ptrIfEEEESE_PS5_SF_jNS0_19identity_decomposerENS1_16block_id_wrapperIjLb0EEEEE10hipError_tT1_PNSt15iterator_traitsISK_E10value_typeET2_T3_PNSL_ISQ_E10value_typeET4_T5_PSV_SW_PNS1_23onesweep_lookback_stateEbbT6_jjT7_P12ihipStream_tbENKUlT_T0_SK_SP_E_clIPfSE_SF_SF_EEDaS13_S14_SK_SP_EUlS13_E_NS1_11comp_targetILNS1_3genE6ELNS1_11target_archE950ELNS1_3gpuE13ELNS1_3repE0EEENS1_47radix_sort_onesweep_sort_config_static_selectorELNS0_4arch9wavefront6targetE1EEEvSK_, .Lfunc_end605-_ZN7rocprim17ROCPRIM_400000_NS6detail17trampoline_kernelINS0_14default_configENS1_35radix_sort_onesweep_config_selectorIfNS0_10empty_typeEEEZZNS1_29radix_sort_onesweep_iterationIS3_Lb0EN6thrust23THRUST_200600_302600_NS6detail15normal_iteratorINS9_10device_ptrIfEEEESE_PS5_SF_jNS0_19identity_decomposerENS1_16block_id_wrapperIjLb0EEEEE10hipError_tT1_PNSt15iterator_traitsISK_E10value_typeET2_T3_PNSL_ISQ_E10value_typeET4_T5_PSV_SW_PNS1_23onesweep_lookback_stateEbbT6_jjT7_P12ihipStream_tbENKUlT_T0_SK_SP_E_clIPfSE_SF_SF_EEDaS13_S14_SK_SP_EUlS13_E_NS1_11comp_targetILNS1_3genE6ELNS1_11target_archE950ELNS1_3gpuE13ELNS1_3repE0EEENS1_47radix_sort_onesweep_sort_config_static_selectorELNS0_4arch9wavefront6targetE1EEEvSK_
                                        ; -- End function
	.set _ZN7rocprim17ROCPRIM_400000_NS6detail17trampoline_kernelINS0_14default_configENS1_35radix_sort_onesweep_config_selectorIfNS0_10empty_typeEEEZZNS1_29radix_sort_onesweep_iterationIS3_Lb0EN6thrust23THRUST_200600_302600_NS6detail15normal_iteratorINS9_10device_ptrIfEEEESE_PS5_SF_jNS0_19identity_decomposerENS1_16block_id_wrapperIjLb0EEEEE10hipError_tT1_PNSt15iterator_traitsISK_E10value_typeET2_T3_PNSL_ISQ_E10value_typeET4_T5_PSV_SW_PNS1_23onesweep_lookback_stateEbbT6_jjT7_P12ihipStream_tbENKUlT_T0_SK_SP_E_clIPfSE_SF_SF_EEDaS13_S14_SK_SP_EUlS13_E_NS1_11comp_targetILNS1_3genE6ELNS1_11target_archE950ELNS1_3gpuE13ELNS1_3repE0EEENS1_47radix_sort_onesweep_sort_config_static_selectorELNS0_4arch9wavefront6targetE1EEEvSK_.num_vgpr, 46
	.set _ZN7rocprim17ROCPRIM_400000_NS6detail17trampoline_kernelINS0_14default_configENS1_35radix_sort_onesweep_config_selectorIfNS0_10empty_typeEEEZZNS1_29radix_sort_onesweep_iterationIS3_Lb0EN6thrust23THRUST_200600_302600_NS6detail15normal_iteratorINS9_10device_ptrIfEEEESE_PS5_SF_jNS0_19identity_decomposerENS1_16block_id_wrapperIjLb0EEEEE10hipError_tT1_PNSt15iterator_traitsISK_E10value_typeET2_T3_PNSL_ISQ_E10value_typeET4_T5_PSV_SW_PNS1_23onesweep_lookback_stateEbbT6_jjT7_P12ihipStream_tbENKUlT_T0_SK_SP_E_clIPfSE_SF_SF_EEDaS13_S14_SK_SP_EUlS13_E_NS1_11comp_targetILNS1_3genE6ELNS1_11target_archE950ELNS1_3gpuE13ELNS1_3repE0EEENS1_47radix_sort_onesweep_sort_config_static_selectorELNS0_4arch9wavefront6targetE1EEEvSK_.num_agpr, 0
	.set _ZN7rocprim17ROCPRIM_400000_NS6detail17trampoline_kernelINS0_14default_configENS1_35radix_sort_onesweep_config_selectorIfNS0_10empty_typeEEEZZNS1_29radix_sort_onesweep_iterationIS3_Lb0EN6thrust23THRUST_200600_302600_NS6detail15normal_iteratorINS9_10device_ptrIfEEEESE_PS5_SF_jNS0_19identity_decomposerENS1_16block_id_wrapperIjLb0EEEEE10hipError_tT1_PNSt15iterator_traitsISK_E10value_typeET2_T3_PNSL_ISQ_E10value_typeET4_T5_PSV_SW_PNS1_23onesweep_lookback_stateEbbT6_jjT7_P12ihipStream_tbENKUlT_T0_SK_SP_E_clIPfSE_SF_SF_EEDaS13_S14_SK_SP_EUlS13_E_NS1_11comp_targetILNS1_3genE6ELNS1_11target_archE950ELNS1_3gpuE13ELNS1_3repE0EEENS1_47radix_sort_onesweep_sort_config_static_selectorELNS0_4arch9wavefront6targetE1EEEvSK_.numbered_sgpr, 32
	.set _ZN7rocprim17ROCPRIM_400000_NS6detail17trampoline_kernelINS0_14default_configENS1_35radix_sort_onesweep_config_selectorIfNS0_10empty_typeEEEZZNS1_29radix_sort_onesweep_iterationIS3_Lb0EN6thrust23THRUST_200600_302600_NS6detail15normal_iteratorINS9_10device_ptrIfEEEESE_PS5_SF_jNS0_19identity_decomposerENS1_16block_id_wrapperIjLb0EEEEE10hipError_tT1_PNSt15iterator_traitsISK_E10value_typeET2_T3_PNSL_ISQ_E10value_typeET4_T5_PSV_SW_PNS1_23onesweep_lookback_stateEbbT6_jjT7_P12ihipStream_tbENKUlT_T0_SK_SP_E_clIPfSE_SF_SF_EEDaS13_S14_SK_SP_EUlS13_E_NS1_11comp_targetILNS1_3genE6ELNS1_11target_archE950ELNS1_3gpuE13ELNS1_3repE0EEENS1_47radix_sort_onesweep_sort_config_static_selectorELNS0_4arch9wavefront6targetE1EEEvSK_.num_named_barrier, 0
	.set _ZN7rocprim17ROCPRIM_400000_NS6detail17trampoline_kernelINS0_14default_configENS1_35radix_sort_onesweep_config_selectorIfNS0_10empty_typeEEEZZNS1_29radix_sort_onesweep_iterationIS3_Lb0EN6thrust23THRUST_200600_302600_NS6detail15normal_iteratorINS9_10device_ptrIfEEEESE_PS5_SF_jNS0_19identity_decomposerENS1_16block_id_wrapperIjLb0EEEEE10hipError_tT1_PNSt15iterator_traitsISK_E10value_typeET2_T3_PNSL_ISQ_E10value_typeET4_T5_PSV_SW_PNS1_23onesweep_lookback_stateEbbT6_jjT7_P12ihipStream_tbENKUlT_T0_SK_SP_E_clIPfSE_SF_SF_EEDaS13_S14_SK_SP_EUlS13_E_NS1_11comp_targetILNS1_3genE6ELNS1_11target_archE950ELNS1_3gpuE13ELNS1_3repE0EEENS1_47radix_sort_onesweep_sort_config_static_selectorELNS0_4arch9wavefront6targetE1EEEvSK_.private_seg_size, 0
	.set _ZN7rocprim17ROCPRIM_400000_NS6detail17trampoline_kernelINS0_14default_configENS1_35radix_sort_onesweep_config_selectorIfNS0_10empty_typeEEEZZNS1_29radix_sort_onesweep_iterationIS3_Lb0EN6thrust23THRUST_200600_302600_NS6detail15normal_iteratorINS9_10device_ptrIfEEEESE_PS5_SF_jNS0_19identity_decomposerENS1_16block_id_wrapperIjLb0EEEEE10hipError_tT1_PNSt15iterator_traitsISK_E10value_typeET2_T3_PNSL_ISQ_E10value_typeET4_T5_PSV_SW_PNS1_23onesweep_lookback_stateEbbT6_jjT7_P12ihipStream_tbENKUlT_T0_SK_SP_E_clIPfSE_SF_SF_EEDaS13_S14_SK_SP_EUlS13_E_NS1_11comp_targetILNS1_3genE6ELNS1_11target_archE950ELNS1_3gpuE13ELNS1_3repE0EEENS1_47radix_sort_onesweep_sort_config_static_selectorELNS0_4arch9wavefront6targetE1EEEvSK_.uses_vcc, 1
	.set _ZN7rocprim17ROCPRIM_400000_NS6detail17trampoline_kernelINS0_14default_configENS1_35radix_sort_onesweep_config_selectorIfNS0_10empty_typeEEEZZNS1_29radix_sort_onesweep_iterationIS3_Lb0EN6thrust23THRUST_200600_302600_NS6detail15normal_iteratorINS9_10device_ptrIfEEEESE_PS5_SF_jNS0_19identity_decomposerENS1_16block_id_wrapperIjLb0EEEEE10hipError_tT1_PNSt15iterator_traitsISK_E10value_typeET2_T3_PNSL_ISQ_E10value_typeET4_T5_PSV_SW_PNS1_23onesweep_lookback_stateEbbT6_jjT7_P12ihipStream_tbENKUlT_T0_SK_SP_E_clIPfSE_SF_SF_EEDaS13_S14_SK_SP_EUlS13_E_NS1_11comp_targetILNS1_3genE6ELNS1_11target_archE950ELNS1_3gpuE13ELNS1_3repE0EEENS1_47radix_sort_onesweep_sort_config_static_selectorELNS0_4arch9wavefront6targetE1EEEvSK_.uses_flat_scratch, 0
	.set _ZN7rocprim17ROCPRIM_400000_NS6detail17trampoline_kernelINS0_14default_configENS1_35radix_sort_onesweep_config_selectorIfNS0_10empty_typeEEEZZNS1_29radix_sort_onesweep_iterationIS3_Lb0EN6thrust23THRUST_200600_302600_NS6detail15normal_iteratorINS9_10device_ptrIfEEEESE_PS5_SF_jNS0_19identity_decomposerENS1_16block_id_wrapperIjLb0EEEEE10hipError_tT1_PNSt15iterator_traitsISK_E10value_typeET2_T3_PNSL_ISQ_E10value_typeET4_T5_PSV_SW_PNS1_23onesweep_lookback_stateEbbT6_jjT7_P12ihipStream_tbENKUlT_T0_SK_SP_E_clIPfSE_SF_SF_EEDaS13_S14_SK_SP_EUlS13_E_NS1_11comp_targetILNS1_3genE6ELNS1_11target_archE950ELNS1_3gpuE13ELNS1_3repE0EEENS1_47radix_sort_onesweep_sort_config_static_selectorELNS0_4arch9wavefront6targetE1EEEvSK_.has_dyn_sized_stack, 0
	.set _ZN7rocprim17ROCPRIM_400000_NS6detail17trampoline_kernelINS0_14default_configENS1_35radix_sort_onesweep_config_selectorIfNS0_10empty_typeEEEZZNS1_29radix_sort_onesweep_iterationIS3_Lb0EN6thrust23THRUST_200600_302600_NS6detail15normal_iteratorINS9_10device_ptrIfEEEESE_PS5_SF_jNS0_19identity_decomposerENS1_16block_id_wrapperIjLb0EEEEE10hipError_tT1_PNSt15iterator_traitsISK_E10value_typeET2_T3_PNSL_ISQ_E10value_typeET4_T5_PSV_SW_PNS1_23onesweep_lookback_stateEbbT6_jjT7_P12ihipStream_tbENKUlT_T0_SK_SP_E_clIPfSE_SF_SF_EEDaS13_S14_SK_SP_EUlS13_E_NS1_11comp_targetILNS1_3genE6ELNS1_11target_archE950ELNS1_3gpuE13ELNS1_3repE0EEENS1_47radix_sort_onesweep_sort_config_static_selectorELNS0_4arch9wavefront6targetE1EEEvSK_.has_recursion, 0
	.set _ZN7rocprim17ROCPRIM_400000_NS6detail17trampoline_kernelINS0_14default_configENS1_35radix_sort_onesweep_config_selectorIfNS0_10empty_typeEEEZZNS1_29radix_sort_onesweep_iterationIS3_Lb0EN6thrust23THRUST_200600_302600_NS6detail15normal_iteratorINS9_10device_ptrIfEEEESE_PS5_SF_jNS0_19identity_decomposerENS1_16block_id_wrapperIjLb0EEEEE10hipError_tT1_PNSt15iterator_traitsISK_E10value_typeET2_T3_PNSL_ISQ_E10value_typeET4_T5_PSV_SW_PNS1_23onesweep_lookback_stateEbbT6_jjT7_P12ihipStream_tbENKUlT_T0_SK_SP_E_clIPfSE_SF_SF_EEDaS13_S14_SK_SP_EUlS13_E_NS1_11comp_targetILNS1_3genE6ELNS1_11target_archE950ELNS1_3gpuE13ELNS1_3repE0EEENS1_47radix_sort_onesweep_sort_config_static_selectorELNS0_4arch9wavefront6targetE1EEEvSK_.has_indirect_call, 0
	.section	.AMDGPU.csdata,"",@progbits
; Kernel info:
; codeLenInByte = 11756
; TotalNumSgprs: 38
; NumVgprs: 46
; NumAgprs: 0
; TotalNumVgprs: 46
; ScratchSize: 0
; MemoryBound: 0
; FloatMode: 240
; IeeeMode: 1
; LDSByteSize: 20552 bytes/workgroup (compile time only)
; SGPRBlocks: 4
; VGPRBlocks: 5
; NumSGPRsForWavesPerEU: 38
; NumVGPRsForWavesPerEU: 46
; AccumOffset: 48
; Occupancy: 8
; WaveLimiterHint : 1
; COMPUTE_PGM_RSRC2:SCRATCH_EN: 0
; COMPUTE_PGM_RSRC2:USER_SGPR: 2
; COMPUTE_PGM_RSRC2:TRAP_HANDLER: 0
; COMPUTE_PGM_RSRC2:TGID_X_EN: 1
; COMPUTE_PGM_RSRC2:TGID_Y_EN: 0
; COMPUTE_PGM_RSRC2:TGID_Z_EN: 0
; COMPUTE_PGM_RSRC2:TIDIG_COMP_CNT: 2
; COMPUTE_PGM_RSRC3_GFX90A:ACCUM_OFFSET: 11
; COMPUTE_PGM_RSRC3_GFX90A:TG_SPLIT: 0
	.section	.text._ZN7rocprim17ROCPRIM_400000_NS6detail17trampoline_kernelINS0_14default_configENS1_35radix_sort_onesweep_config_selectorIfNS0_10empty_typeEEEZZNS1_29radix_sort_onesweep_iterationIS3_Lb0EN6thrust23THRUST_200600_302600_NS6detail15normal_iteratorINS9_10device_ptrIfEEEESE_PS5_SF_jNS0_19identity_decomposerENS1_16block_id_wrapperIjLb0EEEEE10hipError_tT1_PNSt15iterator_traitsISK_E10value_typeET2_T3_PNSL_ISQ_E10value_typeET4_T5_PSV_SW_PNS1_23onesweep_lookback_stateEbbT6_jjT7_P12ihipStream_tbENKUlT_T0_SK_SP_E_clIPfSE_SF_SF_EEDaS13_S14_SK_SP_EUlS13_E_NS1_11comp_targetILNS1_3genE5ELNS1_11target_archE942ELNS1_3gpuE9ELNS1_3repE0EEENS1_47radix_sort_onesweep_sort_config_static_selectorELNS0_4arch9wavefront6targetE1EEEvSK_,"axG",@progbits,_ZN7rocprim17ROCPRIM_400000_NS6detail17trampoline_kernelINS0_14default_configENS1_35radix_sort_onesweep_config_selectorIfNS0_10empty_typeEEEZZNS1_29radix_sort_onesweep_iterationIS3_Lb0EN6thrust23THRUST_200600_302600_NS6detail15normal_iteratorINS9_10device_ptrIfEEEESE_PS5_SF_jNS0_19identity_decomposerENS1_16block_id_wrapperIjLb0EEEEE10hipError_tT1_PNSt15iterator_traitsISK_E10value_typeET2_T3_PNSL_ISQ_E10value_typeET4_T5_PSV_SW_PNS1_23onesweep_lookback_stateEbbT6_jjT7_P12ihipStream_tbENKUlT_T0_SK_SP_E_clIPfSE_SF_SF_EEDaS13_S14_SK_SP_EUlS13_E_NS1_11comp_targetILNS1_3genE5ELNS1_11target_archE942ELNS1_3gpuE9ELNS1_3repE0EEENS1_47radix_sort_onesweep_sort_config_static_selectorELNS0_4arch9wavefront6targetE1EEEvSK_,comdat
	.protected	_ZN7rocprim17ROCPRIM_400000_NS6detail17trampoline_kernelINS0_14default_configENS1_35radix_sort_onesweep_config_selectorIfNS0_10empty_typeEEEZZNS1_29radix_sort_onesweep_iterationIS3_Lb0EN6thrust23THRUST_200600_302600_NS6detail15normal_iteratorINS9_10device_ptrIfEEEESE_PS5_SF_jNS0_19identity_decomposerENS1_16block_id_wrapperIjLb0EEEEE10hipError_tT1_PNSt15iterator_traitsISK_E10value_typeET2_T3_PNSL_ISQ_E10value_typeET4_T5_PSV_SW_PNS1_23onesweep_lookback_stateEbbT6_jjT7_P12ihipStream_tbENKUlT_T0_SK_SP_E_clIPfSE_SF_SF_EEDaS13_S14_SK_SP_EUlS13_E_NS1_11comp_targetILNS1_3genE5ELNS1_11target_archE942ELNS1_3gpuE9ELNS1_3repE0EEENS1_47radix_sort_onesweep_sort_config_static_selectorELNS0_4arch9wavefront6targetE1EEEvSK_ ; -- Begin function _ZN7rocprim17ROCPRIM_400000_NS6detail17trampoline_kernelINS0_14default_configENS1_35radix_sort_onesweep_config_selectorIfNS0_10empty_typeEEEZZNS1_29radix_sort_onesweep_iterationIS3_Lb0EN6thrust23THRUST_200600_302600_NS6detail15normal_iteratorINS9_10device_ptrIfEEEESE_PS5_SF_jNS0_19identity_decomposerENS1_16block_id_wrapperIjLb0EEEEE10hipError_tT1_PNSt15iterator_traitsISK_E10value_typeET2_T3_PNSL_ISQ_E10value_typeET4_T5_PSV_SW_PNS1_23onesweep_lookback_stateEbbT6_jjT7_P12ihipStream_tbENKUlT_T0_SK_SP_E_clIPfSE_SF_SF_EEDaS13_S14_SK_SP_EUlS13_E_NS1_11comp_targetILNS1_3genE5ELNS1_11target_archE942ELNS1_3gpuE9ELNS1_3repE0EEENS1_47radix_sort_onesweep_sort_config_static_selectorELNS0_4arch9wavefront6targetE1EEEvSK_
	.globl	_ZN7rocprim17ROCPRIM_400000_NS6detail17trampoline_kernelINS0_14default_configENS1_35radix_sort_onesweep_config_selectorIfNS0_10empty_typeEEEZZNS1_29radix_sort_onesweep_iterationIS3_Lb0EN6thrust23THRUST_200600_302600_NS6detail15normal_iteratorINS9_10device_ptrIfEEEESE_PS5_SF_jNS0_19identity_decomposerENS1_16block_id_wrapperIjLb0EEEEE10hipError_tT1_PNSt15iterator_traitsISK_E10value_typeET2_T3_PNSL_ISQ_E10value_typeET4_T5_PSV_SW_PNS1_23onesweep_lookback_stateEbbT6_jjT7_P12ihipStream_tbENKUlT_T0_SK_SP_E_clIPfSE_SF_SF_EEDaS13_S14_SK_SP_EUlS13_E_NS1_11comp_targetILNS1_3genE5ELNS1_11target_archE942ELNS1_3gpuE9ELNS1_3repE0EEENS1_47radix_sort_onesweep_sort_config_static_selectorELNS0_4arch9wavefront6targetE1EEEvSK_
	.p2align	8
	.type	_ZN7rocprim17ROCPRIM_400000_NS6detail17trampoline_kernelINS0_14default_configENS1_35radix_sort_onesweep_config_selectorIfNS0_10empty_typeEEEZZNS1_29radix_sort_onesweep_iterationIS3_Lb0EN6thrust23THRUST_200600_302600_NS6detail15normal_iteratorINS9_10device_ptrIfEEEESE_PS5_SF_jNS0_19identity_decomposerENS1_16block_id_wrapperIjLb0EEEEE10hipError_tT1_PNSt15iterator_traitsISK_E10value_typeET2_T3_PNSL_ISQ_E10value_typeET4_T5_PSV_SW_PNS1_23onesweep_lookback_stateEbbT6_jjT7_P12ihipStream_tbENKUlT_T0_SK_SP_E_clIPfSE_SF_SF_EEDaS13_S14_SK_SP_EUlS13_E_NS1_11comp_targetILNS1_3genE5ELNS1_11target_archE942ELNS1_3gpuE9ELNS1_3repE0EEENS1_47radix_sort_onesweep_sort_config_static_selectorELNS0_4arch9wavefront6targetE1EEEvSK_,@function
_ZN7rocprim17ROCPRIM_400000_NS6detail17trampoline_kernelINS0_14default_configENS1_35radix_sort_onesweep_config_selectorIfNS0_10empty_typeEEEZZNS1_29radix_sort_onesweep_iterationIS3_Lb0EN6thrust23THRUST_200600_302600_NS6detail15normal_iteratorINS9_10device_ptrIfEEEESE_PS5_SF_jNS0_19identity_decomposerENS1_16block_id_wrapperIjLb0EEEEE10hipError_tT1_PNSt15iterator_traitsISK_E10value_typeET2_T3_PNSL_ISQ_E10value_typeET4_T5_PSV_SW_PNS1_23onesweep_lookback_stateEbbT6_jjT7_P12ihipStream_tbENKUlT_T0_SK_SP_E_clIPfSE_SF_SF_EEDaS13_S14_SK_SP_EUlS13_E_NS1_11comp_targetILNS1_3genE5ELNS1_11target_archE942ELNS1_3gpuE9ELNS1_3repE0EEENS1_47radix_sort_onesweep_sort_config_static_selectorELNS0_4arch9wavefront6targetE1EEEvSK_: ; @_ZN7rocprim17ROCPRIM_400000_NS6detail17trampoline_kernelINS0_14default_configENS1_35radix_sort_onesweep_config_selectorIfNS0_10empty_typeEEEZZNS1_29radix_sort_onesweep_iterationIS3_Lb0EN6thrust23THRUST_200600_302600_NS6detail15normal_iteratorINS9_10device_ptrIfEEEESE_PS5_SF_jNS0_19identity_decomposerENS1_16block_id_wrapperIjLb0EEEEE10hipError_tT1_PNSt15iterator_traitsISK_E10value_typeET2_T3_PNSL_ISQ_E10value_typeET4_T5_PSV_SW_PNS1_23onesweep_lookback_stateEbbT6_jjT7_P12ihipStream_tbENKUlT_T0_SK_SP_E_clIPfSE_SF_SF_EEDaS13_S14_SK_SP_EUlS13_E_NS1_11comp_targetILNS1_3genE5ELNS1_11target_archE942ELNS1_3gpuE9ELNS1_3repE0EEENS1_47radix_sort_onesweep_sort_config_static_selectorELNS0_4arch9wavefront6targetE1EEEvSK_
; %bb.0:
	.section	.rodata,"a",@progbits
	.p2align	6, 0x0
	.amdhsa_kernel _ZN7rocprim17ROCPRIM_400000_NS6detail17trampoline_kernelINS0_14default_configENS1_35radix_sort_onesweep_config_selectorIfNS0_10empty_typeEEEZZNS1_29radix_sort_onesweep_iterationIS3_Lb0EN6thrust23THRUST_200600_302600_NS6detail15normal_iteratorINS9_10device_ptrIfEEEESE_PS5_SF_jNS0_19identity_decomposerENS1_16block_id_wrapperIjLb0EEEEE10hipError_tT1_PNSt15iterator_traitsISK_E10value_typeET2_T3_PNSL_ISQ_E10value_typeET4_T5_PSV_SW_PNS1_23onesweep_lookback_stateEbbT6_jjT7_P12ihipStream_tbENKUlT_T0_SK_SP_E_clIPfSE_SF_SF_EEDaS13_S14_SK_SP_EUlS13_E_NS1_11comp_targetILNS1_3genE5ELNS1_11target_archE942ELNS1_3gpuE9ELNS1_3repE0EEENS1_47radix_sort_onesweep_sort_config_static_selectorELNS0_4arch9wavefront6targetE1EEEvSK_
		.amdhsa_group_segment_fixed_size 0
		.amdhsa_private_segment_fixed_size 0
		.amdhsa_kernarg_size 88
		.amdhsa_user_sgpr_count 2
		.amdhsa_user_sgpr_dispatch_ptr 0
		.amdhsa_user_sgpr_queue_ptr 0
		.amdhsa_user_sgpr_kernarg_segment_ptr 1
		.amdhsa_user_sgpr_dispatch_id 0
		.amdhsa_user_sgpr_kernarg_preload_length 0
		.amdhsa_user_sgpr_kernarg_preload_offset 0
		.amdhsa_user_sgpr_private_segment_size 0
		.amdhsa_uses_dynamic_stack 0
		.amdhsa_enable_private_segment 0
		.amdhsa_system_sgpr_workgroup_id_x 1
		.amdhsa_system_sgpr_workgroup_id_y 0
		.amdhsa_system_sgpr_workgroup_id_z 0
		.amdhsa_system_sgpr_workgroup_info 0
		.amdhsa_system_vgpr_workitem_id 0
		.amdhsa_next_free_vgpr 1
		.amdhsa_next_free_sgpr 0
		.amdhsa_accum_offset 4
		.amdhsa_reserve_vcc 0
		.amdhsa_float_round_mode_32 0
		.amdhsa_float_round_mode_16_64 0
		.amdhsa_float_denorm_mode_32 3
		.amdhsa_float_denorm_mode_16_64 3
		.amdhsa_dx10_clamp 1
		.amdhsa_ieee_mode 1
		.amdhsa_fp16_overflow 0
		.amdhsa_tg_split 0
		.amdhsa_exception_fp_ieee_invalid_op 0
		.amdhsa_exception_fp_denorm_src 0
		.amdhsa_exception_fp_ieee_div_zero 0
		.amdhsa_exception_fp_ieee_overflow 0
		.amdhsa_exception_fp_ieee_underflow 0
		.amdhsa_exception_fp_ieee_inexact 0
		.amdhsa_exception_int_div_zero 0
	.end_amdhsa_kernel
	.section	.text._ZN7rocprim17ROCPRIM_400000_NS6detail17trampoline_kernelINS0_14default_configENS1_35radix_sort_onesweep_config_selectorIfNS0_10empty_typeEEEZZNS1_29radix_sort_onesweep_iterationIS3_Lb0EN6thrust23THRUST_200600_302600_NS6detail15normal_iteratorINS9_10device_ptrIfEEEESE_PS5_SF_jNS0_19identity_decomposerENS1_16block_id_wrapperIjLb0EEEEE10hipError_tT1_PNSt15iterator_traitsISK_E10value_typeET2_T3_PNSL_ISQ_E10value_typeET4_T5_PSV_SW_PNS1_23onesweep_lookback_stateEbbT6_jjT7_P12ihipStream_tbENKUlT_T0_SK_SP_E_clIPfSE_SF_SF_EEDaS13_S14_SK_SP_EUlS13_E_NS1_11comp_targetILNS1_3genE5ELNS1_11target_archE942ELNS1_3gpuE9ELNS1_3repE0EEENS1_47radix_sort_onesweep_sort_config_static_selectorELNS0_4arch9wavefront6targetE1EEEvSK_,"axG",@progbits,_ZN7rocprim17ROCPRIM_400000_NS6detail17trampoline_kernelINS0_14default_configENS1_35radix_sort_onesweep_config_selectorIfNS0_10empty_typeEEEZZNS1_29radix_sort_onesweep_iterationIS3_Lb0EN6thrust23THRUST_200600_302600_NS6detail15normal_iteratorINS9_10device_ptrIfEEEESE_PS5_SF_jNS0_19identity_decomposerENS1_16block_id_wrapperIjLb0EEEEE10hipError_tT1_PNSt15iterator_traitsISK_E10value_typeET2_T3_PNSL_ISQ_E10value_typeET4_T5_PSV_SW_PNS1_23onesweep_lookback_stateEbbT6_jjT7_P12ihipStream_tbENKUlT_T0_SK_SP_E_clIPfSE_SF_SF_EEDaS13_S14_SK_SP_EUlS13_E_NS1_11comp_targetILNS1_3genE5ELNS1_11target_archE942ELNS1_3gpuE9ELNS1_3repE0EEENS1_47radix_sort_onesweep_sort_config_static_selectorELNS0_4arch9wavefront6targetE1EEEvSK_,comdat
.Lfunc_end606:
	.size	_ZN7rocprim17ROCPRIM_400000_NS6detail17trampoline_kernelINS0_14default_configENS1_35radix_sort_onesweep_config_selectorIfNS0_10empty_typeEEEZZNS1_29radix_sort_onesweep_iterationIS3_Lb0EN6thrust23THRUST_200600_302600_NS6detail15normal_iteratorINS9_10device_ptrIfEEEESE_PS5_SF_jNS0_19identity_decomposerENS1_16block_id_wrapperIjLb0EEEEE10hipError_tT1_PNSt15iterator_traitsISK_E10value_typeET2_T3_PNSL_ISQ_E10value_typeET4_T5_PSV_SW_PNS1_23onesweep_lookback_stateEbbT6_jjT7_P12ihipStream_tbENKUlT_T0_SK_SP_E_clIPfSE_SF_SF_EEDaS13_S14_SK_SP_EUlS13_E_NS1_11comp_targetILNS1_3genE5ELNS1_11target_archE942ELNS1_3gpuE9ELNS1_3repE0EEENS1_47radix_sort_onesweep_sort_config_static_selectorELNS0_4arch9wavefront6targetE1EEEvSK_, .Lfunc_end606-_ZN7rocprim17ROCPRIM_400000_NS6detail17trampoline_kernelINS0_14default_configENS1_35radix_sort_onesweep_config_selectorIfNS0_10empty_typeEEEZZNS1_29radix_sort_onesweep_iterationIS3_Lb0EN6thrust23THRUST_200600_302600_NS6detail15normal_iteratorINS9_10device_ptrIfEEEESE_PS5_SF_jNS0_19identity_decomposerENS1_16block_id_wrapperIjLb0EEEEE10hipError_tT1_PNSt15iterator_traitsISK_E10value_typeET2_T3_PNSL_ISQ_E10value_typeET4_T5_PSV_SW_PNS1_23onesweep_lookback_stateEbbT6_jjT7_P12ihipStream_tbENKUlT_T0_SK_SP_E_clIPfSE_SF_SF_EEDaS13_S14_SK_SP_EUlS13_E_NS1_11comp_targetILNS1_3genE5ELNS1_11target_archE942ELNS1_3gpuE9ELNS1_3repE0EEENS1_47radix_sort_onesweep_sort_config_static_selectorELNS0_4arch9wavefront6targetE1EEEvSK_
                                        ; -- End function
	.set _ZN7rocprim17ROCPRIM_400000_NS6detail17trampoline_kernelINS0_14default_configENS1_35radix_sort_onesweep_config_selectorIfNS0_10empty_typeEEEZZNS1_29radix_sort_onesweep_iterationIS3_Lb0EN6thrust23THRUST_200600_302600_NS6detail15normal_iteratorINS9_10device_ptrIfEEEESE_PS5_SF_jNS0_19identity_decomposerENS1_16block_id_wrapperIjLb0EEEEE10hipError_tT1_PNSt15iterator_traitsISK_E10value_typeET2_T3_PNSL_ISQ_E10value_typeET4_T5_PSV_SW_PNS1_23onesweep_lookback_stateEbbT6_jjT7_P12ihipStream_tbENKUlT_T0_SK_SP_E_clIPfSE_SF_SF_EEDaS13_S14_SK_SP_EUlS13_E_NS1_11comp_targetILNS1_3genE5ELNS1_11target_archE942ELNS1_3gpuE9ELNS1_3repE0EEENS1_47radix_sort_onesweep_sort_config_static_selectorELNS0_4arch9wavefront6targetE1EEEvSK_.num_vgpr, 0
	.set _ZN7rocprim17ROCPRIM_400000_NS6detail17trampoline_kernelINS0_14default_configENS1_35radix_sort_onesweep_config_selectorIfNS0_10empty_typeEEEZZNS1_29radix_sort_onesweep_iterationIS3_Lb0EN6thrust23THRUST_200600_302600_NS6detail15normal_iteratorINS9_10device_ptrIfEEEESE_PS5_SF_jNS0_19identity_decomposerENS1_16block_id_wrapperIjLb0EEEEE10hipError_tT1_PNSt15iterator_traitsISK_E10value_typeET2_T3_PNSL_ISQ_E10value_typeET4_T5_PSV_SW_PNS1_23onesweep_lookback_stateEbbT6_jjT7_P12ihipStream_tbENKUlT_T0_SK_SP_E_clIPfSE_SF_SF_EEDaS13_S14_SK_SP_EUlS13_E_NS1_11comp_targetILNS1_3genE5ELNS1_11target_archE942ELNS1_3gpuE9ELNS1_3repE0EEENS1_47radix_sort_onesweep_sort_config_static_selectorELNS0_4arch9wavefront6targetE1EEEvSK_.num_agpr, 0
	.set _ZN7rocprim17ROCPRIM_400000_NS6detail17trampoline_kernelINS0_14default_configENS1_35radix_sort_onesweep_config_selectorIfNS0_10empty_typeEEEZZNS1_29radix_sort_onesweep_iterationIS3_Lb0EN6thrust23THRUST_200600_302600_NS6detail15normal_iteratorINS9_10device_ptrIfEEEESE_PS5_SF_jNS0_19identity_decomposerENS1_16block_id_wrapperIjLb0EEEEE10hipError_tT1_PNSt15iterator_traitsISK_E10value_typeET2_T3_PNSL_ISQ_E10value_typeET4_T5_PSV_SW_PNS1_23onesweep_lookback_stateEbbT6_jjT7_P12ihipStream_tbENKUlT_T0_SK_SP_E_clIPfSE_SF_SF_EEDaS13_S14_SK_SP_EUlS13_E_NS1_11comp_targetILNS1_3genE5ELNS1_11target_archE942ELNS1_3gpuE9ELNS1_3repE0EEENS1_47radix_sort_onesweep_sort_config_static_selectorELNS0_4arch9wavefront6targetE1EEEvSK_.numbered_sgpr, 0
	.set _ZN7rocprim17ROCPRIM_400000_NS6detail17trampoline_kernelINS0_14default_configENS1_35radix_sort_onesweep_config_selectorIfNS0_10empty_typeEEEZZNS1_29radix_sort_onesweep_iterationIS3_Lb0EN6thrust23THRUST_200600_302600_NS6detail15normal_iteratorINS9_10device_ptrIfEEEESE_PS5_SF_jNS0_19identity_decomposerENS1_16block_id_wrapperIjLb0EEEEE10hipError_tT1_PNSt15iterator_traitsISK_E10value_typeET2_T3_PNSL_ISQ_E10value_typeET4_T5_PSV_SW_PNS1_23onesweep_lookback_stateEbbT6_jjT7_P12ihipStream_tbENKUlT_T0_SK_SP_E_clIPfSE_SF_SF_EEDaS13_S14_SK_SP_EUlS13_E_NS1_11comp_targetILNS1_3genE5ELNS1_11target_archE942ELNS1_3gpuE9ELNS1_3repE0EEENS1_47radix_sort_onesweep_sort_config_static_selectorELNS0_4arch9wavefront6targetE1EEEvSK_.num_named_barrier, 0
	.set _ZN7rocprim17ROCPRIM_400000_NS6detail17trampoline_kernelINS0_14default_configENS1_35radix_sort_onesweep_config_selectorIfNS0_10empty_typeEEEZZNS1_29radix_sort_onesweep_iterationIS3_Lb0EN6thrust23THRUST_200600_302600_NS6detail15normal_iteratorINS9_10device_ptrIfEEEESE_PS5_SF_jNS0_19identity_decomposerENS1_16block_id_wrapperIjLb0EEEEE10hipError_tT1_PNSt15iterator_traitsISK_E10value_typeET2_T3_PNSL_ISQ_E10value_typeET4_T5_PSV_SW_PNS1_23onesweep_lookback_stateEbbT6_jjT7_P12ihipStream_tbENKUlT_T0_SK_SP_E_clIPfSE_SF_SF_EEDaS13_S14_SK_SP_EUlS13_E_NS1_11comp_targetILNS1_3genE5ELNS1_11target_archE942ELNS1_3gpuE9ELNS1_3repE0EEENS1_47radix_sort_onesweep_sort_config_static_selectorELNS0_4arch9wavefront6targetE1EEEvSK_.private_seg_size, 0
	.set _ZN7rocprim17ROCPRIM_400000_NS6detail17trampoline_kernelINS0_14default_configENS1_35radix_sort_onesweep_config_selectorIfNS0_10empty_typeEEEZZNS1_29radix_sort_onesweep_iterationIS3_Lb0EN6thrust23THRUST_200600_302600_NS6detail15normal_iteratorINS9_10device_ptrIfEEEESE_PS5_SF_jNS0_19identity_decomposerENS1_16block_id_wrapperIjLb0EEEEE10hipError_tT1_PNSt15iterator_traitsISK_E10value_typeET2_T3_PNSL_ISQ_E10value_typeET4_T5_PSV_SW_PNS1_23onesweep_lookback_stateEbbT6_jjT7_P12ihipStream_tbENKUlT_T0_SK_SP_E_clIPfSE_SF_SF_EEDaS13_S14_SK_SP_EUlS13_E_NS1_11comp_targetILNS1_3genE5ELNS1_11target_archE942ELNS1_3gpuE9ELNS1_3repE0EEENS1_47radix_sort_onesweep_sort_config_static_selectorELNS0_4arch9wavefront6targetE1EEEvSK_.uses_vcc, 0
	.set _ZN7rocprim17ROCPRIM_400000_NS6detail17trampoline_kernelINS0_14default_configENS1_35radix_sort_onesweep_config_selectorIfNS0_10empty_typeEEEZZNS1_29radix_sort_onesweep_iterationIS3_Lb0EN6thrust23THRUST_200600_302600_NS6detail15normal_iteratorINS9_10device_ptrIfEEEESE_PS5_SF_jNS0_19identity_decomposerENS1_16block_id_wrapperIjLb0EEEEE10hipError_tT1_PNSt15iterator_traitsISK_E10value_typeET2_T3_PNSL_ISQ_E10value_typeET4_T5_PSV_SW_PNS1_23onesweep_lookback_stateEbbT6_jjT7_P12ihipStream_tbENKUlT_T0_SK_SP_E_clIPfSE_SF_SF_EEDaS13_S14_SK_SP_EUlS13_E_NS1_11comp_targetILNS1_3genE5ELNS1_11target_archE942ELNS1_3gpuE9ELNS1_3repE0EEENS1_47radix_sort_onesweep_sort_config_static_selectorELNS0_4arch9wavefront6targetE1EEEvSK_.uses_flat_scratch, 0
	.set _ZN7rocprim17ROCPRIM_400000_NS6detail17trampoline_kernelINS0_14default_configENS1_35radix_sort_onesweep_config_selectorIfNS0_10empty_typeEEEZZNS1_29radix_sort_onesweep_iterationIS3_Lb0EN6thrust23THRUST_200600_302600_NS6detail15normal_iteratorINS9_10device_ptrIfEEEESE_PS5_SF_jNS0_19identity_decomposerENS1_16block_id_wrapperIjLb0EEEEE10hipError_tT1_PNSt15iterator_traitsISK_E10value_typeET2_T3_PNSL_ISQ_E10value_typeET4_T5_PSV_SW_PNS1_23onesweep_lookback_stateEbbT6_jjT7_P12ihipStream_tbENKUlT_T0_SK_SP_E_clIPfSE_SF_SF_EEDaS13_S14_SK_SP_EUlS13_E_NS1_11comp_targetILNS1_3genE5ELNS1_11target_archE942ELNS1_3gpuE9ELNS1_3repE0EEENS1_47radix_sort_onesweep_sort_config_static_selectorELNS0_4arch9wavefront6targetE1EEEvSK_.has_dyn_sized_stack, 0
	.set _ZN7rocprim17ROCPRIM_400000_NS6detail17trampoline_kernelINS0_14default_configENS1_35radix_sort_onesweep_config_selectorIfNS0_10empty_typeEEEZZNS1_29radix_sort_onesweep_iterationIS3_Lb0EN6thrust23THRUST_200600_302600_NS6detail15normal_iteratorINS9_10device_ptrIfEEEESE_PS5_SF_jNS0_19identity_decomposerENS1_16block_id_wrapperIjLb0EEEEE10hipError_tT1_PNSt15iterator_traitsISK_E10value_typeET2_T3_PNSL_ISQ_E10value_typeET4_T5_PSV_SW_PNS1_23onesweep_lookback_stateEbbT6_jjT7_P12ihipStream_tbENKUlT_T0_SK_SP_E_clIPfSE_SF_SF_EEDaS13_S14_SK_SP_EUlS13_E_NS1_11comp_targetILNS1_3genE5ELNS1_11target_archE942ELNS1_3gpuE9ELNS1_3repE0EEENS1_47radix_sort_onesweep_sort_config_static_selectorELNS0_4arch9wavefront6targetE1EEEvSK_.has_recursion, 0
	.set _ZN7rocprim17ROCPRIM_400000_NS6detail17trampoline_kernelINS0_14default_configENS1_35radix_sort_onesweep_config_selectorIfNS0_10empty_typeEEEZZNS1_29radix_sort_onesweep_iterationIS3_Lb0EN6thrust23THRUST_200600_302600_NS6detail15normal_iteratorINS9_10device_ptrIfEEEESE_PS5_SF_jNS0_19identity_decomposerENS1_16block_id_wrapperIjLb0EEEEE10hipError_tT1_PNSt15iterator_traitsISK_E10value_typeET2_T3_PNSL_ISQ_E10value_typeET4_T5_PSV_SW_PNS1_23onesweep_lookback_stateEbbT6_jjT7_P12ihipStream_tbENKUlT_T0_SK_SP_E_clIPfSE_SF_SF_EEDaS13_S14_SK_SP_EUlS13_E_NS1_11comp_targetILNS1_3genE5ELNS1_11target_archE942ELNS1_3gpuE9ELNS1_3repE0EEENS1_47radix_sort_onesweep_sort_config_static_selectorELNS0_4arch9wavefront6targetE1EEEvSK_.has_indirect_call, 0
	.section	.AMDGPU.csdata,"",@progbits
; Kernel info:
; codeLenInByte = 0
; TotalNumSgprs: 6
; NumVgprs: 0
; NumAgprs: 0
; TotalNumVgprs: 0
; ScratchSize: 0
; MemoryBound: 0
; FloatMode: 240
; IeeeMode: 1
; LDSByteSize: 0 bytes/workgroup (compile time only)
; SGPRBlocks: 0
; VGPRBlocks: 0
; NumSGPRsForWavesPerEU: 6
; NumVGPRsForWavesPerEU: 1
; AccumOffset: 4
; Occupancy: 8
; WaveLimiterHint : 0
; COMPUTE_PGM_RSRC2:SCRATCH_EN: 0
; COMPUTE_PGM_RSRC2:USER_SGPR: 2
; COMPUTE_PGM_RSRC2:TRAP_HANDLER: 0
; COMPUTE_PGM_RSRC2:TGID_X_EN: 1
; COMPUTE_PGM_RSRC2:TGID_Y_EN: 0
; COMPUTE_PGM_RSRC2:TGID_Z_EN: 0
; COMPUTE_PGM_RSRC2:TIDIG_COMP_CNT: 0
; COMPUTE_PGM_RSRC3_GFX90A:ACCUM_OFFSET: 0
; COMPUTE_PGM_RSRC3_GFX90A:TG_SPLIT: 0
	.section	.text._ZN7rocprim17ROCPRIM_400000_NS6detail17trampoline_kernelINS0_14default_configENS1_35radix_sort_onesweep_config_selectorIfNS0_10empty_typeEEEZZNS1_29radix_sort_onesweep_iterationIS3_Lb0EN6thrust23THRUST_200600_302600_NS6detail15normal_iteratorINS9_10device_ptrIfEEEESE_PS5_SF_jNS0_19identity_decomposerENS1_16block_id_wrapperIjLb0EEEEE10hipError_tT1_PNSt15iterator_traitsISK_E10value_typeET2_T3_PNSL_ISQ_E10value_typeET4_T5_PSV_SW_PNS1_23onesweep_lookback_stateEbbT6_jjT7_P12ihipStream_tbENKUlT_T0_SK_SP_E_clIPfSE_SF_SF_EEDaS13_S14_SK_SP_EUlS13_E_NS1_11comp_targetILNS1_3genE2ELNS1_11target_archE906ELNS1_3gpuE6ELNS1_3repE0EEENS1_47radix_sort_onesweep_sort_config_static_selectorELNS0_4arch9wavefront6targetE1EEEvSK_,"axG",@progbits,_ZN7rocprim17ROCPRIM_400000_NS6detail17trampoline_kernelINS0_14default_configENS1_35radix_sort_onesweep_config_selectorIfNS0_10empty_typeEEEZZNS1_29radix_sort_onesweep_iterationIS3_Lb0EN6thrust23THRUST_200600_302600_NS6detail15normal_iteratorINS9_10device_ptrIfEEEESE_PS5_SF_jNS0_19identity_decomposerENS1_16block_id_wrapperIjLb0EEEEE10hipError_tT1_PNSt15iterator_traitsISK_E10value_typeET2_T3_PNSL_ISQ_E10value_typeET4_T5_PSV_SW_PNS1_23onesweep_lookback_stateEbbT6_jjT7_P12ihipStream_tbENKUlT_T0_SK_SP_E_clIPfSE_SF_SF_EEDaS13_S14_SK_SP_EUlS13_E_NS1_11comp_targetILNS1_3genE2ELNS1_11target_archE906ELNS1_3gpuE6ELNS1_3repE0EEENS1_47radix_sort_onesweep_sort_config_static_selectorELNS0_4arch9wavefront6targetE1EEEvSK_,comdat
	.protected	_ZN7rocprim17ROCPRIM_400000_NS6detail17trampoline_kernelINS0_14default_configENS1_35radix_sort_onesweep_config_selectorIfNS0_10empty_typeEEEZZNS1_29radix_sort_onesweep_iterationIS3_Lb0EN6thrust23THRUST_200600_302600_NS6detail15normal_iteratorINS9_10device_ptrIfEEEESE_PS5_SF_jNS0_19identity_decomposerENS1_16block_id_wrapperIjLb0EEEEE10hipError_tT1_PNSt15iterator_traitsISK_E10value_typeET2_T3_PNSL_ISQ_E10value_typeET4_T5_PSV_SW_PNS1_23onesweep_lookback_stateEbbT6_jjT7_P12ihipStream_tbENKUlT_T0_SK_SP_E_clIPfSE_SF_SF_EEDaS13_S14_SK_SP_EUlS13_E_NS1_11comp_targetILNS1_3genE2ELNS1_11target_archE906ELNS1_3gpuE6ELNS1_3repE0EEENS1_47radix_sort_onesweep_sort_config_static_selectorELNS0_4arch9wavefront6targetE1EEEvSK_ ; -- Begin function _ZN7rocprim17ROCPRIM_400000_NS6detail17trampoline_kernelINS0_14default_configENS1_35radix_sort_onesweep_config_selectorIfNS0_10empty_typeEEEZZNS1_29radix_sort_onesweep_iterationIS3_Lb0EN6thrust23THRUST_200600_302600_NS6detail15normal_iteratorINS9_10device_ptrIfEEEESE_PS5_SF_jNS0_19identity_decomposerENS1_16block_id_wrapperIjLb0EEEEE10hipError_tT1_PNSt15iterator_traitsISK_E10value_typeET2_T3_PNSL_ISQ_E10value_typeET4_T5_PSV_SW_PNS1_23onesweep_lookback_stateEbbT6_jjT7_P12ihipStream_tbENKUlT_T0_SK_SP_E_clIPfSE_SF_SF_EEDaS13_S14_SK_SP_EUlS13_E_NS1_11comp_targetILNS1_3genE2ELNS1_11target_archE906ELNS1_3gpuE6ELNS1_3repE0EEENS1_47radix_sort_onesweep_sort_config_static_selectorELNS0_4arch9wavefront6targetE1EEEvSK_
	.globl	_ZN7rocprim17ROCPRIM_400000_NS6detail17trampoline_kernelINS0_14default_configENS1_35radix_sort_onesweep_config_selectorIfNS0_10empty_typeEEEZZNS1_29radix_sort_onesweep_iterationIS3_Lb0EN6thrust23THRUST_200600_302600_NS6detail15normal_iteratorINS9_10device_ptrIfEEEESE_PS5_SF_jNS0_19identity_decomposerENS1_16block_id_wrapperIjLb0EEEEE10hipError_tT1_PNSt15iterator_traitsISK_E10value_typeET2_T3_PNSL_ISQ_E10value_typeET4_T5_PSV_SW_PNS1_23onesweep_lookback_stateEbbT6_jjT7_P12ihipStream_tbENKUlT_T0_SK_SP_E_clIPfSE_SF_SF_EEDaS13_S14_SK_SP_EUlS13_E_NS1_11comp_targetILNS1_3genE2ELNS1_11target_archE906ELNS1_3gpuE6ELNS1_3repE0EEENS1_47radix_sort_onesweep_sort_config_static_selectorELNS0_4arch9wavefront6targetE1EEEvSK_
	.p2align	8
	.type	_ZN7rocprim17ROCPRIM_400000_NS6detail17trampoline_kernelINS0_14default_configENS1_35radix_sort_onesweep_config_selectorIfNS0_10empty_typeEEEZZNS1_29radix_sort_onesweep_iterationIS3_Lb0EN6thrust23THRUST_200600_302600_NS6detail15normal_iteratorINS9_10device_ptrIfEEEESE_PS5_SF_jNS0_19identity_decomposerENS1_16block_id_wrapperIjLb0EEEEE10hipError_tT1_PNSt15iterator_traitsISK_E10value_typeET2_T3_PNSL_ISQ_E10value_typeET4_T5_PSV_SW_PNS1_23onesweep_lookback_stateEbbT6_jjT7_P12ihipStream_tbENKUlT_T0_SK_SP_E_clIPfSE_SF_SF_EEDaS13_S14_SK_SP_EUlS13_E_NS1_11comp_targetILNS1_3genE2ELNS1_11target_archE906ELNS1_3gpuE6ELNS1_3repE0EEENS1_47radix_sort_onesweep_sort_config_static_selectorELNS0_4arch9wavefront6targetE1EEEvSK_,@function
_ZN7rocprim17ROCPRIM_400000_NS6detail17trampoline_kernelINS0_14default_configENS1_35radix_sort_onesweep_config_selectorIfNS0_10empty_typeEEEZZNS1_29radix_sort_onesweep_iterationIS3_Lb0EN6thrust23THRUST_200600_302600_NS6detail15normal_iteratorINS9_10device_ptrIfEEEESE_PS5_SF_jNS0_19identity_decomposerENS1_16block_id_wrapperIjLb0EEEEE10hipError_tT1_PNSt15iterator_traitsISK_E10value_typeET2_T3_PNSL_ISQ_E10value_typeET4_T5_PSV_SW_PNS1_23onesweep_lookback_stateEbbT6_jjT7_P12ihipStream_tbENKUlT_T0_SK_SP_E_clIPfSE_SF_SF_EEDaS13_S14_SK_SP_EUlS13_E_NS1_11comp_targetILNS1_3genE2ELNS1_11target_archE906ELNS1_3gpuE6ELNS1_3repE0EEENS1_47radix_sort_onesweep_sort_config_static_selectorELNS0_4arch9wavefront6targetE1EEEvSK_: ; @_ZN7rocprim17ROCPRIM_400000_NS6detail17trampoline_kernelINS0_14default_configENS1_35radix_sort_onesweep_config_selectorIfNS0_10empty_typeEEEZZNS1_29radix_sort_onesweep_iterationIS3_Lb0EN6thrust23THRUST_200600_302600_NS6detail15normal_iteratorINS9_10device_ptrIfEEEESE_PS5_SF_jNS0_19identity_decomposerENS1_16block_id_wrapperIjLb0EEEEE10hipError_tT1_PNSt15iterator_traitsISK_E10value_typeET2_T3_PNSL_ISQ_E10value_typeET4_T5_PSV_SW_PNS1_23onesweep_lookback_stateEbbT6_jjT7_P12ihipStream_tbENKUlT_T0_SK_SP_E_clIPfSE_SF_SF_EEDaS13_S14_SK_SP_EUlS13_E_NS1_11comp_targetILNS1_3genE2ELNS1_11target_archE906ELNS1_3gpuE6ELNS1_3repE0EEENS1_47radix_sort_onesweep_sort_config_static_selectorELNS0_4arch9wavefront6targetE1EEEvSK_
; %bb.0:
	.section	.rodata,"a",@progbits
	.p2align	6, 0x0
	.amdhsa_kernel _ZN7rocprim17ROCPRIM_400000_NS6detail17trampoline_kernelINS0_14default_configENS1_35radix_sort_onesweep_config_selectorIfNS0_10empty_typeEEEZZNS1_29radix_sort_onesweep_iterationIS3_Lb0EN6thrust23THRUST_200600_302600_NS6detail15normal_iteratorINS9_10device_ptrIfEEEESE_PS5_SF_jNS0_19identity_decomposerENS1_16block_id_wrapperIjLb0EEEEE10hipError_tT1_PNSt15iterator_traitsISK_E10value_typeET2_T3_PNSL_ISQ_E10value_typeET4_T5_PSV_SW_PNS1_23onesweep_lookback_stateEbbT6_jjT7_P12ihipStream_tbENKUlT_T0_SK_SP_E_clIPfSE_SF_SF_EEDaS13_S14_SK_SP_EUlS13_E_NS1_11comp_targetILNS1_3genE2ELNS1_11target_archE906ELNS1_3gpuE6ELNS1_3repE0EEENS1_47radix_sort_onesweep_sort_config_static_selectorELNS0_4arch9wavefront6targetE1EEEvSK_
		.amdhsa_group_segment_fixed_size 0
		.amdhsa_private_segment_fixed_size 0
		.amdhsa_kernarg_size 88
		.amdhsa_user_sgpr_count 2
		.amdhsa_user_sgpr_dispatch_ptr 0
		.amdhsa_user_sgpr_queue_ptr 0
		.amdhsa_user_sgpr_kernarg_segment_ptr 1
		.amdhsa_user_sgpr_dispatch_id 0
		.amdhsa_user_sgpr_kernarg_preload_length 0
		.amdhsa_user_sgpr_kernarg_preload_offset 0
		.amdhsa_user_sgpr_private_segment_size 0
		.amdhsa_uses_dynamic_stack 0
		.amdhsa_enable_private_segment 0
		.amdhsa_system_sgpr_workgroup_id_x 1
		.amdhsa_system_sgpr_workgroup_id_y 0
		.amdhsa_system_sgpr_workgroup_id_z 0
		.amdhsa_system_sgpr_workgroup_info 0
		.amdhsa_system_vgpr_workitem_id 0
		.amdhsa_next_free_vgpr 1
		.amdhsa_next_free_sgpr 0
		.amdhsa_accum_offset 4
		.amdhsa_reserve_vcc 0
		.amdhsa_float_round_mode_32 0
		.amdhsa_float_round_mode_16_64 0
		.amdhsa_float_denorm_mode_32 3
		.amdhsa_float_denorm_mode_16_64 3
		.amdhsa_dx10_clamp 1
		.amdhsa_ieee_mode 1
		.amdhsa_fp16_overflow 0
		.amdhsa_tg_split 0
		.amdhsa_exception_fp_ieee_invalid_op 0
		.amdhsa_exception_fp_denorm_src 0
		.amdhsa_exception_fp_ieee_div_zero 0
		.amdhsa_exception_fp_ieee_overflow 0
		.amdhsa_exception_fp_ieee_underflow 0
		.amdhsa_exception_fp_ieee_inexact 0
		.amdhsa_exception_int_div_zero 0
	.end_amdhsa_kernel
	.section	.text._ZN7rocprim17ROCPRIM_400000_NS6detail17trampoline_kernelINS0_14default_configENS1_35radix_sort_onesweep_config_selectorIfNS0_10empty_typeEEEZZNS1_29radix_sort_onesweep_iterationIS3_Lb0EN6thrust23THRUST_200600_302600_NS6detail15normal_iteratorINS9_10device_ptrIfEEEESE_PS5_SF_jNS0_19identity_decomposerENS1_16block_id_wrapperIjLb0EEEEE10hipError_tT1_PNSt15iterator_traitsISK_E10value_typeET2_T3_PNSL_ISQ_E10value_typeET4_T5_PSV_SW_PNS1_23onesweep_lookback_stateEbbT6_jjT7_P12ihipStream_tbENKUlT_T0_SK_SP_E_clIPfSE_SF_SF_EEDaS13_S14_SK_SP_EUlS13_E_NS1_11comp_targetILNS1_3genE2ELNS1_11target_archE906ELNS1_3gpuE6ELNS1_3repE0EEENS1_47radix_sort_onesweep_sort_config_static_selectorELNS0_4arch9wavefront6targetE1EEEvSK_,"axG",@progbits,_ZN7rocprim17ROCPRIM_400000_NS6detail17trampoline_kernelINS0_14default_configENS1_35radix_sort_onesweep_config_selectorIfNS0_10empty_typeEEEZZNS1_29radix_sort_onesweep_iterationIS3_Lb0EN6thrust23THRUST_200600_302600_NS6detail15normal_iteratorINS9_10device_ptrIfEEEESE_PS5_SF_jNS0_19identity_decomposerENS1_16block_id_wrapperIjLb0EEEEE10hipError_tT1_PNSt15iterator_traitsISK_E10value_typeET2_T3_PNSL_ISQ_E10value_typeET4_T5_PSV_SW_PNS1_23onesweep_lookback_stateEbbT6_jjT7_P12ihipStream_tbENKUlT_T0_SK_SP_E_clIPfSE_SF_SF_EEDaS13_S14_SK_SP_EUlS13_E_NS1_11comp_targetILNS1_3genE2ELNS1_11target_archE906ELNS1_3gpuE6ELNS1_3repE0EEENS1_47radix_sort_onesweep_sort_config_static_selectorELNS0_4arch9wavefront6targetE1EEEvSK_,comdat
.Lfunc_end607:
	.size	_ZN7rocprim17ROCPRIM_400000_NS6detail17trampoline_kernelINS0_14default_configENS1_35radix_sort_onesweep_config_selectorIfNS0_10empty_typeEEEZZNS1_29radix_sort_onesweep_iterationIS3_Lb0EN6thrust23THRUST_200600_302600_NS6detail15normal_iteratorINS9_10device_ptrIfEEEESE_PS5_SF_jNS0_19identity_decomposerENS1_16block_id_wrapperIjLb0EEEEE10hipError_tT1_PNSt15iterator_traitsISK_E10value_typeET2_T3_PNSL_ISQ_E10value_typeET4_T5_PSV_SW_PNS1_23onesweep_lookback_stateEbbT6_jjT7_P12ihipStream_tbENKUlT_T0_SK_SP_E_clIPfSE_SF_SF_EEDaS13_S14_SK_SP_EUlS13_E_NS1_11comp_targetILNS1_3genE2ELNS1_11target_archE906ELNS1_3gpuE6ELNS1_3repE0EEENS1_47radix_sort_onesweep_sort_config_static_selectorELNS0_4arch9wavefront6targetE1EEEvSK_, .Lfunc_end607-_ZN7rocprim17ROCPRIM_400000_NS6detail17trampoline_kernelINS0_14default_configENS1_35radix_sort_onesweep_config_selectorIfNS0_10empty_typeEEEZZNS1_29radix_sort_onesweep_iterationIS3_Lb0EN6thrust23THRUST_200600_302600_NS6detail15normal_iteratorINS9_10device_ptrIfEEEESE_PS5_SF_jNS0_19identity_decomposerENS1_16block_id_wrapperIjLb0EEEEE10hipError_tT1_PNSt15iterator_traitsISK_E10value_typeET2_T3_PNSL_ISQ_E10value_typeET4_T5_PSV_SW_PNS1_23onesweep_lookback_stateEbbT6_jjT7_P12ihipStream_tbENKUlT_T0_SK_SP_E_clIPfSE_SF_SF_EEDaS13_S14_SK_SP_EUlS13_E_NS1_11comp_targetILNS1_3genE2ELNS1_11target_archE906ELNS1_3gpuE6ELNS1_3repE0EEENS1_47radix_sort_onesweep_sort_config_static_selectorELNS0_4arch9wavefront6targetE1EEEvSK_
                                        ; -- End function
	.set _ZN7rocprim17ROCPRIM_400000_NS6detail17trampoline_kernelINS0_14default_configENS1_35radix_sort_onesweep_config_selectorIfNS0_10empty_typeEEEZZNS1_29radix_sort_onesweep_iterationIS3_Lb0EN6thrust23THRUST_200600_302600_NS6detail15normal_iteratorINS9_10device_ptrIfEEEESE_PS5_SF_jNS0_19identity_decomposerENS1_16block_id_wrapperIjLb0EEEEE10hipError_tT1_PNSt15iterator_traitsISK_E10value_typeET2_T3_PNSL_ISQ_E10value_typeET4_T5_PSV_SW_PNS1_23onesweep_lookback_stateEbbT6_jjT7_P12ihipStream_tbENKUlT_T0_SK_SP_E_clIPfSE_SF_SF_EEDaS13_S14_SK_SP_EUlS13_E_NS1_11comp_targetILNS1_3genE2ELNS1_11target_archE906ELNS1_3gpuE6ELNS1_3repE0EEENS1_47radix_sort_onesweep_sort_config_static_selectorELNS0_4arch9wavefront6targetE1EEEvSK_.num_vgpr, 0
	.set _ZN7rocprim17ROCPRIM_400000_NS6detail17trampoline_kernelINS0_14default_configENS1_35radix_sort_onesweep_config_selectorIfNS0_10empty_typeEEEZZNS1_29radix_sort_onesweep_iterationIS3_Lb0EN6thrust23THRUST_200600_302600_NS6detail15normal_iteratorINS9_10device_ptrIfEEEESE_PS5_SF_jNS0_19identity_decomposerENS1_16block_id_wrapperIjLb0EEEEE10hipError_tT1_PNSt15iterator_traitsISK_E10value_typeET2_T3_PNSL_ISQ_E10value_typeET4_T5_PSV_SW_PNS1_23onesweep_lookback_stateEbbT6_jjT7_P12ihipStream_tbENKUlT_T0_SK_SP_E_clIPfSE_SF_SF_EEDaS13_S14_SK_SP_EUlS13_E_NS1_11comp_targetILNS1_3genE2ELNS1_11target_archE906ELNS1_3gpuE6ELNS1_3repE0EEENS1_47radix_sort_onesweep_sort_config_static_selectorELNS0_4arch9wavefront6targetE1EEEvSK_.num_agpr, 0
	.set _ZN7rocprim17ROCPRIM_400000_NS6detail17trampoline_kernelINS0_14default_configENS1_35radix_sort_onesweep_config_selectorIfNS0_10empty_typeEEEZZNS1_29radix_sort_onesweep_iterationIS3_Lb0EN6thrust23THRUST_200600_302600_NS6detail15normal_iteratorINS9_10device_ptrIfEEEESE_PS5_SF_jNS0_19identity_decomposerENS1_16block_id_wrapperIjLb0EEEEE10hipError_tT1_PNSt15iterator_traitsISK_E10value_typeET2_T3_PNSL_ISQ_E10value_typeET4_T5_PSV_SW_PNS1_23onesweep_lookback_stateEbbT6_jjT7_P12ihipStream_tbENKUlT_T0_SK_SP_E_clIPfSE_SF_SF_EEDaS13_S14_SK_SP_EUlS13_E_NS1_11comp_targetILNS1_3genE2ELNS1_11target_archE906ELNS1_3gpuE6ELNS1_3repE0EEENS1_47radix_sort_onesweep_sort_config_static_selectorELNS0_4arch9wavefront6targetE1EEEvSK_.numbered_sgpr, 0
	.set _ZN7rocprim17ROCPRIM_400000_NS6detail17trampoline_kernelINS0_14default_configENS1_35radix_sort_onesweep_config_selectorIfNS0_10empty_typeEEEZZNS1_29radix_sort_onesweep_iterationIS3_Lb0EN6thrust23THRUST_200600_302600_NS6detail15normal_iteratorINS9_10device_ptrIfEEEESE_PS5_SF_jNS0_19identity_decomposerENS1_16block_id_wrapperIjLb0EEEEE10hipError_tT1_PNSt15iterator_traitsISK_E10value_typeET2_T3_PNSL_ISQ_E10value_typeET4_T5_PSV_SW_PNS1_23onesweep_lookback_stateEbbT6_jjT7_P12ihipStream_tbENKUlT_T0_SK_SP_E_clIPfSE_SF_SF_EEDaS13_S14_SK_SP_EUlS13_E_NS1_11comp_targetILNS1_3genE2ELNS1_11target_archE906ELNS1_3gpuE6ELNS1_3repE0EEENS1_47radix_sort_onesweep_sort_config_static_selectorELNS0_4arch9wavefront6targetE1EEEvSK_.num_named_barrier, 0
	.set _ZN7rocprim17ROCPRIM_400000_NS6detail17trampoline_kernelINS0_14default_configENS1_35radix_sort_onesweep_config_selectorIfNS0_10empty_typeEEEZZNS1_29radix_sort_onesweep_iterationIS3_Lb0EN6thrust23THRUST_200600_302600_NS6detail15normal_iteratorINS9_10device_ptrIfEEEESE_PS5_SF_jNS0_19identity_decomposerENS1_16block_id_wrapperIjLb0EEEEE10hipError_tT1_PNSt15iterator_traitsISK_E10value_typeET2_T3_PNSL_ISQ_E10value_typeET4_T5_PSV_SW_PNS1_23onesweep_lookback_stateEbbT6_jjT7_P12ihipStream_tbENKUlT_T0_SK_SP_E_clIPfSE_SF_SF_EEDaS13_S14_SK_SP_EUlS13_E_NS1_11comp_targetILNS1_3genE2ELNS1_11target_archE906ELNS1_3gpuE6ELNS1_3repE0EEENS1_47radix_sort_onesweep_sort_config_static_selectorELNS0_4arch9wavefront6targetE1EEEvSK_.private_seg_size, 0
	.set _ZN7rocprim17ROCPRIM_400000_NS6detail17trampoline_kernelINS0_14default_configENS1_35radix_sort_onesweep_config_selectorIfNS0_10empty_typeEEEZZNS1_29radix_sort_onesweep_iterationIS3_Lb0EN6thrust23THRUST_200600_302600_NS6detail15normal_iteratorINS9_10device_ptrIfEEEESE_PS5_SF_jNS0_19identity_decomposerENS1_16block_id_wrapperIjLb0EEEEE10hipError_tT1_PNSt15iterator_traitsISK_E10value_typeET2_T3_PNSL_ISQ_E10value_typeET4_T5_PSV_SW_PNS1_23onesweep_lookback_stateEbbT6_jjT7_P12ihipStream_tbENKUlT_T0_SK_SP_E_clIPfSE_SF_SF_EEDaS13_S14_SK_SP_EUlS13_E_NS1_11comp_targetILNS1_3genE2ELNS1_11target_archE906ELNS1_3gpuE6ELNS1_3repE0EEENS1_47radix_sort_onesweep_sort_config_static_selectorELNS0_4arch9wavefront6targetE1EEEvSK_.uses_vcc, 0
	.set _ZN7rocprim17ROCPRIM_400000_NS6detail17trampoline_kernelINS0_14default_configENS1_35radix_sort_onesweep_config_selectorIfNS0_10empty_typeEEEZZNS1_29radix_sort_onesweep_iterationIS3_Lb0EN6thrust23THRUST_200600_302600_NS6detail15normal_iteratorINS9_10device_ptrIfEEEESE_PS5_SF_jNS0_19identity_decomposerENS1_16block_id_wrapperIjLb0EEEEE10hipError_tT1_PNSt15iterator_traitsISK_E10value_typeET2_T3_PNSL_ISQ_E10value_typeET4_T5_PSV_SW_PNS1_23onesweep_lookback_stateEbbT6_jjT7_P12ihipStream_tbENKUlT_T0_SK_SP_E_clIPfSE_SF_SF_EEDaS13_S14_SK_SP_EUlS13_E_NS1_11comp_targetILNS1_3genE2ELNS1_11target_archE906ELNS1_3gpuE6ELNS1_3repE0EEENS1_47radix_sort_onesweep_sort_config_static_selectorELNS0_4arch9wavefront6targetE1EEEvSK_.uses_flat_scratch, 0
	.set _ZN7rocprim17ROCPRIM_400000_NS6detail17trampoline_kernelINS0_14default_configENS1_35radix_sort_onesweep_config_selectorIfNS0_10empty_typeEEEZZNS1_29radix_sort_onesweep_iterationIS3_Lb0EN6thrust23THRUST_200600_302600_NS6detail15normal_iteratorINS9_10device_ptrIfEEEESE_PS5_SF_jNS0_19identity_decomposerENS1_16block_id_wrapperIjLb0EEEEE10hipError_tT1_PNSt15iterator_traitsISK_E10value_typeET2_T3_PNSL_ISQ_E10value_typeET4_T5_PSV_SW_PNS1_23onesweep_lookback_stateEbbT6_jjT7_P12ihipStream_tbENKUlT_T0_SK_SP_E_clIPfSE_SF_SF_EEDaS13_S14_SK_SP_EUlS13_E_NS1_11comp_targetILNS1_3genE2ELNS1_11target_archE906ELNS1_3gpuE6ELNS1_3repE0EEENS1_47radix_sort_onesweep_sort_config_static_selectorELNS0_4arch9wavefront6targetE1EEEvSK_.has_dyn_sized_stack, 0
	.set _ZN7rocprim17ROCPRIM_400000_NS6detail17trampoline_kernelINS0_14default_configENS1_35radix_sort_onesweep_config_selectorIfNS0_10empty_typeEEEZZNS1_29radix_sort_onesweep_iterationIS3_Lb0EN6thrust23THRUST_200600_302600_NS6detail15normal_iteratorINS9_10device_ptrIfEEEESE_PS5_SF_jNS0_19identity_decomposerENS1_16block_id_wrapperIjLb0EEEEE10hipError_tT1_PNSt15iterator_traitsISK_E10value_typeET2_T3_PNSL_ISQ_E10value_typeET4_T5_PSV_SW_PNS1_23onesweep_lookback_stateEbbT6_jjT7_P12ihipStream_tbENKUlT_T0_SK_SP_E_clIPfSE_SF_SF_EEDaS13_S14_SK_SP_EUlS13_E_NS1_11comp_targetILNS1_3genE2ELNS1_11target_archE906ELNS1_3gpuE6ELNS1_3repE0EEENS1_47radix_sort_onesweep_sort_config_static_selectorELNS0_4arch9wavefront6targetE1EEEvSK_.has_recursion, 0
	.set _ZN7rocprim17ROCPRIM_400000_NS6detail17trampoline_kernelINS0_14default_configENS1_35radix_sort_onesweep_config_selectorIfNS0_10empty_typeEEEZZNS1_29radix_sort_onesweep_iterationIS3_Lb0EN6thrust23THRUST_200600_302600_NS6detail15normal_iteratorINS9_10device_ptrIfEEEESE_PS5_SF_jNS0_19identity_decomposerENS1_16block_id_wrapperIjLb0EEEEE10hipError_tT1_PNSt15iterator_traitsISK_E10value_typeET2_T3_PNSL_ISQ_E10value_typeET4_T5_PSV_SW_PNS1_23onesweep_lookback_stateEbbT6_jjT7_P12ihipStream_tbENKUlT_T0_SK_SP_E_clIPfSE_SF_SF_EEDaS13_S14_SK_SP_EUlS13_E_NS1_11comp_targetILNS1_3genE2ELNS1_11target_archE906ELNS1_3gpuE6ELNS1_3repE0EEENS1_47radix_sort_onesweep_sort_config_static_selectorELNS0_4arch9wavefront6targetE1EEEvSK_.has_indirect_call, 0
	.section	.AMDGPU.csdata,"",@progbits
; Kernel info:
; codeLenInByte = 0
; TotalNumSgprs: 6
; NumVgprs: 0
; NumAgprs: 0
; TotalNumVgprs: 0
; ScratchSize: 0
; MemoryBound: 0
; FloatMode: 240
; IeeeMode: 1
; LDSByteSize: 0 bytes/workgroup (compile time only)
; SGPRBlocks: 0
; VGPRBlocks: 0
; NumSGPRsForWavesPerEU: 6
; NumVGPRsForWavesPerEU: 1
; AccumOffset: 4
; Occupancy: 8
; WaveLimiterHint : 0
; COMPUTE_PGM_RSRC2:SCRATCH_EN: 0
; COMPUTE_PGM_RSRC2:USER_SGPR: 2
; COMPUTE_PGM_RSRC2:TRAP_HANDLER: 0
; COMPUTE_PGM_RSRC2:TGID_X_EN: 1
; COMPUTE_PGM_RSRC2:TGID_Y_EN: 0
; COMPUTE_PGM_RSRC2:TGID_Z_EN: 0
; COMPUTE_PGM_RSRC2:TIDIG_COMP_CNT: 0
; COMPUTE_PGM_RSRC3_GFX90A:ACCUM_OFFSET: 0
; COMPUTE_PGM_RSRC3_GFX90A:TG_SPLIT: 0
	.section	.text._ZN7rocprim17ROCPRIM_400000_NS6detail17trampoline_kernelINS0_14default_configENS1_35radix_sort_onesweep_config_selectorIfNS0_10empty_typeEEEZZNS1_29radix_sort_onesweep_iterationIS3_Lb0EN6thrust23THRUST_200600_302600_NS6detail15normal_iteratorINS9_10device_ptrIfEEEESE_PS5_SF_jNS0_19identity_decomposerENS1_16block_id_wrapperIjLb0EEEEE10hipError_tT1_PNSt15iterator_traitsISK_E10value_typeET2_T3_PNSL_ISQ_E10value_typeET4_T5_PSV_SW_PNS1_23onesweep_lookback_stateEbbT6_jjT7_P12ihipStream_tbENKUlT_T0_SK_SP_E_clIPfSE_SF_SF_EEDaS13_S14_SK_SP_EUlS13_E_NS1_11comp_targetILNS1_3genE4ELNS1_11target_archE910ELNS1_3gpuE8ELNS1_3repE0EEENS1_47radix_sort_onesweep_sort_config_static_selectorELNS0_4arch9wavefront6targetE1EEEvSK_,"axG",@progbits,_ZN7rocprim17ROCPRIM_400000_NS6detail17trampoline_kernelINS0_14default_configENS1_35radix_sort_onesweep_config_selectorIfNS0_10empty_typeEEEZZNS1_29radix_sort_onesweep_iterationIS3_Lb0EN6thrust23THRUST_200600_302600_NS6detail15normal_iteratorINS9_10device_ptrIfEEEESE_PS5_SF_jNS0_19identity_decomposerENS1_16block_id_wrapperIjLb0EEEEE10hipError_tT1_PNSt15iterator_traitsISK_E10value_typeET2_T3_PNSL_ISQ_E10value_typeET4_T5_PSV_SW_PNS1_23onesweep_lookback_stateEbbT6_jjT7_P12ihipStream_tbENKUlT_T0_SK_SP_E_clIPfSE_SF_SF_EEDaS13_S14_SK_SP_EUlS13_E_NS1_11comp_targetILNS1_3genE4ELNS1_11target_archE910ELNS1_3gpuE8ELNS1_3repE0EEENS1_47radix_sort_onesweep_sort_config_static_selectorELNS0_4arch9wavefront6targetE1EEEvSK_,comdat
	.protected	_ZN7rocprim17ROCPRIM_400000_NS6detail17trampoline_kernelINS0_14default_configENS1_35radix_sort_onesweep_config_selectorIfNS0_10empty_typeEEEZZNS1_29radix_sort_onesweep_iterationIS3_Lb0EN6thrust23THRUST_200600_302600_NS6detail15normal_iteratorINS9_10device_ptrIfEEEESE_PS5_SF_jNS0_19identity_decomposerENS1_16block_id_wrapperIjLb0EEEEE10hipError_tT1_PNSt15iterator_traitsISK_E10value_typeET2_T3_PNSL_ISQ_E10value_typeET4_T5_PSV_SW_PNS1_23onesweep_lookback_stateEbbT6_jjT7_P12ihipStream_tbENKUlT_T0_SK_SP_E_clIPfSE_SF_SF_EEDaS13_S14_SK_SP_EUlS13_E_NS1_11comp_targetILNS1_3genE4ELNS1_11target_archE910ELNS1_3gpuE8ELNS1_3repE0EEENS1_47radix_sort_onesweep_sort_config_static_selectorELNS0_4arch9wavefront6targetE1EEEvSK_ ; -- Begin function _ZN7rocprim17ROCPRIM_400000_NS6detail17trampoline_kernelINS0_14default_configENS1_35radix_sort_onesweep_config_selectorIfNS0_10empty_typeEEEZZNS1_29radix_sort_onesweep_iterationIS3_Lb0EN6thrust23THRUST_200600_302600_NS6detail15normal_iteratorINS9_10device_ptrIfEEEESE_PS5_SF_jNS0_19identity_decomposerENS1_16block_id_wrapperIjLb0EEEEE10hipError_tT1_PNSt15iterator_traitsISK_E10value_typeET2_T3_PNSL_ISQ_E10value_typeET4_T5_PSV_SW_PNS1_23onesweep_lookback_stateEbbT6_jjT7_P12ihipStream_tbENKUlT_T0_SK_SP_E_clIPfSE_SF_SF_EEDaS13_S14_SK_SP_EUlS13_E_NS1_11comp_targetILNS1_3genE4ELNS1_11target_archE910ELNS1_3gpuE8ELNS1_3repE0EEENS1_47radix_sort_onesweep_sort_config_static_selectorELNS0_4arch9wavefront6targetE1EEEvSK_
	.globl	_ZN7rocprim17ROCPRIM_400000_NS6detail17trampoline_kernelINS0_14default_configENS1_35radix_sort_onesweep_config_selectorIfNS0_10empty_typeEEEZZNS1_29radix_sort_onesweep_iterationIS3_Lb0EN6thrust23THRUST_200600_302600_NS6detail15normal_iteratorINS9_10device_ptrIfEEEESE_PS5_SF_jNS0_19identity_decomposerENS1_16block_id_wrapperIjLb0EEEEE10hipError_tT1_PNSt15iterator_traitsISK_E10value_typeET2_T3_PNSL_ISQ_E10value_typeET4_T5_PSV_SW_PNS1_23onesweep_lookback_stateEbbT6_jjT7_P12ihipStream_tbENKUlT_T0_SK_SP_E_clIPfSE_SF_SF_EEDaS13_S14_SK_SP_EUlS13_E_NS1_11comp_targetILNS1_3genE4ELNS1_11target_archE910ELNS1_3gpuE8ELNS1_3repE0EEENS1_47radix_sort_onesweep_sort_config_static_selectorELNS0_4arch9wavefront6targetE1EEEvSK_
	.p2align	8
	.type	_ZN7rocprim17ROCPRIM_400000_NS6detail17trampoline_kernelINS0_14default_configENS1_35radix_sort_onesweep_config_selectorIfNS0_10empty_typeEEEZZNS1_29radix_sort_onesweep_iterationIS3_Lb0EN6thrust23THRUST_200600_302600_NS6detail15normal_iteratorINS9_10device_ptrIfEEEESE_PS5_SF_jNS0_19identity_decomposerENS1_16block_id_wrapperIjLb0EEEEE10hipError_tT1_PNSt15iterator_traitsISK_E10value_typeET2_T3_PNSL_ISQ_E10value_typeET4_T5_PSV_SW_PNS1_23onesweep_lookback_stateEbbT6_jjT7_P12ihipStream_tbENKUlT_T0_SK_SP_E_clIPfSE_SF_SF_EEDaS13_S14_SK_SP_EUlS13_E_NS1_11comp_targetILNS1_3genE4ELNS1_11target_archE910ELNS1_3gpuE8ELNS1_3repE0EEENS1_47radix_sort_onesweep_sort_config_static_selectorELNS0_4arch9wavefront6targetE1EEEvSK_,@function
_ZN7rocprim17ROCPRIM_400000_NS6detail17trampoline_kernelINS0_14default_configENS1_35radix_sort_onesweep_config_selectorIfNS0_10empty_typeEEEZZNS1_29radix_sort_onesweep_iterationIS3_Lb0EN6thrust23THRUST_200600_302600_NS6detail15normal_iteratorINS9_10device_ptrIfEEEESE_PS5_SF_jNS0_19identity_decomposerENS1_16block_id_wrapperIjLb0EEEEE10hipError_tT1_PNSt15iterator_traitsISK_E10value_typeET2_T3_PNSL_ISQ_E10value_typeET4_T5_PSV_SW_PNS1_23onesweep_lookback_stateEbbT6_jjT7_P12ihipStream_tbENKUlT_T0_SK_SP_E_clIPfSE_SF_SF_EEDaS13_S14_SK_SP_EUlS13_E_NS1_11comp_targetILNS1_3genE4ELNS1_11target_archE910ELNS1_3gpuE8ELNS1_3repE0EEENS1_47radix_sort_onesweep_sort_config_static_selectorELNS0_4arch9wavefront6targetE1EEEvSK_: ; @_ZN7rocprim17ROCPRIM_400000_NS6detail17trampoline_kernelINS0_14default_configENS1_35radix_sort_onesweep_config_selectorIfNS0_10empty_typeEEEZZNS1_29radix_sort_onesweep_iterationIS3_Lb0EN6thrust23THRUST_200600_302600_NS6detail15normal_iteratorINS9_10device_ptrIfEEEESE_PS5_SF_jNS0_19identity_decomposerENS1_16block_id_wrapperIjLb0EEEEE10hipError_tT1_PNSt15iterator_traitsISK_E10value_typeET2_T3_PNSL_ISQ_E10value_typeET4_T5_PSV_SW_PNS1_23onesweep_lookback_stateEbbT6_jjT7_P12ihipStream_tbENKUlT_T0_SK_SP_E_clIPfSE_SF_SF_EEDaS13_S14_SK_SP_EUlS13_E_NS1_11comp_targetILNS1_3genE4ELNS1_11target_archE910ELNS1_3gpuE8ELNS1_3repE0EEENS1_47radix_sort_onesweep_sort_config_static_selectorELNS0_4arch9wavefront6targetE1EEEvSK_
; %bb.0:
	.section	.rodata,"a",@progbits
	.p2align	6, 0x0
	.amdhsa_kernel _ZN7rocprim17ROCPRIM_400000_NS6detail17trampoline_kernelINS0_14default_configENS1_35radix_sort_onesweep_config_selectorIfNS0_10empty_typeEEEZZNS1_29radix_sort_onesweep_iterationIS3_Lb0EN6thrust23THRUST_200600_302600_NS6detail15normal_iteratorINS9_10device_ptrIfEEEESE_PS5_SF_jNS0_19identity_decomposerENS1_16block_id_wrapperIjLb0EEEEE10hipError_tT1_PNSt15iterator_traitsISK_E10value_typeET2_T3_PNSL_ISQ_E10value_typeET4_T5_PSV_SW_PNS1_23onesweep_lookback_stateEbbT6_jjT7_P12ihipStream_tbENKUlT_T0_SK_SP_E_clIPfSE_SF_SF_EEDaS13_S14_SK_SP_EUlS13_E_NS1_11comp_targetILNS1_3genE4ELNS1_11target_archE910ELNS1_3gpuE8ELNS1_3repE0EEENS1_47radix_sort_onesweep_sort_config_static_selectorELNS0_4arch9wavefront6targetE1EEEvSK_
		.amdhsa_group_segment_fixed_size 0
		.amdhsa_private_segment_fixed_size 0
		.amdhsa_kernarg_size 88
		.amdhsa_user_sgpr_count 2
		.amdhsa_user_sgpr_dispatch_ptr 0
		.amdhsa_user_sgpr_queue_ptr 0
		.amdhsa_user_sgpr_kernarg_segment_ptr 1
		.amdhsa_user_sgpr_dispatch_id 0
		.amdhsa_user_sgpr_kernarg_preload_length 0
		.amdhsa_user_sgpr_kernarg_preload_offset 0
		.amdhsa_user_sgpr_private_segment_size 0
		.amdhsa_uses_dynamic_stack 0
		.amdhsa_enable_private_segment 0
		.amdhsa_system_sgpr_workgroup_id_x 1
		.amdhsa_system_sgpr_workgroup_id_y 0
		.amdhsa_system_sgpr_workgroup_id_z 0
		.amdhsa_system_sgpr_workgroup_info 0
		.amdhsa_system_vgpr_workitem_id 0
		.amdhsa_next_free_vgpr 1
		.amdhsa_next_free_sgpr 0
		.amdhsa_accum_offset 4
		.amdhsa_reserve_vcc 0
		.amdhsa_float_round_mode_32 0
		.amdhsa_float_round_mode_16_64 0
		.amdhsa_float_denorm_mode_32 3
		.amdhsa_float_denorm_mode_16_64 3
		.amdhsa_dx10_clamp 1
		.amdhsa_ieee_mode 1
		.amdhsa_fp16_overflow 0
		.amdhsa_tg_split 0
		.amdhsa_exception_fp_ieee_invalid_op 0
		.amdhsa_exception_fp_denorm_src 0
		.amdhsa_exception_fp_ieee_div_zero 0
		.amdhsa_exception_fp_ieee_overflow 0
		.amdhsa_exception_fp_ieee_underflow 0
		.amdhsa_exception_fp_ieee_inexact 0
		.amdhsa_exception_int_div_zero 0
	.end_amdhsa_kernel
	.section	.text._ZN7rocprim17ROCPRIM_400000_NS6detail17trampoline_kernelINS0_14default_configENS1_35radix_sort_onesweep_config_selectorIfNS0_10empty_typeEEEZZNS1_29radix_sort_onesweep_iterationIS3_Lb0EN6thrust23THRUST_200600_302600_NS6detail15normal_iteratorINS9_10device_ptrIfEEEESE_PS5_SF_jNS0_19identity_decomposerENS1_16block_id_wrapperIjLb0EEEEE10hipError_tT1_PNSt15iterator_traitsISK_E10value_typeET2_T3_PNSL_ISQ_E10value_typeET4_T5_PSV_SW_PNS1_23onesweep_lookback_stateEbbT6_jjT7_P12ihipStream_tbENKUlT_T0_SK_SP_E_clIPfSE_SF_SF_EEDaS13_S14_SK_SP_EUlS13_E_NS1_11comp_targetILNS1_3genE4ELNS1_11target_archE910ELNS1_3gpuE8ELNS1_3repE0EEENS1_47radix_sort_onesweep_sort_config_static_selectorELNS0_4arch9wavefront6targetE1EEEvSK_,"axG",@progbits,_ZN7rocprim17ROCPRIM_400000_NS6detail17trampoline_kernelINS0_14default_configENS1_35radix_sort_onesweep_config_selectorIfNS0_10empty_typeEEEZZNS1_29radix_sort_onesweep_iterationIS3_Lb0EN6thrust23THRUST_200600_302600_NS6detail15normal_iteratorINS9_10device_ptrIfEEEESE_PS5_SF_jNS0_19identity_decomposerENS1_16block_id_wrapperIjLb0EEEEE10hipError_tT1_PNSt15iterator_traitsISK_E10value_typeET2_T3_PNSL_ISQ_E10value_typeET4_T5_PSV_SW_PNS1_23onesweep_lookback_stateEbbT6_jjT7_P12ihipStream_tbENKUlT_T0_SK_SP_E_clIPfSE_SF_SF_EEDaS13_S14_SK_SP_EUlS13_E_NS1_11comp_targetILNS1_3genE4ELNS1_11target_archE910ELNS1_3gpuE8ELNS1_3repE0EEENS1_47radix_sort_onesweep_sort_config_static_selectorELNS0_4arch9wavefront6targetE1EEEvSK_,comdat
.Lfunc_end608:
	.size	_ZN7rocprim17ROCPRIM_400000_NS6detail17trampoline_kernelINS0_14default_configENS1_35radix_sort_onesweep_config_selectorIfNS0_10empty_typeEEEZZNS1_29radix_sort_onesweep_iterationIS3_Lb0EN6thrust23THRUST_200600_302600_NS6detail15normal_iteratorINS9_10device_ptrIfEEEESE_PS5_SF_jNS0_19identity_decomposerENS1_16block_id_wrapperIjLb0EEEEE10hipError_tT1_PNSt15iterator_traitsISK_E10value_typeET2_T3_PNSL_ISQ_E10value_typeET4_T5_PSV_SW_PNS1_23onesweep_lookback_stateEbbT6_jjT7_P12ihipStream_tbENKUlT_T0_SK_SP_E_clIPfSE_SF_SF_EEDaS13_S14_SK_SP_EUlS13_E_NS1_11comp_targetILNS1_3genE4ELNS1_11target_archE910ELNS1_3gpuE8ELNS1_3repE0EEENS1_47radix_sort_onesweep_sort_config_static_selectorELNS0_4arch9wavefront6targetE1EEEvSK_, .Lfunc_end608-_ZN7rocprim17ROCPRIM_400000_NS6detail17trampoline_kernelINS0_14default_configENS1_35radix_sort_onesweep_config_selectorIfNS0_10empty_typeEEEZZNS1_29radix_sort_onesweep_iterationIS3_Lb0EN6thrust23THRUST_200600_302600_NS6detail15normal_iteratorINS9_10device_ptrIfEEEESE_PS5_SF_jNS0_19identity_decomposerENS1_16block_id_wrapperIjLb0EEEEE10hipError_tT1_PNSt15iterator_traitsISK_E10value_typeET2_T3_PNSL_ISQ_E10value_typeET4_T5_PSV_SW_PNS1_23onesweep_lookback_stateEbbT6_jjT7_P12ihipStream_tbENKUlT_T0_SK_SP_E_clIPfSE_SF_SF_EEDaS13_S14_SK_SP_EUlS13_E_NS1_11comp_targetILNS1_3genE4ELNS1_11target_archE910ELNS1_3gpuE8ELNS1_3repE0EEENS1_47radix_sort_onesweep_sort_config_static_selectorELNS0_4arch9wavefront6targetE1EEEvSK_
                                        ; -- End function
	.set _ZN7rocprim17ROCPRIM_400000_NS6detail17trampoline_kernelINS0_14default_configENS1_35radix_sort_onesweep_config_selectorIfNS0_10empty_typeEEEZZNS1_29radix_sort_onesweep_iterationIS3_Lb0EN6thrust23THRUST_200600_302600_NS6detail15normal_iteratorINS9_10device_ptrIfEEEESE_PS5_SF_jNS0_19identity_decomposerENS1_16block_id_wrapperIjLb0EEEEE10hipError_tT1_PNSt15iterator_traitsISK_E10value_typeET2_T3_PNSL_ISQ_E10value_typeET4_T5_PSV_SW_PNS1_23onesweep_lookback_stateEbbT6_jjT7_P12ihipStream_tbENKUlT_T0_SK_SP_E_clIPfSE_SF_SF_EEDaS13_S14_SK_SP_EUlS13_E_NS1_11comp_targetILNS1_3genE4ELNS1_11target_archE910ELNS1_3gpuE8ELNS1_3repE0EEENS1_47radix_sort_onesweep_sort_config_static_selectorELNS0_4arch9wavefront6targetE1EEEvSK_.num_vgpr, 0
	.set _ZN7rocprim17ROCPRIM_400000_NS6detail17trampoline_kernelINS0_14default_configENS1_35radix_sort_onesweep_config_selectorIfNS0_10empty_typeEEEZZNS1_29radix_sort_onesweep_iterationIS3_Lb0EN6thrust23THRUST_200600_302600_NS6detail15normal_iteratorINS9_10device_ptrIfEEEESE_PS5_SF_jNS0_19identity_decomposerENS1_16block_id_wrapperIjLb0EEEEE10hipError_tT1_PNSt15iterator_traitsISK_E10value_typeET2_T3_PNSL_ISQ_E10value_typeET4_T5_PSV_SW_PNS1_23onesweep_lookback_stateEbbT6_jjT7_P12ihipStream_tbENKUlT_T0_SK_SP_E_clIPfSE_SF_SF_EEDaS13_S14_SK_SP_EUlS13_E_NS1_11comp_targetILNS1_3genE4ELNS1_11target_archE910ELNS1_3gpuE8ELNS1_3repE0EEENS1_47radix_sort_onesweep_sort_config_static_selectorELNS0_4arch9wavefront6targetE1EEEvSK_.num_agpr, 0
	.set _ZN7rocprim17ROCPRIM_400000_NS6detail17trampoline_kernelINS0_14default_configENS1_35radix_sort_onesweep_config_selectorIfNS0_10empty_typeEEEZZNS1_29radix_sort_onesweep_iterationIS3_Lb0EN6thrust23THRUST_200600_302600_NS6detail15normal_iteratorINS9_10device_ptrIfEEEESE_PS5_SF_jNS0_19identity_decomposerENS1_16block_id_wrapperIjLb0EEEEE10hipError_tT1_PNSt15iterator_traitsISK_E10value_typeET2_T3_PNSL_ISQ_E10value_typeET4_T5_PSV_SW_PNS1_23onesweep_lookback_stateEbbT6_jjT7_P12ihipStream_tbENKUlT_T0_SK_SP_E_clIPfSE_SF_SF_EEDaS13_S14_SK_SP_EUlS13_E_NS1_11comp_targetILNS1_3genE4ELNS1_11target_archE910ELNS1_3gpuE8ELNS1_3repE0EEENS1_47radix_sort_onesweep_sort_config_static_selectorELNS0_4arch9wavefront6targetE1EEEvSK_.numbered_sgpr, 0
	.set _ZN7rocprim17ROCPRIM_400000_NS6detail17trampoline_kernelINS0_14default_configENS1_35radix_sort_onesweep_config_selectorIfNS0_10empty_typeEEEZZNS1_29radix_sort_onesweep_iterationIS3_Lb0EN6thrust23THRUST_200600_302600_NS6detail15normal_iteratorINS9_10device_ptrIfEEEESE_PS5_SF_jNS0_19identity_decomposerENS1_16block_id_wrapperIjLb0EEEEE10hipError_tT1_PNSt15iterator_traitsISK_E10value_typeET2_T3_PNSL_ISQ_E10value_typeET4_T5_PSV_SW_PNS1_23onesweep_lookback_stateEbbT6_jjT7_P12ihipStream_tbENKUlT_T0_SK_SP_E_clIPfSE_SF_SF_EEDaS13_S14_SK_SP_EUlS13_E_NS1_11comp_targetILNS1_3genE4ELNS1_11target_archE910ELNS1_3gpuE8ELNS1_3repE0EEENS1_47radix_sort_onesweep_sort_config_static_selectorELNS0_4arch9wavefront6targetE1EEEvSK_.num_named_barrier, 0
	.set _ZN7rocprim17ROCPRIM_400000_NS6detail17trampoline_kernelINS0_14default_configENS1_35radix_sort_onesweep_config_selectorIfNS0_10empty_typeEEEZZNS1_29radix_sort_onesweep_iterationIS3_Lb0EN6thrust23THRUST_200600_302600_NS6detail15normal_iteratorINS9_10device_ptrIfEEEESE_PS5_SF_jNS0_19identity_decomposerENS1_16block_id_wrapperIjLb0EEEEE10hipError_tT1_PNSt15iterator_traitsISK_E10value_typeET2_T3_PNSL_ISQ_E10value_typeET4_T5_PSV_SW_PNS1_23onesweep_lookback_stateEbbT6_jjT7_P12ihipStream_tbENKUlT_T0_SK_SP_E_clIPfSE_SF_SF_EEDaS13_S14_SK_SP_EUlS13_E_NS1_11comp_targetILNS1_3genE4ELNS1_11target_archE910ELNS1_3gpuE8ELNS1_3repE0EEENS1_47radix_sort_onesweep_sort_config_static_selectorELNS0_4arch9wavefront6targetE1EEEvSK_.private_seg_size, 0
	.set _ZN7rocprim17ROCPRIM_400000_NS6detail17trampoline_kernelINS0_14default_configENS1_35radix_sort_onesweep_config_selectorIfNS0_10empty_typeEEEZZNS1_29radix_sort_onesweep_iterationIS3_Lb0EN6thrust23THRUST_200600_302600_NS6detail15normal_iteratorINS9_10device_ptrIfEEEESE_PS5_SF_jNS0_19identity_decomposerENS1_16block_id_wrapperIjLb0EEEEE10hipError_tT1_PNSt15iterator_traitsISK_E10value_typeET2_T3_PNSL_ISQ_E10value_typeET4_T5_PSV_SW_PNS1_23onesweep_lookback_stateEbbT6_jjT7_P12ihipStream_tbENKUlT_T0_SK_SP_E_clIPfSE_SF_SF_EEDaS13_S14_SK_SP_EUlS13_E_NS1_11comp_targetILNS1_3genE4ELNS1_11target_archE910ELNS1_3gpuE8ELNS1_3repE0EEENS1_47radix_sort_onesweep_sort_config_static_selectorELNS0_4arch9wavefront6targetE1EEEvSK_.uses_vcc, 0
	.set _ZN7rocprim17ROCPRIM_400000_NS6detail17trampoline_kernelINS0_14default_configENS1_35radix_sort_onesweep_config_selectorIfNS0_10empty_typeEEEZZNS1_29radix_sort_onesweep_iterationIS3_Lb0EN6thrust23THRUST_200600_302600_NS6detail15normal_iteratorINS9_10device_ptrIfEEEESE_PS5_SF_jNS0_19identity_decomposerENS1_16block_id_wrapperIjLb0EEEEE10hipError_tT1_PNSt15iterator_traitsISK_E10value_typeET2_T3_PNSL_ISQ_E10value_typeET4_T5_PSV_SW_PNS1_23onesweep_lookback_stateEbbT6_jjT7_P12ihipStream_tbENKUlT_T0_SK_SP_E_clIPfSE_SF_SF_EEDaS13_S14_SK_SP_EUlS13_E_NS1_11comp_targetILNS1_3genE4ELNS1_11target_archE910ELNS1_3gpuE8ELNS1_3repE0EEENS1_47radix_sort_onesweep_sort_config_static_selectorELNS0_4arch9wavefront6targetE1EEEvSK_.uses_flat_scratch, 0
	.set _ZN7rocprim17ROCPRIM_400000_NS6detail17trampoline_kernelINS0_14default_configENS1_35radix_sort_onesweep_config_selectorIfNS0_10empty_typeEEEZZNS1_29radix_sort_onesweep_iterationIS3_Lb0EN6thrust23THRUST_200600_302600_NS6detail15normal_iteratorINS9_10device_ptrIfEEEESE_PS5_SF_jNS0_19identity_decomposerENS1_16block_id_wrapperIjLb0EEEEE10hipError_tT1_PNSt15iterator_traitsISK_E10value_typeET2_T3_PNSL_ISQ_E10value_typeET4_T5_PSV_SW_PNS1_23onesweep_lookback_stateEbbT6_jjT7_P12ihipStream_tbENKUlT_T0_SK_SP_E_clIPfSE_SF_SF_EEDaS13_S14_SK_SP_EUlS13_E_NS1_11comp_targetILNS1_3genE4ELNS1_11target_archE910ELNS1_3gpuE8ELNS1_3repE0EEENS1_47radix_sort_onesweep_sort_config_static_selectorELNS0_4arch9wavefront6targetE1EEEvSK_.has_dyn_sized_stack, 0
	.set _ZN7rocprim17ROCPRIM_400000_NS6detail17trampoline_kernelINS0_14default_configENS1_35radix_sort_onesweep_config_selectorIfNS0_10empty_typeEEEZZNS1_29radix_sort_onesweep_iterationIS3_Lb0EN6thrust23THRUST_200600_302600_NS6detail15normal_iteratorINS9_10device_ptrIfEEEESE_PS5_SF_jNS0_19identity_decomposerENS1_16block_id_wrapperIjLb0EEEEE10hipError_tT1_PNSt15iterator_traitsISK_E10value_typeET2_T3_PNSL_ISQ_E10value_typeET4_T5_PSV_SW_PNS1_23onesweep_lookback_stateEbbT6_jjT7_P12ihipStream_tbENKUlT_T0_SK_SP_E_clIPfSE_SF_SF_EEDaS13_S14_SK_SP_EUlS13_E_NS1_11comp_targetILNS1_3genE4ELNS1_11target_archE910ELNS1_3gpuE8ELNS1_3repE0EEENS1_47radix_sort_onesweep_sort_config_static_selectorELNS0_4arch9wavefront6targetE1EEEvSK_.has_recursion, 0
	.set _ZN7rocprim17ROCPRIM_400000_NS6detail17trampoline_kernelINS0_14default_configENS1_35radix_sort_onesweep_config_selectorIfNS0_10empty_typeEEEZZNS1_29radix_sort_onesweep_iterationIS3_Lb0EN6thrust23THRUST_200600_302600_NS6detail15normal_iteratorINS9_10device_ptrIfEEEESE_PS5_SF_jNS0_19identity_decomposerENS1_16block_id_wrapperIjLb0EEEEE10hipError_tT1_PNSt15iterator_traitsISK_E10value_typeET2_T3_PNSL_ISQ_E10value_typeET4_T5_PSV_SW_PNS1_23onesweep_lookback_stateEbbT6_jjT7_P12ihipStream_tbENKUlT_T0_SK_SP_E_clIPfSE_SF_SF_EEDaS13_S14_SK_SP_EUlS13_E_NS1_11comp_targetILNS1_3genE4ELNS1_11target_archE910ELNS1_3gpuE8ELNS1_3repE0EEENS1_47radix_sort_onesweep_sort_config_static_selectorELNS0_4arch9wavefront6targetE1EEEvSK_.has_indirect_call, 0
	.section	.AMDGPU.csdata,"",@progbits
; Kernel info:
; codeLenInByte = 0
; TotalNumSgprs: 6
; NumVgprs: 0
; NumAgprs: 0
; TotalNumVgprs: 0
; ScratchSize: 0
; MemoryBound: 0
; FloatMode: 240
; IeeeMode: 1
; LDSByteSize: 0 bytes/workgroup (compile time only)
; SGPRBlocks: 0
; VGPRBlocks: 0
; NumSGPRsForWavesPerEU: 6
; NumVGPRsForWavesPerEU: 1
; AccumOffset: 4
; Occupancy: 8
; WaveLimiterHint : 0
; COMPUTE_PGM_RSRC2:SCRATCH_EN: 0
; COMPUTE_PGM_RSRC2:USER_SGPR: 2
; COMPUTE_PGM_RSRC2:TRAP_HANDLER: 0
; COMPUTE_PGM_RSRC2:TGID_X_EN: 1
; COMPUTE_PGM_RSRC2:TGID_Y_EN: 0
; COMPUTE_PGM_RSRC2:TGID_Z_EN: 0
; COMPUTE_PGM_RSRC2:TIDIG_COMP_CNT: 0
; COMPUTE_PGM_RSRC3_GFX90A:ACCUM_OFFSET: 0
; COMPUTE_PGM_RSRC3_GFX90A:TG_SPLIT: 0
	.section	.text._ZN7rocprim17ROCPRIM_400000_NS6detail17trampoline_kernelINS0_14default_configENS1_35radix_sort_onesweep_config_selectorIfNS0_10empty_typeEEEZZNS1_29radix_sort_onesweep_iterationIS3_Lb0EN6thrust23THRUST_200600_302600_NS6detail15normal_iteratorINS9_10device_ptrIfEEEESE_PS5_SF_jNS0_19identity_decomposerENS1_16block_id_wrapperIjLb0EEEEE10hipError_tT1_PNSt15iterator_traitsISK_E10value_typeET2_T3_PNSL_ISQ_E10value_typeET4_T5_PSV_SW_PNS1_23onesweep_lookback_stateEbbT6_jjT7_P12ihipStream_tbENKUlT_T0_SK_SP_E_clIPfSE_SF_SF_EEDaS13_S14_SK_SP_EUlS13_E_NS1_11comp_targetILNS1_3genE3ELNS1_11target_archE908ELNS1_3gpuE7ELNS1_3repE0EEENS1_47radix_sort_onesweep_sort_config_static_selectorELNS0_4arch9wavefront6targetE1EEEvSK_,"axG",@progbits,_ZN7rocprim17ROCPRIM_400000_NS6detail17trampoline_kernelINS0_14default_configENS1_35radix_sort_onesweep_config_selectorIfNS0_10empty_typeEEEZZNS1_29radix_sort_onesweep_iterationIS3_Lb0EN6thrust23THRUST_200600_302600_NS6detail15normal_iteratorINS9_10device_ptrIfEEEESE_PS5_SF_jNS0_19identity_decomposerENS1_16block_id_wrapperIjLb0EEEEE10hipError_tT1_PNSt15iterator_traitsISK_E10value_typeET2_T3_PNSL_ISQ_E10value_typeET4_T5_PSV_SW_PNS1_23onesweep_lookback_stateEbbT6_jjT7_P12ihipStream_tbENKUlT_T0_SK_SP_E_clIPfSE_SF_SF_EEDaS13_S14_SK_SP_EUlS13_E_NS1_11comp_targetILNS1_3genE3ELNS1_11target_archE908ELNS1_3gpuE7ELNS1_3repE0EEENS1_47radix_sort_onesweep_sort_config_static_selectorELNS0_4arch9wavefront6targetE1EEEvSK_,comdat
	.protected	_ZN7rocprim17ROCPRIM_400000_NS6detail17trampoline_kernelINS0_14default_configENS1_35radix_sort_onesweep_config_selectorIfNS0_10empty_typeEEEZZNS1_29radix_sort_onesweep_iterationIS3_Lb0EN6thrust23THRUST_200600_302600_NS6detail15normal_iteratorINS9_10device_ptrIfEEEESE_PS5_SF_jNS0_19identity_decomposerENS1_16block_id_wrapperIjLb0EEEEE10hipError_tT1_PNSt15iterator_traitsISK_E10value_typeET2_T3_PNSL_ISQ_E10value_typeET4_T5_PSV_SW_PNS1_23onesweep_lookback_stateEbbT6_jjT7_P12ihipStream_tbENKUlT_T0_SK_SP_E_clIPfSE_SF_SF_EEDaS13_S14_SK_SP_EUlS13_E_NS1_11comp_targetILNS1_3genE3ELNS1_11target_archE908ELNS1_3gpuE7ELNS1_3repE0EEENS1_47radix_sort_onesweep_sort_config_static_selectorELNS0_4arch9wavefront6targetE1EEEvSK_ ; -- Begin function _ZN7rocprim17ROCPRIM_400000_NS6detail17trampoline_kernelINS0_14default_configENS1_35radix_sort_onesweep_config_selectorIfNS0_10empty_typeEEEZZNS1_29radix_sort_onesweep_iterationIS3_Lb0EN6thrust23THRUST_200600_302600_NS6detail15normal_iteratorINS9_10device_ptrIfEEEESE_PS5_SF_jNS0_19identity_decomposerENS1_16block_id_wrapperIjLb0EEEEE10hipError_tT1_PNSt15iterator_traitsISK_E10value_typeET2_T3_PNSL_ISQ_E10value_typeET4_T5_PSV_SW_PNS1_23onesweep_lookback_stateEbbT6_jjT7_P12ihipStream_tbENKUlT_T0_SK_SP_E_clIPfSE_SF_SF_EEDaS13_S14_SK_SP_EUlS13_E_NS1_11comp_targetILNS1_3genE3ELNS1_11target_archE908ELNS1_3gpuE7ELNS1_3repE0EEENS1_47radix_sort_onesweep_sort_config_static_selectorELNS0_4arch9wavefront6targetE1EEEvSK_
	.globl	_ZN7rocprim17ROCPRIM_400000_NS6detail17trampoline_kernelINS0_14default_configENS1_35radix_sort_onesweep_config_selectorIfNS0_10empty_typeEEEZZNS1_29radix_sort_onesweep_iterationIS3_Lb0EN6thrust23THRUST_200600_302600_NS6detail15normal_iteratorINS9_10device_ptrIfEEEESE_PS5_SF_jNS0_19identity_decomposerENS1_16block_id_wrapperIjLb0EEEEE10hipError_tT1_PNSt15iterator_traitsISK_E10value_typeET2_T3_PNSL_ISQ_E10value_typeET4_T5_PSV_SW_PNS1_23onesweep_lookback_stateEbbT6_jjT7_P12ihipStream_tbENKUlT_T0_SK_SP_E_clIPfSE_SF_SF_EEDaS13_S14_SK_SP_EUlS13_E_NS1_11comp_targetILNS1_3genE3ELNS1_11target_archE908ELNS1_3gpuE7ELNS1_3repE0EEENS1_47radix_sort_onesweep_sort_config_static_selectorELNS0_4arch9wavefront6targetE1EEEvSK_
	.p2align	8
	.type	_ZN7rocprim17ROCPRIM_400000_NS6detail17trampoline_kernelINS0_14default_configENS1_35radix_sort_onesweep_config_selectorIfNS0_10empty_typeEEEZZNS1_29radix_sort_onesweep_iterationIS3_Lb0EN6thrust23THRUST_200600_302600_NS6detail15normal_iteratorINS9_10device_ptrIfEEEESE_PS5_SF_jNS0_19identity_decomposerENS1_16block_id_wrapperIjLb0EEEEE10hipError_tT1_PNSt15iterator_traitsISK_E10value_typeET2_T3_PNSL_ISQ_E10value_typeET4_T5_PSV_SW_PNS1_23onesweep_lookback_stateEbbT6_jjT7_P12ihipStream_tbENKUlT_T0_SK_SP_E_clIPfSE_SF_SF_EEDaS13_S14_SK_SP_EUlS13_E_NS1_11comp_targetILNS1_3genE3ELNS1_11target_archE908ELNS1_3gpuE7ELNS1_3repE0EEENS1_47radix_sort_onesweep_sort_config_static_selectorELNS0_4arch9wavefront6targetE1EEEvSK_,@function
_ZN7rocprim17ROCPRIM_400000_NS6detail17trampoline_kernelINS0_14default_configENS1_35radix_sort_onesweep_config_selectorIfNS0_10empty_typeEEEZZNS1_29radix_sort_onesweep_iterationIS3_Lb0EN6thrust23THRUST_200600_302600_NS6detail15normal_iteratorINS9_10device_ptrIfEEEESE_PS5_SF_jNS0_19identity_decomposerENS1_16block_id_wrapperIjLb0EEEEE10hipError_tT1_PNSt15iterator_traitsISK_E10value_typeET2_T3_PNSL_ISQ_E10value_typeET4_T5_PSV_SW_PNS1_23onesweep_lookback_stateEbbT6_jjT7_P12ihipStream_tbENKUlT_T0_SK_SP_E_clIPfSE_SF_SF_EEDaS13_S14_SK_SP_EUlS13_E_NS1_11comp_targetILNS1_3genE3ELNS1_11target_archE908ELNS1_3gpuE7ELNS1_3repE0EEENS1_47radix_sort_onesweep_sort_config_static_selectorELNS0_4arch9wavefront6targetE1EEEvSK_: ; @_ZN7rocprim17ROCPRIM_400000_NS6detail17trampoline_kernelINS0_14default_configENS1_35radix_sort_onesweep_config_selectorIfNS0_10empty_typeEEEZZNS1_29radix_sort_onesweep_iterationIS3_Lb0EN6thrust23THRUST_200600_302600_NS6detail15normal_iteratorINS9_10device_ptrIfEEEESE_PS5_SF_jNS0_19identity_decomposerENS1_16block_id_wrapperIjLb0EEEEE10hipError_tT1_PNSt15iterator_traitsISK_E10value_typeET2_T3_PNSL_ISQ_E10value_typeET4_T5_PSV_SW_PNS1_23onesweep_lookback_stateEbbT6_jjT7_P12ihipStream_tbENKUlT_T0_SK_SP_E_clIPfSE_SF_SF_EEDaS13_S14_SK_SP_EUlS13_E_NS1_11comp_targetILNS1_3genE3ELNS1_11target_archE908ELNS1_3gpuE7ELNS1_3repE0EEENS1_47radix_sort_onesweep_sort_config_static_selectorELNS0_4arch9wavefront6targetE1EEEvSK_
; %bb.0:
	.section	.rodata,"a",@progbits
	.p2align	6, 0x0
	.amdhsa_kernel _ZN7rocprim17ROCPRIM_400000_NS6detail17trampoline_kernelINS0_14default_configENS1_35radix_sort_onesweep_config_selectorIfNS0_10empty_typeEEEZZNS1_29radix_sort_onesweep_iterationIS3_Lb0EN6thrust23THRUST_200600_302600_NS6detail15normal_iteratorINS9_10device_ptrIfEEEESE_PS5_SF_jNS0_19identity_decomposerENS1_16block_id_wrapperIjLb0EEEEE10hipError_tT1_PNSt15iterator_traitsISK_E10value_typeET2_T3_PNSL_ISQ_E10value_typeET4_T5_PSV_SW_PNS1_23onesweep_lookback_stateEbbT6_jjT7_P12ihipStream_tbENKUlT_T0_SK_SP_E_clIPfSE_SF_SF_EEDaS13_S14_SK_SP_EUlS13_E_NS1_11comp_targetILNS1_3genE3ELNS1_11target_archE908ELNS1_3gpuE7ELNS1_3repE0EEENS1_47radix_sort_onesweep_sort_config_static_selectorELNS0_4arch9wavefront6targetE1EEEvSK_
		.amdhsa_group_segment_fixed_size 0
		.amdhsa_private_segment_fixed_size 0
		.amdhsa_kernarg_size 88
		.amdhsa_user_sgpr_count 2
		.amdhsa_user_sgpr_dispatch_ptr 0
		.amdhsa_user_sgpr_queue_ptr 0
		.amdhsa_user_sgpr_kernarg_segment_ptr 1
		.amdhsa_user_sgpr_dispatch_id 0
		.amdhsa_user_sgpr_kernarg_preload_length 0
		.amdhsa_user_sgpr_kernarg_preload_offset 0
		.amdhsa_user_sgpr_private_segment_size 0
		.amdhsa_uses_dynamic_stack 0
		.amdhsa_enable_private_segment 0
		.amdhsa_system_sgpr_workgroup_id_x 1
		.amdhsa_system_sgpr_workgroup_id_y 0
		.amdhsa_system_sgpr_workgroup_id_z 0
		.amdhsa_system_sgpr_workgroup_info 0
		.amdhsa_system_vgpr_workitem_id 0
		.amdhsa_next_free_vgpr 1
		.amdhsa_next_free_sgpr 0
		.amdhsa_accum_offset 4
		.amdhsa_reserve_vcc 0
		.amdhsa_float_round_mode_32 0
		.amdhsa_float_round_mode_16_64 0
		.amdhsa_float_denorm_mode_32 3
		.amdhsa_float_denorm_mode_16_64 3
		.amdhsa_dx10_clamp 1
		.amdhsa_ieee_mode 1
		.amdhsa_fp16_overflow 0
		.amdhsa_tg_split 0
		.amdhsa_exception_fp_ieee_invalid_op 0
		.amdhsa_exception_fp_denorm_src 0
		.amdhsa_exception_fp_ieee_div_zero 0
		.amdhsa_exception_fp_ieee_overflow 0
		.amdhsa_exception_fp_ieee_underflow 0
		.amdhsa_exception_fp_ieee_inexact 0
		.amdhsa_exception_int_div_zero 0
	.end_amdhsa_kernel
	.section	.text._ZN7rocprim17ROCPRIM_400000_NS6detail17trampoline_kernelINS0_14default_configENS1_35radix_sort_onesweep_config_selectorIfNS0_10empty_typeEEEZZNS1_29radix_sort_onesweep_iterationIS3_Lb0EN6thrust23THRUST_200600_302600_NS6detail15normal_iteratorINS9_10device_ptrIfEEEESE_PS5_SF_jNS0_19identity_decomposerENS1_16block_id_wrapperIjLb0EEEEE10hipError_tT1_PNSt15iterator_traitsISK_E10value_typeET2_T3_PNSL_ISQ_E10value_typeET4_T5_PSV_SW_PNS1_23onesweep_lookback_stateEbbT6_jjT7_P12ihipStream_tbENKUlT_T0_SK_SP_E_clIPfSE_SF_SF_EEDaS13_S14_SK_SP_EUlS13_E_NS1_11comp_targetILNS1_3genE3ELNS1_11target_archE908ELNS1_3gpuE7ELNS1_3repE0EEENS1_47radix_sort_onesweep_sort_config_static_selectorELNS0_4arch9wavefront6targetE1EEEvSK_,"axG",@progbits,_ZN7rocprim17ROCPRIM_400000_NS6detail17trampoline_kernelINS0_14default_configENS1_35radix_sort_onesweep_config_selectorIfNS0_10empty_typeEEEZZNS1_29radix_sort_onesweep_iterationIS3_Lb0EN6thrust23THRUST_200600_302600_NS6detail15normal_iteratorINS9_10device_ptrIfEEEESE_PS5_SF_jNS0_19identity_decomposerENS1_16block_id_wrapperIjLb0EEEEE10hipError_tT1_PNSt15iterator_traitsISK_E10value_typeET2_T3_PNSL_ISQ_E10value_typeET4_T5_PSV_SW_PNS1_23onesweep_lookback_stateEbbT6_jjT7_P12ihipStream_tbENKUlT_T0_SK_SP_E_clIPfSE_SF_SF_EEDaS13_S14_SK_SP_EUlS13_E_NS1_11comp_targetILNS1_3genE3ELNS1_11target_archE908ELNS1_3gpuE7ELNS1_3repE0EEENS1_47radix_sort_onesweep_sort_config_static_selectorELNS0_4arch9wavefront6targetE1EEEvSK_,comdat
.Lfunc_end609:
	.size	_ZN7rocprim17ROCPRIM_400000_NS6detail17trampoline_kernelINS0_14default_configENS1_35radix_sort_onesweep_config_selectorIfNS0_10empty_typeEEEZZNS1_29radix_sort_onesweep_iterationIS3_Lb0EN6thrust23THRUST_200600_302600_NS6detail15normal_iteratorINS9_10device_ptrIfEEEESE_PS5_SF_jNS0_19identity_decomposerENS1_16block_id_wrapperIjLb0EEEEE10hipError_tT1_PNSt15iterator_traitsISK_E10value_typeET2_T3_PNSL_ISQ_E10value_typeET4_T5_PSV_SW_PNS1_23onesweep_lookback_stateEbbT6_jjT7_P12ihipStream_tbENKUlT_T0_SK_SP_E_clIPfSE_SF_SF_EEDaS13_S14_SK_SP_EUlS13_E_NS1_11comp_targetILNS1_3genE3ELNS1_11target_archE908ELNS1_3gpuE7ELNS1_3repE0EEENS1_47radix_sort_onesweep_sort_config_static_selectorELNS0_4arch9wavefront6targetE1EEEvSK_, .Lfunc_end609-_ZN7rocprim17ROCPRIM_400000_NS6detail17trampoline_kernelINS0_14default_configENS1_35radix_sort_onesweep_config_selectorIfNS0_10empty_typeEEEZZNS1_29radix_sort_onesweep_iterationIS3_Lb0EN6thrust23THRUST_200600_302600_NS6detail15normal_iteratorINS9_10device_ptrIfEEEESE_PS5_SF_jNS0_19identity_decomposerENS1_16block_id_wrapperIjLb0EEEEE10hipError_tT1_PNSt15iterator_traitsISK_E10value_typeET2_T3_PNSL_ISQ_E10value_typeET4_T5_PSV_SW_PNS1_23onesweep_lookback_stateEbbT6_jjT7_P12ihipStream_tbENKUlT_T0_SK_SP_E_clIPfSE_SF_SF_EEDaS13_S14_SK_SP_EUlS13_E_NS1_11comp_targetILNS1_3genE3ELNS1_11target_archE908ELNS1_3gpuE7ELNS1_3repE0EEENS1_47radix_sort_onesweep_sort_config_static_selectorELNS0_4arch9wavefront6targetE1EEEvSK_
                                        ; -- End function
	.set _ZN7rocprim17ROCPRIM_400000_NS6detail17trampoline_kernelINS0_14default_configENS1_35radix_sort_onesweep_config_selectorIfNS0_10empty_typeEEEZZNS1_29radix_sort_onesweep_iterationIS3_Lb0EN6thrust23THRUST_200600_302600_NS6detail15normal_iteratorINS9_10device_ptrIfEEEESE_PS5_SF_jNS0_19identity_decomposerENS1_16block_id_wrapperIjLb0EEEEE10hipError_tT1_PNSt15iterator_traitsISK_E10value_typeET2_T3_PNSL_ISQ_E10value_typeET4_T5_PSV_SW_PNS1_23onesweep_lookback_stateEbbT6_jjT7_P12ihipStream_tbENKUlT_T0_SK_SP_E_clIPfSE_SF_SF_EEDaS13_S14_SK_SP_EUlS13_E_NS1_11comp_targetILNS1_3genE3ELNS1_11target_archE908ELNS1_3gpuE7ELNS1_3repE0EEENS1_47radix_sort_onesweep_sort_config_static_selectorELNS0_4arch9wavefront6targetE1EEEvSK_.num_vgpr, 0
	.set _ZN7rocprim17ROCPRIM_400000_NS6detail17trampoline_kernelINS0_14default_configENS1_35radix_sort_onesweep_config_selectorIfNS0_10empty_typeEEEZZNS1_29radix_sort_onesweep_iterationIS3_Lb0EN6thrust23THRUST_200600_302600_NS6detail15normal_iteratorINS9_10device_ptrIfEEEESE_PS5_SF_jNS0_19identity_decomposerENS1_16block_id_wrapperIjLb0EEEEE10hipError_tT1_PNSt15iterator_traitsISK_E10value_typeET2_T3_PNSL_ISQ_E10value_typeET4_T5_PSV_SW_PNS1_23onesweep_lookback_stateEbbT6_jjT7_P12ihipStream_tbENKUlT_T0_SK_SP_E_clIPfSE_SF_SF_EEDaS13_S14_SK_SP_EUlS13_E_NS1_11comp_targetILNS1_3genE3ELNS1_11target_archE908ELNS1_3gpuE7ELNS1_3repE0EEENS1_47radix_sort_onesweep_sort_config_static_selectorELNS0_4arch9wavefront6targetE1EEEvSK_.num_agpr, 0
	.set _ZN7rocprim17ROCPRIM_400000_NS6detail17trampoline_kernelINS0_14default_configENS1_35radix_sort_onesweep_config_selectorIfNS0_10empty_typeEEEZZNS1_29radix_sort_onesweep_iterationIS3_Lb0EN6thrust23THRUST_200600_302600_NS6detail15normal_iteratorINS9_10device_ptrIfEEEESE_PS5_SF_jNS0_19identity_decomposerENS1_16block_id_wrapperIjLb0EEEEE10hipError_tT1_PNSt15iterator_traitsISK_E10value_typeET2_T3_PNSL_ISQ_E10value_typeET4_T5_PSV_SW_PNS1_23onesweep_lookback_stateEbbT6_jjT7_P12ihipStream_tbENKUlT_T0_SK_SP_E_clIPfSE_SF_SF_EEDaS13_S14_SK_SP_EUlS13_E_NS1_11comp_targetILNS1_3genE3ELNS1_11target_archE908ELNS1_3gpuE7ELNS1_3repE0EEENS1_47radix_sort_onesweep_sort_config_static_selectorELNS0_4arch9wavefront6targetE1EEEvSK_.numbered_sgpr, 0
	.set _ZN7rocprim17ROCPRIM_400000_NS6detail17trampoline_kernelINS0_14default_configENS1_35radix_sort_onesweep_config_selectorIfNS0_10empty_typeEEEZZNS1_29radix_sort_onesweep_iterationIS3_Lb0EN6thrust23THRUST_200600_302600_NS6detail15normal_iteratorINS9_10device_ptrIfEEEESE_PS5_SF_jNS0_19identity_decomposerENS1_16block_id_wrapperIjLb0EEEEE10hipError_tT1_PNSt15iterator_traitsISK_E10value_typeET2_T3_PNSL_ISQ_E10value_typeET4_T5_PSV_SW_PNS1_23onesweep_lookback_stateEbbT6_jjT7_P12ihipStream_tbENKUlT_T0_SK_SP_E_clIPfSE_SF_SF_EEDaS13_S14_SK_SP_EUlS13_E_NS1_11comp_targetILNS1_3genE3ELNS1_11target_archE908ELNS1_3gpuE7ELNS1_3repE0EEENS1_47radix_sort_onesweep_sort_config_static_selectorELNS0_4arch9wavefront6targetE1EEEvSK_.num_named_barrier, 0
	.set _ZN7rocprim17ROCPRIM_400000_NS6detail17trampoline_kernelINS0_14default_configENS1_35radix_sort_onesweep_config_selectorIfNS0_10empty_typeEEEZZNS1_29radix_sort_onesweep_iterationIS3_Lb0EN6thrust23THRUST_200600_302600_NS6detail15normal_iteratorINS9_10device_ptrIfEEEESE_PS5_SF_jNS0_19identity_decomposerENS1_16block_id_wrapperIjLb0EEEEE10hipError_tT1_PNSt15iterator_traitsISK_E10value_typeET2_T3_PNSL_ISQ_E10value_typeET4_T5_PSV_SW_PNS1_23onesweep_lookback_stateEbbT6_jjT7_P12ihipStream_tbENKUlT_T0_SK_SP_E_clIPfSE_SF_SF_EEDaS13_S14_SK_SP_EUlS13_E_NS1_11comp_targetILNS1_3genE3ELNS1_11target_archE908ELNS1_3gpuE7ELNS1_3repE0EEENS1_47radix_sort_onesweep_sort_config_static_selectorELNS0_4arch9wavefront6targetE1EEEvSK_.private_seg_size, 0
	.set _ZN7rocprim17ROCPRIM_400000_NS6detail17trampoline_kernelINS0_14default_configENS1_35radix_sort_onesweep_config_selectorIfNS0_10empty_typeEEEZZNS1_29radix_sort_onesweep_iterationIS3_Lb0EN6thrust23THRUST_200600_302600_NS6detail15normal_iteratorINS9_10device_ptrIfEEEESE_PS5_SF_jNS0_19identity_decomposerENS1_16block_id_wrapperIjLb0EEEEE10hipError_tT1_PNSt15iterator_traitsISK_E10value_typeET2_T3_PNSL_ISQ_E10value_typeET4_T5_PSV_SW_PNS1_23onesweep_lookback_stateEbbT6_jjT7_P12ihipStream_tbENKUlT_T0_SK_SP_E_clIPfSE_SF_SF_EEDaS13_S14_SK_SP_EUlS13_E_NS1_11comp_targetILNS1_3genE3ELNS1_11target_archE908ELNS1_3gpuE7ELNS1_3repE0EEENS1_47radix_sort_onesweep_sort_config_static_selectorELNS0_4arch9wavefront6targetE1EEEvSK_.uses_vcc, 0
	.set _ZN7rocprim17ROCPRIM_400000_NS6detail17trampoline_kernelINS0_14default_configENS1_35radix_sort_onesweep_config_selectorIfNS0_10empty_typeEEEZZNS1_29radix_sort_onesweep_iterationIS3_Lb0EN6thrust23THRUST_200600_302600_NS6detail15normal_iteratorINS9_10device_ptrIfEEEESE_PS5_SF_jNS0_19identity_decomposerENS1_16block_id_wrapperIjLb0EEEEE10hipError_tT1_PNSt15iterator_traitsISK_E10value_typeET2_T3_PNSL_ISQ_E10value_typeET4_T5_PSV_SW_PNS1_23onesweep_lookback_stateEbbT6_jjT7_P12ihipStream_tbENKUlT_T0_SK_SP_E_clIPfSE_SF_SF_EEDaS13_S14_SK_SP_EUlS13_E_NS1_11comp_targetILNS1_3genE3ELNS1_11target_archE908ELNS1_3gpuE7ELNS1_3repE0EEENS1_47radix_sort_onesweep_sort_config_static_selectorELNS0_4arch9wavefront6targetE1EEEvSK_.uses_flat_scratch, 0
	.set _ZN7rocprim17ROCPRIM_400000_NS6detail17trampoline_kernelINS0_14default_configENS1_35radix_sort_onesweep_config_selectorIfNS0_10empty_typeEEEZZNS1_29radix_sort_onesweep_iterationIS3_Lb0EN6thrust23THRUST_200600_302600_NS6detail15normal_iteratorINS9_10device_ptrIfEEEESE_PS5_SF_jNS0_19identity_decomposerENS1_16block_id_wrapperIjLb0EEEEE10hipError_tT1_PNSt15iterator_traitsISK_E10value_typeET2_T3_PNSL_ISQ_E10value_typeET4_T5_PSV_SW_PNS1_23onesweep_lookback_stateEbbT6_jjT7_P12ihipStream_tbENKUlT_T0_SK_SP_E_clIPfSE_SF_SF_EEDaS13_S14_SK_SP_EUlS13_E_NS1_11comp_targetILNS1_3genE3ELNS1_11target_archE908ELNS1_3gpuE7ELNS1_3repE0EEENS1_47radix_sort_onesweep_sort_config_static_selectorELNS0_4arch9wavefront6targetE1EEEvSK_.has_dyn_sized_stack, 0
	.set _ZN7rocprim17ROCPRIM_400000_NS6detail17trampoline_kernelINS0_14default_configENS1_35radix_sort_onesweep_config_selectorIfNS0_10empty_typeEEEZZNS1_29radix_sort_onesweep_iterationIS3_Lb0EN6thrust23THRUST_200600_302600_NS6detail15normal_iteratorINS9_10device_ptrIfEEEESE_PS5_SF_jNS0_19identity_decomposerENS1_16block_id_wrapperIjLb0EEEEE10hipError_tT1_PNSt15iterator_traitsISK_E10value_typeET2_T3_PNSL_ISQ_E10value_typeET4_T5_PSV_SW_PNS1_23onesweep_lookback_stateEbbT6_jjT7_P12ihipStream_tbENKUlT_T0_SK_SP_E_clIPfSE_SF_SF_EEDaS13_S14_SK_SP_EUlS13_E_NS1_11comp_targetILNS1_3genE3ELNS1_11target_archE908ELNS1_3gpuE7ELNS1_3repE0EEENS1_47radix_sort_onesweep_sort_config_static_selectorELNS0_4arch9wavefront6targetE1EEEvSK_.has_recursion, 0
	.set _ZN7rocprim17ROCPRIM_400000_NS6detail17trampoline_kernelINS0_14default_configENS1_35radix_sort_onesweep_config_selectorIfNS0_10empty_typeEEEZZNS1_29radix_sort_onesweep_iterationIS3_Lb0EN6thrust23THRUST_200600_302600_NS6detail15normal_iteratorINS9_10device_ptrIfEEEESE_PS5_SF_jNS0_19identity_decomposerENS1_16block_id_wrapperIjLb0EEEEE10hipError_tT1_PNSt15iterator_traitsISK_E10value_typeET2_T3_PNSL_ISQ_E10value_typeET4_T5_PSV_SW_PNS1_23onesweep_lookback_stateEbbT6_jjT7_P12ihipStream_tbENKUlT_T0_SK_SP_E_clIPfSE_SF_SF_EEDaS13_S14_SK_SP_EUlS13_E_NS1_11comp_targetILNS1_3genE3ELNS1_11target_archE908ELNS1_3gpuE7ELNS1_3repE0EEENS1_47radix_sort_onesweep_sort_config_static_selectorELNS0_4arch9wavefront6targetE1EEEvSK_.has_indirect_call, 0
	.section	.AMDGPU.csdata,"",@progbits
; Kernel info:
; codeLenInByte = 0
; TotalNumSgprs: 6
; NumVgprs: 0
; NumAgprs: 0
; TotalNumVgprs: 0
; ScratchSize: 0
; MemoryBound: 0
; FloatMode: 240
; IeeeMode: 1
; LDSByteSize: 0 bytes/workgroup (compile time only)
; SGPRBlocks: 0
; VGPRBlocks: 0
; NumSGPRsForWavesPerEU: 6
; NumVGPRsForWavesPerEU: 1
; AccumOffset: 4
; Occupancy: 8
; WaveLimiterHint : 0
; COMPUTE_PGM_RSRC2:SCRATCH_EN: 0
; COMPUTE_PGM_RSRC2:USER_SGPR: 2
; COMPUTE_PGM_RSRC2:TRAP_HANDLER: 0
; COMPUTE_PGM_RSRC2:TGID_X_EN: 1
; COMPUTE_PGM_RSRC2:TGID_Y_EN: 0
; COMPUTE_PGM_RSRC2:TGID_Z_EN: 0
; COMPUTE_PGM_RSRC2:TIDIG_COMP_CNT: 0
; COMPUTE_PGM_RSRC3_GFX90A:ACCUM_OFFSET: 0
; COMPUTE_PGM_RSRC3_GFX90A:TG_SPLIT: 0
	.section	.text._ZN7rocprim17ROCPRIM_400000_NS6detail17trampoline_kernelINS0_14default_configENS1_35radix_sort_onesweep_config_selectorIfNS0_10empty_typeEEEZZNS1_29radix_sort_onesweep_iterationIS3_Lb0EN6thrust23THRUST_200600_302600_NS6detail15normal_iteratorINS9_10device_ptrIfEEEESE_PS5_SF_jNS0_19identity_decomposerENS1_16block_id_wrapperIjLb0EEEEE10hipError_tT1_PNSt15iterator_traitsISK_E10value_typeET2_T3_PNSL_ISQ_E10value_typeET4_T5_PSV_SW_PNS1_23onesweep_lookback_stateEbbT6_jjT7_P12ihipStream_tbENKUlT_T0_SK_SP_E_clIPfSE_SF_SF_EEDaS13_S14_SK_SP_EUlS13_E_NS1_11comp_targetILNS1_3genE10ELNS1_11target_archE1201ELNS1_3gpuE5ELNS1_3repE0EEENS1_47radix_sort_onesweep_sort_config_static_selectorELNS0_4arch9wavefront6targetE1EEEvSK_,"axG",@progbits,_ZN7rocprim17ROCPRIM_400000_NS6detail17trampoline_kernelINS0_14default_configENS1_35radix_sort_onesweep_config_selectorIfNS0_10empty_typeEEEZZNS1_29radix_sort_onesweep_iterationIS3_Lb0EN6thrust23THRUST_200600_302600_NS6detail15normal_iteratorINS9_10device_ptrIfEEEESE_PS5_SF_jNS0_19identity_decomposerENS1_16block_id_wrapperIjLb0EEEEE10hipError_tT1_PNSt15iterator_traitsISK_E10value_typeET2_T3_PNSL_ISQ_E10value_typeET4_T5_PSV_SW_PNS1_23onesweep_lookback_stateEbbT6_jjT7_P12ihipStream_tbENKUlT_T0_SK_SP_E_clIPfSE_SF_SF_EEDaS13_S14_SK_SP_EUlS13_E_NS1_11comp_targetILNS1_3genE10ELNS1_11target_archE1201ELNS1_3gpuE5ELNS1_3repE0EEENS1_47radix_sort_onesweep_sort_config_static_selectorELNS0_4arch9wavefront6targetE1EEEvSK_,comdat
	.protected	_ZN7rocprim17ROCPRIM_400000_NS6detail17trampoline_kernelINS0_14default_configENS1_35radix_sort_onesweep_config_selectorIfNS0_10empty_typeEEEZZNS1_29radix_sort_onesweep_iterationIS3_Lb0EN6thrust23THRUST_200600_302600_NS6detail15normal_iteratorINS9_10device_ptrIfEEEESE_PS5_SF_jNS0_19identity_decomposerENS1_16block_id_wrapperIjLb0EEEEE10hipError_tT1_PNSt15iterator_traitsISK_E10value_typeET2_T3_PNSL_ISQ_E10value_typeET4_T5_PSV_SW_PNS1_23onesweep_lookback_stateEbbT6_jjT7_P12ihipStream_tbENKUlT_T0_SK_SP_E_clIPfSE_SF_SF_EEDaS13_S14_SK_SP_EUlS13_E_NS1_11comp_targetILNS1_3genE10ELNS1_11target_archE1201ELNS1_3gpuE5ELNS1_3repE0EEENS1_47radix_sort_onesweep_sort_config_static_selectorELNS0_4arch9wavefront6targetE1EEEvSK_ ; -- Begin function _ZN7rocprim17ROCPRIM_400000_NS6detail17trampoline_kernelINS0_14default_configENS1_35radix_sort_onesweep_config_selectorIfNS0_10empty_typeEEEZZNS1_29radix_sort_onesweep_iterationIS3_Lb0EN6thrust23THRUST_200600_302600_NS6detail15normal_iteratorINS9_10device_ptrIfEEEESE_PS5_SF_jNS0_19identity_decomposerENS1_16block_id_wrapperIjLb0EEEEE10hipError_tT1_PNSt15iterator_traitsISK_E10value_typeET2_T3_PNSL_ISQ_E10value_typeET4_T5_PSV_SW_PNS1_23onesweep_lookback_stateEbbT6_jjT7_P12ihipStream_tbENKUlT_T0_SK_SP_E_clIPfSE_SF_SF_EEDaS13_S14_SK_SP_EUlS13_E_NS1_11comp_targetILNS1_3genE10ELNS1_11target_archE1201ELNS1_3gpuE5ELNS1_3repE0EEENS1_47radix_sort_onesweep_sort_config_static_selectorELNS0_4arch9wavefront6targetE1EEEvSK_
	.globl	_ZN7rocprim17ROCPRIM_400000_NS6detail17trampoline_kernelINS0_14default_configENS1_35radix_sort_onesweep_config_selectorIfNS0_10empty_typeEEEZZNS1_29radix_sort_onesweep_iterationIS3_Lb0EN6thrust23THRUST_200600_302600_NS6detail15normal_iteratorINS9_10device_ptrIfEEEESE_PS5_SF_jNS0_19identity_decomposerENS1_16block_id_wrapperIjLb0EEEEE10hipError_tT1_PNSt15iterator_traitsISK_E10value_typeET2_T3_PNSL_ISQ_E10value_typeET4_T5_PSV_SW_PNS1_23onesweep_lookback_stateEbbT6_jjT7_P12ihipStream_tbENKUlT_T0_SK_SP_E_clIPfSE_SF_SF_EEDaS13_S14_SK_SP_EUlS13_E_NS1_11comp_targetILNS1_3genE10ELNS1_11target_archE1201ELNS1_3gpuE5ELNS1_3repE0EEENS1_47radix_sort_onesweep_sort_config_static_selectorELNS0_4arch9wavefront6targetE1EEEvSK_
	.p2align	8
	.type	_ZN7rocprim17ROCPRIM_400000_NS6detail17trampoline_kernelINS0_14default_configENS1_35radix_sort_onesweep_config_selectorIfNS0_10empty_typeEEEZZNS1_29radix_sort_onesweep_iterationIS3_Lb0EN6thrust23THRUST_200600_302600_NS6detail15normal_iteratorINS9_10device_ptrIfEEEESE_PS5_SF_jNS0_19identity_decomposerENS1_16block_id_wrapperIjLb0EEEEE10hipError_tT1_PNSt15iterator_traitsISK_E10value_typeET2_T3_PNSL_ISQ_E10value_typeET4_T5_PSV_SW_PNS1_23onesweep_lookback_stateEbbT6_jjT7_P12ihipStream_tbENKUlT_T0_SK_SP_E_clIPfSE_SF_SF_EEDaS13_S14_SK_SP_EUlS13_E_NS1_11comp_targetILNS1_3genE10ELNS1_11target_archE1201ELNS1_3gpuE5ELNS1_3repE0EEENS1_47radix_sort_onesweep_sort_config_static_selectorELNS0_4arch9wavefront6targetE1EEEvSK_,@function
_ZN7rocprim17ROCPRIM_400000_NS6detail17trampoline_kernelINS0_14default_configENS1_35radix_sort_onesweep_config_selectorIfNS0_10empty_typeEEEZZNS1_29radix_sort_onesweep_iterationIS3_Lb0EN6thrust23THRUST_200600_302600_NS6detail15normal_iteratorINS9_10device_ptrIfEEEESE_PS5_SF_jNS0_19identity_decomposerENS1_16block_id_wrapperIjLb0EEEEE10hipError_tT1_PNSt15iterator_traitsISK_E10value_typeET2_T3_PNSL_ISQ_E10value_typeET4_T5_PSV_SW_PNS1_23onesweep_lookback_stateEbbT6_jjT7_P12ihipStream_tbENKUlT_T0_SK_SP_E_clIPfSE_SF_SF_EEDaS13_S14_SK_SP_EUlS13_E_NS1_11comp_targetILNS1_3genE10ELNS1_11target_archE1201ELNS1_3gpuE5ELNS1_3repE0EEENS1_47radix_sort_onesweep_sort_config_static_selectorELNS0_4arch9wavefront6targetE1EEEvSK_: ; @_ZN7rocprim17ROCPRIM_400000_NS6detail17trampoline_kernelINS0_14default_configENS1_35radix_sort_onesweep_config_selectorIfNS0_10empty_typeEEEZZNS1_29radix_sort_onesweep_iterationIS3_Lb0EN6thrust23THRUST_200600_302600_NS6detail15normal_iteratorINS9_10device_ptrIfEEEESE_PS5_SF_jNS0_19identity_decomposerENS1_16block_id_wrapperIjLb0EEEEE10hipError_tT1_PNSt15iterator_traitsISK_E10value_typeET2_T3_PNSL_ISQ_E10value_typeET4_T5_PSV_SW_PNS1_23onesweep_lookback_stateEbbT6_jjT7_P12ihipStream_tbENKUlT_T0_SK_SP_E_clIPfSE_SF_SF_EEDaS13_S14_SK_SP_EUlS13_E_NS1_11comp_targetILNS1_3genE10ELNS1_11target_archE1201ELNS1_3gpuE5ELNS1_3repE0EEENS1_47radix_sort_onesweep_sort_config_static_selectorELNS0_4arch9wavefront6targetE1EEEvSK_
; %bb.0:
	.section	.rodata,"a",@progbits
	.p2align	6, 0x0
	.amdhsa_kernel _ZN7rocprim17ROCPRIM_400000_NS6detail17trampoline_kernelINS0_14default_configENS1_35radix_sort_onesweep_config_selectorIfNS0_10empty_typeEEEZZNS1_29radix_sort_onesweep_iterationIS3_Lb0EN6thrust23THRUST_200600_302600_NS6detail15normal_iteratorINS9_10device_ptrIfEEEESE_PS5_SF_jNS0_19identity_decomposerENS1_16block_id_wrapperIjLb0EEEEE10hipError_tT1_PNSt15iterator_traitsISK_E10value_typeET2_T3_PNSL_ISQ_E10value_typeET4_T5_PSV_SW_PNS1_23onesweep_lookback_stateEbbT6_jjT7_P12ihipStream_tbENKUlT_T0_SK_SP_E_clIPfSE_SF_SF_EEDaS13_S14_SK_SP_EUlS13_E_NS1_11comp_targetILNS1_3genE10ELNS1_11target_archE1201ELNS1_3gpuE5ELNS1_3repE0EEENS1_47radix_sort_onesweep_sort_config_static_selectorELNS0_4arch9wavefront6targetE1EEEvSK_
		.amdhsa_group_segment_fixed_size 0
		.amdhsa_private_segment_fixed_size 0
		.amdhsa_kernarg_size 88
		.amdhsa_user_sgpr_count 2
		.amdhsa_user_sgpr_dispatch_ptr 0
		.amdhsa_user_sgpr_queue_ptr 0
		.amdhsa_user_sgpr_kernarg_segment_ptr 1
		.amdhsa_user_sgpr_dispatch_id 0
		.amdhsa_user_sgpr_kernarg_preload_length 0
		.amdhsa_user_sgpr_kernarg_preload_offset 0
		.amdhsa_user_sgpr_private_segment_size 0
		.amdhsa_uses_dynamic_stack 0
		.amdhsa_enable_private_segment 0
		.amdhsa_system_sgpr_workgroup_id_x 1
		.amdhsa_system_sgpr_workgroup_id_y 0
		.amdhsa_system_sgpr_workgroup_id_z 0
		.amdhsa_system_sgpr_workgroup_info 0
		.amdhsa_system_vgpr_workitem_id 0
		.amdhsa_next_free_vgpr 1
		.amdhsa_next_free_sgpr 0
		.amdhsa_accum_offset 4
		.amdhsa_reserve_vcc 0
		.amdhsa_float_round_mode_32 0
		.amdhsa_float_round_mode_16_64 0
		.amdhsa_float_denorm_mode_32 3
		.amdhsa_float_denorm_mode_16_64 3
		.amdhsa_dx10_clamp 1
		.amdhsa_ieee_mode 1
		.amdhsa_fp16_overflow 0
		.amdhsa_tg_split 0
		.amdhsa_exception_fp_ieee_invalid_op 0
		.amdhsa_exception_fp_denorm_src 0
		.amdhsa_exception_fp_ieee_div_zero 0
		.amdhsa_exception_fp_ieee_overflow 0
		.amdhsa_exception_fp_ieee_underflow 0
		.amdhsa_exception_fp_ieee_inexact 0
		.amdhsa_exception_int_div_zero 0
	.end_amdhsa_kernel
	.section	.text._ZN7rocprim17ROCPRIM_400000_NS6detail17trampoline_kernelINS0_14default_configENS1_35radix_sort_onesweep_config_selectorIfNS0_10empty_typeEEEZZNS1_29radix_sort_onesweep_iterationIS3_Lb0EN6thrust23THRUST_200600_302600_NS6detail15normal_iteratorINS9_10device_ptrIfEEEESE_PS5_SF_jNS0_19identity_decomposerENS1_16block_id_wrapperIjLb0EEEEE10hipError_tT1_PNSt15iterator_traitsISK_E10value_typeET2_T3_PNSL_ISQ_E10value_typeET4_T5_PSV_SW_PNS1_23onesweep_lookback_stateEbbT6_jjT7_P12ihipStream_tbENKUlT_T0_SK_SP_E_clIPfSE_SF_SF_EEDaS13_S14_SK_SP_EUlS13_E_NS1_11comp_targetILNS1_3genE10ELNS1_11target_archE1201ELNS1_3gpuE5ELNS1_3repE0EEENS1_47radix_sort_onesweep_sort_config_static_selectorELNS0_4arch9wavefront6targetE1EEEvSK_,"axG",@progbits,_ZN7rocprim17ROCPRIM_400000_NS6detail17trampoline_kernelINS0_14default_configENS1_35radix_sort_onesweep_config_selectorIfNS0_10empty_typeEEEZZNS1_29radix_sort_onesweep_iterationIS3_Lb0EN6thrust23THRUST_200600_302600_NS6detail15normal_iteratorINS9_10device_ptrIfEEEESE_PS5_SF_jNS0_19identity_decomposerENS1_16block_id_wrapperIjLb0EEEEE10hipError_tT1_PNSt15iterator_traitsISK_E10value_typeET2_T3_PNSL_ISQ_E10value_typeET4_T5_PSV_SW_PNS1_23onesweep_lookback_stateEbbT6_jjT7_P12ihipStream_tbENKUlT_T0_SK_SP_E_clIPfSE_SF_SF_EEDaS13_S14_SK_SP_EUlS13_E_NS1_11comp_targetILNS1_3genE10ELNS1_11target_archE1201ELNS1_3gpuE5ELNS1_3repE0EEENS1_47radix_sort_onesweep_sort_config_static_selectorELNS0_4arch9wavefront6targetE1EEEvSK_,comdat
.Lfunc_end610:
	.size	_ZN7rocprim17ROCPRIM_400000_NS6detail17trampoline_kernelINS0_14default_configENS1_35radix_sort_onesweep_config_selectorIfNS0_10empty_typeEEEZZNS1_29radix_sort_onesweep_iterationIS3_Lb0EN6thrust23THRUST_200600_302600_NS6detail15normal_iteratorINS9_10device_ptrIfEEEESE_PS5_SF_jNS0_19identity_decomposerENS1_16block_id_wrapperIjLb0EEEEE10hipError_tT1_PNSt15iterator_traitsISK_E10value_typeET2_T3_PNSL_ISQ_E10value_typeET4_T5_PSV_SW_PNS1_23onesweep_lookback_stateEbbT6_jjT7_P12ihipStream_tbENKUlT_T0_SK_SP_E_clIPfSE_SF_SF_EEDaS13_S14_SK_SP_EUlS13_E_NS1_11comp_targetILNS1_3genE10ELNS1_11target_archE1201ELNS1_3gpuE5ELNS1_3repE0EEENS1_47radix_sort_onesweep_sort_config_static_selectorELNS0_4arch9wavefront6targetE1EEEvSK_, .Lfunc_end610-_ZN7rocprim17ROCPRIM_400000_NS6detail17trampoline_kernelINS0_14default_configENS1_35radix_sort_onesweep_config_selectorIfNS0_10empty_typeEEEZZNS1_29radix_sort_onesweep_iterationIS3_Lb0EN6thrust23THRUST_200600_302600_NS6detail15normal_iteratorINS9_10device_ptrIfEEEESE_PS5_SF_jNS0_19identity_decomposerENS1_16block_id_wrapperIjLb0EEEEE10hipError_tT1_PNSt15iterator_traitsISK_E10value_typeET2_T3_PNSL_ISQ_E10value_typeET4_T5_PSV_SW_PNS1_23onesweep_lookback_stateEbbT6_jjT7_P12ihipStream_tbENKUlT_T0_SK_SP_E_clIPfSE_SF_SF_EEDaS13_S14_SK_SP_EUlS13_E_NS1_11comp_targetILNS1_3genE10ELNS1_11target_archE1201ELNS1_3gpuE5ELNS1_3repE0EEENS1_47radix_sort_onesweep_sort_config_static_selectorELNS0_4arch9wavefront6targetE1EEEvSK_
                                        ; -- End function
	.set _ZN7rocprim17ROCPRIM_400000_NS6detail17trampoline_kernelINS0_14default_configENS1_35radix_sort_onesweep_config_selectorIfNS0_10empty_typeEEEZZNS1_29radix_sort_onesweep_iterationIS3_Lb0EN6thrust23THRUST_200600_302600_NS6detail15normal_iteratorINS9_10device_ptrIfEEEESE_PS5_SF_jNS0_19identity_decomposerENS1_16block_id_wrapperIjLb0EEEEE10hipError_tT1_PNSt15iterator_traitsISK_E10value_typeET2_T3_PNSL_ISQ_E10value_typeET4_T5_PSV_SW_PNS1_23onesweep_lookback_stateEbbT6_jjT7_P12ihipStream_tbENKUlT_T0_SK_SP_E_clIPfSE_SF_SF_EEDaS13_S14_SK_SP_EUlS13_E_NS1_11comp_targetILNS1_3genE10ELNS1_11target_archE1201ELNS1_3gpuE5ELNS1_3repE0EEENS1_47radix_sort_onesweep_sort_config_static_selectorELNS0_4arch9wavefront6targetE1EEEvSK_.num_vgpr, 0
	.set _ZN7rocprim17ROCPRIM_400000_NS6detail17trampoline_kernelINS0_14default_configENS1_35radix_sort_onesweep_config_selectorIfNS0_10empty_typeEEEZZNS1_29radix_sort_onesweep_iterationIS3_Lb0EN6thrust23THRUST_200600_302600_NS6detail15normal_iteratorINS9_10device_ptrIfEEEESE_PS5_SF_jNS0_19identity_decomposerENS1_16block_id_wrapperIjLb0EEEEE10hipError_tT1_PNSt15iterator_traitsISK_E10value_typeET2_T3_PNSL_ISQ_E10value_typeET4_T5_PSV_SW_PNS1_23onesweep_lookback_stateEbbT6_jjT7_P12ihipStream_tbENKUlT_T0_SK_SP_E_clIPfSE_SF_SF_EEDaS13_S14_SK_SP_EUlS13_E_NS1_11comp_targetILNS1_3genE10ELNS1_11target_archE1201ELNS1_3gpuE5ELNS1_3repE0EEENS1_47radix_sort_onesweep_sort_config_static_selectorELNS0_4arch9wavefront6targetE1EEEvSK_.num_agpr, 0
	.set _ZN7rocprim17ROCPRIM_400000_NS6detail17trampoline_kernelINS0_14default_configENS1_35radix_sort_onesweep_config_selectorIfNS0_10empty_typeEEEZZNS1_29radix_sort_onesweep_iterationIS3_Lb0EN6thrust23THRUST_200600_302600_NS6detail15normal_iteratorINS9_10device_ptrIfEEEESE_PS5_SF_jNS0_19identity_decomposerENS1_16block_id_wrapperIjLb0EEEEE10hipError_tT1_PNSt15iterator_traitsISK_E10value_typeET2_T3_PNSL_ISQ_E10value_typeET4_T5_PSV_SW_PNS1_23onesweep_lookback_stateEbbT6_jjT7_P12ihipStream_tbENKUlT_T0_SK_SP_E_clIPfSE_SF_SF_EEDaS13_S14_SK_SP_EUlS13_E_NS1_11comp_targetILNS1_3genE10ELNS1_11target_archE1201ELNS1_3gpuE5ELNS1_3repE0EEENS1_47radix_sort_onesweep_sort_config_static_selectorELNS0_4arch9wavefront6targetE1EEEvSK_.numbered_sgpr, 0
	.set _ZN7rocprim17ROCPRIM_400000_NS6detail17trampoline_kernelINS0_14default_configENS1_35radix_sort_onesweep_config_selectorIfNS0_10empty_typeEEEZZNS1_29radix_sort_onesweep_iterationIS3_Lb0EN6thrust23THRUST_200600_302600_NS6detail15normal_iteratorINS9_10device_ptrIfEEEESE_PS5_SF_jNS0_19identity_decomposerENS1_16block_id_wrapperIjLb0EEEEE10hipError_tT1_PNSt15iterator_traitsISK_E10value_typeET2_T3_PNSL_ISQ_E10value_typeET4_T5_PSV_SW_PNS1_23onesweep_lookback_stateEbbT6_jjT7_P12ihipStream_tbENKUlT_T0_SK_SP_E_clIPfSE_SF_SF_EEDaS13_S14_SK_SP_EUlS13_E_NS1_11comp_targetILNS1_3genE10ELNS1_11target_archE1201ELNS1_3gpuE5ELNS1_3repE0EEENS1_47radix_sort_onesweep_sort_config_static_selectorELNS0_4arch9wavefront6targetE1EEEvSK_.num_named_barrier, 0
	.set _ZN7rocprim17ROCPRIM_400000_NS6detail17trampoline_kernelINS0_14default_configENS1_35radix_sort_onesweep_config_selectorIfNS0_10empty_typeEEEZZNS1_29radix_sort_onesweep_iterationIS3_Lb0EN6thrust23THRUST_200600_302600_NS6detail15normal_iteratorINS9_10device_ptrIfEEEESE_PS5_SF_jNS0_19identity_decomposerENS1_16block_id_wrapperIjLb0EEEEE10hipError_tT1_PNSt15iterator_traitsISK_E10value_typeET2_T3_PNSL_ISQ_E10value_typeET4_T5_PSV_SW_PNS1_23onesweep_lookback_stateEbbT6_jjT7_P12ihipStream_tbENKUlT_T0_SK_SP_E_clIPfSE_SF_SF_EEDaS13_S14_SK_SP_EUlS13_E_NS1_11comp_targetILNS1_3genE10ELNS1_11target_archE1201ELNS1_3gpuE5ELNS1_3repE0EEENS1_47radix_sort_onesweep_sort_config_static_selectorELNS0_4arch9wavefront6targetE1EEEvSK_.private_seg_size, 0
	.set _ZN7rocprim17ROCPRIM_400000_NS6detail17trampoline_kernelINS0_14default_configENS1_35radix_sort_onesweep_config_selectorIfNS0_10empty_typeEEEZZNS1_29radix_sort_onesweep_iterationIS3_Lb0EN6thrust23THRUST_200600_302600_NS6detail15normal_iteratorINS9_10device_ptrIfEEEESE_PS5_SF_jNS0_19identity_decomposerENS1_16block_id_wrapperIjLb0EEEEE10hipError_tT1_PNSt15iterator_traitsISK_E10value_typeET2_T3_PNSL_ISQ_E10value_typeET4_T5_PSV_SW_PNS1_23onesweep_lookback_stateEbbT6_jjT7_P12ihipStream_tbENKUlT_T0_SK_SP_E_clIPfSE_SF_SF_EEDaS13_S14_SK_SP_EUlS13_E_NS1_11comp_targetILNS1_3genE10ELNS1_11target_archE1201ELNS1_3gpuE5ELNS1_3repE0EEENS1_47radix_sort_onesweep_sort_config_static_selectorELNS0_4arch9wavefront6targetE1EEEvSK_.uses_vcc, 0
	.set _ZN7rocprim17ROCPRIM_400000_NS6detail17trampoline_kernelINS0_14default_configENS1_35radix_sort_onesweep_config_selectorIfNS0_10empty_typeEEEZZNS1_29radix_sort_onesweep_iterationIS3_Lb0EN6thrust23THRUST_200600_302600_NS6detail15normal_iteratorINS9_10device_ptrIfEEEESE_PS5_SF_jNS0_19identity_decomposerENS1_16block_id_wrapperIjLb0EEEEE10hipError_tT1_PNSt15iterator_traitsISK_E10value_typeET2_T3_PNSL_ISQ_E10value_typeET4_T5_PSV_SW_PNS1_23onesweep_lookback_stateEbbT6_jjT7_P12ihipStream_tbENKUlT_T0_SK_SP_E_clIPfSE_SF_SF_EEDaS13_S14_SK_SP_EUlS13_E_NS1_11comp_targetILNS1_3genE10ELNS1_11target_archE1201ELNS1_3gpuE5ELNS1_3repE0EEENS1_47radix_sort_onesweep_sort_config_static_selectorELNS0_4arch9wavefront6targetE1EEEvSK_.uses_flat_scratch, 0
	.set _ZN7rocprim17ROCPRIM_400000_NS6detail17trampoline_kernelINS0_14default_configENS1_35radix_sort_onesweep_config_selectorIfNS0_10empty_typeEEEZZNS1_29radix_sort_onesweep_iterationIS3_Lb0EN6thrust23THRUST_200600_302600_NS6detail15normal_iteratorINS9_10device_ptrIfEEEESE_PS5_SF_jNS0_19identity_decomposerENS1_16block_id_wrapperIjLb0EEEEE10hipError_tT1_PNSt15iterator_traitsISK_E10value_typeET2_T3_PNSL_ISQ_E10value_typeET4_T5_PSV_SW_PNS1_23onesweep_lookback_stateEbbT6_jjT7_P12ihipStream_tbENKUlT_T0_SK_SP_E_clIPfSE_SF_SF_EEDaS13_S14_SK_SP_EUlS13_E_NS1_11comp_targetILNS1_3genE10ELNS1_11target_archE1201ELNS1_3gpuE5ELNS1_3repE0EEENS1_47radix_sort_onesweep_sort_config_static_selectorELNS0_4arch9wavefront6targetE1EEEvSK_.has_dyn_sized_stack, 0
	.set _ZN7rocprim17ROCPRIM_400000_NS6detail17trampoline_kernelINS0_14default_configENS1_35radix_sort_onesweep_config_selectorIfNS0_10empty_typeEEEZZNS1_29radix_sort_onesweep_iterationIS3_Lb0EN6thrust23THRUST_200600_302600_NS6detail15normal_iteratorINS9_10device_ptrIfEEEESE_PS5_SF_jNS0_19identity_decomposerENS1_16block_id_wrapperIjLb0EEEEE10hipError_tT1_PNSt15iterator_traitsISK_E10value_typeET2_T3_PNSL_ISQ_E10value_typeET4_T5_PSV_SW_PNS1_23onesweep_lookback_stateEbbT6_jjT7_P12ihipStream_tbENKUlT_T0_SK_SP_E_clIPfSE_SF_SF_EEDaS13_S14_SK_SP_EUlS13_E_NS1_11comp_targetILNS1_3genE10ELNS1_11target_archE1201ELNS1_3gpuE5ELNS1_3repE0EEENS1_47radix_sort_onesweep_sort_config_static_selectorELNS0_4arch9wavefront6targetE1EEEvSK_.has_recursion, 0
	.set _ZN7rocprim17ROCPRIM_400000_NS6detail17trampoline_kernelINS0_14default_configENS1_35radix_sort_onesweep_config_selectorIfNS0_10empty_typeEEEZZNS1_29radix_sort_onesweep_iterationIS3_Lb0EN6thrust23THRUST_200600_302600_NS6detail15normal_iteratorINS9_10device_ptrIfEEEESE_PS5_SF_jNS0_19identity_decomposerENS1_16block_id_wrapperIjLb0EEEEE10hipError_tT1_PNSt15iterator_traitsISK_E10value_typeET2_T3_PNSL_ISQ_E10value_typeET4_T5_PSV_SW_PNS1_23onesweep_lookback_stateEbbT6_jjT7_P12ihipStream_tbENKUlT_T0_SK_SP_E_clIPfSE_SF_SF_EEDaS13_S14_SK_SP_EUlS13_E_NS1_11comp_targetILNS1_3genE10ELNS1_11target_archE1201ELNS1_3gpuE5ELNS1_3repE0EEENS1_47radix_sort_onesweep_sort_config_static_selectorELNS0_4arch9wavefront6targetE1EEEvSK_.has_indirect_call, 0
	.section	.AMDGPU.csdata,"",@progbits
; Kernel info:
; codeLenInByte = 0
; TotalNumSgprs: 6
; NumVgprs: 0
; NumAgprs: 0
; TotalNumVgprs: 0
; ScratchSize: 0
; MemoryBound: 0
; FloatMode: 240
; IeeeMode: 1
; LDSByteSize: 0 bytes/workgroup (compile time only)
; SGPRBlocks: 0
; VGPRBlocks: 0
; NumSGPRsForWavesPerEU: 6
; NumVGPRsForWavesPerEU: 1
; AccumOffset: 4
; Occupancy: 8
; WaveLimiterHint : 0
; COMPUTE_PGM_RSRC2:SCRATCH_EN: 0
; COMPUTE_PGM_RSRC2:USER_SGPR: 2
; COMPUTE_PGM_RSRC2:TRAP_HANDLER: 0
; COMPUTE_PGM_RSRC2:TGID_X_EN: 1
; COMPUTE_PGM_RSRC2:TGID_Y_EN: 0
; COMPUTE_PGM_RSRC2:TGID_Z_EN: 0
; COMPUTE_PGM_RSRC2:TIDIG_COMP_CNT: 0
; COMPUTE_PGM_RSRC3_GFX90A:ACCUM_OFFSET: 0
; COMPUTE_PGM_RSRC3_GFX90A:TG_SPLIT: 0
	.section	.text._ZN7rocprim17ROCPRIM_400000_NS6detail17trampoline_kernelINS0_14default_configENS1_35radix_sort_onesweep_config_selectorIfNS0_10empty_typeEEEZZNS1_29radix_sort_onesweep_iterationIS3_Lb0EN6thrust23THRUST_200600_302600_NS6detail15normal_iteratorINS9_10device_ptrIfEEEESE_PS5_SF_jNS0_19identity_decomposerENS1_16block_id_wrapperIjLb0EEEEE10hipError_tT1_PNSt15iterator_traitsISK_E10value_typeET2_T3_PNSL_ISQ_E10value_typeET4_T5_PSV_SW_PNS1_23onesweep_lookback_stateEbbT6_jjT7_P12ihipStream_tbENKUlT_T0_SK_SP_E_clIPfSE_SF_SF_EEDaS13_S14_SK_SP_EUlS13_E_NS1_11comp_targetILNS1_3genE9ELNS1_11target_archE1100ELNS1_3gpuE3ELNS1_3repE0EEENS1_47radix_sort_onesweep_sort_config_static_selectorELNS0_4arch9wavefront6targetE1EEEvSK_,"axG",@progbits,_ZN7rocprim17ROCPRIM_400000_NS6detail17trampoline_kernelINS0_14default_configENS1_35radix_sort_onesweep_config_selectorIfNS0_10empty_typeEEEZZNS1_29radix_sort_onesweep_iterationIS3_Lb0EN6thrust23THRUST_200600_302600_NS6detail15normal_iteratorINS9_10device_ptrIfEEEESE_PS5_SF_jNS0_19identity_decomposerENS1_16block_id_wrapperIjLb0EEEEE10hipError_tT1_PNSt15iterator_traitsISK_E10value_typeET2_T3_PNSL_ISQ_E10value_typeET4_T5_PSV_SW_PNS1_23onesweep_lookback_stateEbbT6_jjT7_P12ihipStream_tbENKUlT_T0_SK_SP_E_clIPfSE_SF_SF_EEDaS13_S14_SK_SP_EUlS13_E_NS1_11comp_targetILNS1_3genE9ELNS1_11target_archE1100ELNS1_3gpuE3ELNS1_3repE0EEENS1_47radix_sort_onesweep_sort_config_static_selectorELNS0_4arch9wavefront6targetE1EEEvSK_,comdat
	.protected	_ZN7rocprim17ROCPRIM_400000_NS6detail17trampoline_kernelINS0_14default_configENS1_35radix_sort_onesweep_config_selectorIfNS0_10empty_typeEEEZZNS1_29radix_sort_onesweep_iterationIS3_Lb0EN6thrust23THRUST_200600_302600_NS6detail15normal_iteratorINS9_10device_ptrIfEEEESE_PS5_SF_jNS0_19identity_decomposerENS1_16block_id_wrapperIjLb0EEEEE10hipError_tT1_PNSt15iterator_traitsISK_E10value_typeET2_T3_PNSL_ISQ_E10value_typeET4_T5_PSV_SW_PNS1_23onesweep_lookback_stateEbbT6_jjT7_P12ihipStream_tbENKUlT_T0_SK_SP_E_clIPfSE_SF_SF_EEDaS13_S14_SK_SP_EUlS13_E_NS1_11comp_targetILNS1_3genE9ELNS1_11target_archE1100ELNS1_3gpuE3ELNS1_3repE0EEENS1_47radix_sort_onesweep_sort_config_static_selectorELNS0_4arch9wavefront6targetE1EEEvSK_ ; -- Begin function _ZN7rocprim17ROCPRIM_400000_NS6detail17trampoline_kernelINS0_14default_configENS1_35radix_sort_onesweep_config_selectorIfNS0_10empty_typeEEEZZNS1_29radix_sort_onesweep_iterationIS3_Lb0EN6thrust23THRUST_200600_302600_NS6detail15normal_iteratorINS9_10device_ptrIfEEEESE_PS5_SF_jNS0_19identity_decomposerENS1_16block_id_wrapperIjLb0EEEEE10hipError_tT1_PNSt15iterator_traitsISK_E10value_typeET2_T3_PNSL_ISQ_E10value_typeET4_T5_PSV_SW_PNS1_23onesweep_lookback_stateEbbT6_jjT7_P12ihipStream_tbENKUlT_T0_SK_SP_E_clIPfSE_SF_SF_EEDaS13_S14_SK_SP_EUlS13_E_NS1_11comp_targetILNS1_3genE9ELNS1_11target_archE1100ELNS1_3gpuE3ELNS1_3repE0EEENS1_47radix_sort_onesweep_sort_config_static_selectorELNS0_4arch9wavefront6targetE1EEEvSK_
	.globl	_ZN7rocprim17ROCPRIM_400000_NS6detail17trampoline_kernelINS0_14default_configENS1_35radix_sort_onesweep_config_selectorIfNS0_10empty_typeEEEZZNS1_29radix_sort_onesweep_iterationIS3_Lb0EN6thrust23THRUST_200600_302600_NS6detail15normal_iteratorINS9_10device_ptrIfEEEESE_PS5_SF_jNS0_19identity_decomposerENS1_16block_id_wrapperIjLb0EEEEE10hipError_tT1_PNSt15iterator_traitsISK_E10value_typeET2_T3_PNSL_ISQ_E10value_typeET4_T5_PSV_SW_PNS1_23onesweep_lookback_stateEbbT6_jjT7_P12ihipStream_tbENKUlT_T0_SK_SP_E_clIPfSE_SF_SF_EEDaS13_S14_SK_SP_EUlS13_E_NS1_11comp_targetILNS1_3genE9ELNS1_11target_archE1100ELNS1_3gpuE3ELNS1_3repE0EEENS1_47radix_sort_onesweep_sort_config_static_selectorELNS0_4arch9wavefront6targetE1EEEvSK_
	.p2align	8
	.type	_ZN7rocprim17ROCPRIM_400000_NS6detail17trampoline_kernelINS0_14default_configENS1_35radix_sort_onesweep_config_selectorIfNS0_10empty_typeEEEZZNS1_29radix_sort_onesweep_iterationIS3_Lb0EN6thrust23THRUST_200600_302600_NS6detail15normal_iteratorINS9_10device_ptrIfEEEESE_PS5_SF_jNS0_19identity_decomposerENS1_16block_id_wrapperIjLb0EEEEE10hipError_tT1_PNSt15iterator_traitsISK_E10value_typeET2_T3_PNSL_ISQ_E10value_typeET4_T5_PSV_SW_PNS1_23onesweep_lookback_stateEbbT6_jjT7_P12ihipStream_tbENKUlT_T0_SK_SP_E_clIPfSE_SF_SF_EEDaS13_S14_SK_SP_EUlS13_E_NS1_11comp_targetILNS1_3genE9ELNS1_11target_archE1100ELNS1_3gpuE3ELNS1_3repE0EEENS1_47radix_sort_onesweep_sort_config_static_selectorELNS0_4arch9wavefront6targetE1EEEvSK_,@function
_ZN7rocprim17ROCPRIM_400000_NS6detail17trampoline_kernelINS0_14default_configENS1_35radix_sort_onesweep_config_selectorIfNS0_10empty_typeEEEZZNS1_29radix_sort_onesweep_iterationIS3_Lb0EN6thrust23THRUST_200600_302600_NS6detail15normal_iteratorINS9_10device_ptrIfEEEESE_PS5_SF_jNS0_19identity_decomposerENS1_16block_id_wrapperIjLb0EEEEE10hipError_tT1_PNSt15iterator_traitsISK_E10value_typeET2_T3_PNSL_ISQ_E10value_typeET4_T5_PSV_SW_PNS1_23onesweep_lookback_stateEbbT6_jjT7_P12ihipStream_tbENKUlT_T0_SK_SP_E_clIPfSE_SF_SF_EEDaS13_S14_SK_SP_EUlS13_E_NS1_11comp_targetILNS1_3genE9ELNS1_11target_archE1100ELNS1_3gpuE3ELNS1_3repE0EEENS1_47radix_sort_onesweep_sort_config_static_selectorELNS0_4arch9wavefront6targetE1EEEvSK_: ; @_ZN7rocprim17ROCPRIM_400000_NS6detail17trampoline_kernelINS0_14default_configENS1_35radix_sort_onesweep_config_selectorIfNS0_10empty_typeEEEZZNS1_29radix_sort_onesweep_iterationIS3_Lb0EN6thrust23THRUST_200600_302600_NS6detail15normal_iteratorINS9_10device_ptrIfEEEESE_PS5_SF_jNS0_19identity_decomposerENS1_16block_id_wrapperIjLb0EEEEE10hipError_tT1_PNSt15iterator_traitsISK_E10value_typeET2_T3_PNSL_ISQ_E10value_typeET4_T5_PSV_SW_PNS1_23onesweep_lookback_stateEbbT6_jjT7_P12ihipStream_tbENKUlT_T0_SK_SP_E_clIPfSE_SF_SF_EEDaS13_S14_SK_SP_EUlS13_E_NS1_11comp_targetILNS1_3genE9ELNS1_11target_archE1100ELNS1_3gpuE3ELNS1_3repE0EEENS1_47radix_sort_onesweep_sort_config_static_selectorELNS0_4arch9wavefront6targetE1EEEvSK_
; %bb.0:
	.section	.rodata,"a",@progbits
	.p2align	6, 0x0
	.amdhsa_kernel _ZN7rocprim17ROCPRIM_400000_NS6detail17trampoline_kernelINS0_14default_configENS1_35radix_sort_onesweep_config_selectorIfNS0_10empty_typeEEEZZNS1_29radix_sort_onesweep_iterationIS3_Lb0EN6thrust23THRUST_200600_302600_NS6detail15normal_iteratorINS9_10device_ptrIfEEEESE_PS5_SF_jNS0_19identity_decomposerENS1_16block_id_wrapperIjLb0EEEEE10hipError_tT1_PNSt15iterator_traitsISK_E10value_typeET2_T3_PNSL_ISQ_E10value_typeET4_T5_PSV_SW_PNS1_23onesweep_lookback_stateEbbT6_jjT7_P12ihipStream_tbENKUlT_T0_SK_SP_E_clIPfSE_SF_SF_EEDaS13_S14_SK_SP_EUlS13_E_NS1_11comp_targetILNS1_3genE9ELNS1_11target_archE1100ELNS1_3gpuE3ELNS1_3repE0EEENS1_47radix_sort_onesweep_sort_config_static_selectorELNS0_4arch9wavefront6targetE1EEEvSK_
		.amdhsa_group_segment_fixed_size 0
		.amdhsa_private_segment_fixed_size 0
		.amdhsa_kernarg_size 88
		.amdhsa_user_sgpr_count 2
		.amdhsa_user_sgpr_dispatch_ptr 0
		.amdhsa_user_sgpr_queue_ptr 0
		.amdhsa_user_sgpr_kernarg_segment_ptr 1
		.amdhsa_user_sgpr_dispatch_id 0
		.amdhsa_user_sgpr_kernarg_preload_length 0
		.amdhsa_user_sgpr_kernarg_preload_offset 0
		.amdhsa_user_sgpr_private_segment_size 0
		.amdhsa_uses_dynamic_stack 0
		.amdhsa_enable_private_segment 0
		.amdhsa_system_sgpr_workgroup_id_x 1
		.amdhsa_system_sgpr_workgroup_id_y 0
		.amdhsa_system_sgpr_workgroup_id_z 0
		.amdhsa_system_sgpr_workgroup_info 0
		.amdhsa_system_vgpr_workitem_id 0
		.amdhsa_next_free_vgpr 1
		.amdhsa_next_free_sgpr 0
		.amdhsa_accum_offset 4
		.amdhsa_reserve_vcc 0
		.amdhsa_float_round_mode_32 0
		.amdhsa_float_round_mode_16_64 0
		.amdhsa_float_denorm_mode_32 3
		.amdhsa_float_denorm_mode_16_64 3
		.amdhsa_dx10_clamp 1
		.amdhsa_ieee_mode 1
		.amdhsa_fp16_overflow 0
		.amdhsa_tg_split 0
		.amdhsa_exception_fp_ieee_invalid_op 0
		.amdhsa_exception_fp_denorm_src 0
		.amdhsa_exception_fp_ieee_div_zero 0
		.amdhsa_exception_fp_ieee_overflow 0
		.amdhsa_exception_fp_ieee_underflow 0
		.amdhsa_exception_fp_ieee_inexact 0
		.amdhsa_exception_int_div_zero 0
	.end_amdhsa_kernel
	.section	.text._ZN7rocprim17ROCPRIM_400000_NS6detail17trampoline_kernelINS0_14default_configENS1_35radix_sort_onesweep_config_selectorIfNS0_10empty_typeEEEZZNS1_29radix_sort_onesweep_iterationIS3_Lb0EN6thrust23THRUST_200600_302600_NS6detail15normal_iteratorINS9_10device_ptrIfEEEESE_PS5_SF_jNS0_19identity_decomposerENS1_16block_id_wrapperIjLb0EEEEE10hipError_tT1_PNSt15iterator_traitsISK_E10value_typeET2_T3_PNSL_ISQ_E10value_typeET4_T5_PSV_SW_PNS1_23onesweep_lookback_stateEbbT6_jjT7_P12ihipStream_tbENKUlT_T0_SK_SP_E_clIPfSE_SF_SF_EEDaS13_S14_SK_SP_EUlS13_E_NS1_11comp_targetILNS1_3genE9ELNS1_11target_archE1100ELNS1_3gpuE3ELNS1_3repE0EEENS1_47radix_sort_onesweep_sort_config_static_selectorELNS0_4arch9wavefront6targetE1EEEvSK_,"axG",@progbits,_ZN7rocprim17ROCPRIM_400000_NS6detail17trampoline_kernelINS0_14default_configENS1_35radix_sort_onesweep_config_selectorIfNS0_10empty_typeEEEZZNS1_29radix_sort_onesweep_iterationIS3_Lb0EN6thrust23THRUST_200600_302600_NS6detail15normal_iteratorINS9_10device_ptrIfEEEESE_PS5_SF_jNS0_19identity_decomposerENS1_16block_id_wrapperIjLb0EEEEE10hipError_tT1_PNSt15iterator_traitsISK_E10value_typeET2_T3_PNSL_ISQ_E10value_typeET4_T5_PSV_SW_PNS1_23onesweep_lookback_stateEbbT6_jjT7_P12ihipStream_tbENKUlT_T0_SK_SP_E_clIPfSE_SF_SF_EEDaS13_S14_SK_SP_EUlS13_E_NS1_11comp_targetILNS1_3genE9ELNS1_11target_archE1100ELNS1_3gpuE3ELNS1_3repE0EEENS1_47radix_sort_onesweep_sort_config_static_selectorELNS0_4arch9wavefront6targetE1EEEvSK_,comdat
.Lfunc_end611:
	.size	_ZN7rocprim17ROCPRIM_400000_NS6detail17trampoline_kernelINS0_14default_configENS1_35radix_sort_onesweep_config_selectorIfNS0_10empty_typeEEEZZNS1_29radix_sort_onesweep_iterationIS3_Lb0EN6thrust23THRUST_200600_302600_NS6detail15normal_iteratorINS9_10device_ptrIfEEEESE_PS5_SF_jNS0_19identity_decomposerENS1_16block_id_wrapperIjLb0EEEEE10hipError_tT1_PNSt15iterator_traitsISK_E10value_typeET2_T3_PNSL_ISQ_E10value_typeET4_T5_PSV_SW_PNS1_23onesweep_lookback_stateEbbT6_jjT7_P12ihipStream_tbENKUlT_T0_SK_SP_E_clIPfSE_SF_SF_EEDaS13_S14_SK_SP_EUlS13_E_NS1_11comp_targetILNS1_3genE9ELNS1_11target_archE1100ELNS1_3gpuE3ELNS1_3repE0EEENS1_47radix_sort_onesweep_sort_config_static_selectorELNS0_4arch9wavefront6targetE1EEEvSK_, .Lfunc_end611-_ZN7rocprim17ROCPRIM_400000_NS6detail17trampoline_kernelINS0_14default_configENS1_35radix_sort_onesweep_config_selectorIfNS0_10empty_typeEEEZZNS1_29radix_sort_onesweep_iterationIS3_Lb0EN6thrust23THRUST_200600_302600_NS6detail15normal_iteratorINS9_10device_ptrIfEEEESE_PS5_SF_jNS0_19identity_decomposerENS1_16block_id_wrapperIjLb0EEEEE10hipError_tT1_PNSt15iterator_traitsISK_E10value_typeET2_T3_PNSL_ISQ_E10value_typeET4_T5_PSV_SW_PNS1_23onesweep_lookback_stateEbbT6_jjT7_P12ihipStream_tbENKUlT_T0_SK_SP_E_clIPfSE_SF_SF_EEDaS13_S14_SK_SP_EUlS13_E_NS1_11comp_targetILNS1_3genE9ELNS1_11target_archE1100ELNS1_3gpuE3ELNS1_3repE0EEENS1_47radix_sort_onesweep_sort_config_static_selectorELNS0_4arch9wavefront6targetE1EEEvSK_
                                        ; -- End function
	.set _ZN7rocprim17ROCPRIM_400000_NS6detail17trampoline_kernelINS0_14default_configENS1_35radix_sort_onesweep_config_selectorIfNS0_10empty_typeEEEZZNS1_29radix_sort_onesweep_iterationIS3_Lb0EN6thrust23THRUST_200600_302600_NS6detail15normal_iteratorINS9_10device_ptrIfEEEESE_PS5_SF_jNS0_19identity_decomposerENS1_16block_id_wrapperIjLb0EEEEE10hipError_tT1_PNSt15iterator_traitsISK_E10value_typeET2_T3_PNSL_ISQ_E10value_typeET4_T5_PSV_SW_PNS1_23onesweep_lookback_stateEbbT6_jjT7_P12ihipStream_tbENKUlT_T0_SK_SP_E_clIPfSE_SF_SF_EEDaS13_S14_SK_SP_EUlS13_E_NS1_11comp_targetILNS1_3genE9ELNS1_11target_archE1100ELNS1_3gpuE3ELNS1_3repE0EEENS1_47radix_sort_onesweep_sort_config_static_selectorELNS0_4arch9wavefront6targetE1EEEvSK_.num_vgpr, 0
	.set _ZN7rocprim17ROCPRIM_400000_NS6detail17trampoline_kernelINS0_14default_configENS1_35radix_sort_onesweep_config_selectorIfNS0_10empty_typeEEEZZNS1_29radix_sort_onesweep_iterationIS3_Lb0EN6thrust23THRUST_200600_302600_NS6detail15normal_iteratorINS9_10device_ptrIfEEEESE_PS5_SF_jNS0_19identity_decomposerENS1_16block_id_wrapperIjLb0EEEEE10hipError_tT1_PNSt15iterator_traitsISK_E10value_typeET2_T3_PNSL_ISQ_E10value_typeET4_T5_PSV_SW_PNS1_23onesweep_lookback_stateEbbT6_jjT7_P12ihipStream_tbENKUlT_T0_SK_SP_E_clIPfSE_SF_SF_EEDaS13_S14_SK_SP_EUlS13_E_NS1_11comp_targetILNS1_3genE9ELNS1_11target_archE1100ELNS1_3gpuE3ELNS1_3repE0EEENS1_47radix_sort_onesweep_sort_config_static_selectorELNS0_4arch9wavefront6targetE1EEEvSK_.num_agpr, 0
	.set _ZN7rocprim17ROCPRIM_400000_NS6detail17trampoline_kernelINS0_14default_configENS1_35radix_sort_onesweep_config_selectorIfNS0_10empty_typeEEEZZNS1_29radix_sort_onesweep_iterationIS3_Lb0EN6thrust23THRUST_200600_302600_NS6detail15normal_iteratorINS9_10device_ptrIfEEEESE_PS5_SF_jNS0_19identity_decomposerENS1_16block_id_wrapperIjLb0EEEEE10hipError_tT1_PNSt15iterator_traitsISK_E10value_typeET2_T3_PNSL_ISQ_E10value_typeET4_T5_PSV_SW_PNS1_23onesweep_lookback_stateEbbT6_jjT7_P12ihipStream_tbENKUlT_T0_SK_SP_E_clIPfSE_SF_SF_EEDaS13_S14_SK_SP_EUlS13_E_NS1_11comp_targetILNS1_3genE9ELNS1_11target_archE1100ELNS1_3gpuE3ELNS1_3repE0EEENS1_47radix_sort_onesweep_sort_config_static_selectorELNS0_4arch9wavefront6targetE1EEEvSK_.numbered_sgpr, 0
	.set _ZN7rocprim17ROCPRIM_400000_NS6detail17trampoline_kernelINS0_14default_configENS1_35radix_sort_onesweep_config_selectorIfNS0_10empty_typeEEEZZNS1_29radix_sort_onesweep_iterationIS3_Lb0EN6thrust23THRUST_200600_302600_NS6detail15normal_iteratorINS9_10device_ptrIfEEEESE_PS5_SF_jNS0_19identity_decomposerENS1_16block_id_wrapperIjLb0EEEEE10hipError_tT1_PNSt15iterator_traitsISK_E10value_typeET2_T3_PNSL_ISQ_E10value_typeET4_T5_PSV_SW_PNS1_23onesweep_lookback_stateEbbT6_jjT7_P12ihipStream_tbENKUlT_T0_SK_SP_E_clIPfSE_SF_SF_EEDaS13_S14_SK_SP_EUlS13_E_NS1_11comp_targetILNS1_3genE9ELNS1_11target_archE1100ELNS1_3gpuE3ELNS1_3repE0EEENS1_47radix_sort_onesweep_sort_config_static_selectorELNS0_4arch9wavefront6targetE1EEEvSK_.num_named_barrier, 0
	.set _ZN7rocprim17ROCPRIM_400000_NS6detail17trampoline_kernelINS0_14default_configENS1_35radix_sort_onesweep_config_selectorIfNS0_10empty_typeEEEZZNS1_29radix_sort_onesweep_iterationIS3_Lb0EN6thrust23THRUST_200600_302600_NS6detail15normal_iteratorINS9_10device_ptrIfEEEESE_PS5_SF_jNS0_19identity_decomposerENS1_16block_id_wrapperIjLb0EEEEE10hipError_tT1_PNSt15iterator_traitsISK_E10value_typeET2_T3_PNSL_ISQ_E10value_typeET4_T5_PSV_SW_PNS1_23onesweep_lookback_stateEbbT6_jjT7_P12ihipStream_tbENKUlT_T0_SK_SP_E_clIPfSE_SF_SF_EEDaS13_S14_SK_SP_EUlS13_E_NS1_11comp_targetILNS1_3genE9ELNS1_11target_archE1100ELNS1_3gpuE3ELNS1_3repE0EEENS1_47radix_sort_onesweep_sort_config_static_selectorELNS0_4arch9wavefront6targetE1EEEvSK_.private_seg_size, 0
	.set _ZN7rocprim17ROCPRIM_400000_NS6detail17trampoline_kernelINS0_14default_configENS1_35radix_sort_onesweep_config_selectorIfNS0_10empty_typeEEEZZNS1_29radix_sort_onesweep_iterationIS3_Lb0EN6thrust23THRUST_200600_302600_NS6detail15normal_iteratorINS9_10device_ptrIfEEEESE_PS5_SF_jNS0_19identity_decomposerENS1_16block_id_wrapperIjLb0EEEEE10hipError_tT1_PNSt15iterator_traitsISK_E10value_typeET2_T3_PNSL_ISQ_E10value_typeET4_T5_PSV_SW_PNS1_23onesweep_lookback_stateEbbT6_jjT7_P12ihipStream_tbENKUlT_T0_SK_SP_E_clIPfSE_SF_SF_EEDaS13_S14_SK_SP_EUlS13_E_NS1_11comp_targetILNS1_3genE9ELNS1_11target_archE1100ELNS1_3gpuE3ELNS1_3repE0EEENS1_47radix_sort_onesweep_sort_config_static_selectorELNS0_4arch9wavefront6targetE1EEEvSK_.uses_vcc, 0
	.set _ZN7rocprim17ROCPRIM_400000_NS6detail17trampoline_kernelINS0_14default_configENS1_35radix_sort_onesweep_config_selectorIfNS0_10empty_typeEEEZZNS1_29radix_sort_onesweep_iterationIS3_Lb0EN6thrust23THRUST_200600_302600_NS6detail15normal_iteratorINS9_10device_ptrIfEEEESE_PS5_SF_jNS0_19identity_decomposerENS1_16block_id_wrapperIjLb0EEEEE10hipError_tT1_PNSt15iterator_traitsISK_E10value_typeET2_T3_PNSL_ISQ_E10value_typeET4_T5_PSV_SW_PNS1_23onesweep_lookback_stateEbbT6_jjT7_P12ihipStream_tbENKUlT_T0_SK_SP_E_clIPfSE_SF_SF_EEDaS13_S14_SK_SP_EUlS13_E_NS1_11comp_targetILNS1_3genE9ELNS1_11target_archE1100ELNS1_3gpuE3ELNS1_3repE0EEENS1_47radix_sort_onesweep_sort_config_static_selectorELNS0_4arch9wavefront6targetE1EEEvSK_.uses_flat_scratch, 0
	.set _ZN7rocprim17ROCPRIM_400000_NS6detail17trampoline_kernelINS0_14default_configENS1_35radix_sort_onesweep_config_selectorIfNS0_10empty_typeEEEZZNS1_29radix_sort_onesweep_iterationIS3_Lb0EN6thrust23THRUST_200600_302600_NS6detail15normal_iteratorINS9_10device_ptrIfEEEESE_PS5_SF_jNS0_19identity_decomposerENS1_16block_id_wrapperIjLb0EEEEE10hipError_tT1_PNSt15iterator_traitsISK_E10value_typeET2_T3_PNSL_ISQ_E10value_typeET4_T5_PSV_SW_PNS1_23onesweep_lookback_stateEbbT6_jjT7_P12ihipStream_tbENKUlT_T0_SK_SP_E_clIPfSE_SF_SF_EEDaS13_S14_SK_SP_EUlS13_E_NS1_11comp_targetILNS1_3genE9ELNS1_11target_archE1100ELNS1_3gpuE3ELNS1_3repE0EEENS1_47radix_sort_onesweep_sort_config_static_selectorELNS0_4arch9wavefront6targetE1EEEvSK_.has_dyn_sized_stack, 0
	.set _ZN7rocprim17ROCPRIM_400000_NS6detail17trampoline_kernelINS0_14default_configENS1_35radix_sort_onesweep_config_selectorIfNS0_10empty_typeEEEZZNS1_29radix_sort_onesweep_iterationIS3_Lb0EN6thrust23THRUST_200600_302600_NS6detail15normal_iteratorINS9_10device_ptrIfEEEESE_PS5_SF_jNS0_19identity_decomposerENS1_16block_id_wrapperIjLb0EEEEE10hipError_tT1_PNSt15iterator_traitsISK_E10value_typeET2_T3_PNSL_ISQ_E10value_typeET4_T5_PSV_SW_PNS1_23onesweep_lookback_stateEbbT6_jjT7_P12ihipStream_tbENKUlT_T0_SK_SP_E_clIPfSE_SF_SF_EEDaS13_S14_SK_SP_EUlS13_E_NS1_11comp_targetILNS1_3genE9ELNS1_11target_archE1100ELNS1_3gpuE3ELNS1_3repE0EEENS1_47radix_sort_onesweep_sort_config_static_selectorELNS0_4arch9wavefront6targetE1EEEvSK_.has_recursion, 0
	.set _ZN7rocprim17ROCPRIM_400000_NS6detail17trampoline_kernelINS0_14default_configENS1_35radix_sort_onesweep_config_selectorIfNS0_10empty_typeEEEZZNS1_29radix_sort_onesweep_iterationIS3_Lb0EN6thrust23THRUST_200600_302600_NS6detail15normal_iteratorINS9_10device_ptrIfEEEESE_PS5_SF_jNS0_19identity_decomposerENS1_16block_id_wrapperIjLb0EEEEE10hipError_tT1_PNSt15iterator_traitsISK_E10value_typeET2_T3_PNSL_ISQ_E10value_typeET4_T5_PSV_SW_PNS1_23onesweep_lookback_stateEbbT6_jjT7_P12ihipStream_tbENKUlT_T0_SK_SP_E_clIPfSE_SF_SF_EEDaS13_S14_SK_SP_EUlS13_E_NS1_11comp_targetILNS1_3genE9ELNS1_11target_archE1100ELNS1_3gpuE3ELNS1_3repE0EEENS1_47radix_sort_onesweep_sort_config_static_selectorELNS0_4arch9wavefront6targetE1EEEvSK_.has_indirect_call, 0
	.section	.AMDGPU.csdata,"",@progbits
; Kernel info:
; codeLenInByte = 0
; TotalNumSgprs: 6
; NumVgprs: 0
; NumAgprs: 0
; TotalNumVgprs: 0
; ScratchSize: 0
; MemoryBound: 0
; FloatMode: 240
; IeeeMode: 1
; LDSByteSize: 0 bytes/workgroup (compile time only)
; SGPRBlocks: 0
; VGPRBlocks: 0
; NumSGPRsForWavesPerEU: 6
; NumVGPRsForWavesPerEU: 1
; AccumOffset: 4
; Occupancy: 8
; WaveLimiterHint : 0
; COMPUTE_PGM_RSRC2:SCRATCH_EN: 0
; COMPUTE_PGM_RSRC2:USER_SGPR: 2
; COMPUTE_PGM_RSRC2:TRAP_HANDLER: 0
; COMPUTE_PGM_RSRC2:TGID_X_EN: 1
; COMPUTE_PGM_RSRC2:TGID_Y_EN: 0
; COMPUTE_PGM_RSRC2:TGID_Z_EN: 0
; COMPUTE_PGM_RSRC2:TIDIG_COMP_CNT: 0
; COMPUTE_PGM_RSRC3_GFX90A:ACCUM_OFFSET: 0
; COMPUTE_PGM_RSRC3_GFX90A:TG_SPLIT: 0
	.section	.text._ZN7rocprim17ROCPRIM_400000_NS6detail17trampoline_kernelINS0_14default_configENS1_35radix_sort_onesweep_config_selectorIfNS0_10empty_typeEEEZZNS1_29radix_sort_onesweep_iterationIS3_Lb0EN6thrust23THRUST_200600_302600_NS6detail15normal_iteratorINS9_10device_ptrIfEEEESE_PS5_SF_jNS0_19identity_decomposerENS1_16block_id_wrapperIjLb0EEEEE10hipError_tT1_PNSt15iterator_traitsISK_E10value_typeET2_T3_PNSL_ISQ_E10value_typeET4_T5_PSV_SW_PNS1_23onesweep_lookback_stateEbbT6_jjT7_P12ihipStream_tbENKUlT_T0_SK_SP_E_clIPfSE_SF_SF_EEDaS13_S14_SK_SP_EUlS13_E_NS1_11comp_targetILNS1_3genE8ELNS1_11target_archE1030ELNS1_3gpuE2ELNS1_3repE0EEENS1_47radix_sort_onesweep_sort_config_static_selectorELNS0_4arch9wavefront6targetE1EEEvSK_,"axG",@progbits,_ZN7rocprim17ROCPRIM_400000_NS6detail17trampoline_kernelINS0_14default_configENS1_35radix_sort_onesweep_config_selectorIfNS0_10empty_typeEEEZZNS1_29radix_sort_onesweep_iterationIS3_Lb0EN6thrust23THRUST_200600_302600_NS6detail15normal_iteratorINS9_10device_ptrIfEEEESE_PS5_SF_jNS0_19identity_decomposerENS1_16block_id_wrapperIjLb0EEEEE10hipError_tT1_PNSt15iterator_traitsISK_E10value_typeET2_T3_PNSL_ISQ_E10value_typeET4_T5_PSV_SW_PNS1_23onesweep_lookback_stateEbbT6_jjT7_P12ihipStream_tbENKUlT_T0_SK_SP_E_clIPfSE_SF_SF_EEDaS13_S14_SK_SP_EUlS13_E_NS1_11comp_targetILNS1_3genE8ELNS1_11target_archE1030ELNS1_3gpuE2ELNS1_3repE0EEENS1_47radix_sort_onesweep_sort_config_static_selectorELNS0_4arch9wavefront6targetE1EEEvSK_,comdat
	.protected	_ZN7rocprim17ROCPRIM_400000_NS6detail17trampoline_kernelINS0_14default_configENS1_35radix_sort_onesweep_config_selectorIfNS0_10empty_typeEEEZZNS1_29radix_sort_onesweep_iterationIS3_Lb0EN6thrust23THRUST_200600_302600_NS6detail15normal_iteratorINS9_10device_ptrIfEEEESE_PS5_SF_jNS0_19identity_decomposerENS1_16block_id_wrapperIjLb0EEEEE10hipError_tT1_PNSt15iterator_traitsISK_E10value_typeET2_T3_PNSL_ISQ_E10value_typeET4_T5_PSV_SW_PNS1_23onesweep_lookback_stateEbbT6_jjT7_P12ihipStream_tbENKUlT_T0_SK_SP_E_clIPfSE_SF_SF_EEDaS13_S14_SK_SP_EUlS13_E_NS1_11comp_targetILNS1_3genE8ELNS1_11target_archE1030ELNS1_3gpuE2ELNS1_3repE0EEENS1_47radix_sort_onesweep_sort_config_static_selectorELNS0_4arch9wavefront6targetE1EEEvSK_ ; -- Begin function _ZN7rocprim17ROCPRIM_400000_NS6detail17trampoline_kernelINS0_14default_configENS1_35radix_sort_onesweep_config_selectorIfNS0_10empty_typeEEEZZNS1_29radix_sort_onesweep_iterationIS3_Lb0EN6thrust23THRUST_200600_302600_NS6detail15normal_iteratorINS9_10device_ptrIfEEEESE_PS5_SF_jNS0_19identity_decomposerENS1_16block_id_wrapperIjLb0EEEEE10hipError_tT1_PNSt15iterator_traitsISK_E10value_typeET2_T3_PNSL_ISQ_E10value_typeET4_T5_PSV_SW_PNS1_23onesweep_lookback_stateEbbT6_jjT7_P12ihipStream_tbENKUlT_T0_SK_SP_E_clIPfSE_SF_SF_EEDaS13_S14_SK_SP_EUlS13_E_NS1_11comp_targetILNS1_3genE8ELNS1_11target_archE1030ELNS1_3gpuE2ELNS1_3repE0EEENS1_47radix_sort_onesweep_sort_config_static_selectorELNS0_4arch9wavefront6targetE1EEEvSK_
	.globl	_ZN7rocprim17ROCPRIM_400000_NS6detail17trampoline_kernelINS0_14default_configENS1_35radix_sort_onesweep_config_selectorIfNS0_10empty_typeEEEZZNS1_29radix_sort_onesweep_iterationIS3_Lb0EN6thrust23THRUST_200600_302600_NS6detail15normal_iteratorINS9_10device_ptrIfEEEESE_PS5_SF_jNS0_19identity_decomposerENS1_16block_id_wrapperIjLb0EEEEE10hipError_tT1_PNSt15iterator_traitsISK_E10value_typeET2_T3_PNSL_ISQ_E10value_typeET4_T5_PSV_SW_PNS1_23onesweep_lookback_stateEbbT6_jjT7_P12ihipStream_tbENKUlT_T0_SK_SP_E_clIPfSE_SF_SF_EEDaS13_S14_SK_SP_EUlS13_E_NS1_11comp_targetILNS1_3genE8ELNS1_11target_archE1030ELNS1_3gpuE2ELNS1_3repE0EEENS1_47radix_sort_onesweep_sort_config_static_selectorELNS0_4arch9wavefront6targetE1EEEvSK_
	.p2align	8
	.type	_ZN7rocprim17ROCPRIM_400000_NS6detail17trampoline_kernelINS0_14default_configENS1_35radix_sort_onesweep_config_selectorIfNS0_10empty_typeEEEZZNS1_29radix_sort_onesweep_iterationIS3_Lb0EN6thrust23THRUST_200600_302600_NS6detail15normal_iteratorINS9_10device_ptrIfEEEESE_PS5_SF_jNS0_19identity_decomposerENS1_16block_id_wrapperIjLb0EEEEE10hipError_tT1_PNSt15iterator_traitsISK_E10value_typeET2_T3_PNSL_ISQ_E10value_typeET4_T5_PSV_SW_PNS1_23onesweep_lookback_stateEbbT6_jjT7_P12ihipStream_tbENKUlT_T0_SK_SP_E_clIPfSE_SF_SF_EEDaS13_S14_SK_SP_EUlS13_E_NS1_11comp_targetILNS1_3genE8ELNS1_11target_archE1030ELNS1_3gpuE2ELNS1_3repE0EEENS1_47radix_sort_onesweep_sort_config_static_selectorELNS0_4arch9wavefront6targetE1EEEvSK_,@function
_ZN7rocprim17ROCPRIM_400000_NS6detail17trampoline_kernelINS0_14default_configENS1_35radix_sort_onesweep_config_selectorIfNS0_10empty_typeEEEZZNS1_29radix_sort_onesweep_iterationIS3_Lb0EN6thrust23THRUST_200600_302600_NS6detail15normal_iteratorINS9_10device_ptrIfEEEESE_PS5_SF_jNS0_19identity_decomposerENS1_16block_id_wrapperIjLb0EEEEE10hipError_tT1_PNSt15iterator_traitsISK_E10value_typeET2_T3_PNSL_ISQ_E10value_typeET4_T5_PSV_SW_PNS1_23onesweep_lookback_stateEbbT6_jjT7_P12ihipStream_tbENKUlT_T0_SK_SP_E_clIPfSE_SF_SF_EEDaS13_S14_SK_SP_EUlS13_E_NS1_11comp_targetILNS1_3genE8ELNS1_11target_archE1030ELNS1_3gpuE2ELNS1_3repE0EEENS1_47radix_sort_onesweep_sort_config_static_selectorELNS0_4arch9wavefront6targetE1EEEvSK_: ; @_ZN7rocprim17ROCPRIM_400000_NS6detail17trampoline_kernelINS0_14default_configENS1_35radix_sort_onesweep_config_selectorIfNS0_10empty_typeEEEZZNS1_29radix_sort_onesweep_iterationIS3_Lb0EN6thrust23THRUST_200600_302600_NS6detail15normal_iteratorINS9_10device_ptrIfEEEESE_PS5_SF_jNS0_19identity_decomposerENS1_16block_id_wrapperIjLb0EEEEE10hipError_tT1_PNSt15iterator_traitsISK_E10value_typeET2_T3_PNSL_ISQ_E10value_typeET4_T5_PSV_SW_PNS1_23onesweep_lookback_stateEbbT6_jjT7_P12ihipStream_tbENKUlT_T0_SK_SP_E_clIPfSE_SF_SF_EEDaS13_S14_SK_SP_EUlS13_E_NS1_11comp_targetILNS1_3genE8ELNS1_11target_archE1030ELNS1_3gpuE2ELNS1_3repE0EEENS1_47radix_sort_onesweep_sort_config_static_selectorELNS0_4arch9wavefront6targetE1EEEvSK_
; %bb.0:
	.section	.rodata,"a",@progbits
	.p2align	6, 0x0
	.amdhsa_kernel _ZN7rocprim17ROCPRIM_400000_NS6detail17trampoline_kernelINS0_14default_configENS1_35radix_sort_onesweep_config_selectorIfNS0_10empty_typeEEEZZNS1_29radix_sort_onesweep_iterationIS3_Lb0EN6thrust23THRUST_200600_302600_NS6detail15normal_iteratorINS9_10device_ptrIfEEEESE_PS5_SF_jNS0_19identity_decomposerENS1_16block_id_wrapperIjLb0EEEEE10hipError_tT1_PNSt15iterator_traitsISK_E10value_typeET2_T3_PNSL_ISQ_E10value_typeET4_T5_PSV_SW_PNS1_23onesweep_lookback_stateEbbT6_jjT7_P12ihipStream_tbENKUlT_T0_SK_SP_E_clIPfSE_SF_SF_EEDaS13_S14_SK_SP_EUlS13_E_NS1_11comp_targetILNS1_3genE8ELNS1_11target_archE1030ELNS1_3gpuE2ELNS1_3repE0EEENS1_47radix_sort_onesweep_sort_config_static_selectorELNS0_4arch9wavefront6targetE1EEEvSK_
		.amdhsa_group_segment_fixed_size 0
		.amdhsa_private_segment_fixed_size 0
		.amdhsa_kernarg_size 88
		.amdhsa_user_sgpr_count 2
		.amdhsa_user_sgpr_dispatch_ptr 0
		.amdhsa_user_sgpr_queue_ptr 0
		.amdhsa_user_sgpr_kernarg_segment_ptr 1
		.amdhsa_user_sgpr_dispatch_id 0
		.amdhsa_user_sgpr_kernarg_preload_length 0
		.amdhsa_user_sgpr_kernarg_preload_offset 0
		.amdhsa_user_sgpr_private_segment_size 0
		.amdhsa_uses_dynamic_stack 0
		.amdhsa_enable_private_segment 0
		.amdhsa_system_sgpr_workgroup_id_x 1
		.amdhsa_system_sgpr_workgroup_id_y 0
		.amdhsa_system_sgpr_workgroup_id_z 0
		.amdhsa_system_sgpr_workgroup_info 0
		.amdhsa_system_vgpr_workitem_id 0
		.amdhsa_next_free_vgpr 1
		.amdhsa_next_free_sgpr 0
		.amdhsa_accum_offset 4
		.amdhsa_reserve_vcc 0
		.amdhsa_float_round_mode_32 0
		.amdhsa_float_round_mode_16_64 0
		.amdhsa_float_denorm_mode_32 3
		.amdhsa_float_denorm_mode_16_64 3
		.amdhsa_dx10_clamp 1
		.amdhsa_ieee_mode 1
		.amdhsa_fp16_overflow 0
		.amdhsa_tg_split 0
		.amdhsa_exception_fp_ieee_invalid_op 0
		.amdhsa_exception_fp_denorm_src 0
		.amdhsa_exception_fp_ieee_div_zero 0
		.amdhsa_exception_fp_ieee_overflow 0
		.amdhsa_exception_fp_ieee_underflow 0
		.amdhsa_exception_fp_ieee_inexact 0
		.amdhsa_exception_int_div_zero 0
	.end_amdhsa_kernel
	.section	.text._ZN7rocprim17ROCPRIM_400000_NS6detail17trampoline_kernelINS0_14default_configENS1_35radix_sort_onesweep_config_selectorIfNS0_10empty_typeEEEZZNS1_29radix_sort_onesweep_iterationIS3_Lb0EN6thrust23THRUST_200600_302600_NS6detail15normal_iteratorINS9_10device_ptrIfEEEESE_PS5_SF_jNS0_19identity_decomposerENS1_16block_id_wrapperIjLb0EEEEE10hipError_tT1_PNSt15iterator_traitsISK_E10value_typeET2_T3_PNSL_ISQ_E10value_typeET4_T5_PSV_SW_PNS1_23onesweep_lookback_stateEbbT6_jjT7_P12ihipStream_tbENKUlT_T0_SK_SP_E_clIPfSE_SF_SF_EEDaS13_S14_SK_SP_EUlS13_E_NS1_11comp_targetILNS1_3genE8ELNS1_11target_archE1030ELNS1_3gpuE2ELNS1_3repE0EEENS1_47radix_sort_onesweep_sort_config_static_selectorELNS0_4arch9wavefront6targetE1EEEvSK_,"axG",@progbits,_ZN7rocprim17ROCPRIM_400000_NS6detail17trampoline_kernelINS0_14default_configENS1_35radix_sort_onesweep_config_selectorIfNS0_10empty_typeEEEZZNS1_29radix_sort_onesweep_iterationIS3_Lb0EN6thrust23THRUST_200600_302600_NS6detail15normal_iteratorINS9_10device_ptrIfEEEESE_PS5_SF_jNS0_19identity_decomposerENS1_16block_id_wrapperIjLb0EEEEE10hipError_tT1_PNSt15iterator_traitsISK_E10value_typeET2_T3_PNSL_ISQ_E10value_typeET4_T5_PSV_SW_PNS1_23onesweep_lookback_stateEbbT6_jjT7_P12ihipStream_tbENKUlT_T0_SK_SP_E_clIPfSE_SF_SF_EEDaS13_S14_SK_SP_EUlS13_E_NS1_11comp_targetILNS1_3genE8ELNS1_11target_archE1030ELNS1_3gpuE2ELNS1_3repE0EEENS1_47radix_sort_onesweep_sort_config_static_selectorELNS0_4arch9wavefront6targetE1EEEvSK_,comdat
.Lfunc_end612:
	.size	_ZN7rocprim17ROCPRIM_400000_NS6detail17trampoline_kernelINS0_14default_configENS1_35radix_sort_onesweep_config_selectorIfNS0_10empty_typeEEEZZNS1_29radix_sort_onesweep_iterationIS3_Lb0EN6thrust23THRUST_200600_302600_NS6detail15normal_iteratorINS9_10device_ptrIfEEEESE_PS5_SF_jNS0_19identity_decomposerENS1_16block_id_wrapperIjLb0EEEEE10hipError_tT1_PNSt15iterator_traitsISK_E10value_typeET2_T3_PNSL_ISQ_E10value_typeET4_T5_PSV_SW_PNS1_23onesweep_lookback_stateEbbT6_jjT7_P12ihipStream_tbENKUlT_T0_SK_SP_E_clIPfSE_SF_SF_EEDaS13_S14_SK_SP_EUlS13_E_NS1_11comp_targetILNS1_3genE8ELNS1_11target_archE1030ELNS1_3gpuE2ELNS1_3repE0EEENS1_47radix_sort_onesweep_sort_config_static_selectorELNS0_4arch9wavefront6targetE1EEEvSK_, .Lfunc_end612-_ZN7rocprim17ROCPRIM_400000_NS6detail17trampoline_kernelINS0_14default_configENS1_35radix_sort_onesweep_config_selectorIfNS0_10empty_typeEEEZZNS1_29radix_sort_onesweep_iterationIS3_Lb0EN6thrust23THRUST_200600_302600_NS6detail15normal_iteratorINS9_10device_ptrIfEEEESE_PS5_SF_jNS0_19identity_decomposerENS1_16block_id_wrapperIjLb0EEEEE10hipError_tT1_PNSt15iterator_traitsISK_E10value_typeET2_T3_PNSL_ISQ_E10value_typeET4_T5_PSV_SW_PNS1_23onesweep_lookback_stateEbbT6_jjT7_P12ihipStream_tbENKUlT_T0_SK_SP_E_clIPfSE_SF_SF_EEDaS13_S14_SK_SP_EUlS13_E_NS1_11comp_targetILNS1_3genE8ELNS1_11target_archE1030ELNS1_3gpuE2ELNS1_3repE0EEENS1_47radix_sort_onesweep_sort_config_static_selectorELNS0_4arch9wavefront6targetE1EEEvSK_
                                        ; -- End function
	.set _ZN7rocprim17ROCPRIM_400000_NS6detail17trampoline_kernelINS0_14default_configENS1_35radix_sort_onesweep_config_selectorIfNS0_10empty_typeEEEZZNS1_29radix_sort_onesweep_iterationIS3_Lb0EN6thrust23THRUST_200600_302600_NS6detail15normal_iteratorINS9_10device_ptrIfEEEESE_PS5_SF_jNS0_19identity_decomposerENS1_16block_id_wrapperIjLb0EEEEE10hipError_tT1_PNSt15iterator_traitsISK_E10value_typeET2_T3_PNSL_ISQ_E10value_typeET4_T5_PSV_SW_PNS1_23onesweep_lookback_stateEbbT6_jjT7_P12ihipStream_tbENKUlT_T0_SK_SP_E_clIPfSE_SF_SF_EEDaS13_S14_SK_SP_EUlS13_E_NS1_11comp_targetILNS1_3genE8ELNS1_11target_archE1030ELNS1_3gpuE2ELNS1_3repE0EEENS1_47radix_sort_onesweep_sort_config_static_selectorELNS0_4arch9wavefront6targetE1EEEvSK_.num_vgpr, 0
	.set _ZN7rocprim17ROCPRIM_400000_NS6detail17trampoline_kernelINS0_14default_configENS1_35radix_sort_onesweep_config_selectorIfNS0_10empty_typeEEEZZNS1_29radix_sort_onesweep_iterationIS3_Lb0EN6thrust23THRUST_200600_302600_NS6detail15normal_iteratorINS9_10device_ptrIfEEEESE_PS5_SF_jNS0_19identity_decomposerENS1_16block_id_wrapperIjLb0EEEEE10hipError_tT1_PNSt15iterator_traitsISK_E10value_typeET2_T3_PNSL_ISQ_E10value_typeET4_T5_PSV_SW_PNS1_23onesweep_lookback_stateEbbT6_jjT7_P12ihipStream_tbENKUlT_T0_SK_SP_E_clIPfSE_SF_SF_EEDaS13_S14_SK_SP_EUlS13_E_NS1_11comp_targetILNS1_3genE8ELNS1_11target_archE1030ELNS1_3gpuE2ELNS1_3repE0EEENS1_47radix_sort_onesweep_sort_config_static_selectorELNS0_4arch9wavefront6targetE1EEEvSK_.num_agpr, 0
	.set _ZN7rocprim17ROCPRIM_400000_NS6detail17trampoline_kernelINS0_14default_configENS1_35radix_sort_onesweep_config_selectorIfNS0_10empty_typeEEEZZNS1_29radix_sort_onesweep_iterationIS3_Lb0EN6thrust23THRUST_200600_302600_NS6detail15normal_iteratorINS9_10device_ptrIfEEEESE_PS5_SF_jNS0_19identity_decomposerENS1_16block_id_wrapperIjLb0EEEEE10hipError_tT1_PNSt15iterator_traitsISK_E10value_typeET2_T3_PNSL_ISQ_E10value_typeET4_T5_PSV_SW_PNS1_23onesweep_lookback_stateEbbT6_jjT7_P12ihipStream_tbENKUlT_T0_SK_SP_E_clIPfSE_SF_SF_EEDaS13_S14_SK_SP_EUlS13_E_NS1_11comp_targetILNS1_3genE8ELNS1_11target_archE1030ELNS1_3gpuE2ELNS1_3repE0EEENS1_47radix_sort_onesweep_sort_config_static_selectorELNS0_4arch9wavefront6targetE1EEEvSK_.numbered_sgpr, 0
	.set _ZN7rocprim17ROCPRIM_400000_NS6detail17trampoline_kernelINS0_14default_configENS1_35radix_sort_onesweep_config_selectorIfNS0_10empty_typeEEEZZNS1_29radix_sort_onesweep_iterationIS3_Lb0EN6thrust23THRUST_200600_302600_NS6detail15normal_iteratorINS9_10device_ptrIfEEEESE_PS5_SF_jNS0_19identity_decomposerENS1_16block_id_wrapperIjLb0EEEEE10hipError_tT1_PNSt15iterator_traitsISK_E10value_typeET2_T3_PNSL_ISQ_E10value_typeET4_T5_PSV_SW_PNS1_23onesweep_lookback_stateEbbT6_jjT7_P12ihipStream_tbENKUlT_T0_SK_SP_E_clIPfSE_SF_SF_EEDaS13_S14_SK_SP_EUlS13_E_NS1_11comp_targetILNS1_3genE8ELNS1_11target_archE1030ELNS1_3gpuE2ELNS1_3repE0EEENS1_47radix_sort_onesweep_sort_config_static_selectorELNS0_4arch9wavefront6targetE1EEEvSK_.num_named_barrier, 0
	.set _ZN7rocprim17ROCPRIM_400000_NS6detail17trampoline_kernelINS0_14default_configENS1_35radix_sort_onesweep_config_selectorIfNS0_10empty_typeEEEZZNS1_29radix_sort_onesweep_iterationIS3_Lb0EN6thrust23THRUST_200600_302600_NS6detail15normal_iteratorINS9_10device_ptrIfEEEESE_PS5_SF_jNS0_19identity_decomposerENS1_16block_id_wrapperIjLb0EEEEE10hipError_tT1_PNSt15iterator_traitsISK_E10value_typeET2_T3_PNSL_ISQ_E10value_typeET4_T5_PSV_SW_PNS1_23onesweep_lookback_stateEbbT6_jjT7_P12ihipStream_tbENKUlT_T0_SK_SP_E_clIPfSE_SF_SF_EEDaS13_S14_SK_SP_EUlS13_E_NS1_11comp_targetILNS1_3genE8ELNS1_11target_archE1030ELNS1_3gpuE2ELNS1_3repE0EEENS1_47radix_sort_onesweep_sort_config_static_selectorELNS0_4arch9wavefront6targetE1EEEvSK_.private_seg_size, 0
	.set _ZN7rocprim17ROCPRIM_400000_NS6detail17trampoline_kernelINS0_14default_configENS1_35radix_sort_onesweep_config_selectorIfNS0_10empty_typeEEEZZNS1_29radix_sort_onesweep_iterationIS3_Lb0EN6thrust23THRUST_200600_302600_NS6detail15normal_iteratorINS9_10device_ptrIfEEEESE_PS5_SF_jNS0_19identity_decomposerENS1_16block_id_wrapperIjLb0EEEEE10hipError_tT1_PNSt15iterator_traitsISK_E10value_typeET2_T3_PNSL_ISQ_E10value_typeET4_T5_PSV_SW_PNS1_23onesweep_lookback_stateEbbT6_jjT7_P12ihipStream_tbENKUlT_T0_SK_SP_E_clIPfSE_SF_SF_EEDaS13_S14_SK_SP_EUlS13_E_NS1_11comp_targetILNS1_3genE8ELNS1_11target_archE1030ELNS1_3gpuE2ELNS1_3repE0EEENS1_47radix_sort_onesweep_sort_config_static_selectorELNS0_4arch9wavefront6targetE1EEEvSK_.uses_vcc, 0
	.set _ZN7rocprim17ROCPRIM_400000_NS6detail17trampoline_kernelINS0_14default_configENS1_35radix_sort_onesweep_config_selectorIfNS0_10empty_typeEEEZZNS1_29radix_sort_onesweep_iterationIS3_Lb0EN6thrust23THRUST_200600_302600_NS6detail15normal_iteratorINS9_10device_ptrIfEEEESE_PS5_SF_jNS0_19identity_decomposerENS1_16block_id_wrapperIjLb0EEEEE10hipError_tT1_PNSt15iterator_traitsISK_E10value_typeET2_T3_PNSL_ISQ_E10value_typeET4_T5_PSV_SW_PNS1_23onesweep_lookback_stateEbbT6_jjT7_P12ihipStream_tbENKUlT_T0_SK_SP_E_clIPfSE_SF_SF_EEDaS13_S14_SK_SP_EUlS13_E_NS1_11comp_targetILNS1_3genE8ELNS1_11target_archE1030ELNS1_3gpuE2ELNS1_3repE0EEENS1_47radix_sort_onesweep_sort_config_static_selectorELNS0_4arch9wavefront6targetE1EEEvSK_.uses_flat_scratch, 0
	.set _ZN7rocprim17ROCPRIM_400000_NS6detail17trampoline_kernelINS0_14default_configENS1_35radix_sort_onesweep_config_selectorIfNS0_10empty_typeEEEZZNS1_29radix_sort_onesweep_iterationIS3_Lb0EN6thrust23THRUST_200600_302600_NS6detail15normal_iteratorINS9_10device_ptrIfEEEESE_PS5_SF_jNS0_19identity_decomposerENS1_16block_id_wrapperIjLb0EEEEE10hipError_tT1_PNSt15iterator_traitsISK_E10value_typeET2_T3_PNSL_ISQ_E10value_typeET4_T5_PSV_SW_PNS1_23onesweep_lookback_stateEbbT6_jjT7_P12ihipStream_tbENKUlT_T0_SK_SP_E_clIPfSE_SF_SF_EEDaS13_S14_SK_SP_EUlS13_E_NS1_11comp_targetILNS1_3genE8ELNS1_11target_archE1030ELNS1_3gpuE2ELNS1_3repE0EEENS1_47radix_sort_onesweep_sort_config_static_selectorELNS0_4arch9wavefront6targetE1EEEvSK_.has_dyn_sized_stack, 0
	.set _ZN7rocprim17ROCPRIM_400000_NS6detail17trampoline_kernelINS0_14default_configENS1_35radix_sort_onesweep_config_selectorIfNS0_10empty_typeEEEZZNS1_29radix_sort_onesweep_iterationIS3_Lb0EN6thrust23THRUST_200600_302600_NS6detail15normal_iteratorINS9_10device_ptrIfEEEESE_PS5_SF_jNS0_19identity_decomposerENS1_16block_id_wrapperIjLb0EEEEE10hipError_tT1_PNSt15iterator_traitsISK_E10value_typeET2_T3_PNSL_ISQ_E10value_typeET4_T5_PSV_SW_PNS1_23onesweep_lookback_stateEbbT6_jjT7_P12ihipStream_tbENKUlT_T0_SK_SP_E_clIPfSE_SF_SF_EEDaS13_S14_SK_SP_EUlS13_E_NS1_11comp_targetILNS1_3genE8ELNS1_11target_archE1030ELNS1_3gpuE2ELNS1_3repE0EEENS1_47radix_sort_onesweep_sort_config_static_selectorELNS0_4arch9wavefront6targetE1EEEvSK_.has_recursion, 0
	.set _ZN7rocprim17ROCPRIM_400000_NS6detail17trampoline_kernelINS0_14default_configENS1_35radix_sort_onesweep_config_selectorIfNS0_10empty_typeEEEZZNS1_29radix_sort_onesweep_iterationIS3_Lb0EN6thrust23THRUST_200600_302600_NS6detail15normal_iteratorINS9_10device_ptrIfEEEESE_PS5_SF_jNS0_19identity_decomposerENS1_16block_id_wrapperIjLb0EEEEE10hipError_tT1_PNSt15iterator_traitsISK_E10value_typeET2_T3_PNSL_ISQ_E10value_typeET4_T5_PSV_SW_PNS1_23onesweep_lookback_stateEbbT6_jjT7_P12ihipStream_tbENKUlT_T0_SK_SP_E_clIPfSE_SF_SF_EEDaS13_S14_SK_SP_EUlS13_E_NS1_11comp_targetILNS1_3genE8ELNS1_11target_archE1030ELNS1_3gpuE2ELNS1_3repE0EEENS1_47radix_sort_onesweep_sort_config_static_selectorELNS0_4arch9wavefront6targetE1EEEvSK_.has_indirect_call, 0
	.section	.AMDGPU.csdata,"",@progbits
; Kernel info:
; codeLenInByte = 0
; TotalNumSgprs: 6
; NumVgprs: 0
; NumAgprs: 0
; TotalNumVgprs: 0
; ScratchSize: 0
; MemoryBound: 0
; FloatMode: 240
; IeeeMode: 1
; LDSByteSize: 0 bytes/workgroup (compile time only)
; SGPRBlocks: 0
; VGPRBlocks: 0
; NumSGPRsForWavesPerEU: 6
; NumVGPRsForWavesPerEU: 1
; AccumOffset: 4
; Occupancy: 8
; WaveLimiterHint : 0
; COMPUTE_PGM_RSRC2:SCRATCH_EN: 0
; COMPUTE_PGM_RSRC2:USER_SGPR: 2
; COMPUTE_PGM_RSRC2:TRAP_HANDLER: 0
; COMPUTE_PGM_RSRC2:TGID_X_EN: 1
; COMPUTE_PGM_RSRC2:TGID_Y_EN: 0
; COMPUTE_PGM_RSRC2:TGID_Z_EN: 0
; COMPUTE_PGM_RSRC2:TIDIG_COMP_CNT: 0
; COMPUTE_PGM_RSRC3_GFX90A:ACCUM_OFFSET: 0
; COMPUTE_PGM_RSRC3_GFX90A:TG_SPLIT: 0
	.section	.text._ZN6thrust23THRUST_200600_302600_NS11hip_rocprim14__parallel_for6kernelILj256ENS1_10for_each_fINS0_10device_ptrINS0_4pairIiiEEEENS0_6detail16wrapped_functionINS9_23allocator_traits_detail24construct1_via_allocatorINS0_16device_allocatorIS7_EEEEvEEEEmLj1EEEvT0_T1_SJ_,"axG",@progbits,_ZN6thrust23THRUST_200600_302600_NS11hip_rocprim14__parallel_for6kernelILj256ENS1_10for_each_fINS0_10device_ptrINS0_4pairIiiEEEENS0_6detail16wrapped_functionINS9_23allocator_traits_detail24construct1_via_allocatorINS0_16device_allocatorIS7_EEEEvEEEEmLj1EEEvT0_T1_SJ_,comdat
	.protected	_ZN6thrust23THRUST_200600_302600_NS11hip_rocprim14__parallel_for6kernelILj256ENS1_10for_each_fINS0_10device_ptrINS0_4pairIiiEEEENS0_6detail16wrapped_functionINS9_23allocator_traits_detail24construct1_via_allocatorINS0_16device_allocatorIS7_EEEEvEEEEmLj1EEEvT0_T1_SJ_ ; -- Begin function _ZN6thrust23THRUST_200600_302600_NS11hip_rocprim14__parallel_for6kernelILj256ENS1_10for_each_fINS0_10device_ptrINS0_4pairIiiEEEENS0_6detail16wrapped_functionINS9_23allocator_traits_detail24construct1_via_allocatorINS0_16device_allocatorIS7_EEEEvEEEEmLj1EEEvT0_T1_SJ_
	.globl	_ZN6thrust23THRUST_200600_302600_NS11hip_rocprim14__parallel_for6kernelILj256ENS1_10for_each_fINS0_10device_ptrINS0_4pairIiiEEEENS0_6detail16wrapped_functionINS9_23allocator_traits_detail24construct1_via_allocatorINS0_16device_allocatorIS7_EEEEvEEEEmLj1EEEvT0_T1_SJ_
	.p2align	8
	.type	_ZN6thrust23THRUST_200600_302600_NS11hip_rocprim14__parallel_for6kernelILj256ENS1_10for_each_fINS0_10device_ptrINS0_4pairIiiEEEENS0_6detail16wrapped_functionINS9_23allocator_traits_detail24construct1_via_allocatorINS0_16device_allocatorIS7_EEEEvEEEEmLj1EEEvT0_T1_SJ_,@function
_ZN6thrust23THRUST_200600_302600_NS11hip_rocprim14__parallel_for6kernelILj256ENS1_10for_each_fINS0_10device_ptrINS0_4pairIiiEEEENS0_6detail16wrapped_functionINS9_23allocator_traits_detail24construct1_via_allocatorINS0_16device_allocatorIS7_EEEEvEEEEmLj1EEEvT0_T1_SJ_: ; @_ZN6thrust23THRUST_200600_302600_NS11hip_rocprim14__parallel_for6kernelILj256ENS1_10for_each_fINS0_10device_ptrINS0_4pairIiiEEEENS0_6detail16wrapped_functionINS9_23allocator_traits_detail24construct1_via_allocatorINS0_16device_allocatorIS7_EEEEvEEEEmLj1EEEvT0_T1_SJ_
; %bb.0:
	s_load_dwordx4 s[8:11], s[0:1], 0x10
	s_load_dwordx2 s[4:5], s[0:1], 0x0
	s_lshl_b32 s0, s2, 8
	v_mov_b64_e32 v[2:3], 0xff
	s_mov_b64 s[6:7], -1
	s_waitcnt lgkmcnt(0)
	s_add_u32 s0, s10, s0
	s_addc_u32 s1, s11, 0
	s_sub_u32 s2, s8, s0
	s_subb_u32 s3, s9, s1
	v_cmp_gt_u64_e32 vcc, s[2:3], v[2:3]
	s_cbranch_vccz .LBB613_3
; %bb.1:
	s_andn2_b64 vcc, exec, s[6:7]
	s_cbranch_vccz .LBB613_6
.LBB613_2:
	s_endpgm
.LBB613_3:
	v_cmp_gt_u32_e32 vcc, s2, v0
	s_and_saveexec_b64 s[2:3], vcc
	s_cbranch_execz .LBB613_5
; %bb.4:
	s_lshl_b64 s[6:7], s[0:1], 3
	s_add_u32 s6, s4, s6
	s_addc_u32 s7, s5, s7
	v_lshlrev_b32_e32 v2, 3, v0
	v_mov_b32_e32 v3, 0
	v_lshl_add_u64 v[4:5], s[6:7], 0, v[2:3]
	v_mov_b32_e32 v2, v3
	flat_store_dwordx2 v[4:5], v[2:3]
.LBB613_5:
	s_or_b64 exec, exec, s[2:3]
	s_cbranch_execnz .LBB613_2
.LBB613_6:
	s_lshl_b64 s[0:1], s[0:1], 3
	s_add_u32 s0, s4, s0
	s_addc_u32 s1, s5, s1
	v_lshlrev_b32_e32 v0, 3, v0
	v_mov_b32_e32 v1, 0
	v_lshl_add_u64 v[2:3], s[0:1], 0, v[0:1]
	v_mov_b32_e32 v0, v1
	flat_store_dwordx2 v[2:3], v[0:1]
	s_endpgm
	.section	.rodata,"a",@progbits
	.p2align	6, 0x0
	.amdhsa_kernel _ZN6thrust23THRUST_200600_302600_NS11hip_rocprim14__parallel_for6kernelILj256ENS1_10for_each_fINS0_10device_ptrINS0_4pairIiiEEEENS0_6detail16wrapped_functionINS9_23allocator_traits_detail24construct1_via_allocatorINS0_16device_allocatorIS7_EEEEvEEEEmLj1EEEvT0_T1_SJ_
		.amdhsa_group_segment_fixed_size 0
		.amdhsa_private_segment_fixed_size 0
		.amdhsa_kernarg_size 32
		.amdhsa_user_sgpr_count 2
		.amdhsa_user_sgpr_dispatch_ptr 0
		.amdhsa_user_sgpr_queue_ptr 0
		.amdhsa_user_sgpr_kernarg_segment_ptr 1
		.amdhsa_user_sgpr_dispatch_id 0
		.amdhsa_user_sgpr_kernarg_preload_length 0
		.amdhsa_user_sgpr_kernarg_preload_offset 0
		.amdhsa_user_sgpr_private_segment_size 0
		.amdhsa_uses_dynamic_stack 0
		.amdhsa_enable_private_segment 0
		.amdhsa_system_sgpr_workgroup_id_x 1
		.amdhsa_system_sgpr_workgroup_id_y 0
		.amdhsa_system_sgpr_workgroup_id_z 0
		.amdhsa_system_sgpr_workgroup_info 0
		.amdhsa_system_vgpr_workitem_id 0
		.amdhsa_next_free_vgpr 6
		.amdhsa_next_free_sgpr 12
		.amdhsa_accum_offset 8
		.amdhsa_reserve_vcc 1
		.amdhsa_float_round_mode_32 0
		.amdhsa_float_round_mode_16_64 0
		.amdhsa_float_denorm_mode_32 3
		.amdhsa_float_denorm_mode_16_64 3
		.amdhsa_dx10_clamp 1
		.amdhsa_ieee_mode 1
		.amdhsa_fp16_overflow 0
		.amdhsa_tg_split 0
		.amdhsa_exception_fp_ieee_invalid_op 0
		.amdhsa_exception_fp_denorm_src 0
		.amdhsa_exception_fp_ieee_div_zero 0
		.amdhsa_exception_fp_ieee_overflow 0
		.amdhsa_exception_fp_ieee_underflow 0
		.amdhsa_exception_fp_ieee_inexact 0
		.amdhsa_exception_int_div_zero 0
	.end_amdhsa_kernel
	.section	.text._ZN6thrust23THRUST_200600_302600_NS11hip_rocprim14__parallel_for6kernelILj256ENS1_10for_each_fINS0_10device_ptrINS0_4pairIiiEEEENS0_6detail16wrapped_functionINS9_23allocator_traits_detail24construct1_via_allocatorINS0_16device_allocatorIS7_EEEEvEEEEmLj1EEEvT0_T1_SJ_,"axG",@progbits,_ZN6thrust23THRUST_200600_302600_NS11hip_rocprim14__parallel_for6kernelILj256ENS1_10for_each_fINS0_10device_ptrINS0_4pairIiiEEEENS0_6detail16wrapped_functionINS9_23allocator_traits_detail24construct1_via_allocatorINS0_16device_allocatorIS7_EEEEvEEEEmLj1EEEvT0_T1_SJ_,comdat
.Lfunc_end613:
	.size	_ZN6thrust23THRUST_200600_302600_NS11hip_rocprim14__parallel_for6kernelILj256ENS1_10for_each_fINS0_10device_ptrINS0_4pairIiiEEEENS0_6detail16wrapped_functionINS9_23allocator_traits_detail24construct1_via_allocatorINS0_16device_allocatorIS7_EEEEvEEEEmLj1EEEvT0_T1_SJ_, .Lfunc_end613-_ZN6thrust23THRUST_200600_302600_NS11hip_rocprim14__parallel_for6kernelILj256ENS1_10for_each_fINS0_10device_ptrINS0_4pairIiiEEEENS0_6detail16wrapped_functionINS9_23allocator_traits_detail24construct1_via_allocatorINS0_16device_allocatorIS7_EEEEvEEEEmLj1EEEvT0_T1_SJ_
                                        ; -- End function
	.set _ZN6thrust23THRUST_200600_302600_NS11hip_rocprim14__parallel_for6kernelILj256ENS1_10for_each_fINS0_10device_ptrINS0_4pairIiiEEEENS0_6detail16wrapped_functionINS9_23allocator_traits_detail24construct1_via_allocatorINS0_16device_allocatorIS7_EEEEvEEEEmLj1EEEvT0_T1_SJ_.num_vgpr, 6
	.set _ZN6thrust23THRUST_200600_302600_NS11hip_rocprim14__parallel_for6kernelILj256ENS1_10for_each_fINS0_10device_ptrINS0_4pairIiiEEEENS0_6detail16wrapped_functionINS9_23allocator_traits_detail24construct1_via_allocatorINS0_16device_allocatorIS7_EEEEvEEEEmLj1EEEvT0_T1_SJ_.num_agpr, 0
	.set _ZN6thrust23THRUST_200600_302600_NS11hip_rocprim14__parallel_for6kernelILj256ENS1_10for_each_fINS0_10device_ptrINS0_4pairIiiEEEENS0_6detail16wrapped_functionINS9_23allocator_traits_detail24construct1_via_allocatorINS0_16device_allocatorIS7_EEEEvEEEEmLj1EEEvT0_T1_SJ_.numbered_sgpr, 12
	.set _ZN6thrust23THRUST_200600_302600_NS11hip_rocprim14__parallel_for6kernelILj256ENS1_10for_each_fINS0_10device_ptrINS0_4pairIiiEEEENS0_6detail16wrapped_functionINS9_23allocator_traits_detail24construct1_via_allocatorINS0_16device_allocatorIS7_EEEEvEEEEmLj1EEEvT0_T1_SJ_.num_named_barrier, 0
	.set _ZN6thrust23THRUST_200600_302600_NS11hip_rocprim14__parallel_for6kernelILj256ENS1_10for_each_fINS0_10device_ptrINS0_4pairIiiEEEENS0_6detail16wrapped_functionINS9_23allocator_traits_detail24construct1_via_allocatorINS0_16device_allocatorIS7_EEEEvEEEEmLj1EEEvT0_T1_SJ_.private_seg_size, 0
	.set _ZN6thrust23THRUST_200600_302600_NS11hip_rocprim14__parallel_for6kernelILj256ENS1_10for_each_fINS0_10device_ptrINS0_4pairIiiEEEENS0_6detail16wrapped_functionINS9_23allocator_traits_detail24construct1_via_allocatorINS0_16device_allocatorIS7_EEEEvEEEEmLj1EEEvT0_T1_SJ_.uses_vcc, 1
	.set _ZN6thrust23THRUST_200600_302600_NS11hip_rocprim14__parallel_for6kernelILj256ENS1_10for_each_fINS0_10device_ptrINS0_4pairIiiEEEENS0_6detail16wrapped_functionINS9_23allocator_traits_detail24construct1_via_allocatorINS0_16device_allocatorIS7_EEEEvEEEEmLj1EEEvT0_T1_SJ_.uses_flat_scratch, 0
	.set _ZN6thrust23THRUST_200600_302600_NS11hip_rocprim14__parallel_for6kernelILj256ENS1_10for_each_fINS0_10device_ptrINS0_4pairIiiEEEENS0_6detail16wrapped_functionINS9_23allocator_traits_detail24construct1_via_allocatorINS0_16device_allocatorIS7_EEEEvEEEEmLj1EEEvT0_T1_SJ_.has_dyn_sized_stack, 0
	.set _ZN6thrust23THRUST_200600_302600_NS11hip_rocprim14__parallel_for6kernelILj256ENS1_10for_each_fINS0_10device_ptrINS0_4pairIiiEEEENS0_6detail16wrapped_functionINS9_23allocator_traits_detail24construct1_via_allocatorINS0_16device_allocatorIS7_EEEEvEEEEmLj1EEEvT0_T1_SJ_.has_recursion, 0
	.set _ZN6thrust23THRUST_200600_302600_NS11hip_rocprim14__parallel_for6kernelILj256ENS1_10for_each_fINS0_10device_ptrINS0_4pairIiiEEEENS0_6detail16wrapped_functionINS9_23allocator_traits_detail24construct1_via_allocatorINS0_16device_allocatorIS7_EEEEvEEEEmLj1EEEvT0_T1_SJ_.has_indirect_call, 0
	.section	.AMDGPU.csdata,"",@progbits
; Kernel info:
; codeLenInByte = 176
; TotalNumSgprs: 18
; NumVgprs: 6
; NumAgprs: 0
; TotalNumVgprs: 6
; ScratchSize: 0
; MemoryBound: 0
; FloatMode: 240
; IeeeMode: 1
; LDSByteSize: 0 bytes/workgroup (compile time only)
; SGPRBlocks: 2
; VGPRBlocks: 0
; NumSGPRsForWavesPerEU: 18
; NumVGPRsForWavesPerEU: 6
; AccumOffset: 8
; Occupancy: 8
; WaveLimiterHint : 0
; COMPUTE_PGM_RSRC2:SCRATCH_EN: 0
; COMPUTE_PGM_RSRC2:USER_SGPR: 2
; COMPUTE_PGM_RSRC2:TRAP_HANDLER: 0
; COMPUTE_PGM_RSRC2:TGID_X_EN: 1
; COMPUTE_PGM_RSRC2:TGID_Y_EN: 0
; COMPUTE_PGM_RSRC2:TGID_Z_EN: 0
; COMPUTE_PGM_RSRC2:TIDIG_COMP_CNT: 0
; COMPUTE_PGM_RSRC3_GFX90A:ACCUM_OFFSET: 1
; COMPUTE_PGM_RSRC3_GFX90A:TG_SPLIT: 0
	.section	.text._ZN6thrust23THRUST_200600_302600_NS11hip_rocprim14__parallel_for6kernelILj256ENS1_10for_each_fINS0_10device_ptrINS0_4pairIiiEEEENS0_6detail16wrapped_functionINS9_23allocator_traits_detail5gozerEvEEEElLj1EEEvT0_T1_SG_,"axG",@progbits,_ZN6thrust23THRUST_200600_302600_NS11hip_rocprim14__parallel_for6kernelILj256ENS1_10for_each_fINS0_10device_ptrINS0_4pairIiiEEEENS0_6detail16wrapped_functionINS9_23allocator_traits_detail5gozerEvEEEElLj1EEEvT0_T1_SG_,comdat
	.protected	_ZN6thrust23THRUST_200600_302600_NS11hip_rocprim14__parallel_for6kernelILj256ENS1_10for_each_fINS0_10device_ptrINS0_4pairIiiEEEENS0_6detail16wrapped_functionINS9_23allocator_traits_detail5gozerEvEEEElLj1EEEvT0_T1_SG_ ; -- Begin function _ZN6thrust23THRUST_200600_302600_NS11hip_rocprim14__parallel_for6kernelILj256ENS1_10for_each_fINS0_10device_ptrINS0_4pairIiiEEEENS0_6detail16wrapped_functionINS9_23allocator_traits_detail5gozerEvEEEElLj1EEEvT0_T1_SG_
	.globl	_ZN6thrust23THRUST_200600_302600_NS11hip_rocprim14__parallel_for6kernelILj256ENS1_10for_each_fINS0_10device_ptrINS0_4pairIiiEEEENS0_6detail16wrapped_functionINS9_23allocator_traits_detail5gozerEvEEEElLj1EEEvT0_T1_SG_
	.p2align	8
	.type	_ZN6thrust23THRUST_200600_302600_NS11hip_rocprim14__parallel_for6kernelILj256ENS1_10for_each_fINS0_10device_ptrINS0_4pairIiiEEEENS0_6detail16wrapped_functionINS9_23allocator_traits_detail5gozerEvEEEElLj1EEEvT0_T1_SG_,@function
_ZN6thrust23THRUST_200600_302600_NS11hip_rocprim14__parallel_for6kernelILj256ENS1_10for_each_fINS0_10device_ptrINS0_4pairIiiEEEENS0_6detail16wrapped_functionINS9_23allocator_traits_detail5gozerEvEEEElLj1EEEvT0_T1_SG_: ; @_ZN6thrust23THRUST_200600_302600_NS11hip_rocprim14__parallel_for6kernelILj256ENS1_10for_each_fINS0_10device_ptrINS0_4pairIiiEEEENS0_6detail16wrapped_functionINS9_23allocator_traits_detail5gozerEvEEEElLj1EEEvT0_T1_SG_
; %bb.0:
	s_endpgm
	.section	.rodata,"a",@progbits
	.p2align	6, 0x0
	.amdhsa_kernel _ZN6thrust23THRUST_200600_302600_NS11hip_rocprim14__parallel_for6kernelILj256ENS1_10for_each_fINS0_10device_ptrINS0_4pairIiiEEEENS0_6detail16wrapped_functionINS9_23allocator_traits_detail5gozerEvEEEElLj1EEEvT0_T1_SG_
		.amdhsa_group_segment_fixed_size 0
		.amdhsa_private_segment_fixed_size 0
		.amdhsa_kernarg_size 32
		.amdhsa_user_sgpr_count 2
		.amdhsa_user_sgpr_dispatch_ptr 0
		.amdhsa_user_sgpr_queue_ptr 0
		.amdhsa_user_sgpr_kernarg_segment_ptr 1
		.amdhsa_user_sgpr_dispatch_id 0
		.amdhsa_user_sgpr_kernarg_preload_length 0
		.amdhsa_user_sgpr_kernarg_preload_offset 0
		.amdhsa_user_sgpr_private_segment_size 0
		.amdhsa_uses_dynamic_stack 0
		.amdhsa_enable_private_segment 0
		.amdhsa_system_sgpr_workgroup_id_x 1
		.amdhsa_system_sgpr_workgroup_id_y 0
		.amdhsa_system_sgpr_workgroup_id_z 0
		.amdhsa_system_sgpr_workgroup_info 0
		.amdhsa_system_vgpr_workitem_id 0
		.amdhsa_next_free_vgpr 1
		.amdhsa_next_free_sgpr 0
		.amdhsa_accum_offset 4
		.amdhsa_reserve_vcc 0
		.amdhsa_float_round_mode_32 0
		.amdhsa_float_round_mode_16_64 0
		.amdhsa_float_denorm_mode_32 3
		.amdhsa_float_denorm_mode_16_64 3
		.amdhsa_dx10_clamp 1
		.amdhsa_ieee_mode 1
		.amdhsa_fp16_overflow 0
		.amdhsa_tg_split 0
		.amdhsa_exception_fp_ieee_invalid_op 0
		.amdhsa_exception_fp_denorm_src 0
		.amdhsa_exception_fp_ieee_div_zero 0
		.amdhsa_exception_fp_ieee_overflow 0
		.amdhsa_exception_fp_ieee_underflow 0
		.amdhsa_exception_fp_ieee_inexact 0
		.amdhsa_exception_int_div_zero 0
	.end_amdhsa_kernel
	.section	.text._ZN6thrust23THRUST_200600_302600_NS11hip_rocprim14__parallel_for6kernelILj256ENS1_10for_each_fINS0_10device_ptrINS0_4pairIiiEEEENS0_6detail16wrapped_functionINS9_23allocator_traits_detail5gozerEvEEEElLj1EEEvT0_T1_SG_,"axG",@progbits,_ZN6thrust23THRUST_200600_302600_NS11hip_rocprim14__parallel_for6kernelILj256ENS1_10for_each_fINS0_10device_ptrINS0_4pairIiiEEEENS0_6detail16wrapped_functionINS9_23allocator_traits_detail5gozerEvEEEElLj1EEEvT0_T1_SG_,comdat
.Lfunc_end614:
	.size	_ZN6thrust23THRUST_200600_302600_NS11hip_rocprim14__parallel_for6kernelILj256ENS1_10for_each_fINS0_10device_ptrINS0_4pairIiiEEEENS0_6detail16wrapped_functionINS9_23allocator_traits_detail5gozerEvEEEElLj1EEEvT0_T1_SG_, .Lfunc_end614-_ZN6thrust23THRUST_200600_302600_NS11hip_rocprim14__parallel_for6kernelILj256ENS1_10for_each_fINS0_10device_ptrINS0_4pairIiiEEEENS0_6detail16wrapped_functionINS9_23allocator_traits_detail5gozerEvEEEElLj1EEEvT0_T1_SG_
                                        ; -- End function
	.set _ZN6thrust23THRUST_200600_302600_NS11hip_rocprim14__parallel_for6kernelILj256ENS1_10for_each_fINS0_10device_ptrINS0_4pairIiiEEEENS0_6detail16wrapped_functionINS9_23allocator_traits_detail5gozerEvEEEElLj1EEEvT0_T1_SG_.num_vgpr, 0
	.set _ZN6thrust23THRUST_200600_302600_NS11hip_rocprim14__parallel_for6kernelILj256ENS1_10for_each_fINS0_10device_ptrINS0_4pairIiiEEEENS0_6detail16wrapped_functionINS9_23allocator_traits_detail5gozerEvEEEElLj1EEEvT0_T1_SG_.num_agpr, 0
	.set _ZN6thrust23THRUST_200600_302600_NS11hip_rocprim14__parallel_for6kernelILj256ENS1_10for_each_fINS0_10device_ptrINS0_4pairIiiEEEENS0_6detail16wrapped_functionINS9_23allocator_traits_detail5gozerEvEEEElLj1EEEvT0_T1_SG_.numbered_sgpr, 0
	.set _ZN6thrust23THRUST_200600_302600_NS11hip_rocprim14__parallel_for6kernelILj256ENS1_10for_each_fINS0_10device_ptrINS0_4pairIiiEEEENS0_6detail16wrapped_functionINS9_23allocator_traits_detail5gozerEvEEEElLj1EEEvT0_T1_SG_.num_named_barrier, 0
	.set _ZN6thrust23THRUST_200600_302600_NS11hip_rocprim14__parallel_for6kernelILj256ENS1_10for_each_fINS0_10device_ptrINS0_4pairIiiEEEENS0_6detail16wrapped_functionINS9_23allocator_traits_detail5gozerEvEEEElLj1EEEvT0_T1_SG_.private_seg_size, 0
	.set _ZN6thrust23THRUST_200600_302600_NS11hip_rocprim14__parallel_for6kernelILj256ENS1_10for_each_fINS0_10device_ptrINS0_4pairIiiEEEENS0_6detail16wrapped_functionINS9_23allocator_traits_detail5gozerEvEEEElLj1EEEvT0_T1_SG_.uses_vcc, 0
	.set _ZN6thrust23THRUST_200600_302600_NS11hip_rocprim14__parallel_for6kernelILj256ENS1_10for_each_fINS0_10device_ptrINS0_4pairIiiEEEENS0_6detail16wrapped_functionINS9_23allocator_traits_detail5gozerEvEEEElLj1EEEvT0_T1_SG_.uses_flat_scratch, 0
	.set _ZN6thrust23THRUST_200600_302600_NS11hip_rocprim14__parallel_for6kernelILj256ENS1_10for_each_fINS0_10device_ptrINS0_4pairIiiEEEENS0_6detail16wrapped_functionINS9_23allocator_traits_detail5gozerEvEEEElLj1EEEvT0_T1_SG_.has_dyn_sized_stack, 0
	.set _ZN6thrust23THRUST_200600_302600_NS11hip_rocprim14__parallel_for6kernelILj256ENS1_10for_each_fINS0_10device_ptrINS0_4pairIiiEEEENS0_6detail16wrapped_functionINS9_23allocator_traits_detail5gozerEvEEEElLj1EEEvT0_T1_SG_.has_recursion, 0
	.set _ZN6thrust23THRUST_200600_302600_NS11hip_rocprim14__parallel_for6kernelILj256ENS1_10for_each_fINS0_10device_ptrINS0_4pairIiiEEEENS0_6detail16wrapped_functionINS9_23allocator_traits_detail5gozerEvEEEElLj1EEEvT0_T1_SG_.has_indirect_call, 0
	.section	.AMDGPU.csdata,"",@progbits
; Kernel info:
; codeLenInByte = 4
; TotalNumSgprs: 6
; NumVgprs: 0
; NumAgprs: 0
; TotalNumVgprs: 0
; ScratchSize: 0
; MemoryBound: 0
; FloatMode: 240
; IeeeMode: 1
; LDSByteSize: 0 bytes/workgroup (compile time only)
; SGPRBlocks: 0
; VGPRBlocks: 0
; NumSGPRsForWavesPerEU: 6
; NumVGPRsForWavesPerEU: 1
; AccumOffset: 4
; Occupancy: 8
; WaveLimiterHint : 0
; COMPUTE_PGM_RSRC2:SCRATCH_EN: 0
; COMPUTE_PGM_RSRC2:USER_SGPR: 2
; COMPUTE_PGM_RSRC2:TRAP_HANDLER: 0
; COMPUTE_PGM_RSRC2:TGID_X_EN: 1
; COMPUTE_PGM_RSRC2:TGID_Y_EN: 0
; COMPUTE_PGM_RSRC2:TGID_Z_EN: 0
; COMPUTE_PGM_RSRC2:TIDIG_COMP_CNT: 0
; COMPUTE_PGM_RSRC3_GFX90A:ACCUM_OFFSET: 0
; COMPUTE_PGM_RSRC3_GFX90A:TG_SPLIT: 0
	.section	.text._ZN7rocprim17ROCPRIM_400000_NS6detail44device_merge_sort_compile_time_verifier_archINS1_11comp_targetILNS1_3genE0ELNS1_11target_archE4294967295ELNS1_3gpuE0ELNS1_3repE0EEES8_NS0_14default_configES9_NS1_37merge_sort_block_sort_config_selectorIN6thrust23THRUST_200600_302600_NS4pairIiiEENS0_10empty_typeEEENS1_38merge_sort_block_merge_config_selectorISE_SF_EEEEvv,"axG",@progbits,_ZN7rocprim17ROCPRIM_400000_NS6detail44device_merge_sort_compile_time_verifier_archINS1_11comp_targetILNS1_3genE0ELNS1_11target_archE4294967295ELNS1_3gpuE0ELNS1_3repE0EEES8_NS0_14default_configES9_NS1_37merge_sort_block_sort_config_selectorIN6thrust23THRUST_200600_302600_NS4pairIiiEENS0_10empty_typeEEENS1_38merge_sort_block_merge_config_selectorISE_SF_EEEEvv,comdat
	.protected	_ZN7rocprim17ROCPRIM_400000_NS6detail44device_merge_sort_compile_time_verifier_archINS1_11comp_targetILNS1_3genE0ELNS1_11target_archE4294967295ELNS1_3gpuE0ELNS1_3repE0EEES8_NS0_14default_configES9_NS1_37merge_sort_block_sort_config_selectorIN6thrust23THRUST_200600_302600_NS4pairIiiEENS0_10empty_typeEEENS1_38merge_sort_block_merge_config_selectorISE_SF_EEEEvv ; -- Begin function _ZN7rocprim17ROCPRIM_400000_NS6detail44device_merge_sort_compile_time_verifier_archINS1_11comp_targetILNS1_3genE0ELNS1_11target_archE4294967295ELNS1_3gpuE0ELNS1_3repE0EEES8_NS0_14default_configES9_NS1_37merge_sort_block_sort_config_selectorIN6thrust23THRUST_200600_302600_NS4pairIiiEENS0_10empty_typeEEENS1_38merge_sort_block_merge_config_selectorISE_SF_EEEEvv
	.globl	_ZN7rocprim17ROCPRIM_400000_NS6detail44device_merge_sort_compile_time_verifier_archINS1_11comp_targetILNS1_3genE0ELNS1_11target_archE4294967295ELNS1_3gpuE0ELNS1_3repE0EEES8_NS0_14default_configES9_NS1_37merge_sort_block_sort_config_selectorIN6thrust23THRUST_200600_302600_NS4pairIiiEENS0_10empty_typeEEENS1_38merge_sort_block_merge_config_selectorISE_SF_EEEEvv
	.p2align	8
	.type	_ZN7rocprim17ROCPRIM_400000_NS6detail44device_merge_sort_compile_time_verifier_archINS1_11comp_targetILNS1_3genE0ELNS1_11target_archE4294967295ELNS1_3gpuE0ELNS1_3repE0EEES8_NS0_14default_configES9_NS1_37merge_sort_block_sort_config_selectorIN6thrust23THRUST_200600_302600_NS4pairIiiEENS0_10empty_typeEEENS1_38merge_sort_block_merge_config_selectorISE_SF_EEEEvv,@function
_ZN7rocprim17ROCPRIM_400000_NS6detail44device_merge_sort_compile_time_verifier_archINS1_11comp_targetILNS1_3genE0ELNS1_11target_archE4294967295ELNS1_3gpuE0ELNS1_3repE0EEES8_NS0_14default_configES9_NS1_37merge_sort_block_sort_config_selectorIN6thrust23THRUST_200600_302600_NS4pairIiiEENS0_10empty_typeEEENS1_38merge_sort_block_merge_config_selectorISE_SF_EEEEvv: ; @_ZN7rocprim17ROCPRIM_400000_NS6detail44device_merge_sort_compile_time_verifier_archINS1_11comp_targetILNS1_3genE0ELNS1_11target_archE4294967295ELNS1_3gpuE0ELNS1_3repE0EEES8_NS0_14default_configES9_NS1_37merge_sort_block_sort_config_selectorIN6thrust23THRUST_200600_302600_NS4pairIiiEENS0_10empty_typeEEENS1_38merge_sort_block_merge_config_selectorISE_SF_EEEEvv
; %bb.0:
	s_endpgm
	.section	.rodata,"a",@progbits
	.p2align	6, 0x0
	.amdhsa_kernel _ZN7rocprim17ROCPRIM_400000_NS6detail44device_merge_sort_compile_time_verifier_archINS1_11comp_targetILNS1_3genE0ELNS1_11target_archE4294967295ELNS1_3gpuE0ELNS1_3repE0EEES8_NS0_14default_configES9_NS1_37merge_sort_block_sort_config_selectorIN6thrust23THRUST_200600_302600_NS4pairIiiEENS0_10empty_typeEEENS1_38merge_sort_block_merge_config_selectorISE_SF_EEEEvv
		.amdhsa_group_segment_fixed_size 0
		.amdhsa_private_segment_fixed_size 0
		.amdhsa_kernarg_size 0
		.amdhsa_user_sgpr_count 0
		.amdhsa_user_sgpr_dispatch_ptr 0
		.amdhsa_user_sgpr_queue_ptr 0
		.amdhsa_user_sgpr_kernarg_segment_ptr 0
		.amdhsa_user_sgpr_dispatch_id 0
		.amdhsa_user_sgpr_kernarg_preload_length 0
		.amdhsa_user_sgpr_kernarg_preload_offset 0
		.amdhsa_user_sgpr_private_segment_size 0
		.amdhsa_uses_dynamic_stack 0
		.amdhsa_enable_private_segment 0
		.amdhsa_system_sgpr_workgroup_id_x 1
		.amdhsa_system_sgpr_workgroup_id_y 0
		.amdhsa_system_sgpr_workgroup_id_z 0
		.amdhsa_system_sgpr_workgroup_info 0
		.amdhsa_system_vgpr_workitem_id 0
		.amdhsa_next_free_vgpr 1
		.amdhsa_next_free_sgpr 0
		.amdhsa_accum_offset 4
		.amdhsa_reserve_vcc 0
		.amdhsa_float_round_mode_32 0
		.amdhsa_float_round_mode_16_64 0
		.amdhsa_float_denorm_mode_32 3
		.amdhsa_float_denorm_mode_16_64 3
		.amdhsa_dx10_clamp 1
		.amdhsa_ieee_mode 1
		.amdhsa_fp16_overflow 0
		.amdhsa_tg_split 0
		.amdhsa_exception_fp_ieee_invalid_op 0
		.amdhsa_exception_fp_denorm_src 0
		.amdhsa_exception_fp_ieee_div_zero 0
		.amdhsa_exception_fp_ieee_overflow 0
		.amdhsa_exception_fp_ieee_underflow 0
		.amdhsa_exception_fp_ieee_inexact 0
		.amdhsa_exception_int_div_zero 0
	.end_amdhsa_kernel
	.section	.text._ZN7rocprim17ROCPRIM_400000_NS6detail44device_merge_sort_compile_time_verifier_archINS1_11comp_targetILNS1_3genE0ELNS1_11target_archE4294967295ELNS1_3gpuE0ELNS1_3repE0EEES8_NS0_14default_configES9_NS1_37merge_sort_block_sort_config_selectorIN6thrust23THRUST_200600_302600_NS4pairIiiEENS0_10empty_typeEEENS1_38merge_sort_block_merge_config_selectorISE_SF_EEEEvv,"axG",@progbits,_ZN7rocprim17ROCPRIM_400000_NS6detail44device_merge_sort_compile_time_verifier_archINS1_11comp_targetILNS1_3genE0ELNS1_11target_archE4294967295ELNS1_3gpuE0ELNS1_3repE0EEES8_NS0_14default_configES9_NS1_37merge_sort_block_sort_config_selectorIN6thrust23THRUST_200600_302600_NS4pairIiiEENS0_10empty_typeEEENS1_38merge_sort_block_merge_config_selectorISE_SF_EEEEvv,comdat
.Lfunc_end615:
	.size	_ZN7rocprim17ROCPRIM_400000_NS6detail44device_merge_sort_compile_time_verifier_archINS1_11comp_targetILNS1_3genE0ELNS1_11target_archE4294967295ELNS1_3gpuE0ELNS1_3repE0EEES8_NS0_14default_configES9_NS1_37merge_sort_block_sort_config_selectorIN6thrust23THRUST_200600_302600_NS4pairIiiEENS0_10empty_typeEEENS1_38merge_sort_block_merge_config_selectorISE_SF_EEEEvv, .Lfunc_end615-_ZN7rocprim17ROCPRIM_400000_NS6detail44device_merge_sort_compile_time_verifier_archINS1_11comp_targetILNS1_3genE0ELNS1_11target_archE4294967295ELNS1_3gpuE0ELNS1_3repE0EEES8_NS0_14default_configES9_NS1_37merge_sort_block_sort_config_selectorIN6thrust23THRUST_200600_302600_NS4pairIiiEENS0_10empty_typeEEENS1_38merge_sort_block_merge_config_selectorISE_SF_EEEEvv
                                        ; -- End function
	.set _ZN7rocprim17ROCPRIM_400000_NS6detail44device_merge_sort_compile_time_verifier_archINS1_11comp_targetILNS1_3genE0ELNS1_11target_archE4294967295ELNS1_3gpuE0ELNS1_3repE0EEES8_NS0_14default_configES9_NS1_37merge_sort_block_sort_config_selectorIN6thrust23THRUST_200600_302600_NS4pairIiiEENS0_10empty_typeEEENS1_38merge_sort_block_merge_config_selectorISE_SF_EEEEvv.num_vgpr, 0
	.set _ZN7rocprim17ROCPRIM_400000_NS6detail44device_merge_sort_compile_time_verifier_archINS1_11comp_targetILNS1_3genE0ELNS1_11target_archE4294967295ELNS1_3gpuE0ELNS1_3repE0EEES8_NS0_14default_configES9_NS1_37merge_sort_block_sort_config_selectorIN6thrust23THRUST_200600_302600_NS4pairIiiEENS0_10empty_typeEEENS1_38merge_sort_block_merge_config_selectorISE_SF_EEEEvv.num_agpr, 0
	.set _ZN7rocprim17ROCPRIM_400000_NS6detail44device_merge_sort_compile_time_verifier_archINS1_11comp_targetILNS1_3genE0ELNS1_11target_archE4294967295ELNS1_3gpuE0ELNS1_3repE0EEES8_NS0_14default_configES9_NS1_37merge_sort_block_sort_config_selectorIN6thrust23THRUST_200600_302600_NS4pairIiiEENS0_10empty_typeEEENS1_38merge_sort_block_merge_config_selectorISE_SF_EEEEvv.numbered_sgpr, 0
	.set _ZN7rocprim17ROCPRIM_400000_NS6detail44device_merge_sort_compile_time_verifier_archINS1_11comp_targetILNS1_3genE0ELNS1_11target_archE4294967295ELNS1_3gpuE0ELNS1_3repE0EEES8_NS0_14default_configES9_NS1_37merge_sort_block_sort_config_selectorIN6thrust23THRUST_200600_302600_NS4pairIiiEENS0_10empty_typeEEENS1_38merge_sort_block_merge_config_selectorISE_SF_EEEEvv.num_named_barrier, 0
	.set _ZN7rocprim17ROCPRIM_400000_NS6detail44device_merge_sort_compile_time_verifier_archINS1_11comp_targetILNS1_3genE0ELNS1_11target_archE4294967295ELNS1_3gpuE0ELNS1_3repE0EEES8_NS0_14default_configES9_NS1_37merge_sort_block_sort_config_selectorIN6thrust23THRUST_200600_302600_NS4pairIiiEENS0_10empty_typeEEENS1_38merge_sort_block_merge_config_selectorISE_SF_EEEEvv.private_seg_size, 0
	.set _ZN7rocprim17ROCPRIM_400000_NS6detail44device_merge_sort_compile_time_verifier_archINS1_11comp_targetILNS1_3genE0ELNS1_11target_archE4294967295ELNS1_3gpuE0ELNS1_3repE0EEES8_NS0_14default_configES9_NS1_37merge_sort_block_sort_config_selectorIN6thrust23THRUST_200600_302600_NS4pairIiiEENS0_10empty_typeEEENS1_38merge_sort_block_merge_config_selectorISE_SF_EEEEvv.uses_vcc, 0
	.set _ZN7rocprim17ROCPRIM_400000_NS6detail44device_merge_sort_compile_time_verifier_archINS1_11comp_targetILNS1_3genE0ELNS1_11target_archE4294967295ELNS1_3gpuE0ELNS1_3repE0EEES8_NS0_14default_configES9_NS1_37merge_sort_block_sort_config_selectorIN6thrust23THRUST_200600_302600_NS4pairIiiEENS0_10empty_typeEEENS1_38merge_sort_block_merge_config_selectorISE_SF_EEEEvv.uses_flat_scratch, 0
	.set _ZN7rocprim17ROCPRIM_400000_NS6detail44device_merge_sort_compile_time_verifier_archINS1_11comp_targetILNS1_3genE0ELNS1_11target_archE4294967295ELNS1_3gpuE0ELNS1_3repE0EEES8_NS0_14default_configES9_NS1_37merge_sort_block_sort_config_selectorIN6thrust23THRUST_200600_302600_NS4pairIiiEENS0_10empty_typeEEENS1_38merge_sort_block_merge_config_selectorISE_SF_EEEEvv.has_dyn_sized_stack, 0
	.set _ZN7rocprim17ROCPRIM_400000_NS6detail44device_merge_sort_compile_time_verifier_archINS1_11comp_targetILNS1_3genE0ELNS1_11target_archE4294967295ELNS1_3gpuE0ELNS1_3repE0EEES8_NS0_14default_configES9_NS1_37merge_sort_block_sort_config_selectorIN6thrust23THRUST_200600_302600_NS4pairIiiEENS0_10empty_typeEEENS1_38merge_sort_block_merge_config_selectorISE_SF_EEEEvv.has_recursion, 0
	.set _ZN7rocprim17ROCPRIM_400000_NS6detail44device_merge_sort_compile_time_verifier_archINS1_11comp_targetILNS1_3genE0ELNS1_11target_archE4294967295ELNS1_3gpuE0ELNS1_3repE0EEES8_NS0_14default_configES9_NS1_37merge_sort_block_sort_config_selectorIN6thrust23THRUST_200600_302600_NS4pairIiiEENS0_10empty_typeEEENS1_38merge_sort_block_merge_config_selectorISE_SF_EEEEvv.has_indirect_call, 0
	.section	.AMDGPU.csdata,"",@progbits
; Kernel info:
; codeLenInByte = 4
; TotalNumSgprs: 6
; NumVgprs: 0
; NumAgprs: 0
; TotalNumVgprs: 0
; ScratchSize: 0
; MemoryBound: 0
; FloatMode: 240
; IeeeMode: 1
; LDSByteSize: 0 bytes/workgroup (compile time only)
; SGPRBlocks: 0
; VGPRBlocks: 0
; NumSGPRsForWavesPerEU: 6
; NumVGPRsForWavesPerEU: 1
; AccumOffset: 4
; Occupancy: 8
; WaveLimiterHint : 0
; COMPUTE_PGM_RSRC2:SCRATCH_EN: 0
; COMPUTE_PGM_RSRC2:USER_SGPR: 0
; COMPUTE_PGM_RSRC2:TRAP_HANDLER: 0
; COMPUTE_PGM_RSRC2:TGID_X_EN: 1
; COMPUTE_PGM_RSRC2:TGID_Y_EN: 0
; COMPUTE_PGM_RSRC2:TGID_Z_EN: 0
; COMPUTE_PGM_RSRC2:TIDIG_COMP_CNT: 0
; COMPUTE_PGM_RSRC3_GFX90A:ACCUM_OFFSET: 0
; COMPUTE_PGM_RSRC3_GFX90A:TG_SPLIT: 0
	.section	.text._ZN7rocprim17ROCPRIM_400000_NS6detail44device_merge_sort_compile_time_verifier_archINS1_11comp_targetILNS1_3genE5ELNS1_11target_archE942ELNS1_3gpuE9ELNS1_3repE0EEES8_NS0_14default_configES9_NS1_37merge_sort_block_sort_config_selectorIN6thrust23THRUST_200600_302600_NS4pairIiiEENS0_10empty_typeEEENS1_38merge_sort_block_merge_config_selectorISE_SF_EEEEvv,"axG",@progbits,_ZN7rocprim17ROCPRIM_400000_NS6detail44device_merge_sort_compile_time_verifier_archINS1_11comp_targetILNS1_3genE5ELNS1_11target_archE942ELNS1_3gpuE9ELNS1_3repE0EEES8_NS0_14default_configES9_NS1_37merge_sort_block_sort_config_selectorIN6thrust23THRUST_200600_302600_NS4pairIiiEENS0_10empty_typeEEENS1_38merge_sort_block_merge_config_selectorISE_SF_EEEEvv,comdat
	.protected	_ZN7rocprim17ROCPRIM_400000_NS6detail44device_merge_sort_compile_time_verifier_archINS1_11comp_targetILNS1_3genE5ELNS1_11target_archE942ELNS1_3gpuE9ELNS1_3repE0EEES8_NS0_14default_configES9_NS1_37merge_sort_block_sort_config_selectorIN6thrust23THRUST_200600_302600_NS4pairIiiEENS0_10empty_typeEEENS1_38merge_sort_block_merge_config_selectorISE_SF_EEEEvv ; -- Begin function _ZN7rocprim17ROCPRIM_400000_NS6detail44device_merge_sort_compile_time_verifier_archINS1_11comp_targetILNS1_3genE5ELNS1_11target_archE942ELNS1_3gpuE9ELNS1_3repE0EEES8_NS0_14default_configES9_NS1_37merge_sort_block_sort_config_selectorIN6thrust23THRUST_200600_302600_NS4pairIiiEENS0_10empty_typeEEENS1_38merge_sort_block_merge_config_selectorISE_SF_EEEEvv
	.globl	_ZN7rocprim17ROCPRIM_400000_NS6detail44device_merge_sort_compile_time_verifier_archINS1_11comp_targetILNS1_3genE5ELNS1_11target_archE942ELNS1_3gpuE9ELNS1_3repE0EEES8_NS0_14default_configES9_NS1_37merge_sort_block_sort_config_selectorIN6thrust23THRUST_200600_302600_NS4pairIiiEENS0_10empty_typeEEENS1_38merge_sort_block_merge_config_selectorISE_SF_EEEEvv
	.p2align	8
	.type	_ZN7rocprim17ROCPRIM_400000_NS6detail44device_merge_sort_compile_time_verifier_archINS1_11comp_targetILNS1_3genE5ELNS1_11target_archE942ELNS1_3gpuE9ELNS1_3repE0EEES8_NS0_14default_configES9_NS1_37merge_sort_block_sort_config_selectorIN6thrust23THRUST_200600_302600_NS4pairIiiEENS0_10empty_typeEEENS1_38merge_sort_block_merge_config_selectorISE_SF_EEEEvv,@function
_ZN7rocprim17ROCPRIM_400000_NS6detail44device_merge_sort_compile_time_verifier_archINS1_11comp_targetILNS1_3genE5ELNS1_11target_archE942ELNS1_3gpuE9ELNS1_3repE0EEES8_NS0_14default_configES9_NS1_37merge_sort_block_sort_config_selectorIN6thrust23THRUST_200600_302600_NS4pairIiiEENS0_10empty_typeEEENS1_38merge_sort_block_merge_config_selectorISE_SF_EEEEvv: ; @_ZN7rocprim17ROCPRIM_400000_NS6detail44device_merge_sort_compile_time_verifier_archINS1_11comp_targetILNS1_3genE5ELNS1_11target_archE942ELNS1_3gpuE9ELNS1_3repE0EEES8_NS0_14default_configES9_NS1_37merge_sort_block_sort_config_selectorIN6thrust23THRUST_200600_302600_NS4pairIiiEENS0_10empty_typeEEENS1_38merge_sort_block_merge_config_selectorISE_SF_EEEEvv
; %bb.0:
	s_endpgm
	.section	.rodata,"a",@progbits
	.p2align	6, 0x0
	.amdhsa_kernel _ZN7rocprim17ROCPRIM_400000_NS6detail44device_merge_sort_compile_time_verifier_archINS1_11comp_targetILNS1_3genE5ELNS1_11target_archE942ELNS1_3gpuE9ELNS1_3repE0EEES8_NS0_14default_configES9_NS1_37merge_sort_block_sort_config_selectorIN6thrust23THRUST_200600_302600_NS4pairIiiEENS0_10empty_typeEEENS1_38merge_sort_block_merge_config_selectorISE_SF_EEEEvv
		.amdhsa_group_segment_fixed_size 0
		.amdhsa_private_segment_fixed_size 0
		.amdhsa_kernarg_size 0
		.amdhsa_user_sgpr_count 0
		.amdhsa_user_sgpr_dispatch_ptr 0
		.amdhsa_user_sgpr_queue_ptr 0
		.amdhsa_user_sgpr_kernarg_segment_ptr 0
		.amdhsa_user_sgpr_dispatch_id 0
		.amdhsa_user_sgpr_kernarg_preload_length 0
		.amdhsa_user_sgpr_kernarg_preload_offset 0
		.amdhsa_user_sgpr_private_segment_size 0
		.amdhsa_uses_dynamic_stack 0
		.amdhsa_enable_private_segment 0
		.amdhsa_system_sgpr_workgroup_id_x 1
		.amdhsa_system_sgpr_workgroup_id_y 0
		.amdhsa_system_sgpr_workgroup_id_z 0
		.amdhsa_system_sgpr_workgroup_info 0
		.amdhsa_system_vgpr_workitem_id 0
		.amdhsa_next_free_vgpr 1
		.amdhsa_next_free_sgpr 0
		.amdhsa_accum_offset 4
		.amdhsa_reserve_vcc 0
		.amdhsa_float_round_mode_32 0
		.amdhsa_float_round_mode_16_64 0
		.amdhsa_float_denorm_mode_32 3
		.amdhsa_float_denorm_mode_16_64 3
		.amdhsa_dx10_clamp 1
		.amdhsa_ieee_mode 1
		.amdhsa_fp16_overflow 0
		.amdhsa_tg_split 0
		.amdhsa_exception_fp_ieee_invalid_op 0
		.amdhsa_exception_fp_denorm_src 0
		.amdhsa_exception_fp_ieee_div_zero 0
		.amdhsa_exception_fp_ieee_overflow 0
		.amdhsa_exception_fp_ieee_underflow 0
		.amdhsa_exception_fp_ieee_inexact 0
		.amdhsa_exception_int_div_zero 0
	.end_amdhsa_kernel
	.section	.text._ZN7rocprim17ROCPRIM_400000_NS6detail44device_merge_sort_compile_time_verifier_archINS1_11comp_targetILNS1_3genE5ELNS1_11target_archE942ELNS1_3gpuE9ELNS1_3repE0EEES8_NS0_14default_configES9_NS1_37merge_sort_block_sort_config_selectorIN6thrust23THRUST_200600_302600_NS4pairIiiEENS0_10empty_typeEEENS1_38merge_sort_block_merge_config_selectorISE_SF_EEEEvv,"axG",@progbits,_ZN7rocprim17ROCPRIM_400000_NS6detail44device_merge_sort_compile_time_verifier_archINS1_11comp_targetILNS1_3genE5ELNS1_11target_archE942ELNS1_3gpuE9ELNS1_3repE0EEES8_NS0_14default_configES9_NS1_37merge_sort_block_sort_config_selectorIN6thrust23THRUST_200600_302600_NS4pairIiiEENS0_10empty_typeEEENS1_38merge_sort_block_merge_config_selectorISE_SF_EEEEvv,comdat
.Lfunc_end616:
	.size	_ZN7rocprim17ROCPRIM_400000_NS6detail44device_merge_sort_compile_time_verifier_archINS1_11comp_targetILNS1_3genE5ELNS1_11target_archE942ELNS1_3gpuE9ELNS1_3repE0EEES8_NS0_14default_configES9_NS1_37merge_sort_block_sort_config_selectorIN6thrust23THRUST_200600_302600_NS4pairIiiEENS0_10empty_typeEEENS1_38merge_sort_block_merge_config_selectorISE_SF_EEEEvv, .Lfunc_end616-_ZN7rocprim17ROCPRIM_400000_NS6detail44device_merge_sort_compile_time_verifier_archINS1_11comp_targetILNS1_3genE5ELNS1_11target_archE942ELNS1_3gpuE9ELNS1_3repE0EEES8_NS0_14default_configES9_NS1_37merge_sort_block_sort_config_selectorIN6thrust23THRUST_200600_302600_NS4pairIiiEENS0_10empty_typeEEENS1_38merge_sort_block_merge_config_selectorISE_SF_EEEEvv
                                        ; -- End function
	.set _ZN7rocprim17ROCPRIM_400000_NS6detail44device_merge_sort_compile_time_verifier_archINS1_11comp_targetILNS1_3genE5ELNS1_11target_archE942ELNS1_3gpuE9ELNS1_3repE0EEES8_NS0_14default_configES9_NS1_37merge_sort_block_sort_config_selectorIN6thrust23THRUST_200600_302600_NS4pairIiiEENS0_10empty_typeEEENS1_38merge_sort_block_merge_config_selectorISE_SF_EEEEvv.num_vgpr, 0
	.set _ZN7rocprim17ROCPRIM_400000_NS6detail44device_merge_sort_compile_time_verifier_archINS1_11comp_targetILNS1_3genE5ELNS1_11target_archE942ELNS1_3gpuE9ELNS1_3repE0EEES8_NS0_14default_configES9_NS1_37merge_sort_block_sort_config_selectorIN6thrust23THRUST_200600_302600_NS4pairIiiEENS0_10empty_typeEEENS1_38merge_sort_block_merge_config_selectorISE_SF_EEEEvv.num_agpr, 0
	.set _ZN7rocprim17ROCPRIM_400000_NS6detail44device_merge_sort_compile_time_verifier_archINS1_11comp_targetILNS1_3genE5ELNS1_11target_archE942ELNS1_3gpuE9ELNS1_3repE0EEES8_NS0_14default_configES9_NS1_37merge_sort_block_sort_config_selectorIN6thrust23THRUST_200600_302600_NS4pairIiiEENS0_10empty_typeEEENS1_38merge_sort_block_merge_config_selectorISE_SF_EEEEvv.numbered_sgpr, 0
	.set _ZN7rocprim17ROCPRIM_400000_NS6detail44device_merge_sort_compile_time_verifier_archINS1_11comp_targetILNS1_3genE5ELNS1_11target_archE942ELNS1_3gpuE9ELNS1_3repE0EEES8_NS0_14default_configES9_NS1_37merge_sort_block_sort_config_selectorIN6thrust23THRUST_200600_302600_NS4pairIiiEENS0_10empty_typeEEENS1_38merge_sort_block_merge_config_selectorISE_SF_EEEEvv.num_named_barrier, 0
	.set _ZN7rocprim17ROCPRIM_400000_NS6detail44device_merge_sort_compile_time_verifier_archINS1_11comp_targetILNS1_3genE5ELNS1_11target_archE942ELNS1_3gpuE9ELNS1_3repE0EEES8_NS0_14default_configES9_NS1_37merge_sort_block_sort_config_selectorIN6thrust23THRUST_200600_302600_NS4pairIiiEENS0_10empty_typeEEENS1_38merge_sort_block_merge_config_selectorISE_SF_EEEEvv.private_seg_size, 0
	.set _ZN7rocprim17ROCPRIM_400000_NS6detail44device_merge_sort_compile_time_verifier_archINS1_11comp_targetILNS1_3genE5ELNS1_11target_archE942ELNS1_3gpuE9ELNS1_3repE0EEES8_NS0_14default_configES9_NS1_37merge_sort_block_sort_config_selectorIN6thrust23THRUST_200600_302600_NS4pairIiiEENS0_10empty_typeEEENS1_38merge_sort_block_merge_config_selectorISE_SF_EEEEvv.uses_vcc, 0
	.set _ZN7rocprim17ROCPRIM_400000_NS6detail44device_merge_sort_compile_time_verifier_archINS1_11comp_targetILNS1_3genE5ELNS1_11target_archE942ELNS1_3gpuE9ELNS1_3repE0EEES8_NS0_14default_configES9_NS1_37merge_sort_block_sort_config_selectorIN6thrust23THRUST_200600_302600_NS4pairIiiEENS0_10empty_typeEEENS1_38merge_sort_block_merge_config_selectorISE_SF_EEEEvv.uses_flat_scratch, 0
	.set _ZN7rocprim17ROCPRIM_400000_NS6detail44device_merge_sort_compile_time_verifier_archINS1_11comp_targetILNS1_3genE5ELNS1_11target_archE942ELNS1_3gpuE9ELNS1_3repE0EEES8_NS0_14default_configES9_NS1_37merge_sort_block_sort_config_selectorIN6thrust23THRUST_200600_302600_NS4pairIiiEENS0_10empty_typeEEENS1_38merge_sort_block_merge_config_selectorISE_SF_EEEEvv.has_dyn_sized_stack, 0
	.set _ZN7rocprim17ROCPRIM_400000_NS6detail44device_merge_sort_compile_time_verifier_archINS1_11comp_targetILNS1_3genE5ELNS1_11target_archE942ELNS1_3gpuE9ELNS1_3repE0EEES8_NS0_14default_configES9_NS1_37merge_sort_block_sort_config_selectorIN6thrust23THRUST_200600_302600_NS4pairIiiEENS0_10empty_typeEEENS1_38merge_sort_block_merge_config_selectorISE_SF_EEEEvv.has_recursion, 0
	.set _ZN7rocprim17ROCPRIM_400000_NS6detail44device_merge_sort_compile_time_verifier_archINS1_11comp_targetILNS1_3genE5ELNS1_11target_archE942ELNS1_3gpuE9ELNS1_3repE0EEES8_NS0_14default_configES9_NS1_37merge_sort_block_sort_config_selectorIN6thrust23THRUST_200600_302600_NS4pairIiiEENS0_10empty_typeEEENS1_38merge_sort_block_merge_config_selectorISE_SF_EEEEvv.has_indirect_call, 0
	.section	.AMDGPU.csdata,"",@progbits
; Kernel info:
; codeLenInByte = 4
; TotalNumSgprs: 6
; NumVgprs: 0
; NumAgprs: 0
; TotalNumVgprs: 0
; ScratchSize: 0
; MemoryBound: 0
; FloatMode: 240
; IeeeMode: 1
; LDSByteSize: 0 bytes/workgroup (compile time only)
; SGPRBlocks: 0
; VGPRBlocks: 0
; NumSGPRsForWavesPerEU: 6
; NumVGPRsForWavesPerEU: 1
; AccumOffset: 4
; Occupancy: 8
; WaveLimiterHint : 0
; COMPUTE_PGM_RSRC2:SCRATCH_EN: 0
; COMPUTE_PGM_RSRC2:USER_SGPR: 0
; COMPUTE_PGM_RSRC2:TRAP_HANDLER: 0
; COMPUTE_PGM_RSRC2:TGID_X_EN: 1
; COMPUTE_PGM_RSRC2:TGID_Y_EN: 0
; COMPUTE_PGM_RSRC2:TGID_Z_EN: 0
; COMPUTE_PGM_RSRC2:TIDIG_COMP_CNT: 0
; COMPUTE_PGM_RSRC3_GFX90A:ACCUM_OFFSET: 0
; COMPUTE_PGM_RSRC3_GFX90A:TG_SPLIT: 0
	.section	.text._ZN7rocprim17ROCPRIM_400000_NS6detail44device_merge_sort_compile_time_verifier_archINS1_11comp_targetILNS1_3genE4ELNS1_11target_archE910ELNS1_3gpuE8ELNS1_3repE0EEES8_NS0_14default_configES9_NS1_37merge_sort_block_sort_config_selectorIN6thrust23THRUST_200600_302600_NS4pairIiiEENS0_10empty_typeEEENS1_38merge_sort_block_merge_config_selectorISE_SF_EEEEvv,"axG",@progbits,_ZN7rocprim17ROCPRIM_400000_NS6detail44device_merge_sort_compile_time_verifier_archINS1_11comp_targetILNS1_3genE4ELNS1_11target_archE910ELNS1_3gpuE8ELNS1_3repE0EEES8_NS0_14default_configES9_NS1_37merge_sort_block_sort_config_selectorIN6thrust23THRUST_200600_302600_NS4pairIiiEENS0_10empty_typeEEENS1_38merge_sort_block_merge_config_selectorISE_SF_EEEEvv,comdat
	.protected	_ZN7rocprim17ROCPRIM_400000_NS6detail44device_merge_sort_compile_time_verifier_archINS1_11comp_targetILNS1_3genE4ELNS1_11target_archE910ELNS1_3gpuE8ELNS1_3repE0EEES8_NS0_14default_configES9_NS1_37merge_sort_block_sort_config_selectorIN6thrust23THRUST_200600_302600_NS4pairIiiEENS0_10empty_typeEEENS1_38merge_sort_block_merge_config_selectorISE_SF_EEEEvv ; -- Begin function _ZN7rocprim17ROCPRIM_400000_NS6detail44device_merge_sort_compile_time_verifier_archINS1_11comp_targetILNS1_3genE4ELNS1_11target_archE910ELNS1_3gpuE8ELNS1_3repE0EEES8_NS0_14default_configES9_NS1_37merge_sort_block_sort_config_selectorIN6thrust23THRUST_200600_302600_NS4pairIiiEENS0_10empty_typeEEENS1_38merge_sort_block_merge_config_selectorISE_SF_EEEEvv
	.globl	_ZN7rocprim17ROCPRIM_400000_NS6detail44device_merge_sort_compile_time_verifier_archINS1_11comp_targetILNS1_3genE4ELNS1_11target_archE910ELNS1_3gpuE8ELNS1_3repE0EEES8_NS0_14default_configES9_NS1_37merge_sort_block_sort_config_selectorIN6thrust23THRUST_200600_302600_NS4pairIiiEENS0_10empty_typeEEENS1_38merge_sort_block_merge_config_selectorISE_SF_EEEEvv
	.p2align	8
	.type	_ZN7rocprim17ROCPRIM_400000_NS6detail44device_merge_sort_compile_time_verifier_archINS1_11comp_targetILNS1_3genE4ELNS1_11target_archE910ELNS1_3gpuE8ELNS1_3repE0EEES8_NS0_14default_configES9_NS1_37merge_sort_block_sort_config_selectorIN6thrust23THRUST_200600_302600_NS4pairIiiEENS0_10empty_typeEEENS1_38merge_sort_block_merge_config_selectorISE_SF_EEEEvv,@function
_ZN7rocprim17ROCPRIM_400000_NS6detail44device_merge_sort_compile_time_verifier_archINS1_11comp_targetILNS1_3genE4ELNS1_11target_archE910ELNS1_3gpuE8ELNS1_3repE0EEES8_NS0_14default_configES9_NS1_37merge_sort_block_sort_config_selectorIN6thrust23THRUST_200600_302600_NS4pairIiiEENS0_10empty_typeEEENS1_38merge_sort_block_merge_config_selectorISE_SF_EEEEvv: ; @_ZN7rocprim17ROCPRIM_400000_NS6detail44device_merge_sort_compile_time_verifier_archINS1_11comp_targetILNS1_3genE4ELNS1_11target_archE910ELNS1_3gpuE8ELNS1_3repE0EEES8_NS0_14default_configES9_NS1_37merge_sort_block_sort_config_selectorIN6thrust23THRUST_200600_302600_NS4pairIiiEENS0_10empty_typeEEENS1_38merge_sort_block_merge_config_selectorISE_SF_EEEEvv
; %bb.0:
	s_endpgm
	.section	.rodata,"a",@progbits
	.p2align	6, 0x0
	.amdhsa_kernel _ZN7rocprim17ROCPRIM_400000_NS6detail44device_merge_sort_compile_time_verifier_archINS1_11comp_targetILNS1_3genE4ELNS1_11target_archE910ELNS1_3gpuE8ELNS1_3repE0EEES8_NS0_14default_configES9_NS1_37merge_sort_block_sort_config_selectorIN6thrust23THRUST_200600_302600_NS4pairIiiEENS0_10empty_typeEEENS1_38merge_sort_block_merge_config_selectorISE_SF_EEEEvv
		.amdhsa_group_segment_fixed_size 0
		.amdhsa_private_segment_fixed_size 0
		.amdhsa_kernarg_size 0
		.amdhsa_user_sgpr_count 0
		.amdhsa_user_sgpr_dispatch_ptr 0
		.amdhsa_user_sgpr_queue_ptr 0
		.amdhsa_user_sgpr_kernarg_segment_ptr 0
		.amdhsa_user_sgpr_dispatch_id 0
		.amdhsa_user_sgpr_kernarg_preload_length 0
		.amdhsa_user_sgpr_kernarg_preload_offset 0
		.amdhsa_user_sgpr_private_segment_size 0
		.amdhsa_uses_dynamic_stack 0
		.amdhsa_enable_private_segment 0
		.amdhsa_system_sgpr_workgroup_id_x 1
		.amdhsa_system_sgpr_workgroup_id_y 0
		.amdhsa_system_sgpr_workgroup_id_z 0
		.amdhsa_system_sgpr_workgroup_info 0
		.amdhsa_system_vgpr_workitem_id 0
		.amdhsa_next_free_vgpr 1
		.amdhsa_next_free_sgpr 0
		.amdhsa_accum_offset 4
		.amdhsa_reserve_vcc 0
		.amdhsa_float_round_mode_32 0
		.amdhsa_float_round_mode_16_64 0
		.amdhsa_float_denorm_mode_32 3
		.amdhsa_float_denorm_mode_16_64 3
		.amdhsa_dx10_clamp 1
		.amdhsa_ieee_mode 1
		.amdhsa_fp16_overflow 0
		.amdhsa_tg_split 0
		.amdhsa_exception_fp_ieee_invalid_op 0
		.amdhsa_exception_fp_denorm_src 0
		.amdhsa_exception_fp_ieee_div_zero 0
		.amdhsa_exception_fp_ieee_overflow 0
		.amdhsa_exception_fp_ieee_underflow 0
		.amdhsa_exception_fp_ieee_inexact 0
		.amdhsa_exception_int_div_zero 0
	.end_amdhsa_kernel
	.section	.text._ZN7rocprim17ROCPRIM_400000_NS6detail44device_merge_sort_compile_time_verifier_archINS1_11comp_targetILNS1_3genE4ELNS1_11target_archE910ELNS1_3gpuE8ELNS1_3repE0EEES8_NS0_14default_configES9_NS1_37merge_sort_block_sort_config_selectorIN6thrust23THRUST_200600_302600_NS4pairIiiEENS0_10empty_typeEEENS1_38merge_sort_block_merge_config_selectorISE_SF_EEEEvv,"axG",@progbits,_ZN7rocprim17ROCPRIM_400000_NS6detail44device_merge_sort_compile_time_verifier_archINS1_11comp_targetILNS1_3genE4ELNS1_11target_archE910ELNS1_3gpuE8ELNS1_3repE0EEES8_NS0_14default_configES9_NS1_37merge_sort_block_sort_config_selectorIN6thrust23THRUST_200600_302600_NS4pairIiiEENS0_10empty_typeEEENS1_38merge_sort_block_merge_config_selectorISE_SF_EEEEvv,comdat
.Lfunc_end617:
	.size	_ZN7rocprim17ROCPRIM_400000_NS6detail44device_merge_sort_compile_time_verifier_archINS1_11comp_targetILNS1_3genE4ELNS1_11target_archE910ELNS1_3gpuE8ELNS1_3repE0EEES8_NS0_14default_configES9_NS1_37merge_sort_block_sort_config_selectorIN6thrust23THRUST_200600_302600_NS4pairIiiEENS0_10empty_typeEEENS1_38merge_sort_block_merge_config_selectorISE_SF_EEEEvv, .Lfunc_end617-_ZN7rocprim17ROCPRIM_400000_NS6detail44device_merge_sort_compile_time_verifier_archINS1_11comp_targetILNS1_3genE4ELNS1_11target_archE910ELNS1_3gpuE8ELNS1_3repE0EEES8_NS0_14default_configES9_NS1_37merge_sort_block_sort_config_selectorIN6thrust23THRUST_200600_302600_NS4pairIiiEENS0_10empty_typeEEENS1_38merge_sort_block_merge_config_selectorISE_SF_EEEEvv
                                        ; -- End function
	.set _ZN7rocprim17ROCPRIM_400000_NS6detail44device_merge_sort_compile_time_verifier_archINS1_11comp_targetILNS1_3genE4ELNS1_11target_archE910ELNS1_3gpuE8ELNS1_3repE0EEES8_NS0_14default_configES9_NS1_37merge_sort_block_sort_config_selectorIN6thrust23THRUST_200600_302600_NS4pairIiiEENS0_10empty_typeEEENS1_38merge_sort_block_merge_config_selectorISE_SF_EEEEvv.num_vgpr, 0
	.set _ZN7rocprim17ROCPRIM_400000_NS6detail44device_merge_sort_compile_time_verifier_archINS1_11comp_targetILNS1_3genE4ELNS1_11target_archE910ELNS1_3gpuE8ELNS1_3repE0EEES8_NS0_14default_configES9_NS1_37merge_sort_block_sort_config_selectorIN6thrust23THRUST_200600_302600_NS4pairIiiEENS0_10empty_typeEEENS1_38merge_sort_block_merge_config_selectorISE_SF_EEEEvv.num_agpr, 0
	.set _ZN7rocprim17ROCPRIM_400000_NS6detail44device_merge_sort_compile_time_verifier_archINS1_11comp_targetILNS1_3genE4ELNS1_11target_archE910ELNS1_3gpuE8ELNS1_3repE0EEES8_NS0_14default_configES9_NS1_37merge_sort_block_sort_config_selectorIN6thrust23THRUST_200600_302600_NS4pairIiiEENS0_10empty_typeEEENS1_38merge_sort_block_merge_config_selectorISE_SF_EEEEvv.numbered_sgpr, 0
	.set _ZN7rocprim17ROCPRIM_400000_NS6detail44device_merge_sort_compile_time_verifier_archINS1_11comp_targetILNS1_3genE4ELNS1_11target_archE910ELNS1_3gpuE8ELNS1_3repE0EEES8_NS0_14default_configES9_NS1_37merge_sort_block_sort_config_selectorIN6thrust23THRUST_200600_302600_NS4pairIiiEENS0_10empty_typeEEENS1_38merge_sort_block_merge_config_selectorISE_SF_EEEEvv.num_named_barrier, 0
	.set _ZN7rocprim17ROCPRIM_400000_NS6detail44device_merge_sort_compile_time_verifier_archINS1_11comp_targetILNS1_3genE4ELNS1_11target_archE910ELNS1_3gpuE8ELNS1_3repE0EEES8_NS0_14default_configES9_NS1_37merge_sort_block_sort_config_selectorIN6thrust23THRUST_200600_302600_NS4pairIiiEENS0_10empty_typeEEENS1_38merge_sort_block_merge_config_selectorISE_SF_EEEEvv.private_seg_size, 0
	.set _ZN7rocprim17ROCPRIM_400000_NS6detail44device_merge_sort_compile_time_verifier_archINS1_11comp_targetILNS1_3genE4ELNS1_11target_archE910ELNS1_3gpuE8ELNS1_3repE0EEES8_NS0_14default_configES9_NS1_37merge_sort_block_sort_config_selectorIN6thrust23THRUST_200600_302600_NS4pairIiiEENS0_10empty_typeEEENS1_38merge_sort_block_merge_config_selectorISE_SF_EEEEvv.uses_vcc, 0
	.set _ZN7rocprim17ROCPRIM_400000_NS6detail44device_merge_sort_compile_time_verifier_archINS1_11comp_targetILNS1_3genE4ELNS1_11target_archE910ELNS1_3gpuE8ELNS1_3repE0EEES8_NS0_14default_configES9_NS1_37merge_sort_block_sort_config_selectorIN6thrust23THRUST_200600_302600_NS4pairIiiEENS0_10empty_typeEEENS1_38merge_sort_block_merge_config_selectorISE_SF_EEEEvv.uses_flat_scratch, 0
	.set _ZN7rocprim17ROCPRIM_400000_NS6detail44device_merge_sort_compile_time_verifier_archINS1_11comp_targetILNS1_3genE4ELNS1_11target_archE910ELNS1_3gpuE8ELNS1_3repE0EEES8_NS0_14default_configES9_NS1_37merge_sort_block_sort_config_selectorIN6thrust23THRUST_200600_302600_NS4pairIiiEENS0_10empty_typeEEENS1_38merge_sort_block_merge_config_selectorISE_SF_EEEEvv.has_dyn_sized_stack, 0
	.set _ZN7rocprim17ROCPRIM_400000_NS6detail44device_merge_sort_compile_time_verifier_archINS1_11comp_targetILNS1_3genE4ELNS1_11target_archE910ELNS1_3gpuE8ELNS1_3repE0EEES8_NS0_14default_configES9_NS1_37merge_sort_block_sort_config_selectorIN6thrust23THRUST_200600_302600_NS4pairIiiEENS0_10empty_typeEEENS1_38merge_sort_block_merge_config_selectorISE_SF_EEEEvv.has_recursion, 0
	.set _ZN7rocprim17ROCPRIM_400000_NS6detail44device_merge_sort_compile_time_verifier_archINS1_11comp_targetILNS1_3genE4ELNS1_11target_archE910ELNS1_3gpuE8ELNS1_3repE0EEES8_NS0_14default_configES9_NS1_37merge_sort_block_sort_config_selectorIN6thrust23THRUST_200600_302600_NS4pairIiiEENS0_10empty_typeEEENS1_38merge_sort_block_merge_config_selectorISE_SF_EEEEvv.has_indirect_call, 0
	.section	.AMDGPU.csdata,"",@progbits
; Kernel info:
; codeLenInByte = 4
; TotalNumSgprs: 6
; NumVgprs: 0
; NumAgprs: 0
; TotalNumVgprs: 0
; ScratchSize: 0
; MemoryBound: 0
; FloatMode: 240
; IeeeMode: 1
; LDSByteSize: 0 bytes/workgroup (compile time only)
; SGPRBlocks: 0
; VGPRBlocks: 0
; NumSGPRsForWavesPerEU: 6
; NumVGPRsForWavesPerEU: 1
; AccumOffset: 4
; Occupancy: 8
; WaveLimiterHint : 0
; COMPUTE_PGM_RSRC2:SCRATCH_EN: 0
; COMPUTE_PGM_RSRC2:USER_SGPR: 0
; COMPUTE_PGM_RSRC2:TRAP_HANDLER: 0
; COMPUTE_PGM_RSRC2:TGID_X_EN: 1
; COMPUTE_PGM_RSRC2:TGID_Y_EN: 0
; COMPUTE_PGM_RSRC2:TGID_Z_EN: 0
; COMPUTE_PGM_RSRC2:TIDIG_COMP_CNT: 0
; COMPUTE_PGM_RSRC3_GFX90A:ACCUM_OFFSET: 0
; COMPUTE_PGM_RSRC3_GFX90A:TG_SPLIT: 0
	.section	.text._ZN7rocprim17ROCPRIM_400000_NS6detail44device_merge_sort_compile_time_verifier_archINS1_11comp_targetILNS1_3genE3ELNS1_11target_archE908ELNS1_3gpuE7ELNS1_3repE0EEES8_NS0_14default_configES9_NS1_37merge_sort_block_sort_config_selectorIN6thrust23THRUST_200600_302600_NS4pairIiiEENS0_10empty_typeEEENS1_38merge_sort_block_merge_config_selectorISE_SF_EEEEvv,"axG",@progbits,_ZN7rocprim17ROCPRIM_400000_NS6detail44device_merge_sort_compile_time_verifier_archINS1_11comp_targetILNS1_3genE3ELNS1_11target_archE908ELNS1_3gpuE7ELNS1_3repE0EEES8_NS0_14default_configES9_NS1_37merge_sort_block_sort_config_selectorIN6thrust23THRUST_200600_302600_NS4pairIiiEENS0_10empty_typeEEENS1_38merge_sort_block_merge_config_selectorISE_SF_EEEEvv,comdat
	.protected	_ZN7rocprim17ROCPRIM_400000_NS6detail44device_merge_sort_compile_time_verifier_archINS1_11comp_targetILNS1_3genE3ELNS1_11target_archE908ELNS1_3gpuE7ELNS1_3repE0EEES8_NS0_14default_configES9_NS1_37merge_sort_block_sort_config_selectorIN6thrust23THRUST_200600_302600_NS4pairIiiEENS0_10empty_typeEEENS1_38merge_sort_block_merge_config_selectorISE_SF_EEEEvv ; -- Begin function _ZN7rocprim17ROCPRIM_400000_NS6detail44device_merge_sort_compile_time_verifier_archINS1_11comp_targetILNS1_3genE3ELNS1_11target_archE908ELNS1_3gpuE7ELNS1_3repE0EEES8_NS0_14default_configES9_NS1_37merge_sort_block_sort_config_selectorIN6thrust23THRUST_200600_302600_NS4pairIiiEENS0_10empty_typeEEENS1_38merge_sort_block_merge_config_selectorISE_SF_EEEEvv
	.globl	_ZN7rocprim17ROCPRIM_400000_NS6detail44device_merge_sort_compile_time_verifier_archINS1_11comp_targetILNS1_3genE3ELNS1_11target_archE908ELNS1_3gpuE7ELNS1_3repE0EEES8_NS0_14default_configES9_NS1_37merge_sort_block_sort_config_selectorIN6thrust23THRUST_200600_302600_NS4pairIiiEENS0_10empty_typeEEENS1_38merge_sort_block_merge_config_selectorISE_SF_EEEEvv
	.p2align	8
	.type	_ZN7rocprim17ROCPRIM_400000_NS6detail44device_merge_sort_compile_time_verifier_archINS1_11comp_targetILNS1_3genE3ELNS1_11target_archE908ELNS1_3gpuE7ELNS1_3repE0EEES8_NS0_14default_configES9_NS1_37merge_sort_block_sort_config_selectorIN6thrust23THRUST_200600_302600_NS4pairIiiEENS0_10empty_typeEEENS1_38merge_sort_block_merge_config_selectorISE_SF_EEEEvv,@function
_ZN7rocprim17ROCPRIM_400000_NS6detail44device_merge_sort_compile_time_verifier_archINS1_11comp_targetILNS1_3genE3ELNS1_11target_archE908ELNS1_3gpuE7ELNS1_3repE0EEES8_NS0_14default_configES9_NS1_37merge_sort_block_sort_config_selectorIN6thrust23THRUST_200600_302600_NS4pairIiiEENS0_10empty_typeEEENS1_38merge_sort_block_merge_config_selectorISE_SF_EEEEvv: ; @_ZN7rocprim17ROCPRIM_400000_NS6detail44device_merge_sort_compile_time_verifier_archINS1_11comp_targetILNS1_3genE3ELNS1_11target_archE908ELNS1_3gpuE7ELNS1_3repE0EEES8_NS0_14default_configES9_NS1_37merge_sort_block_sort_config_selectorIN6thrust23THRUST_200600_302600_NS4pairIiiEENS0_10empty_typeEEENS1_38merge_sort_block_merge_config_selectorISE_SF_EEEEvv
; %bb.0:
	s_endpgm
	.section	.rodata,"a",@progbits
	.p2align	6, 0x0
	.amdhsa_kernel _ZN7rocprim17ROCPRIM_400000_NS6detail44device_merge_sort_compile_time_verifier_archINS1_11comp_targetILNS1_3genE3ELNS1_11target_archE908ELNS1_3gpuE7ELNS1_3repE0EEES8_NS0_14default_configES9_NS1_37merge_sort_block_sort_config_selectorIN6thrust23THRUST_200600_302600_NS4pairIiiEENS0_10empty_typeEEENS1_38merge_sort_block_merge_config_selectorISE_SF_EEEEvv
		.amdhsa_group_segment_fixed_size 0
		.amdhsa_private_segment_fixed_size 0
		.amdhsa_kernarg_size 0
		.amdhsa_user_sgpr_count 0
		.amdhsa_user_sgpr_dispatch_ptr 0
		.amdhsa_user_sgpr_queue_ptr 0
		.amdhsa_user_sgpr_kernarg_segment_ptr 0
		.amdhsa_user_sgpr_dispatch_id 0
		.amdhsa_user_sgpr_kernarg_preload_length 0
		.amdhsa_user_sgpr_kernarg_preload_offset 0
		.amdhsa_user_sgpr_private_segment_size 0
		.amdhsa_uses_dynamic_stack 0
		.amdhsa_enable_private_segment 0
		.amdhsa_system_sgpr_workgroup_id_x 1
		.amdhsa_system_sgpr_workgroup_id_y 0
		.amdhsa_system_sgpr_workgroup_id_z 0
		.amdhsa_system_sgpr_workgroup_info 0
		.amdhsa_system_vgpr_workitem_id 0
		.amdhsa_next_free_vgpr 1
		.amdhsa_next_free_sgpr 0
		.amdhsa_accum_offset 4
		.amdhsa_reserve_vcc 0
		.amdhsa_float_round_mode_32 0
		.amdhsa_float_round_mode_16_64 0
		.amdhsa_float_denorm_mode_32 3
		.amdhsa_float_denorm_mode_16_64 3
		.amdhsa_dx10_clamp 1
		.amdhsa_ieee_mode 1
		.amdhsa_fp16_overflow 0
		.amdhsa_tg_split 0
		.amdhsa_exception_fp_ieee_invalid_op 0
		.amdhsa_exception_fp_denorm_src 0
		.amdhsa_exception_fp_ieee_div_zero 0
		.amdhsa_exception_fp_ieee_overflow 0
		.amdhsa_exception_fp_ieee_underflow 0
		.amdhsa_exception_fp_ieee_inexact 0
		.amdhsa_exception_int_div_zero 0
	.end_amdhsa_kernel
	.section	.text._ZN7rocprim17ROCPRIM_400000_NS6detail44device_merge_sort_compile_time_verifier_archINS1_11comp_targetILNS1_3genE3ELNS1_11target_archE908ELNS1_3gpuE7ELNS1_3repE0EEES8_NS0_14default_configES9_NS1_37merge_sort_block_sort_config_selectorIN6thrust23THRUST_200600_302600_NS4pairIiiEENS0_10empty_typeEEENS1_38merge_sort_block_merge_config_selectorISE_SF_EEEEvv,"axG",@progbits,_ZN7rocprim17ROCPRIM_400000_NS6detail44device_merge_sort_compile_time_verifier_archINS1_11comp_targetILNS1_3genE3ELNS1_11target_archE908ELNS1_3gpuE7ELNS1_3repE0EEES8_NS0_14default_configES9_NS1_37merge_sort_block_sort_config_selectorIN6thrust23THRUST_200600_302600_NS4pairIiiEENS0_10empty_typeEEENS1_38merge_sort_block_merge_config_selectorISE_SF_EEEEvv,comdat
.Lfunc_end618:
	.size	_ZN7rocprim17ROCPRIM_400000_NS6detail44device_merge_sort_compile_time_verifier_archINS1_11comp_targetILNS1_3genE3ELNS1_11target_archE908ELNS1_3gpuE7ELNS1_3repE0EEES8_NS0_14default_configES9_NS1_37merge_sort_block_sort_config_selectorIN6thrust23THRUST_200600_302600_NS4pairIiiEENS0_10empty_typeEEENS1_38merge_sort_block_merge_config_selectorISE_SF_EEEEvv, .Lfunc_end618-_ZN7rocprim17ROCPRIM_400000_NS6detail44device_merge_sort_compile_time_verifier_archINS1_11comp_targetILNS1_3genE3ELNS1_11target_archE908ELNS1_3gpuE7ELNS1_3repE0EEES8_NS0_14default_configES9_NS1_37merge_sort_block_sort_config_selectorIN6thrust23THRUST_200600_302600_NS4pairIiiEENS0_10empty_typeEEENS1_38merge_sort_block_merge_config_selectorISE_SF_EEEEvv
                                        ; -- End function
	.set _ZN7rocprim17ROCPRIM_400000_NS6detail44device_merge_sort_compile_time_verifier_archINS1_11comp_targetILNS1_3genE3ELNS1_11target_archE908ELNS1_3gpuE7ELNS1_3repE0EEES8_NS0_14default_configES9_NS1_37merge_sort_block_sort_config_selectorIN6thrust23THRUST_200600_302600_NS4pairIiiEENS0_10empty_typeEEENS1_38merge_sort_block_merge_config_selectorISE_SF_EEEEvv.num_vgpr, 0
	.set _ZN7rocprim17ROCPRIM_400000_NS6detail44device_merge_sort_compile_time_verifier_archINS1_11comp_targetILNS1_3genE3ELNS1_11target_archE908ELNS1_3gpuE7ELNS1_3repE0EEES8_NS0_14default_configES9_NS1_37merge_sort_block_sort_config_selectorIN6thrust23THRUST_200600_302600_NS4pairIiiEENS0_10empty_typeEEENS1_38merge_sort_block_merge_config_selectorISE_SF_EEEEvv.num_agpr, 0
	.set _ZN7rocprim17ROCPRIM_400000_NS6detail44device_merge_sort_compile_time_verifier_archINS1_11comp_targetILNS1_3genE3ELNS1_11target_archE908ELNS1_3gpuE7ELNS1_3repE0EEES8_NS0_14default_configES9_NS1_37merge_sort_block_sort_config_selectorIN6thrust23THRUST_200600_302600_NS4pairIiiEENS0_10empty_typeEEENS1_38merge_sort_block_merge_config_selectorISE_SF_EEEEvv.numbered_sgpr, 0
	.set _ZN7rocprim17ROCPRIM_400000_NS6detail44device_merge_sort_compile_time_verifier_archINS1_11comp_targetILNS1_3genE3ELNS1_11target_archE908ELNS1_3gpuE7ELNS1_3repE0EEES8_NS0_14default_configES9_NS1_37merge_sort_block_sort_config_selectorIN6thrust23THRUST_200600_302600_NS4pairIiiEENS0_10empty_typeEEENS1_38merge_sort_block_merge_config_selectorISE_SF_EEEEvv.num_named_barrier, 0
	.set _ZN7rocprim17ROCPRIM_400000_NS6detail44device_merge_sort_compile_time_verifier_archINS1_11comp_targetILNS1_3genE3ELNS1_11target_archE908ELNS1_3gpuE7ELNS1_3repE0EEES8_NS0_14default_configES9_NS1_37merge_sort_block_sort_config_selectorIN6thrust23THRUST_200600_302600_NS4pairIiiEENS0_10empty_typeEEENS1_38merge_sort_block_merge_config_selectorISE_SF_EEEEvv.private_seg_size, 0
	.set _ZN7rocprim17ROCPRIM_400000_NS6detail44device_merge_sort_compile_time_verifier_archINS1_11comp_targetILNS1_3genE3ELNS1_11target_archE908ELNS1_3gpuE7ELNS1_3repE0EEES8_NS0_14default_configES9_NS1_37merge_sort_block_sort_config_selectorIN6thrust23THRUST_200600_302600_NS4pairIiiEENS0_10empty_typeEEENS1_38merge_sort_block_merge_config_selectorISE_SF_EEEEvv.uses_vcc, 0
	.set _ZN7rocprim17ROCPRIM_400000_NS6detail44device_merge_sort_compile_time_verifier_archINS1_11comp_targetILNS1_3genE3ELNS1_11target_archE908ELNS1_3gpuE7ELNS1_3repE0EEES8_NS0_14default_configES9_NS1_37merge_sort_block_sort_config_selectorIN6thrust23THRUST_200600_302600_NS4pairIiiEENS0_10empty_typeEEENS1_38merge_sort_block_merge_config_selectorISE_SF_EEEEvv.uses_flat_scratch, 0
	.set _ZN7rocprim17ROCPRIM_400000_NS6detail44device_merge_sort_compile_time_verifier_archINS1_11comp_targetILNS1_3genE3ELNS1_11target_archE908ELNS1_3gpuE7ELNS1_3repE0EEES8_NS0_14default_configES9_NS1_37merge_sort_block_sort_config_selectorIN6thrust23THRUST_200600_302600_NS4pairIiiEENS0_10empty_typeEEENS1_38merge_sort_block_merge_config_selectorISE_SF_EEEEvv.has_dyn_sized_stack, 0
	.set _ZN7rocprim17ROCPRIM_400000_NS6detail44device_merge_sort_compile_time_verifier_archINS1_11comp_targetILNS1_3genE3ELNS1_11target_archE908ELNS1_3gpuE7ELNS1_3repE0EEES8_NS0_14default_configES9_NS1_37merge_sort_block_sort_config_selectorIN6thrust23THRUST_200600_302600_NS4pairIiiEENS0_10empty_typeEEENS1_38merge_sort_block_merge_config_selectorISE_SF_EEEEvv.has_recursion, 0
	.set _ZN7rocprim17ROCPRIM_400000_NS6detail44device_merge_sort_compile_time_verifier_archINS1_11comp_targetILNS1_3genE3ELNS1_11target_archE908ELNS1_3gpuE7ELNS1_3repE0EEES8_NS0_14default_configES9_NS1_37merge_sort_block_sort_config_selectorIN6thrust23THRUST_200600_302600_NS4pairIiiEENS0_10empty_typeEEENS1_38merge_sort_block_merge_config_selectorISE_SF_EEEEvv.has_indirect_call, 0
	.section	.AMDGPU.csdata,"",@progbits
; Kernel info:
; codeLenInByte = 4
; TotalNumSgprs: 6
; NumVgprs: 0
; NumAgprs: 0
; TotalNumVgprs: 0
; ScratchSize: 0
; MemoryBound: 0
; FloatMode: 240
; IeeeMode: 1
; LDSByteSize: 0 bytes/workgroup (compile time only)
; SGPRBlocks: 0
; VGPRBlocks: 0
; NumSGPRsForWavesPerEU: 6
; NumVGPRsForWavesPerEU: 1
; AccumOffset: 4
; Occupancy: 8
; WaveLimiterHint : 0
; COMPUTE_PGM_RSRC2:SCRATCH_EN: 0
; COMPUTE_PGM_RSRC2:USER_SGPR: 0
; COMPUTE_PGM_RSRC2:TRAP_HANDLER: 0
; COMPUTE_PGM_RSRC2:TGID_X_EN: 1
; COMPUTE_PGM_RSRC2:TGID_Y_EN: 0
; COMPUTE_PGM_RSRC2:TGID_Z_EN: 0
; COMPUTE_PGM_RSRC2:TIDIG_COMP_CNT: 0
; COMPUTE_PGM_RSRC3_GFX90A:ACCUM_OFFSET: 0
; COMPUTE_PGM_RSRC3_GFX90A:TG_SPLIT: 0
	.section	.text._ZN7rocprim17ROCPRIM_400000_NS6detail44device_merge_sort_compile_time_verifier_archINS1_11comp_targetILNS1_3genE2ELNS1_11target_archE906ELNS1_3gpuE6ELNS1_3repE0EEES8_NS0_14default_configES9_NS1_37merge_sort_block_sort_config_selectorIN6thrust23THRUST_200600_302600_NS4pairIiiEENS0_10empty_typeEEENS1_38merge_sort_block_merge_config_selectorISE_SF_EEEEvv,"axG",@progbits,_ZN7rocprim17ROCPRIM_400000_NS6detail44device_merge_sort_compile_time_verifier_archINS1_11comp_targetILNS1_3genE2ELNS1_11target_archE906ELNS1_3gpuE6ELNS1_3repE0EEES8_NS0_14default_configES9_NS1_37merge_sort_block_sort_config_selectorIN6thrust23THRUST_200600_302600_NS4pairIiiEENS0_10empty_typeEEENS1_38merge_sort_block_merge_config_selectorISE_SF_EEEEvv,comdat
	.protected	_ZN7rocprim17ROCPRIM_400000_NS6detail44device_merge_sort_compile_time_verifier_archINS1_11comp_targetILNS1_3genE2ELNS1_11target_archE906ELNS1_3gpuE6ELNS1_3repE0EEES8_NS0_14default_configES9_NS1_37merge_sort_block_sort_config_selectorIN6thrust23THRUST_200600_302600_NS4pairIiiEENS0_10empty_typeEEENS1_38merge_sort_block_merge_config_selectorISE_SF_EEEEvv ; -- Begin function _ZN7rocprim17ROCPRIM_400000_NS6detail44device_merge_sort_compile_time_verifier_archINS1_11comp_targetILNS1_3genE2ELNS1_11target_archE906ELNS1_3gpuE6ELNS1_3repE0EEES8_NS0_14default_configES9_NS1_37merge_sort_block_sort_config_selectorIN6thrust23THRUST_200600_302600_NS4pairIiiEENS0_10empty_typeEEENS1_38merge_sort_block_merge_config_selectorISE_SF_EEEEvv
	.globl	_ZN7rocprim17ROCPRIM_400000_NS6detail44device_merge_sort_compile_time_verifier_archINS1_11comp_targetILNS1_3genE2ELNS1_11target_archE906ELNS1_3gpuE6ELNS1_3repE0EEES8_NS0_14default_configES9_NS1_37merge_sort_block_sort_config_selectorIN6thrust23THRUST_200600_302600_NS4pairIiiEENS0_10empty_typeEEENS1_38merge_sort_block_merge_config_selectorISE_SF_EEEEvv
	.p2align	8
	.type	_ZN7rocprim17ROCPRIM_400000_NS6detail44device_merge_sort_compile_time_verifier_archINS1_11comp_targetILNS1_3genE2ELNS1_11target_archE906ELNS1_3gpuE6ELNS1_3repE0EEES8_NS0_14default_configES9_NS1_37merge_sort_block_sort_config_selectorIN6thrust23THRUST_200600_302600_NS4pairIiiEENS0_10empty_typeEEENS1_38merge_sort_block_merge_config_selectorISE_SF_EEEEvv,@function
_ZN7rocprim17ROCPRIM_400000_NS6detail44device_merge_sort_compile_time_verifier_archINS1_11comp_targetILNS1_3genE2ELNS1_11target_archE906ELNS1_3gpuE6ELNS1_3repE0EEES8_NS0_14default_configES9_NS1_37merge_sort_block_sort_config_selectorIN6thrust23THRUST_200600_302600_NS4pairIiiEENS0_10empty_typeEEENS1_38merge_sort_block_merge_config_selectorISE_SF_EEEEvv: ; @_ZN7rocprim17ROCPRIM_400000_NS6detail44device_merge_sort_compile_time_verifier_archINS1_11comp_targetILNS1_3genE2ELNS1_11target_archE906ELNS1_3gpuE6ELNS1_3repE0EEES8_NS0_14default_configES9_NS1_37merge_sort_block_sort_config_selectorIN6thrust23THRUST_200600_302600_NS4pairIiiEENS0_10empty_typeEEENS1_38merge_sort_block_merge_config_selectorISE_SF_EEEEvv
; %bb.0:
	s_endpgm
	.section	.rodata,"a",@progbits
	.p2align	6, 0x0
	.amdhsa_kernel _ZN7rocprim17ROCPRIM_400000_NS6detail44device_merge_sort_compile_time_verifier_archINS1_11comp_targetILNS1_3genE2ELNS1_11target_archE906ELNS1_3gpuE6ELNS1_3repE0EEES8_NS0_14default_configES9_NS1_37merge_sort_block_sort_config_selectorIN6thrust23THRUST_200600_302600_NS4pairIiiEENS0_10empty_typeEEENS1_38merge_sort_block_merge_config_selectorISE_SF_EEEEvv
		.amdhsa_group_segment_fixed_size 0
		.amdhsa_private_segment_fixed_size 0
		.amdhsa_kernarg_size 0
		.amdhsa_user_sgpr_count 0
		.amdhsa_user_sgpr_dispatch_ptr 0
		.amdhsa_user_sgpr_queue_ptr 0
		.amdhsa_user_sgpr_kernarg_segment_ptr 0
		.amdhsa_user_sgpr_dispatch_id 0
		.amdhsa_user_sgpr_kernarg_preload_length 0
		.amdhsa_user_sgpr_kernarg_preload_offset 0
		.amdhsa_user_sgpr_private_segment_size 0
		.amdhsa_uses_dynamic_stack 0
		.amdhsa_enable_private_segment 0
		.amdhsa_system_sgpr_workgroup_id_x 1
		.amdhsa_system_sgpr_workgroup_id_y 0
		.amdhsa_system_sgpr_workgroup_id_z 0
		.amdhsa_system_sgpr_workgroup_info 0
		.amdhsa_system_vgpr_workitem_id 0
		.amdhsa_next_free_vgpr 1
		.amdhsa_next_free_sgpr 0
		.amdhsa_accum_offset 4
		.amdhsa_reserve_vcc 0
		.amdhsa_float_round_mode_32 0
		.amdhsa_float_round_mode_16_64 0
		.amdhsa_float_denorm_mode_32 3
		.amdhsa_float_denorm_mode_16_64 3
		.amdhsa_dx10_clamp 1
		.amdhsa_ieee_mode 1
		.amdhsa_fp16_overflow 0
		.amdhsa_tg_split 0
		.amdhsa_exception_fp_ieee_invalid_op 0
		.amdhsa_exception_fp_denorm_src 0
		.amdhsa_exception_fp_ieee_div_zero 0
		.amdhsa_exception_fp_ieee_overflow 0
		.amdhsa_exception_fp_ieee_underflow 0
		.amdhsa_exception_fp_ieee_inexact 0
		.amdhsa_exception_int_div_zero 0
	.end_amdhsa_kernel
	.section	.text._ZN7rocprim17ROCPRIM_400000_NS6detail44device_merge_sort_compile_time_verifier_archINS1_11comp_targetILNS1_3genE2ELNS1_11target_archE906ELNS1_3gpuE6ELNS1_3repE0EEES8_NS0_14default_configES9_NS1_37merge_sort_block_sort_config_selectorIN6thrust23THRUST_200600_302600_NS4pairIiiEENS0_10empty_typeEEENS1_38merge_sort_block_merge_config_selectorISE_SF_EEEEvv,"axG",@progbits,_ZN7rocprim17ROCPRIM_400000_NS6detail44device_merge_sort_compile_time_verifier_archINS1_11comp_targetILNS1_3genE2ELNS1_11target_archE906ELNS1_3gpuE6ELNS1_3repE0EEES8_NS0_14default_configES9_NS1_37merge_sort_block_sort_config_selectorIN6thrust23THRUST_200600_302600_NS4pairIiiEENS0_10empty_typeEEENS1_38merge_sort_block_merge_config_selectorISE_SF_EEEEvv,comdat
.Lfunc_end619:
	.size	_ZN7rocprim17ROCPRIM_400000_NS6detail44device_merge_sort_compile_time_verifier_archINS1_11comp_targetILNS1_3genE2ELNS1_11target_archE906ELNS1_3gpuE6ELNS1_3repE0EEES8_NS0_14default_configES9_NS1_37merge_sort_block_sort_config_selectorIN6thrust23THRUST_200600_302600_NS4pairIiiEENS0_10empty_typeEEENS1_38merge_sort_block_merge_config_selectorISE_SF_EEEEvv, .Lfunc_end619-_ZN7rocprim17ROCPRIM_400000_NS6detail44device_merge_sort_compile_time_verifier_archINS1_11comp_targetILNS1_3genE2ELNS1_11target_archE906ELNS1_3gpuE6ELNS1_3repE0EEES8_NS0_14default_configES9_NS1_37merge_sort_block_sort_config_selectorIN6thrust23THRUST_200600_302600_NS4pairIiiEENS0_10empty_typeEEENS1_38merge_sort_block_merge_config_selectorISE_SF_EEEEvv
                                        ; -- End function
	.set _ZN7rocprim17ROCPRIM_400000_NS6detail44device_merge_sort_compile_time_verifier_archINS1_11comp_targetILNS1_3genE2ELNS1_11target_archE906ELNS1_3gpuE6ELNS1_3repE0EEES8_NS0_14default_configES9_NS1_37merge_sort_block_sort_config_selectorIN6thrust23THRUST_200600_302600_NS4pairIiiEENS0_10empty_typeEEENS1_38merge_sort_block_merge_config_selectorISE_SF_EEEEvv.num_vgpr, 0
	.set _ZN7rocprim17ROCPRIM_400000_NS6detail44device_merge_sort_compile_time_verifier_archINS1_11comp_targetILNS1_3genE2ELNS1_11target_archE906ELNS1_3gpuE6ELNS1_3repE0EEES8_NS0_14default_configES9_NS1_37merge_sort_block_sort_config_selectorIN6thrust23THRUST_200600_302600_NS4pairIiiEENS0_10empty_typeEEENS1_38merge_sort_block_merge_config_selectorISE_SF_EEEEvv.num_agpr, 0
	.set _ZN7rocprim17ROCPRIM_400000_NS6detail44device_merge_sort_compile_time_verifier_archINS1_11comp_targetILNS1_3genE2ELNS1_11target_archE906ELNS1_3gpuE6ELNS1_3repE0EEES8_NS0_14default_configES9_NS1_37merge_sort_block_sort_config_selectorIN6thrust23THRUST_200600_302600_NS4pairIiiEENS0_10empty_typeEEENS1_38merge_sort_block_merge_config_selectorISE_SF_EEEEvv.numbered_sgpr, 0
	.set _ZN7rocprim17ROCPRIM_400000_NS6detail44device_merge_sort_compile_time_verifier_archINS1_11comp_targetILNS1_3genE2ELNS1_11target_archE906ELNS1_3gpuE6ELNS1_3repE0EEES8_NS0_14default_configES9_NS1_37merge_sort_block_sort_config_selectorIN6thrust23THRUST_200600_302600_NS4pairIiiEENS0_10empty_typeEEENS1_38merge_sort_block_merge_config_selectorISE_SF_EEEEvv.num_named_barrier, 0
	.set _ZN7rocprim17ROCPRIM_400000_NS6detail44device_merge_sort_compile_time_verifier_archINS1_11comp_targetILNS1_3genE2ELNS1_11target_archE906ELNS1_3gpuE6ELNS1_3repE0EEES8_NS0_14default_configES9_NS1_37merge_sort_block_sort_config_selectorIN6thrust23THRUST_200600_302600_NS4pairIiiEENS0_10empty_typeEEENS1_38merge_sort_block_merge_config_selectorISE_SF_EEEEvv.private_seg_size, 0
	.set _ZN7rocprim17ROCPRIM_400000_NS6detail44device_merge_sort_compile_time_verifier_archINS1_11comp_targetILNS1_3genE2ELNS1_11target_archE906ELNS1_3gpuE6ELNS1_3repE0EEES8_NS0_14default_configES9_NS1_37merge_sort_block_sort_config_selectorIN6thrust23THRUST_200600_302600_NS4pairIiiEENS0_10empty_typeEEENS1_38merge_sort_block_merge_config_selectorISE_SF_EEEEvv.uses_vcc, 0
	.set _ZN7rocprim17ROCPRIM_400000_NS6detail44device_merge_sort_compile_time_verifier_archINS1_11comp_targetILNS1_3genE2ELNS1_11target_archE906ELNS1_3gpuE6ELNS1_3repE0EEES8_NS0_14default_configES9_NS1_37merge_sort_block_sort_config_selectorIN6thrust23THRUST_200600_302600_NS4pairIiiEENS0_10empty_typeEEENS1_38merge_sort_block_merge_config_selectorISE_SF_EEEEvv.uses_flat_scratch, 0
	.set _ZN7rocprim17ROCPRIM_400000_NS6detail44device_merge_sort_compile_time_verifier_archINS1_11comp_targetILNS1_3genE2ELNS1_11target_archE906ELNS1_3gpuE6ELNS1_3repE0EEES8_NS0_14default_configES9_NS1_37merge_sort_block_sort_config_selectorIN6thrust23THRUST_200600_302600_NS4pairIiiEENS0_10empty_typeEEENS1_38merge_sort_block_merge_config_selectorISE_SF_EEEEvv.has_dyn_sized_stack, 0
	.set _ZN7rocprim17ROCPRIM_400000_NS6detail44device_merge_sort_compile_time_verifier_archINS1_11comp_targetILNS1_3genE2ELNS1_11target_archE906ELNS1_3gpuE6ELNS1_3repE0EEES8_NS0_14default_configES9_NS1_37merge_sort_block_sort_config_selectorIN6thrust23THRUST_200600_302600_NS4pairIiiEENS0_10empty_typeEEENS1_38merge_sort_block_merge_config_selectorISE_SF_EEEEvv.has_recursion, 0
	.set _ZN7rocprim17ROCPRIM_400000_NS6detail44device_merge_sort_compile_time_verifier_archINS1_11comp_targetILNS1_3genE2ELNS1_11target_archE906ELNS1_3gpuE6ELNS1_3repE0EEES8_NS0_14default_configES9_NS1_37merge_sort_block_sort_config_selectorIN6thrust23THRUST_200600_302600_NS4pairIiiEENS0_10empty_typeEEENS1_38merge_sort_block_merge_config_selectorISE_SF_EEEEvv.has_indirect_call, 0
	.section	.AMDGPU.csdata,"",@progbits
; Kernel info:
; codeLenInByte = 4
; TotalNumSgprs: 6
; NumVgprs: 0
; NumAgprs: 0
; TotalNumVgprs: 0
; ScratchSize: 0
; MemoryBound: 0
; FloatMode: 240
; IeeeMode: 1
; LDSByteSize: 0 bytes/workgroup (compile time only)
; SGPRBlocks: 0
; VGPRBlocks: 0
; NumSGPRsForWavesPerEU: 6
; NumVGPRsForWavesPerEU: 1
; AccumOffset: 4
; Occupancy: 8
; WaveLimiterHint : 0
; COMPUTE_PGM_RSRC2:SCRATCH_EN: 0
; COMPUTE_PGM_RSRC2:USER_SGPR: 0
; COMPUTE_PGM_RSRC2:TRAP_HANDLER: 0
; COMPUTE_PGM_RSRC2:TGID_X_EN: 1
; COMPUTE_PGM_RSRC2:TGID_Y_EN: 0
; COMPUTE_PGM_RSRC2:TGID_Z_EN: 0
; COMPUTE_PGM_RSRC2:TIDIG_COMP_CNT: 0
; COMPUTE_PGM_RSRC3_GFX90A:ACCUM_OFFSET: 0
; COMPUTE_PGM_RSRC3_GFX90A:TG_SPLIT: 0
	.section	.text._ZN7rocprim17ROCPRIM_400000_NS6detail44device_merge_sort_compile_time_verifier_archINS1_11comp_targetILNS1_3genE10ELNS1_11target_archE1201ELNS1_3gpuE5ELNS1_3repE0EEES8_NS0_14default_configES9_NS1_37merge_sort_block_sort_config_selectorIN6thrust23THRUST_200600_302600_NS4pairIiiEENS0_10empty_typeEEENS1_38merge_sort_block_merge_config_selectorISE_SF_EEEEvv,"axG",@progbits,_ZN7rocprim17ROCPRIM_400000_NS6detail44device_merge_sort_compile_time_verifier_archINS1_11comp_targetILNS1_3genE10ELNS1_11target_archE1201ELNS1_3gpuE5ELNS1_3repE0EEES8_NS0_14default_configES9_NS1_37merge_sort_block_sort_config_selectorIN6thrust23THRUST_200600_302600_NS4pairIiiEENS0_10empty_typeEEENS1_38merge_sort_block_merge_config_selectorISE_SF_EEEEvv,comdat
	.protected	_ZN7rocprim17ROCPRIM_400000_NS6detail44device_merge_sort_compile_time_verifier_archINS1_11comp_targetILNS1_3genE10ELNS1_11target_archE1201ELNS1_3gpuE5ELNS1_3repE0EEES8_NS0_14default_configES9_NS1_37merge_sort_block_sort_config_selectorIN6thrust23THRUST_200600_302600_NS4pairIiiEENS0_10empty_typeEEENS1_38merge_sort_block_merge_config_selectorISE_SF_EEEEvv ; -- Begin function _ZN7rocprim17ROCPRIM_400000_NS6detail44device_merge_sort_compile_time_verifier_archINS1_11comp_targetILNS1_3genE10ELNS1_11target_archE1201ELNS1_3gpuE5ELNS1_3repE0EEES8_NS0_14default_configES9_NS1_37merge_sort_block_sort_config_selectorIN6thrust23THRUST_200600_302600_NS4pairIiiEENS0_10empty_typeEEENS1_38merge_sort_block_merge_config_selectorISE_SF_EEEEvv
	.globl	_ZN7rocprim17ROCPRIM_400000_NS6detail44device_merge_sort_compile_time_verifier_archINS1_11comp_targetILNS1_3genE10ELNS1_11target_archE1201ELNS1_3gpuE5ELNS1_3repE0EEES8_NS0_14default_configES9_NS1_37merge_sort_block_sort_config_selectorIN6thrust23THRUST_200600_302600_NS4pairIiiEENS0_10empty_typeEEENS1_38merge_sort_block_merge_config_selectorISE_SF_EEEEvv
	.p2align	8
	.type	_ZN7rocprim17ROCPRIM_400000_NS6detail44device_merge_sort_compile_time_verifier_archINS1_11comp_targetILNS1_3genE10ELNS1_11target_archE1201ELNS1_3gpuE5ELNS1_3repE0EEES8_NS0_14default_configES9_NS1_37merge_sort_block_sort_config_selectorIN6thrust23THRUST_200600_302600_NS4pairIiiEENS0_10empty_typeEEENS1_38merge_sort_block_merge_config_selectorISE_SF_EEEEvv,@function
_ZN7rocprim17ROCPRIM_400000_NS6detail44device_merge_sort_compile_time_verifier_archINS1_11comp_targetILNS1_3genE10ELNS1_11target_archE1201ELNS1_3gpuE5ELNS1_3repE0EEES8_NS0_14default_configES9_NS1_37merge_sort_block_sort_config_selectorIN6thrust23THRUST_200600_302600_NS4pairIiiEENS0_10empty_typeEEENS1_38merge_sort_block_merge_config_selectorISE_SF_EEEEvv: ; @_ZN7rocprim17ROCPRIM_400000_NS6detail44device_merge_sort_compile_time_verifier_archINS1_11comp_targetILNS1_3genE10ELNS1_11target_archE1201ELNS1_3gpuE5ELNS1_3repE0EEES8_NS0_14default_configES9_NS1_37merge_sort_block_sort_config_selectorIN6thrust23THRUST_200600_302600_NS4pairIiiEENS0_10empty_typeEEENS1_38merge_sort_block_merge_config_selectorISE_SF_EEEEvv
; %bb.0:
	s_endpgm
	.section	.rodata,"a",@progbits
	.p2align	6, 0x0
	.amdhsa_kernel _ZN7rocprim17ROCPRIM_400000_NS6detail44device_merge_sort_compile_time_verifier_archINS1_11comp_targetILNS1_3genE10ELNS1_11target_archE1201ELNS1_3gpuE5ELNS1_3repE0EEES8_NS0_14default_configES9_NS1_37merge_sort_block_sort_config_selectorIN6thrust23THRUST_200600_302600_NS4pairIiiEENS0_10empty_typeEEENS1_38merge_sort_block_merge_config_selectorISE_SF_EEEEvv
		.amdhsa_group_segment_fixed_size 0
		.amdhsa_private_segment_fixed_size 0
		.amdhsa_kernarg_size 0
		.amdhsa_user_sgpr_count 0
		.amdhsa_user_sgpr_dispatch_ptr 0
		.amdhsa_user_sgpr_queue_ptr 0
		.amdhsa_user_sgpr_kernarg_segment_ptr 0
		.amdhsa_user_sgpr_dispatch_id 0
		.amdhsa_user_sgpr_kernarg_preload_length 0
		.amdhsa_user_sgpr_kernarg_preload_offset 0
		.amdhsa_user_sgpr_private_segment_size 0
		.amdhsa_uses_dynamic_stack 0
		.amdhsa_enable_private_segment 0
		.amdhsa_system_sgpr_workgroup_id_x 1
		.amdhsa_system_sgpr_workgroup_id_y 0
		.amdhsa_system_sgpr_workgroup_id_z 0
		.amdhsa_system_sgpr_workgroup_info 0
		.amdhsa_system_vgpr_workitem_id 0
		.amdhsa_next_free_vgpr 1
		.amdhsa_next_free_sgpr 0
		.amdhsa_accum_offset 4
		.amdhsa_reserve_vcc 0
		.amdhsa_float_round_mode_32 0
		.amdhsa_float_round_mode_16_64 0
		.amdhsa_float_denorm_mode_32 3
		.amdhsa_float_denorm_mode_16_64 3
		.amdhsa_dx10_clamp 1
		.amdhsa_ieee_mode 1
		.amdhsa_fp16_overflow 0
		.amdhsa_tg_split 0
		.amdhsa_exception_fp_ieee_invalid_op 0
		.amdhsa_exception_fp_denorm_src 0
		.amdhsa_exception_fp_ieee_div_zero 0
		.amdhsa_exception_fp_ieee_overflow 0
		.amdhsa_exception_fp_ieee_underflow 0
		.amdhsa_exception_fp_ieee_inexact 0
		.amdhsa_exception_int_div_zero 0
	.end_amdhsa_kernel
	.section	.text._ZN7rocprim17ROCPRIM_400000_NS6detail44device_merge_sort_compile_time_verifier_archINS1_11comp_targetILNS1_3genE10ELNS1_11target_archE1201ELNS1_3gpuE5ELNS1_3repE0EEES8_NS0_14default_configES9_NS1_37merge_sort_block_sort_config_selectorIN6thrust23THRUST_200600_302600_NS4pairIiiEENS0_10empty_typeEEENS1_38merge_sort_block_merge_config_selectorISE_SF_EEEEvv,"axG",@progbits,_ZN7rocprim17ROCPRIM_400000_NS6detail44device_merge_sort_compile_time_verifier_archINS1_11comp_targetILNS1_3genE10ELNS1_11target_archE1201ELNS1_3gpuE5ELNS1_3repE0EEES8_NS0_14default_configES9_NS1_37merge_sort_block_sort_config_selectorIN6thrust23THRUST_200600_302600_NS4pairIiiEENS0_10empty_typeEEENS1_38merge_sort_block_merge_config_selectorISE_SF_EEEEvv,comdat
.Lfunc_end620:
	.size	_ZN7rocprim17ROCPRIM_400000_NS6detail44device_merge_sort_compile_time_verifier_archINS1_11comp_targetILNS1_3genE10ELNS1_11target_archE1201ELNS1_3gpuE5ELNS1_3repE0EEES8_NS0_14default_configES9_NS1_37merge_sort_block_sort_config_selectorIN6thrust23THRUST_200600_302600_NS4pairIiiEENS0_10empty_typeEEENS1_38merge_sort_block_merge_config_selectorISE_SF_EEEEvv, .Lfunc_end620-_ZN7rocprim17ROCPRIM_400000_NS6detail44device_merge_sort_compile_time_verifier_archINS1_11comp_targetILNS1_3genE10ELNS1_11target_archE1201ELNS1_3gpuE5ELNS1_3repE0EEES8_NS0_14default_configES9_NS1_37merge_sort_block_sort_config_selectorIN6thrust23THRUST_200600_302600_NS4pairIiiEENS0_10empty_typeEEENS1_38merge_sort_block_merge_config_selectorISE_SF_EEEEvv
                                        ; -- End function
	.set _ZN7rocprim17ROCPRIM_400000_NS6detail44device_merge_sort_compile_time_verifier_archINS1_11comp_targetILNS1_3genE10ELNS1_11target_archE1201ELNS1_3gpuE5ELNS1_3repE0EEES8_NS0_14default_configES9_NS1_37merge_sort_block_sort_config_selectorIN6thrust23THRUST_200600_302600_NS4pairIiiEENS0_10empty_typeEEENS1_38merge_sort_block_merge_config_selectorISE_SF_EEEEvv.num_vgpr, 0
	.set _ZN7rocprim17ROCPRIM_400000_NS6detail44device_merge_sort_compile_time_verifier_archINS1_11comp_targetILNS1_3genE10ELNS1_11target_archE1201ELNS1_3gpuE5ELNS1_3repE0EEES8_NS0_14default_configES9_NS1_37merge_sort_block_sort_config_selectorIN6thrust23THRUST_200600_302600_NS4pairIiiEENS0_10empty_typeEEENS1_38merge_sort_block_merge_config_selectorISE_SF_EEEEvv.num_agpr, 0
	.set _ZN7rocprim17ROCPRIM_400000_NS6detail44device_merge_sort_compile_time_verifier_archINS1_11comp_targetILNS1_3genE10ELNS1_11target_archE1201ELNS1_3gpuE5ELNS1_3repE0EEES8_NS0_14default_configES9_NS1_37merge_sort_block_sort_config_selectorIN6thrust23THRUST_200600_302600_NS4pairIiiEENS0_10empty_typeEEENS1_38merge_sort_block_merge_config_selectorISE_SF_EEEEvv.numbered_sgpr, 0
	.set _ZN7rocprim17ROCPRIM_400000_NS6detail44device_merge_sort_compile_time_verifier_archINS1_11comp_targetILNS1_3genE10ELNS1_11target_archE1201ELNS1_3gpuE5ELNS1_3repE0EEES8_NS0_14default_configES9_NS1_37merge_sort_block_sort_config_selectorIN6thrust23THRUST_200600_302600_NS4pairIiiEENS0_10empty_typeEEENS1_38merge_sort_block_merge_config_selectorISE_SF_EEEEvv.num_named_barrier, 0
	.set _ZN7rocprim17ROCPRIM_400000_NS6detail44device_merge_sort_compile_time_verifier_archINS1_11comp_targetILNS1_3genE10ELNS1_11target_archE1201ELNS1_3gpuE5ELNS1_3repE0EEES8_NS0_14default_configES9_NS1_37merge_sort_block_sort_config_selectorIN6thrust23THRUST_200600_302600_NS4pairIiiEENS0_10empty_typeEEENS1_38merge_sort_block_merge_config_selectorISE_SF_EEEEvv.private_seg_size, 0
	.set _ZN7rocprim17ROCPRIM_400000_NS6detail44device_merge_sort_compile_time_verifier_archINS1_11comp_targetILNS1_3genE10ELNS1_11target_archE1201ELNS1_3gpuE5ELNS1_3repE0EEES8_NS0_14default_configES9_NS1_37merge_sort_block_sort_config_selectorIN6thrust23THRUST_200600_302600_NS4pairIiiEENS0_10empty_typeEEENS1_38merge_sort_block_merge_config_selectorISE_SF_EEEEvv.uses_vcc, 0
	.set _ZN7rocprim17ROCPRIM_400000_NS6detail44device_merge_sort_compile_time_verifier_archINS1_11comp_targetILNS1_3genE10ELNS1_11target_archE1201ELNS1_3gpuE5ELNS1_3repE0EEES8_NS0_14default_configES9_NS1_37merge_sort_block_sort_config_selectorIN6thrust23THRUST_200600_302600_NS4pairIiiEENS0_10empty_typeEEENS1_38merge_sort_block_merge_config_selectorISE_SF_EEEEvv.uses_flat_scratch, 0
	.set _ZN7rocprim17ROCPRIM_400000_NS6detail44device_merge_sort_compile_time_verifier_archINS1_11comp_targetILNS1_3genE10ELNS1_11target_archE1201ELNS1_3gpuE5ELNS1_3repE0EEES8_NS0_14default_configES9_NS1_37merge_sort_block_sort_config_selectorIN6thrust23THRUST_200600_302600_NS4pairIiiEENS0_10empty_typeEEENS1_38merge_sort_block_merge_config_selectorISE_SF_EEEEvv.has_dyn_sized_stack, 0
	.set _ZN7rocprim17ROCPRIM_400000_NS6detail44device_merge_sort_compile_time_verifier_archINS1_11comp_targetILNS1_3genE10ELNS1_11target_archE1201ELNS1_3gpuE5ELNS1_3repE0EEES8_NS0_14default_configES9_NS1_37merge_sort_block_sort_config_selectorIN6thrust23THRUST_200600_302600_NS4pairIiiEENS0_10empty_typeEEENS1_38merge_sort_block_merge_config_selectorISE_SF_EEEEvv.has_recursion, 0
	.set _ZN7rocprim17ROCPRIM_400000_NS6detail44device_merge_sort_compile_time_verifier_archINS1_11comp_targetILNS1_3genE10ELNS1_11target_archE1201ELNS1_3gpuE5ELNS1_3repE0EEES8_NS0_14default_configES9_NS1_37merge_sort_block_sort_config_selectorIN6thrust23THRUST_200600_302600_NS4pairIiiEENS0_10empty_typeEEENS1_38merge_sort_block_merge_config_selectorISE_SF_EEEEvv.has_indirect_call, 0
	.section	.AMDGPU.csdata,"",@progbits
; Kernel info:
; codeLenInByte = 4
; TotalNumSgprs: 6
; NumVgprs: 0
; NumAgprs: 0
; TotalNumVgprs: 0
; ScratchSize: 0
; MemoryBound: 0
; FloatMode: 240
; IeeeMode: 1
; LDSByteSize: 0 bytes/workgroup (compile time only)
; SGPRBlocks: 0
; VGPRBlocks: 0
; NumSGPRsForWavesPerEU: 6
; NumVGPRsForWavesPerEU: 1
; AccumOffset: 4
; Occupancy: 8
; WaveLimiterHint : 0
; COMPUTE_PGM_RSRC2:SCRATCH_EN: 0
; COMPUTE_PGM_RSRC2:USER_SGPR: 0
; COMPUTE_PGM_RSRC2:TRAP_HANDLER: 0
; COMPUTE_PGM_RSRC2:TGID_X_EN: 1
; COMPUTE_PGM_RSRC2:TGID_Y_EN: 0
; COMPUTE_PGM_RSRC2:TGID_Z_EN: 0
; COMPUTE_PGM_RSRC2:TIDIG_COMP_CNT: 0
; COMPUTE_PGM_RSRC3_GFX90A:ACCUM_OFFSET: 0
; COMPUTE_PGM_RSRC3_GFX90A:TG_SPLIT: 0
	.section	.text._ZN7rocprim17ROCPRIM_400000_NS6detail44device_merge_sort_compile_time_verifier_archINS1_11comp_targetILNS1_3genE10ELNS1_11target_archE1200ELNS1_3gpuE4ELNS1_3repE0EEENS3_ILS4_10ELS5_1201ELS6_5ELS7_0EEENS0_14default_configESA_NS1_37merge_sort_block_sort_config_selectorIN6thrust23THRUST_200600_302600_NS4pairIiiEENS0_10empty_typeEEENS1_38merge_sort_block_merge_config_selectorISF_SG_EEEEvv,"axG",@progbits,_ZN7rocprim17ROCPRIM_400000_NS6detail44device_merge_sort_compile_time_verifier_archINS1_11comp_targetILNS1_3genE10ELNS1_11target_archE1200ELNS1_3gpuE4ELNS1_3repE0EEENS3_ILS4_10ELS5_1201ELS6_5ELS7_0EEENS0_14default_configESA_NS1_37merge_sort_block_sort_config_selectorIN6thrust23THRUST_200600_302600_NS4pairIiiEENS0_10empty_typeEEENS1_38merge_sort_block_merge_config_selectorISF_SG_EEEEvv,comdat
	.protected	_ZN7rocprim17ROCPRIM_400000_NS6detail44device_merge_sort_compile_time_verifier_archINS1_11comp_targetILNS1_3genE10ELNS1_11target_archE1200ELNS1_3gpuE4ELNS1_3repE0EEENS3_ILS4_10ELS5_1201ELS6_5ELS7_0EEENS0_14default_configESA_NS1_37merge_sort_block_sort_config_selectorIN6thrust23THRUST_200600_302600_NS4pairIiiEENS0_10empty_typeEEENS1_38merge_sort_block_merge_config_selectorISF_SG_EEEEvv ; -- Begin function _ZN7rocprim17ROCPRIM_400000_NS6detail44device_merge_sort_compile_time_verifier_archINS1_11comp_targetILNS1_3genE10ELNS1_11target_archE1200ELNS1_3gpuE4ELNS1_3repE0EEENS3_ILS4_10ELS5_1201ELS6_5ELS7_0EEENS0_14default_configESA_NS1_37merge_sort_block_sort_config_selectorIN6thrust23THRUST_200600_302600_NS4pairIiiEENS0_10empty_typeEEENS1_38merge_sort_block_merge_config_selectorISF_SG_EEEEvv
	.globl	_ZN7rocprim17ROCPRIM_400000_NS6detail44device_merge_sort_compile_time_verifier_archINS1_11comp_targetILNS1_3genE10ELNS1_11target_archE1200ELNS1_3gpuE4ELNS1_3repE0EEENS3_ILS4_10ELS5_1201ELS6_5ELS7_0EEENS0_14default_configESA_NS1_37merge_sort_block_sort_config_selectorIN6thrust23THRUST_200600_302600_NS4pairIiiEENS0_10empty_typeEEENS1_38merge_sort_block_merge_config_selectorISF_SG_EEEEvv
	.p2align	8
	.type	_ZN7rocprim17ROCPRIM_400000_NS6detail44device_merge_sort_compile_time_verifier_archINS1_11comp_targetILNS1_3genE10ELNS1_11target_archE1200ELNS1_3gpuE4ELNS1_3repE0EEENS3_ILS4_10ELS5_1201ELS6_5ELS7_0EEENS0_14default_configESA_NS1_37merge_sort_block_sort_config_selectorIN6thrust23THRUST_200600_302600_NS4pairIiiEENS0_10empty_typeEEENS1_38merge_sort_block_merge_config_selectorISF_SG_EEEEvv,@function
_ZN7rocprim17ROCPRIM_400000_NS6detail44device_merge_sort_compile_time_verifier_archINS1_11comp_targetILNS1_3genE10ELNS1_11target_archE1200ELNS1_3gpuE4ELNS1_3repE0EEENS3_ILS4_10ELS5_1201ELS6_5ELS7_0EEENS0_14default_configESA_NS1_37merge_sort_block_sort_config_selectorIN6thrust23THRUST_200600_302600_NS4pairIiiEENS0_10empty_typeEEENS1_38merge_sort_block_merge_config_selectorISF_SG_EEEEvv: ; @_ZN7rocprim17ROCPRIM_400000_NS6detail44device_merge_sort_compile_time_verifier_archINS1_11comp_targetILNS1_3genE10ELNS1_11target_archE1200ELNS1_3gpuE4ELNS1_3repE0EEENS3_ILS4_10ELS5_1201ELS6_5ELS7_0EEENS0_14default_configESA_NS1_37merge_sort_block_sort_config_selectorIN6thrust23THRUST_200600_302600_NS4pairIiiEENS0_10empty_typeEEENS1_38merge_sort_block_merge_config_selectorISF_SG_EEEEvv
; %bb.0:
	s_endpgm
	.section	.rodata,"a",@progbits
	.p2align	6, 0x0
	.amdhsa_kernel _ZN7rocprim17ROCPRIM_400000_NS6detail44device_merge_sort_compile_time_verifier_archINS1_11comp_targetILNS1_3genE10ELNS1_11target_archE1200ELNS1_3gpuE4ELNS1_3repE0EEENS3_ILS4_10ELS5_1201ELS6_5ELS7_0EEENS0_14default_configESA_NS1_37merge_sort_block_sort_config_selectorIN6thrust23THRUST_200600_302600_NS4pairIiiEENS0_10empty_typeEEENS1_38merge_sort_block_merge_config_selectorISF_SG_EEEEvv
		.amdhsa_group_segment_fixed_size 0
		.amdhsa_private_segment_fixed_size 0
		.amdhsa_kernarg_size 0
		.amdhsa_user_sgpr_count 0
		.amdhsa_user_sgpr_dispatch_ptr 0
		.amdhsa_user_sgpr_queue_ptr 0
		.amdhsa_user_sgpr_kernarg_segment_ptr 0
		.amdhsa_user_sgpr_dispatch_id 0
		.amdhsa_user_sgpr_kernarg_preload_length 0
		.amdhsa_user_sgpr_kernarg_preload_offset 0
		.amdhsa_user_sgpr_private_segment_size 0
		.amdhsa_uses_dynamic_stack 0
		.amdhsa_enable_private_segment 0
		.amdhsa_system_sgpr_workgroup_id_x 1
		.amdhsa_system_sgpr_workgroup_id_y 0
		.amdhsa_system_sgpr_workgroup_id_z 0
		.amdhsa_system_sgpr_workgroup_info 0
		.amdhsa_system_vgpr_workitem_id 0
		.amdhsa_next_free_vgpr 1
		.amdhsa_next_free_sgpr 0
		.amdhsa_accum_offset 4
		.amdhsa_reserve_vcc 0
		.amdhsa_float_round_mode_32 0
		.amdhsa_float_round_mode_16_64 0
		.amdhsa_float_denorm_mode_32 3
		.amdhsa_float_denorm_mode_16_64 3
		.amdhsa_dx10_clamp 1
		.amdhsa_ieee_mode 1
		.amdhsa_fp16_overflow 0
		.amdhsa_tg_split 0
		.amdhsa_exception_fp_ieee_invalid_op 0
		.amdhsa_exception_fp_denorm_src 0
		.amdhsa_exception_fp_ieee_div_zero 0
		.amdhsa_exception_fp_ieee_overflow 0
		.amdhsa_exception_fp_ieee_underflow 0
		.amdhsa_exception_fp_ieee_inexact 0
		.amdhsa_exception_int_div_zero 0
	.end_amdhsa_kernel
	.section	.text._ZN7rocprim17ROCPRIM_400000_NS6detail44device_merge_sort_compile_time_verifier_archINS1_11comp_targetILNS1_3genE10ELNS1_11target_archE1200ELNS1_3gpuE4ELNS1_3repE0EEENS3_ILS4_10ELS5_1201ELS6_5ELS7_0EEENS0_14default_configESA_NS1_37merge_sort_block_sort_config_selectorIN6thrust23THRUST_200600_302600_NS4pairIiiEENS0_10empty_typeEEENS1_38merge_sort_block_merge_config_selectorISF_SG_EEEEvv,"axG",@progbits,_ZN7rocprim17ROCPRIM_400000_NS6detail44device_merge_sort_compile_time_verifier_archINS1_11comp_targetILNS1_3genE10ELNS1_11target_archE1200ELNS1_3gpuE4ELNS1_3repE0EEENS3_ILS4_10ELS5_1201ELS6_5ELS7_0EEENS0_14default_configESA_NS1_37merge_sort_block_sort_config_selectorIN6thrust23THRUST_200600_302600_NS4pairIiiEENS0_10empty_typeEEENS1_38merge_sort_block_merge_config_selectorISF_SG_EEEEvv,comdat
.Lfunc_end621:
	.size	_ZN7rocprim17ROCPRIM_400000_NS6detail44device_merge_sort_compile_time_verifier_archINS1_11comp_targetILNS1_3genE10ELNS1_11target_archE1200ELNS1_3gpuE4ELNS1_3repE0EEENS3_ILS4_10ELS5_1201ELS6_5ELS7_0EEENS0_14default_configESA_NS1_37merge_sort_block_sort_config_selectorIN6thrust23THRUST_200600_302600_NS4pairIiiEENS0_10empty_typeEEENS1_38merge_sort_block_merge_config_selectorISF_SG_EEEEvv, .Lfunc_end621-_ZN7rocprim17ROCPRIM_400000_NS6detail44device_merge_sort_compile_time_verifier_archINS1_11comp_targetILNS1_3genE10ELNS1_11target_archE1200ELNS1_3gpuE4ELNS1_3repE0EEENS3_ILS4_10ELS5_1201ELS6_5ELS7_0EEENS0_14default_configESA_NS1_37merge_sort_block_sort_config_selectorIN6thrust23THRUST_200600_302600_NS4pairIiiEENS0_10empty_typeEEENS1_38merge_sort_block_merge_config_selectorISF_SG_EEEEvv
                                        ; -- End function
	.set _ZN7rocprim17ROCPRIM_400000_NS6detail44device_merge_sort_compile_time_verifier_archINS1_11comp_targetILNS1_3genE10ELNS1_11target_archE1200ELNS1_3gpuE4ELNS1_3repE0EEENS3_ILS4_10ELS5_1201ELS6_5ELS7_0EEENS0_14default_configESA_NS1_37merge_sort_block_sort_config_selectorIN6thrust23THRUST_200600_302600_NS4pairIiiEENS0_10empty_typeEEENS1_38merge_sort_block_merge_config_selectorISF_SG_EEEEvv.num_vgpr, 0
	.set _ZN7rocprim17ROCPRIM_400000_NS6detail44device_merge_sort_compile_time_verifier_archINS1_11comp_targetILNS1_3genE10ELNS1_11target_archE1200ELNS1_3gpuE4ELNS1_3repE0EEENS3_ILS4_10ELS5_1201ELS6_5ELS7_0EEENS0_14default_configESA_NS1_37merge_sort_block_sort_config_selectorIN6thrust23THRUST_200600_302600_NS4pairIiiEENS0_10empty_typeEEENS1_38merge_sort_block_merge_config_selectorISF_SG_EEEEvv.num_agpr, 0
	.set _ZN7rocprim17ROCPRIM_400000_NS6detail44device_merge_sort_compile_time_verifier_archINS1_11comp_targetILNS1_3genE10ELNS1_11target_archE1200ELNS1_3gpuE4ELNS1_3repE0EEENS3_ILS4_10ELS5_1201ELS6_5ELS7_0EEENS0_14default_configESA_NS1_37merge_sort_block_sort_config_selectorIN6thrust23THRUST_200600_302600_NS4pairIiiEENS0_10empty_typeEEENS1_38merge_sort_block_merge_config_selectorISF_SG_EEEEvv.numbered_sgpr, 0
	.set _ZN7rocprim17ROCPRIM_400000_NS6detail44device_merge_sort_compile_time_verifier_archINS1_11comp_targetILNS1_3genE10ELNS1_11target_archE1200ELNS1_3gpuE4ELNS1_3repE0EEENS3_ILS4_10ELS5_1201ELS6_5ELS7_0EEENS0_14default_configESA_NS1_37merge_sort_block_sort_config_selectorIN6thrust23THRUST_200600_302600_NS4pairIiiEENS0_10empty_typeEEENS1_38merge_sort_block_merge_config_selectorISF_SG_EEEEvv.num_named_barrier, 0
	.set _ZN7rocprim17ROCPRIM_400000_NS6detail44device_merge_sort_compile_time_verifier_archINS1_11comp_targetILNS1_3genE10ELNS1_11target_archE1200ELNS1_3gpuE4ELNS1_3repE0EEENS3_ILS4_10ELS5_1201ELS6_5ELS7_0EEENS0_14default_configESA_NS1_37merge_sort_block_sort_config_selectorIN6thrust23THRUST_200600_302600_NS4pairIiiEENS0_10empty_typeEEENS1_38merge_sort_block_merge_config_selectorISF_SG_EEEEvv.private_seg_size, 0
	.set _ZN7rocprim17ROCPRIM_400000_NS6detail44device_merge_sort_compile_time_verifier_archINS1_11comp_targetILNS1_3genE10ELNS1_11target_archE1200ELNS1_3gpuE4ELNS1_3repE0EEENS3_ILS4_10ELS5_1201ELS6_5ELS7_0EEENS0_14default_configESA_NS1_37merge_sort_block_sort_config_selectorIN6thrust23THRUST_200600_302600_NS4pairIiiEENS0_10empty_typeEEENS1_38merge_sort_block_merge_config_selectorISF_SG_EEEEvv.uses_vcc, 0
	.set _ZN7rocprim17ROCPRIM_400000_NS6detail44device_merge_sort_compile_time_verifier_archINS1_11comp_targetILNS1_3genE10ELNS1_11target_archE1200ELNS1_3gpuE4ELNS1_3repE0EEENS3_ILS4_10ELS5_1201ELS6_5ELS7_0EEENS0_14default_configESA_NS1_37merge_sort_block_sort_config_selectorIN6thrust23THRUST_200600_302600_NS4pairIiiEENS0_10empty_typeEEENS1_38merge_sort_block_merge_config_selectorISF_SG_EEEEvv.uses_flat_scratch, 0
	.set _ZN7rocprim17ROCPRIM_400000_NS6detail44device_merge_sort_compile_time_verifier_archINS1_11comp_targetILNS1_3genE10ELNS1_11target_archE1200ELNS1_3gpuE4ELNS1_3repE0EEENS3_ILS4_10ELS5_1201ELS6_5ELS7_0EEENS0_14default_configESA_NS1_37merge_sort_block_sort_config_selectorIN6thrust23THRUST_200600_302600_NS4pairIiiEENS0_10empty_typeEEENS1_38merge_sort_block_merge_config_selectorISF_SG_EEEEvv.has_dyn_sized_stack, 0
	.set _ZN7rocprim17ROCPRIM_400000_NS6detail44device_merge_sort_compile_time_verifier_archINS1_11comp_targetILNS1_3genE10ELNS1_11target_archE1200ELNS1_3gpuE4ELNS1_3repE0EEENS3_ILS4_10ELS5_1201ELS6_5ELS7_0EEENS0_14default_configESA_NS1_37merge_sort_block_sort_config_selectorIN6thrust23THRUST_200600_302600_NS4pairIiiEENS0_10empty_typeEEENS1_38merge_sort_block_merge_config_selectorISF_SG_EEEEvv.has_recursion, 0
	.set _ZN7rocprim17ROCPRIM_400000_NS6detail44device_merge_sort_compile_time_verifier_archINS1_11comp_targetILNS1_3genE10ELNS1_11target_archE1200ELNS1_3gpuE4ELNS1_3repE0EEENS3_ILS4_10ELS5_1201ELS6_5ELS7_0EEENS0_14default_configESA_NS1_37merge_sort_block_sort_config_selectorIN6thrust23THRUST_200600_302600_NS4pairIiiEENS0_10empty_typeEEENS1_38merge_sort_block_merge_config_selectorISF_SG_EEEEvv.has_indirect_call, 0
	.section	.AMDGPU.csdata,"",@progbits
; Kernel info:
; codeLenInByte = 4
; TotalNumSgprs: 6
; NumVgprs: 0
; NumAgprs: 0
; TotalNumVgprs: 0
; ScratchSize: 0
; MemoryBound: 0
; FloatMode: 240
; IeeeMode: 1
; LDSByteSize: 0 bytes/workgroup (compile time only)
; SGPRBlocks: 0
; VGPRBlocks: 0
; NumSGPRsForWavesPerEU: 6
; NumVGPRsForWavesPerEU: 1
; AccumOffset: 4
; Occupancy: 8
; WaveLimiterHint : 0
; COMPUTE_PGM_RSRC2:SCRATCH_EN: 0
; COMPUTE_PGM_RSRC2:USER_SGPR: 0
; COMPUTE_PGM_RSRC2:TRAP_HANDLER: 0
; COMPUTE_PGM_RSRC2:TGID_X_EN: 1
; COMPUTE_PGM_RSRC2:TGID_Y_EN: 0
; COMPUTE_PGM_RSRC2:TGID_Z_EN: 0
; COMPUTE_PGM_RSRC2:TIDIG_COMP_CNT: 0
; COMPUTE_PGM_RSRC3_GFX90A:ACCUM_OFFSET: 0
; COMPUTE_PGM_RSRC3_GFX90A:TG_SPLIT: 0
	.section	.text._ZN7rocprim17ROCPRIM_400000_NS6detail44device_merge_sort_compile_time_verifier_archINS1_11comp_targetILNS1_3genE9ELNS1_11target_archE1100ELNS1_3gpuE3ELNS1_3repE0EEES8_NS0_14default_configES9_NS1_37merge_sort_block_sort_config_selectorIN6thrust23THRUST_200600_302600_NS4pairIiiEENS0_10empty_typeEEENS1_38merge_sort_block_merge_config_selectorISE_SF_EEEEvv,"axG",@progbits,_ZN7rocprim17ROCPRIM_400000_NS6detail44device_merge_sort_compile_time_verifier_archINS1_11comp_targetILNS1_3genE9ELNS1_11target_archE1100ELNS1_3gpuE3ELNS1_3repE0EEES8_NS0_14default_configES9_NS1_37merge_sort_block_sort_config_selectorIN6thrust23THRUST_200600_302600_NS4pairIiiEENS0_10empty_typeEEENS1_38merge_sort_block_merge_config_selectorISE_SF_EEEEvv,comdat
	.protected	_ZN7rocprim17ROCPRIM_400000_NS6detail44device_merge_sort_compile_time_verifier_archINS1_11comp_targetILNS1_3genE9ELNS1_11target_archE1100ELNS1_3gpuE3ELNS1_3repE0EEES8_NS0_14default_configES9_NS1_37merge_sort_block_sort_config_selectorIN6thrust23THRUST_200600_302600_NS4pairIiiEENS0_10empty_typeEEENS1_38merge_sort_block_merge_config_selectorISE_SF_EEEEvv ; -- Begin function _ZN7rocprim17ROCPRIM_400000_NS6detail44device_merge_sort_compile_time_verifier_archINS1_11comp_targetILNS1_3genE9ELNS1_11target_archE1100ELNS1_3gpuE3ELNS1_3repE0EEES8_NS0_14default_configES9_NS1_37merge_sort_block_sort_config_selectorIN6thrust23THRUST_200600_302600_NS4pairIiiEENS0_10empty_typeEEENS1_38merge_sort_block_merge_config_selectorISE_SF_EEEEvv
	.globl	_ZN7rocprim17ROCPRIM_400000_NS6detail44device_merge_sort_compile_time_verifier_archINS1_11comp_targetILNS1_3genE9ELNS1_11target_archE1100ELNS1_3gpuE3ELNS1_3repE0EEES8_NS0_14default_configES9_NS1_37merge_sort_block_sort_config_selectorIN6thrust23THRUST_200600_302600_NS4pairIiiEENS0_10empty_typeEEENS1_38merge_sort_block_merge_config_selectorISE_SF_EEEEvv
	.p2align	8
	.type	_ZN7rocprim17ROCPRIM_400000_NS6detail44device_merge_sort_compile_time_verifier_archINS1_11comp_targetILNS1_3genE9ELNS1_11target_archE1100ELNS1_3gpuE3ELNS1_3repE0EEES8_NS0_14default_configES9_NS1_37merge_sort_block_sort_config_selectorIN6thrust23THRUST_200600_302600_NS4pairIiiEENS0_10empty_typeEEENS1_38merge_sort_block_merge_config_selectorISE_SF_EEEEvv,@function
_ZN7rocprim17ROCPRIM_400000_NS6detail44device_merge_sort_compile_time_verifier_archINS1_11comp_targetILNS1_3genE9ELNS1_11target_archE1100ELNS1_3gpuE3ELNS1_3repE0EEES8_NS0_14default_configES9_NS1_37merge_sort_block_sort_config_selectorIN6thrust23THRUST_200600_302600_NS4pairIiiEENS0_10empty_typeEEENS1_38merge_sort_block_merge_config_selectorISE_SF_EEEEvv: ; @_ZN7rocprim17ROCPRIM_400000_NS6detail44device_merge_sort_compile_time_verifier_archINS1_11comp_targetILNS1_3genE9ELNS1_11target_archE1100ELNS1_3gpuE3ELNS1_3repE0EEES8_NS0_14default_configES9_NS1_37merge_sort_block_sort_config_selectorIN6thrust23THRUST_200600_302600_NS4pairIiiEENS0_10empty_typeEEENS1_38merge_sort_block_merge_config_selectorISE_SF_EEEEvv
; %bb.0:
	s_endpgm
	.section	.rodata,"a",@progbits
	.p2align	6, 0x0
	.amdhsa_kernel _ZN7rocprim17ROCPRIM_400000_NS6detail44device_merge_sort_compile_time_verifier_archINS1_11comp_targetILNS1_3genE9ELNS1_11target_archE1100ELNS1_3gpuE3ELNS1_3repE0EEES8_NS0_14default_configES9_NS1_37merge_sort_block_sort_config_selectorIN6thrust23THRUST_200600_302600_NS4pairIiiEENS0_10empty_typeEEENS1_38merge_sort_block_merge_config_selectorISE_SF_EEEEvv
		.amdhsa_group_segment_fixed_size 0
		.amdhsa_private_segment_fixed_size 0
		.amdhsa_kernarg_size 0
		.amdhsa_user_sgpr_count 0
		.amdhsa_user_sgpr_dispatch_ptr 0
		.amdhsa_user_sgpr_queue_ptr 0
		.amdhsa_user_sgpr_kernarg_segment_ptr 0
		.amdhsa_user_sgpr_dispatch_id 0
		.amdhsa_user_sgpr_kernarg_preload_length 0
		.amdhsa_user_sgpr_kernarg_preload_offset 0
		.amdhsa_user_sgpr_private_segment_size 0
		.amdhsa_uses_dynamic_stack 0
		.amdhsa_enable_private_segment 0
		.amdhsa_system_sgpr_workgroup_id_x 1
		.amdhsa_system_sgpr_workgroup_id_y 0
		.amdhsa_system_sgpr_workgroup_id_z 0
		.amdhsa_system_sgpr_workgroup_info 0
		.amdhsa_system_vgpr_workitem_id 0
		.amdhsa_next_free_vgpr 1
		.amdhsa_next_free_sgpr 0
		.amdhsa_accum_offset 4
		.amdhsa_reserve_vcc 0
		.amdhsa_float_round_mode_32 0
		.amdhsa_float_round_mode_16_64 0
		.amdhsa_float_denorm_mode_32 3
		.amdhsa_float_denorm_mode_16_64 3
		.amdhsa_dx10_clamp 1
		.amdhsa_ieee_mode 1
		.amdhsa_fp16_overflow 0
		.amdhsa_tg_split 0
		.amdhsa_exception_fp_ieee_invalid_op 0
		.amdhsa_exception_fp_denorm_src 0
		.amdhsa_exception_fp_ieee_div_zero 0
		.amdhsa_exception_fp_ieee_overflow 0
		.amdhsa_exception_fp_ieee_underflow 0
		.amdhsa_exception_fp_ieee_inexact 0
		.amdhsa_exception_int_div_zero 0
	.end_amdhsa_kernel
	.section	.text._ZN7rocprim17ROCPRIM_400000_NS6detail44device_merge_sort_compile_time_verifier_archINS1_11comp_targetILNS1_3genE9ELNS1_11target_archE1100ELNS1_3gpuE3ELNS1_3repE0EEES8_NS0_14default_configES9_NS1_37merge_sort_block_sort_config_selectorIN6thrust23THRUST_200600_302600_NS4pairIiiEENS0_10empty_typeEEENS1_38merge_sort_block_merge_config_selectorISE_SF_EEEEvv,"axG",@progbits,_ZN7rocprim17ROCPRIM_400000_NS6detail44device_merge_sort_compile_time_verifier_archINS1_11comp_targetILNS1_3genE9ELNS1_11target_archE1100ELNS1_3gpuE3ELNS1_3repE0EEES8_NS0_14default_configES9_NS1_37merge_sort_block_sort_config_selectorIN6thrust23THRUST_200600_302600_NS4pairIiiEENS0_10empty_typeEEENS1_38merge_sort_block_merge_config_selectorISE_SF_EEEEvv,comdat
.Lfunc_end622:
	.size	_ZN7rocprim17ROCPRIM_400000_NS6detail44device_merge_sort_compile_time_verifier_archINS1_11comp_targetILNS1_3genE9ELNS1_11target_archE1100ELNS1_3gpuE3ELNS1_3repE0EEES8_NS0_14default_configES9_NS1_37merge_sort_block_sort_config_selectorIN6thrust23THRUST_200600_302600_NS4pairIiiEENS0_10empty_typeEEENS1_38merge_sort_block_merge_config_selectorISE_SF_EEEEvv, .Lfunc_end622-_ZN7rocprim17ROCPRIM_400000_NS6detail44device_merge_sort_compile_time_verifier_archINS1_11comp_targetILNS1_3genE9ELNS1_11target_archE1100ELNS1_3gpuE3ELNS1_3repE0EEES8_NS0_14default_configES9_NS1_37merge_sort_block_sort_config_selectorIN6thrust23THRUST_200600_302600_NS4pairIiiEENS0_10empty_typeEEENS1_38merge_sort_block_merge_config_selectorISE_SF_EEEEvv
                                        ; -- End function
	.set _ZN7rocprim17ROCPRIM_400000_NS6detail44device_merge_sort_compile_time_verifier_archINS1_11comp_targetILNS1_3genE9ELNS1_11target_archE1100ELNS1_3gpuE3ELNS1_3repE0EEES8_NS0_14default_configES9_NS1_37merge_sort_block_sort_config_selectorIN6thrust23THRUST_200600_302600_NS4pairIiiEENS0_10empty_typeEEENS1_38merge_sort_block_merge_config_selectorISE_SF_EEEEvv.num_vgpr, 0
	.set _ZN7rocprim17ROCPRIM_400000_NS6detail44device_merge_sort_compile_time_verifier_archINS1_11comp_targetILNS1_3genE9ELNS1_11target_archE1100ELNS1_3gpuE3ELNS1_3repE0EEES8_NS0_14default_configES9_NS1_37merge_sort_block_sort_config_selectorIN6thrust23THRUST_200600_302600_NS4pairIiiEENS0_10empty_typeEEENS1_38merge_sort_block_merge_config_selectorISE_SF_EEEEvv.num_agpr, 0
	.set _ZN7rocprim17ROCPRIM_400000_NS6detail44device_merge_sort_compile_time_verifier_archINS1_11comp_targetILNS1_3genE9ELNS1_11target_archE1100ELNS1_3gpuE3ELNS1_3repE0EEES8_NS0_14default_configES9_NS1_37merge_sort_block_sort_config_selectorIN6thrust23THRUST_200600_302600_NS4pairIiiEENS0_10empty_typeEEENS1_38merge_sort_block_merge_config_selectorISE_SF_EEEEvv.numbered_sgpr, 0
	.set _ZN7rocprim17ROCPRIM_400000_NS6detail44device_merge_sort_compile_time_verifier_archINS1_11comp_targetILNS1_3genE9ELNS1_11target_archE1100ELNS1_3gpuE3ELNS1_3repE0EEES8_NS0_14default_configES9_NS1_37merge_sort_block_sort_config_selectorIN6thrust23THRUST_200600_302600_NS4pairIiiEENS0_10empty_typeEEENS1_38merge_sort_block_merge_config_selectorISE_SF_EEEEvv.num_named_barrier, 0
	.set _ZN7rocprim17ROCPRIM_400000_NS6detail44device_merge_sort_compile_time_verifier_archINS1_11comp_targetILNS1_3genE9ELNS1_11target_archE1100ELNS1_3gpuE3ELNS1_3repE0EEES8_NS0_14default_configES9_NS1_37merge_sort_block_sort_config_selectorIN6thrust23THRUST_200600_302600_NS4pairIiiEENS0_10empty_typeEEENS1_38merge_sort_block_merge_config_selectorISE_SF_EEEEvv.private_seg_size, 0
	.set _ZN7rocprim17ROCPRIM_400000_NS6detail44device_merge_sort_compile_time_verifier_archINS1_11comp_targetILNS1_3genE9ELNS1_11target_archE1100ELNS1_3gpuE3ELNS1_3repE0EEES8_NS0_14default_configES9_NS1_37merge_sort_block_sort_config_selectorIN6thrust23THRUST_200600_302600_NS4pairIiiEENS0_10empty_typeEEENS1_38merge_sort_block_merge_config_selectorISE_SF_EEEEvv.uses_vcc, 0
	.set _ZN7rocprim17ROCPRIM_400000_NS6detail44device_merge_sort_compile_time_verifier_archINS1_11comp_targetILNS1_3genE9ELNS1_11target_archE1100ELNS1_3gpuE3ELNS1_3repE0EEES8_NS0_14default_configES9_NS1_37merge_sort_block_sort_config_selectorIN6thrust23THRUST_200600_302600_NS4pairIiiEENS0_10empty_typeEEENS1_38merge_sort_block_merge_config_selectorISE_SF_EEEEvv.uses_flat_scratch, 0
	.set _ZN7rocprim17ROCPRIM_400000_NS6detail44device_merge_sort_compile_time_verifier_archINS1_11comp_targetILNS1_3genE9ELNS1_11target_archE1100ELNS1_3gpuE3ELNS1_3repE0EEES8_NS0_14default_configES9_NS1_37merge_sort_block_sort_config_selectorIN6thrust23THRUST_200600_302600_NS4pairIiiEENS0_10empty_typeEEENS1_38merge_sort_block_merge_config_selectorISE_SF_EEEEvv.has_dyn_sized_stack, 0
	.set _ZN7rocprim17ROCPRIM_400000_NS6detail44device_merge_sort_compile_time_verifier_archINS1_11comp_targetILNS1_3genE9ELNS1_11target_archE1100ELNS1_3gpuE3ELNS1_3repE0EEES8_NS0_14default_configES9_NS1_37merge_sort_block_sort_config_selectorIN6thrust23THRUST_200600_302600_NS4pairIiiEENS0_10empty_typeEEENS1_38merge_sort_block_merge_config_selectorISE_SF_EEEEvv.has_recursion, 0
	.set _ZN7rocprim17ROCPRIM_400000_NS6detail44device_merge_sort_compile_time_verifier_archINS1_11comp_targetILNS1_3genE9ELNS1_11target_archE1100ELNS1_3gpuE3ELNS1_3repE0EEES8_NS0_14default_configES9_NS1_37merge_sort_block_sort_config_selectorIN6thrust23THRUST_200600_302600_NS4pairIiiEENS0_10empty_typeEEENS1_38merge_sort_block_merge_config_selectorISE_SF_EEEEvv.has_indirect_call, 0
	.section	.AMDGPU.csdata,"",@progbits
; Kernel info:
; codeLenInByte = 4
; TotalNumSgprs: 6
; NumVgprs: 0
; NumAgprs: 0
; TotalNumVgprs: 0
; ScratchSize: 0
; MemoryBound: 0
; FloatMode: 240
; IeeeMode: 1
; LDSByteSize: 0 bytes/workgroup (compile time only)
; SGPRBlocks: 0
; VGPRBlocks: 0
; NumSGPRsForWavesPerEU: 6
; NumVGPRsForWavesPerEU: 1
; AccumOffset: 4
; Occupancy: 8
; WaveLimiterHint : 0
; COMPUTE_PGM_RSRC2:SCRATCH_EN: 0
; COMPUTE_PGM_RSRC2:USER_SGPR: 0
; COMPUTE_PGM_RSRC2:TRAP_HANDLER: 0
; COMPUTE_PGM_RSRC2:TGID_X_EN: 1
; COMPUTE_PGM_RSRC2:TGID_Y_EN: 0
; COMPUTE_PGM_RSRC2:TGID_Z_EN: 0
; COMPUTE_PGM_RSRC2:TIDIG_COMP_CNT: 0
; COMPUTE_PGM_RSRC3_GFX90A:ACCUM_OFFSET: 0
; COMPUTE_PGM_RSRC3_GFX90A:TG_SPLIT: 0
	.section	.text._ZN7rocprim17ROCPRIM_400000_NS6detail44device_merge_sort_compile_time_verifier_archINS1_11comp_targetILNS1_3genE8ELNS1_11target_archE1030ELNS1_3gpuE2ELNS1_3repE0EEES8_NS0_14default_configES9_NS1_37merge_sort_block_sort_config_selectorIN6thrust23THRUST_200600_302600_NS4pairIiiEENS0_10empty_typeEEENS1_38merge_sort_block_merge_config_selectorISE_SF_EEEEvv,"axG",@progbits,_ZN7rocprim17ROCPRIM_400000_NS6detail44device_merge_sort_compile_time_verifier_archINS1_11comp_targetILNS1_3genE8ELNS1_11target_archE1030ELNS1_3gpuE2ELNS1_3repE0EEES8_NS0_14default_configES9_NS1_37merge_sort_block_sort_config_selectorIN6thrust23THRUST_200600_302600_NS4pairIiiEENS0_10empty_typeEEENS1_38merge_sort_block_merge_config_selectorISE_SF_EEEEvv,comdat
	.protected	_ZN7rocprim17ROCPRIM_400000_NS6detail44device_merge_sort_compile_time_verifier_archINS1_11comp_targetILNS1_3genE8ELNS1_11target_archE1030ELNS1_3gpuE2ELNS1_3repE0EEES8_NS0_14default_configES9_NS1_37merge_sort_block_sort_config_selectorIN6thrust23THRUST_200600_302600_NS4pairIiiEENS0_10empty_typeEEENS1_38merge_sort_block_merge_config_selectorISE_SF_EEEEvv ; -- Begin function _ZN7rocprim17ROCPRIM_400000_NS6detail44device_merge_sort_compile_time_verifier_archINS1_11comp_targetILNS1_3genE8ELNS1_11target_archE1030ELNS1_3gpuE2ELNS1_3repE0EEES8_NS0_14default_configES9_NS1_37merge_sort_block_sort_config_selectorIN6thrust23THRUST_200600_302600_NS4pairIiiEENS0_10empty_typeEEENS1_38merge_sort_block_merge_config_selectorISE_SF_EEEEvv
	.globl	_ZN7rocprim17ROCPRIM_400000_NS6detail44device_merge_sort_compile_time_verifier_archINS1_11comp_targetILNS1_3genE8ELNS1_11target_archE1030ELNS1_3gpuE2ELNS1_3repE0EEES8_NS0_14default_configES9_NS1_37merge_sort_block_sort_config_selectorIN6thrust23THRUST_200600_302600_NS4pairIiiEENS0_10empty_typeEEENS1_38merge_sort_block_merge_config_selectorISE_SF_EEEEvv
	.p2align	8
	.type	_ZN7rocprim17ROCPRIM_400000_NS6detail44device_merge_sort_compile_time_verifier_archINS1_11comp_targetILNS1_3genE8ELNS1_11target_archE1030ELNS1_3gpuE2ELNS1_3repE0EEES8_NS0_14default_configES9_NS1_37merge_sort_block_sort_config_selectorIN6thrust23THRUST_200600_302600_NS4pairIiiEENS0_10empty_typeEEENS1_38merge_sort_block_merge_config_selectorISE_SF_EEEEvv,@function
_ZN7rocprim17ROCPRIM_400000_NS6detail44device_merge_sort_compile_time_verifier_archINS1_11comp_targetILNS1_3genE8ELNS1_11target_archE1030ELNS1_3gpuE2ELNS1_3repE0EEES8_NS0_14default_configES9_NS1_37merge_sort_block_sort_config_selectorIN6thrust23THRUST_200600_302600_NS4pairIiiEENS0_10empty_typeEEENS1_38merge_sort_block_merge_config_selectorISE_SF_EEEEvv: ; @_ZN7rocprim17ROCPRIM_400000_NS6detail44device_merge_sort_compile_time_verifier_archINS1_11comp_targetILNS1_3genE8ELNS1_11target_archE1030ELNS1_3gpuE2ELNS1_3repE0EEES8_NS0_14default_configES9_NS1_37merge_sort_block_sort_config_selectorIN6thrust23THRUST_200600_302600_NS4pairIiiEENS0_10empty_typeEEENS1_38merge_sort_block_merge_config_selectorISE_SF_EEEEvv
; %bb.0:
	s_endpgm
	.section	.rodata,"a",@progbits
	.p2align	6, 0x0
	.amdhsa_kernel _ZN7rocprim17ROCPRIM_400000_NS6detail44device_merge_sort_compile_time_verifier_archINS1_11comp_targetILNS1_3genE8ELNS1_11target_archE1030ELNS1_3gpuE2ELNS1_3repE0EEES8_NS0_14default_configES9_NS1_37merge_sort_block_sort_config_selectorIN6thrust23THRUST_200600_302600_NS4pairIiiEENS0_10empty_typeEEENS1_38merge_sort_block_merge_config_selectorISE_SF_EEEEvv
		.amdhsa_group_segment_fixed_size 0
		.amdhsa_private_segment_fixed_size 0
		.amdhsa_kernarg_size 0
		.amdhsa_user_sgpr_count 0
		.amdhsa_user_sgpr_dispatch_ptr 0
		.amdhsa_user_sgpr_queue_ptr 0
		.amdhsa_user_sgpr_kernarg_segment_ptr 0
		.amdhsa_user_sgpr_dispatch_id 0
		.amdhsa_user_sgpr_kernarg_preload_length 0
		.amdhsa_user_sgpr_kernarg_preload_offset 0
		.amdhsa_user_sgpr_private_segment_size 0
		.amdhsa_uses_dynamic_stack 0
		.amdhsa_enable_private_segment 0
		.amdhsa_system_sgpr_workgroup_id_x 1
		.amdhsa_system_sgpr_workgroup_id_y 0
		.amdhsa_system_sgpr_workgroup_id_z 0
		.amdhsa_system_sgpr_workgroup_info 0
		.amdhsa_system_vgpr_workitem_id 0
		.amdhsa_next_free_vgpr 1
		.amdhsa_next_free_sgpr 0
		.amdhsa_accum_offset 4
		.amdhsa_reserve_vcc 0
		.amdhsa_float_round_mode_32 0
		.amdhsa_float_round_mode_16_64 0
		.amdhsa_float_denorm_mode_32 3
		.amdhsa_float_denorm_mode_16_64 3
		.amdhsa_dx10_clamp 1
		.amdhsa_ieee_mode 1
		.amdhsa_fp16_overflow 0
		.amdhsa_tg_split 0
		.amdhsa_exception_fp_ieee_invalid_op 0
		.amdhsa_exception_fp_denorm_src 0
		.amdhsa_exception_fp_ieee_div_zero 0
		.amdhsa_exception_fp_ieee_overflow 0
		.amdhsa_exception_fp_ieee_underflow 0
		.amdhsa_exception_fp_ieee_inexact 0
		.amdhsa_exception_int_div_zero 0
	.end_amdhsa_kernel
	.section	.text._ZN7rocprim17ROCPRIM_400000_NS6detail44device_merge_sort_compile_time_verifier_archINS1_11comp_targetILNS1_3genE8ELNS1_11target_archE1030ELNS1_3gpuE2ELNS1_3repE0EEES8_NS0_14default_configES9_NS1_37merge_sort_block_sort_config_selectorIN6thrust23THRUST_200600_302600_NS4pairIiiEENS0_10empty_typeEEENS1_38merge_sort_block_merge_config_selectorISE_SF_EEEEvv,"axG",@progbits,_ZN7rocprim17ROCPRIM_400000_NS6detail44device_merge_sort_compile_time_verifier_archINS1_11comp_targetILNS1_3genE8ELNS1_11target_archE1030ELNS1_3gpuE2ELNS1_3repE0EEES8_NS0_14default_configES9_NS1_37merge_sort_block_sort_config_selectorIN6thrust23THRUST_200600_302600_NS4pairIiiEENS0_10empty_typeEEENS1_38merge_sort_block_merge_config_selectorISE_SF_EEEEvv,comdat
.Lfunc_end623:
	.size	_ZN7rocprim17ROCPRIM_400000_NS6detail44device_merge_sort_compile_time_verifier_archINS1_11comp_targetILNS1_3genE8ELNS1_11target_archE1030ELNS1_3gpuE2ELNS1_3repE0EEES8_NS0_14default_configES9_NS1_37merge_sort_block_sort_config_selectorIN6thrust23THRUST_200600_302600_NS4pairIiiEENS0_10empty_typeEEENS1_38merge_sort_block_merge_config_selectorISE_SF_EEEEvv, .Lfunc_end623-_ZN7rocprim17ROCPRIM_400000_NS6detail44device_merge_sort_compile_time_verifier_archINS1_11comp_targetILNS1_3genE8ELNS1_11target_archE1030ELNS1_3gpuE2ELNS1_3repE0EEES8_NS0_14default_configES9_NS1_37merge_sort_block_sort_config_selectorIN6thrust23THRUST_200600_302600_NS4pairIiiEENS0_10empty_typeEEENS1_38merge_sort_block_merge_config_selectorISE_SF_EEEEvv
                                        ; -- End function
	.set _ZN7rocprim17ROCPRIM_400000_NS6detail44device_merge_sort_compile_time_verifier_archINS1_11comp_targetILNS1_3genE8ELNS1_11target_archE1030ELNS1_3gpuE2ELNS1_3repE0EEES8_NS0_14default_configES9_NS1_37merge_sort_block_sort_config_selectorIN6thrust23THRUST_200600_302600_NS4pairIiiEENS0_10empty_typeEEENS1_38merge_sort_block_merge_config_selectorISE_SF_EEEEvv.num_vgpr, 0
	.set _ZN7rocprim17ROCPRIM_400000_NS6detail44device_merge_sort_compile_time_verifier_archINS1_11comp_targetILNS1_3genE8ELNS1_11target_archE1030ELNS1_3gpuE2ELNS1_3repE0EEES8_NS0_14default_configES9_NS1_37merge_sort_block_sort_config_selectorIN6thrust23THRUST_200600_302600_NS4pairIiiEENS0_10empty_typeEEENS1_38merge_sort_block_merge_config_selectorISE_SF_EEEEvv.num_agpr, 0
	.set _ZN7rocprim17ROCPRIM_400000_NS6detail44device_merge_sort_compile_time_verifier_archINS1_11comp_targetILNS1_3genE8ELNS1_11target_archE1030ELNS1_3gpuE2ELNS1_3repE0EEES8_NS0_14default_configES9_NS1_37merge_sort_block_sort_config_selectorIN6thrust23THRUST_200600_302600_NS4pairIiiEENS0_10empty_typeEEENS1_38merge_sort_block_merge_config_selectorISE_SF_EEEEvv.numbered_sgpr, 0
	.set _ZN7rocprim17ROCPRIM_400000_NS6detail44device_merge_sort_compile_time_verifier_archINS1_11comp_targetILNS1_3genE8ELNS1_11target_archE1030ELNS1_3gpuE2ELNS1_3repE0EEES8_NS0_14default_configES9_NS1_37merge_sort_block_sort_config_selectorIN6thrust23THRUST_200600_302600_NS4pairIiiEENS0_10empty_typeEEENS1_38merge_sort_block_merge_config_selectorISE_SF_EEEEvv.num_named_barrier, 0
	.set _ZN7rocprim17ROCPRIM_400000_NS6detail44device_merge_sort_compile_time_verifier_archINS1_11comp_targetILNS1_3genE8ELNS1_11target_archE1030ELNS1_3gpuE2ELNS1_3repE0EEES8_NS0_14default_configES9_NS1_37merge_sort_block_sort_config_selectorIN6thrust23THRUST_200600_302600_NS4pairIiiEENS0_10empty_typeEEENS1_38merge_sort_block_merge_config_selectorISE_SF_EEEEvv.private_seg_size, 0
	.set _ZN7rocprim17ROCPRIM_400000_NS6detail44device_merge_sort_compile_time_verifier_archINS1_11comp_targetILNS1_3genE8ELNS1_11target_archE1030ELNS1_3gpuE2ELNS1_3repE0EEES8_NS0_14default_configES9_NS1_37merge_sort_block_sort_config_selectorIN6thrust23THRUST_200600_302600_NS4pairIiiEENS0_10empty_typeEEENS1_38merge_sort_block_merge_config_selectorISE_SF_EEEEvv.uses_vcc, 0
	.set _ZN7rocprim17ROCPRIM_400000_NS6detail44device_merge_sort_compile_time_verifier_archINS1_11comp_targetILNS1_3genE8ELNS1_11target_archE1030ELNS1_3gpuE2ELNS1_3repE0EEES8_NS0_14default_configES9_NS1_37merge_sort_block_sort_config_selectorIN6thrust23THRUST_200600_302600_NS4pairIiiEENS0_10empty_typeEEENS1_38merge_sort_block_merge_config_selectorISE_SF_EEEEvv.uses_flat_scratch, 0
	.set _ZN7rocprim17ROCPRIM_400000_NS6detail44device_merge_sort_compile_time_verifier_archINS1_11comp_targetILNS1_3genE8ELNS1_11target_archE1030ELNS1_3gpuE2ELNS1_3repE0EEES8_NS0_14default_configES9_NS1_37merge_sort_block_sort_config_selectorIN6thrust23THRUST_200600_302600_NS4pairIiiEENS0_10empty_typeEEENS1_38merge_sort_block_merge_config_selectorISE_SF_EEEEvv.has_dyn_sized_stack, 0
	.set _ZN7rocprim17ROCPRIM_400000_NS6detail44device_merge_sort_compile_time_verifier_archINS1_11comp_targetILNS1_3genE8ELNS1_11target_archE1030ELNS1_3gpuE2ELNS1_3repE0EEES8_NS0_14default_configES9_NS1_37merge_sort_block_sort_config_selectorIN6thrust23THRUST_200600_302600_NS4pairIiiEENS0_10empty_typeEEENS1_38merge_sort_block_merge_config_selectorISE_SF_EEEEvv.has_recursion, 0
	.set _ZN7rocprim17ROCPRIM_400000_NS6detail44device_merge_sort_compile_time_verifier_archINS1_11comp_targetILNS1_3genE8ELNS1_11target_archE1030ELNS1_3gpuE2ELNS1_3repE0EEES8_NS0_14default_configES9_NS1_37merge_sort_block_sort_config_selectorIN6thrust23THRUST_200600_302600_NS4pairIiiEENS0_10empty_typeEEENS1_38merge_sort_block_merge_config_selectorISE_SF_EEEEvv.has_indirect_call, 0
	.section	.AMDGPU.csdata,"",@progbits
; Kernel info:
; codeLenInByte = 4
; TotalNumSgprs: 6
; NumVgprs: 0
; NumAgprs: 0
; TotalNumVgprs: 0
; ScratchSize: 0
; MemoryBound: 0
; FloatMode: 240
; IeeeMode: 1
; LDSByteSize: 0 bytes/workgroup (compile time only)
; SGPRBlocks: 0
; VGPRBlocks: 0
; NumSGPRsForWavesPerEU: 6
; NumVGPRsForWavesPerEU: 1
; AccumOffset: 4
; Occupancy: 8
; WaveLimiterHint : 0
; COMPUTE_PGM_RSRC2:SCRATCH_EN: 0
; COMPUTE_PGM_RSRC2:USER_SGPR: 0
; COMPUTE_PGM_RSRC2:TRAP_HANDLER: 0
; COMPUTE_PGM_RSRC2:TGID_X_EN: 1
; COMPUTE_PGM_RSRC2:TGID_Y_EN: 0
; COMPUTE_PGM_RSRC2:TGID_Z_EN: 0
; COMPUTE_PGM_RSRC2:TIDIG_COMP_CNT: 0
; COMPUTE_PGM_RSRC3_GFX90A:ACCUM_OFFSET: 0
; COMPUTE_PGM_RSRC3_GFX90A:TG_SPLIT: 0
	.section	.text._ZN7rocprim17ROCPRIM_400000_NS6detail17trampoline_kernelINS0_14default_configENS1_37merge_sort_block_sort_config_selectorIN6thrust23THRUST_200600_302600_NS4pairIiiEENS0_10empty_typeEEEZNS1_21merge_sort_block_sortIS3_NS6_6detail15normal_iteratorINS6_10device_ptrIS8_EEEESG_PS9_SH_NS6_4lessIS8_EEEE10hipError_tT0_T1_T2_T3_mRjT4_P12ihipStream_tbNS1_7vsmem_tEEUlT_E_NS1_11comp_targetILNS1_3genE0ELNS1_11target_archE4294967295ELNS1_3gpuE0ELNS1_3repE0EEENS1_30default_config_static_selectorELNS0_4arch9wavefront6targetE1EEEvSM_,"axG",@progbits,_ZN7rocprim17ROCPRIM_400000_NS6detail17trampoline_kernelINS0_14default_configENS1_37merge_sort_block_sort_config_selectorIN6thrust23THRUST_200600_302600_NS4pairIiiEENS0_10empty_typeEEEZNS1_21merge_sort_block_sortIS3_NS6_6detail15normal_iteratorINS6_10device_ptrIS8_EEEESG_PS9_SH_NS6_4lessIS8_EEEE10hipError_tT0_T1_T2_T3_mRjT4_P12ihipStream_tbNS1_7vsmem_tEEUlT_E_NS1_11comp_targetILNS1_3genE0ELNS1_11target_archE4294967295ELNS1_3gpuE0ELNS1_3repE0EEENS1_30default_config_static_selectorELNS0_4arch9wavefront6targetE1EEEvSM_,comdat
	.protected	_ZN7rocprim17ROCPRIM_400000_NS6detail17trampoline_kernelINS0_14default_configENS1_37merge_sort_block_sort_config_selectorIN6thrust23THRUST_200600_302600_NS4pairIiiEENS0_10empty_typeEEEZNS1_21merge_sort_block_sortIS3_NS6_6detail15normal_iteratorINS6_10device_ptrIS8_EEEESG_PS9_SH_NS6_4lessIS8_EEEE10hipError_tT0_T1_T2_T3_mRjT4_P12ihipStream_tbNS1_7vsmem_tEEUlT_E_NS1_11comp_targetILNS1_3genE0ELNS1_11target_archE4294967295ELNS1_3gpuE0ELNS1_3repE0EEENS1_30default_config_static_selectorELNS0_4arch9wavefront6targetE1EEEvSM_ ; -- Begin function _ZN7rocprim17ROCPRIM_400000_NS6detail17trampoline_kernelINS0_14default_configENS1_37merge_sort_block_sort_config_selectorIN6thrust23THRUST_200600_302600_NS4pairIiiEENS0_10empty_typeEEEZNS1_21merge_sort_block_sortIS3_NS6_6detail15normal_iteratorINS6_10device_ptrIS8_EEEESG_PS9_SH_NS6_4lessIS8_EEEE10hipError_tT0_T1_T2_T3_mRjT4_P12ihipStream_tbNS1_7vsmem_tEEUlT_E_NS1_11comp_targetILNS1_3genE0ELNS1_11target_archE4294967295ELNS1_3gpuE0ELNS1_3repE0EEENS1_30default_config_static_selectorELNS0_4arch9wavefront6targetE1EEEvSM_
	.globl	_ZN7rocprim17ROCPRIM_400000_NS6detail17trampoline_kernelINS0_14default_configENS1_37merge_sort_block_sort_config_selectorIN6thrust23THRUST_200600_302600_NS4pairIiiEENS0_10empty_typeEEEZNS1_21merge_sort_block_sortIS3_NS6_6detail15normal_iteratorINS6_10device_ptrIS8_EEEESG_PS9_SH_NS6_4lessIS8_EEEE10hipError_tT0_T1_T2_T3_mRjT4_P12ihipStream_tbNS1_7vsmem_tEEUlT_E_NS1_11comp_targetILNS1_3genE0ELNS1_11target_archE4294967295ELNS1_3gpuE0ELNS1_3repE0EEENS1_30default_config_static_selectorELNS0_4arch9wavefront6targetE1EEEvSM_
	.p2align	8
	.type	_ZN7rocprim17ROCPRIM_400000_NS6detail17trampoline_kernelINS0_14default_configENS1_37merge_sort_block_sort_config_selectorIN6thrust23THRUST_200600_302600_NS4pairIiiEENS0_10empty_typeEEEZNS1_21merge_sort_block_sortIS3_NS6_6detail15normal_iteratorINS6_10device_ptrIS8_EEEESG_PS9_SH_NS6_4lessIS8_EEEE10hipError_tT0_T1_T2_T3_mRjT4_P12ihipStream_tbNS1_7vsmem_tEEUlT_E_NS1_11comp_targetILNS1_3genE0ELNS1_11target_archE4294967295ELNS1_3gpuE0ELNS1_3repE0EEENS1_30default_config_static_selectorELNS0_4arch9wavefront6targetE1EEEvSM_,@function
_ZN7rocprim17ROCPRIM_400000_NS6detail17trampoline_kernelINS0_14default_configENS1_37merge_sort_block_sort_config_selectorIN6thrust23THRUST_200600_302600_NS4pairIiiEENS0_10empty_typeEEEZNS1_21merge_sort_block_sortIS3_NS6_6detail15normal_iteratorINS6_10device_ptrIS8_EEEESG_PS9_SH_NS6_4lessIS8_EEEE10hipError_tT0_T1_T2_T3_mRjT4_P12ihipStream_tbNS1_7vsmem_tEEUlT_E_NS1_11comp_targetILNS1_3genE0ELNS1_11target_archE4294967295ELNS1_3gpuE0ELNS1_3repE0EEENS1_30default_config_static_selectorELNS0_4arch9wavefront6targetE1EEEvSM_: ; @_ZN7rocprim17ROCPRIM_400000_NS6detail17trampoline_kernelINS0_14default_configENS1_37merge_sort_block_sort_config_selectorIN6thrust23THRUST_200600_302600_NS4pairIiiEENS0_10empty_typeEEEZNS1_21merge_sort_block_sortIS3_NS6_6detail15normal_iteratorINS6_10device_ptrIS8_EEEESG_PS9_SH_NS6_4lessIS8_EEEE10hipError_tT0_T1_T2_T3_mRjT4_P12ihipStream_tbNS1_7vsmem_tEEUlT_E_NS1_11comp_targetILNS1_3genE0ELNS1_11target_archE4294967295ELNS1_3gpuE0ELNS1_3repE0EEENS1_30default_config_static_selectorELNS0_4arch9wavefront6targetE1EEEvSM_
; %bb.0:
	s_load_dwordx2 s[24:25], s[0:1], 0x40
	s_load_dword s5, s[0:1], 0x0
	s_add_u32 s22, s0, 64
	s_addc_u32 s23, s1, 0
	s_waitcnt lgkmcnt(0)
	s_mul_i32 s4, s25, s4
	s_add_i32 s3, s4, s3
	s_mul_i32 s3, s3, s24
	s_add_i32 s26, s3, s2
	s_cmp_ge_u32 s26, s5
	s_cbranch_scc1 .LBB624_268
; %bb.1:
	s_load_dwordx2 s[30:31], s[0:1], 0x8
	s_load_dwordx4 s[4:7], s[0:1], 0x18
	s_mov_b32 s27, 0
	s_lshl_b64 s[0:1], s[26:27], 14
	v_and_b32_e32 v28, 0x3ff, v0
	s_waitcnt lgkmcnt(0)
	s_lshr_b64 s[8:9], s[30:31], 11
	s_add_u32 s28, s4, s0
	s_addc_u32 s29, s5, s1
	s_add_u32 s36, s6, s0
	s_addc_u32 s37, s7, s1
	s_cmp_lg_u64 s[8:9], s[26:27]
	v_bfe_u32 v35, v0, 10, 10
	v_bfe_u32 v36, v0, 20, 10
	v_lshlrev_b32_e32 v30, 3, v28
	v_lshrrev_b32_e32 v38, 2, v28
	v_lshlrev_b32_e32 v37, 1, v28
	v_lshlrev_b32_e32 v34, 6, v28
	s_cbranch_scc0 .LBB624_147
; %bb.2:
	v_mov_b32_e32 v29, 0
	v_mov_b32_e32 v31, v29
	v_lshl_add_u64 v[0:1], s[28:29], 0, v[30:31]
	v_add_co_u32_e32 v2, vcc, 0x1000, v0
	v_or_b32_e32 v20, 0x400, v28
	s_nop 0
	v_addc_co_u32_e32 v3, vcc, 0, v1, vcc
	flat_load_dwordx2 v[4:5], v[0:1]
	flat_load_dwordx2 v[6:7], v[0:1] offset:2048
	flat_load_dwordx2 v[8:9], v[2:3]
	flat_load_dwordx2 v[10:11], v[2:3] offset:2048
	v_add_co_u32_e32 v2, vcc, 0x2000, v0
	v_add_u32_e32 v21, 0x500, v28
	s_nop 0
	v_addc_co_u32_e32 v3, vcc, 0, v1, vcc
	v_add_co_u32_e32 v0, vcc, 0x3000, v0
	v_add_u32_e32 v22, 0x600, v28
	s_nop 0
	v_addc_co_u32_e32 v1, vcc, 0, v1, vcc
	flat_load_dwordx2 v[12:13], v[2:3]
	flat_load_dwordx2 v[14:15], v[2:3] offset:2048
	flat_load_dwordx2 v[16:17], v[0:1]
	flat_load_dwordx2 v[18:19], v[0:1] offset:2048
	v_and_b32_e32 v0, 0xf8, v38
	v_add_u32_e32 v1, 0x100, v28
	v_add_u32_e32 v2, 0x200, v28
	;; [unrolled: 1-line block ×4, first 2 shown]
	v_and_b32_e32 v24, 0x7f8, v37
	v_add_u32_e32 v31, v0, v30
	v_lshrrev_b32_e32 v0, 2, v1
	v_lshrrev_b32_e32 v1, 2, v2
	;; [unrolled: 1-line block ×7, first 2 shown]
	v_add_u32_e32 v39, v24, v34
	v_and_b32_e32 v0, 0x1f8, v0
	v_and_b32_e32 v1, 0x1f8, v1
	;; [unrolled: 1-line block ×7, first 2 shown]
	v_add_u32_e32 v40, v0, v30
	v_add_u32_e32 v41, v1, v30
	;; [unrolled: 1-line block ×7, first 2 shown]
	s_waitcnt vmcnt(0) lgkmcnt(0)
	ds_write_b64 v31, v[4:5]
	ds_write_b64 v40, v[6:7] offset:2048
	ds_write_b64 v41, v[8:9] offset:4096
	;; [unrolled: 1-line block ×7, first 2 shown]
	s_waitcnt lgkmcnt(0)
	s_barrier
	ds_read2_b64 v[0:3], v39 offset1:1
	ds_read2_b64 v[4:7], v39 offset0:2 offset1:3
	ds_read2_b64 v[8:11], v39 offset0:4 offset1:5
	;; [unrolled: 1-line block ×3, first 2 shown]
	s_waitcnt lgkmcnt(0)
	s_barrier
	s_load_dword s0, s[22:23], 0xc
	v_mov_b32_e32 v16, v4
	v_mov_b32_e32 v17, v5
	;; [unrolled: 1-line block ×4, first 2 shown]
	s_waitcnt lgkmcnt(0)
	s_lshr_b32 s3, s0, 16
	s_cmp_lt_u32 s2, s24
	s_cselect_b32 s0, 12, 18
	s_add_u32 s0, s22, s0
	s_addc_u32 s1, s23, 0
	global_load_ushort v18, v29, s[0:1]
	v_mad_u32_u24 v19, v36, s3, v35
	s_movk_i32 s0, 0x800
	v_mov_b32_e32 v24, v12
	v_mov_b32_e32 v25, v13
	s_waitcnt vmcnt(0)
	v_mul_lo_u32 v18, v19, v18
	v_add_lshl_u32 v47, v18, v28, 3
	v_cmp_gt_u32_e32 vcc, s0, v47
	s_and_saveexec_b64 s[6:7], vcc
	s_cbranch_execz .LBB624_50
; %bb.3:
	v_cmp_ge_i32_e64 s[0:1], v0, v2
	v_cmp_lt_i32_e64 s[4:5], v3, v1
	v_cmp_lt_i32_e32 vcc, v2, v0
	s_and_b64 s[0:1], s[0:1], s[4:5]
	v_mov_b32_e32 v18, v3
	v_mov_b32_e32 v19, v2
	s_or_b64 s[4:5], vcc, s[0:1]
	v_mov_b64_e32 v[22:23], v[2:3]
	v_mov_b32_e32 v48, v1
	v_mov_b32_e32 v49, v0
	s_and_saveexec_b64 s[0:1], s[4:5]
; %bb.4:
	v_mov_b32_e32 v18, v1
	v_mov_b32_e32 v19, v0
	v_mov_b64_e32 v[22:23], v[0:1]
	v_mov_b64_e32 v[0:1], v[2:3]
	v_mov_b32_e32 v48, v3
	v_mov_b32_e32 v49, v2
; %bb.5:
	s_or_b64 exec, exec, s[0:1]
	v_cmp_ge_i32_e64 s[0:1], v4, v6
	v_cmp_lt_i32_e64 s[4:5], v7, v5
	v_cmp_lt_i32_e32 vcc, v6, v4
	s_and_b64 s[0:1], s[0:1], s[4:5]
	v_mov_b32_e32 v2, v5
	v_mov_b32_e32 v3, v4
	s_or_b64 s[4:5], vcc, s[0:1]
	v_mov_b64_e32 v[26:27], v[6:7]
	s_and_saveexec_b64 s[0:1], s[4:5]
; %bb.6:
	v_mov_b32_e32 v2, v7
	v_mov_b32_e32 v3, v6
	v_mov_b64_e32 v[26:27], v[16:17]
	v_mov_b64_e32 v[16:17], v[6:7]
	v_mov_b32_e32 v7, v5
	v_mov_b32_e32 v6, v4
; %bb.7:
	s_or_b64 exec, exec, s[0:1]
	v_cmp_ge_i32_e64 s[0:1], v8, v10
	v_cmp_lt_i32_e64 s[4:5], v11, v9
	v_cmp_lt_i32_e32 vcc, v10, v8
	s_and_b64 s[0:1], s[0:1], s[4:5]
	v_mov_b32_e32 v4, v9
	v_mov_b32_e32 v5, v8
	s_or_b64 s[4:5], vcc, s[0:1]
	v_mov_b64_e32 v[32:33], v[10:11]
	;; [unrolled: 18-line block ×3, first 2 shown]
	s_and_saveexec_b64 s[0:1], s[4:5]
; %bb.10:
	v_mov_b32_e32 v8, v15
	v_mov_b32_e32 v9, v14
	v_mov_b64_e32 v[50:51], v[24:25]
	v_mov_b64_e32 v[24:25], v[14:15]
	v_mov_b32_e32 v15, v13
	v_mov_b32_e32 v14, v12
; %bb.11:
	s_or_b64 exec, exec, s[0:1]
	v_cmp_ge_i32_e64 s[0:1], v19, v3
	v_cmp_lt_i32_e64 s[4:5], v2, v18
	v_cmp_lt_i32_e32 vcc, v3, v19
	s_and_b64 s[0:1], s[0:1], s[4:5]
	s_or_b64 s[0:1], vcc, s[0:1]
	v_mov_b64_e32 v[52:53], v[16:17]
	s_and_saveexec_b64 s[4:5], s[0:1]
	s_xor_b64 s[0:1], exec, s[4:5]
; %bb.12:
	v_mov_b32_e32 v18, v17
	v_mov_b32_e32 v19, v16
	;; [unrolled: 1-line block ×4, first 2 shown]
	v_mov_b64_e32 v[52:53], v[22:23]
	v_mov_b64_e32 v[22:23], v[16:17]
; %bb.13:
	s_or_b64 exec, exec, s[0:1]
	v_cmp_ge_i32_e64 s[0:1], v6, v5
	v_cmp_lt_i32_e64 s[4:5], v4, v7
	v_cmp_lt_i32_e32 vcc, v5, v6
	s_and_b64 s[0:1], s[0:1], s[4:5]
	s_or_b64 s[4:5], vcc, s[0:1]
	v_mov_b64_e32 v[12:13], v[20:21]
	s_and_saveexec_b64 s[0:1], s[4:5]
; %bb.14:
	v_mov_b32_e32 v4, v27
	v_mov_b32_e32 v5, v26
	v_mov_b64_e32 v[12:13], v[26:27]
	v_mov_b64_e32 v[26:27], v[20:21]
	v_mov_b32_e32 v7, v21
	v_mov_b32_e32 v6, v20
; %bb.15:
	s_or_b64 exec, exec, s[0:1]
	v_cmp_ge_i32_e64 s[0:1], v10, v9
	v_cmp_lt_i32_e64 s[4:5], v8, v11
	v_cmp_lt_i32_e32 vcc, v9, v10
	s_and_b64 s[0:1], s[0:1], s[4:5]
	s_or_b64 s[4:5], vcc, s[0:1]
	v_mov_b64_e32 v[16:17], v[24:25]
	s_and_saveexec_b64 s[0:1], s[4:5]
; %bb.16:
	v_mov_b32_e32 v8, v33
	v_mov_b32_e32 v9, v32
	v_mov_b64_e32 v[16:17], v[32:33]
	v_mov_b64_e32 v[32:33], v[24:25]
	v_mov_b32_e32 v11, v25
	v_mov_b32_e32 v10, v24
	;; [unrolled: 16-line block ×3, first 2 shown]
; %bb.19:
	s_or_b64 exec, exec, s[0:1]
	v_cmp_ge_i32_e64 s[0:1], v3, v6
	v_cmp_lt_i32_e64 s[4:5], v7, v2
	v_cmp_lt_i32_e32 vcc, v6, v3
	s_and_b64 s[0:1], s[0:1], s[4:5]
	s_or_b64 s[4:5], vcc, s[0:1]
	v_mov_b64_e32 v[54:55], v[26:27]
	s_and_saveexec_b64 s[0:1], s[4:5]
; %bb.20:
	v_mov_b32_e32 v2, v27
	v_mov_b32_e32 v3, v26
	v_mov_b32_e32 v6, v52
	v_mov_b32_e32 v7, v53
	v_mov_b64_e32 v[54:55], v[52:53]
	v_mov_b64_e32 v[52:53], v[26:27]
; %bb.21:
	s_or_b64 exec, exec, s[0:1]
	v_cmp_ge_i32_e64 s[0:1], v5, v10
	v_cmp_lt_i32_e64 s[4:5], v11, v4
	v_cmp_lt_i32_e32 vcc, v10, v5
	s_and_b64 s[0:1], s[0:1], s[4:5]
	s_or_b64 s[4:5], vcc, s[0:1]
	v_mov_b64_e32 v[56:57], v[32:33]
	s_and_saveexec_b64 s[0:1], s[4:5]
; %bb.22:
	v_mov_b32_e32 v4, v33
	v_mov_b32_e32 v5, v32
	v_mov_b32_e32 v10, v12
	v_mov_b32_e32 v11, v13
	v_mov_b64_e32 v[56:57], v[12:13]
	v_mov_b64_e32 v[12:13], v[32:33]
	;; [unrolled: 16-line block ×4, first 2 shown]
; %bb.27:
	s_or_b64 exec, exec, s[0:1]
	v_cmp_ge_i32_e64 s[0:1], v6, v5
	v_cmp_lt_i32_e64 s[4:5], v4, v7
	v_cmp_lt_i32_e32 vcc, v5, v6
	s_and_b64 s[0:1], s[0:1], s[4:5]
	s_or_b64 s[4:5], vcc, s[0:1]
	v_mov_b64_e32 v[24:25], v[12:13]
	s_and_saveexec_b64 s[0:1], s[4:5]
; %bb.28:
	v_mov_b32_e32 v4, v55
	v_mov_b32_e32 v5, v54
	v_mov_b64_e32 v[24:25], v[54:55]
	v_mov_b64_e32 v[54:55], v[12:13]
	v_mov_b32_e32 v7, v13
	v_mov_b32_e32 v6, v12
; %bb.29:
	s_or_b64 exec, exec, s[0:1]
	v_cmp_ge_i32_e64 s[0:1], v10, v9
	v_cmp_lt_i32_e64 s[4:5], v8, v11
	v_cmp_lt_i32_e32 vcc, v9, v10
	s_and_b64 s[0:1], s[0:1], s[4:5]
	s_or_b64 s[4:5], vcc, s[0:1]
	v_mov_b64_e32 v[26:27], v[16:17]
	s_and_saveexec_b64 s[0:1], s[4:5]
; %bb.30:
	v_mov_b32_e32 v8, v57
	v_mov_b32_e32 v9, v56
	v_mov_b64_e32 v[26:27], v[56:57]
	v_mov_b64_e32 v[56:57], v[16:17]
	v_mov_b32_e32 v11, v17
	v_mov_b32_e32 v10, v16
	;; [unrolled: 16-line block ×3, first 2 shown]
; %bb.33:
	s_or_b64 exec, exec, s[0:1]
	v_cmp_ge_i32_e64 s[0:1], v3, v6
	v_cmp_lt_i32_e64 s[4:5], v7, v2
	v_cmp_lt_i32_e32 vcc, v6, v3
	s_and_b64 s[0:1], s[0:1], s[4:5]
	s_or_b64 s[4:5], vcc, s[0:1]
	v_mov_b64_e32 v[52:53], v[54:55]
	s_and_saveexec_b64 s[0:1], s[4:5]
; %bb.34:
	v_mov_b32_e32 v2, v55
	v_mov_b32_e32 v3, v54
	v_mov_b32_e32 v6, v32
	v_mov_b32_e32 v7, v33
	v_mov_b64_e32 v[52:53], v[32:33]
	v_mov_b64_e32 v[32:33], v[54:55]
; %bb.35:
	s_or_b64 exec, exec, s[0:1]
	v_cmp_ge_i32_e64 s[0:1], v5, v10
	v_cmp_lt_i32_e64 s[4:5], v11, v4
	v_cmp_lt_i32_e32 vcc, v10, v5
	s_and_b64 s[0:1], s[0:1], s[4:5]
	s_or_b64 s[4:5], vcc, s[0:1]
	v_mov_b64_e32 v[50:51], v[56:57]
	s_and_saveexec_b64 s[0:1], s[4:5]
; %bb.36:
	v_mov_b32_e32 v4, v57
	v_mov_b32_e32 v5, v56
	v_mov_b32_e32 v10, v24
	v_mov_b32_e32 v11, v25
	v_mov_b64_e32 v[50:51], v[24:25]
	v_mov_b64_e32 v[24:25], v[56:57]
	;; [unrolled: 16-line block ×4, first 2 shown]
; %bb.41:
	s_or_b64 exec, exec, s[0:1]
	v_cmp_ge_i32_e64 s[0:1], v6, v5
	v_cmp_lt_i32_e64 s[4:5], v4, v7
	v_cmp_lt_i32_e32 vcc, v5, v6
	s_and_b64 s[0:1], s[0:1], s[4:5]
	s_or_b64 s[4:5], vcc, s[0:1]
	v_mov_b64_e32 v[22:23], v[24:25]
	s_and_saveexec_b64 s[0:1], s[4:5]
; %bb.42:
	v_mov_b32_e32 v4, v53
	v_mov_b32_e32 v5, v52
	v_mov_b64_e32 v[22:23], v[52:53]
	v_mov_b64_e32 v[52:53], v[24:25]
	v_mov_b32_e32 v7, v25
	v_mov_b32_e32 v6, v24
; %bb.43:
	s_or_b64 exec, exec, s[0:1]
	v_cmp_ge_i32_e64 s[0:1], v10, v9
	v_cmp_lt_i32_e64 s[4:5], v8, v11
	v_cmp_lt_i32_e32 vcc, v9, v10
	s_and_b64 s[0:1], s[0:1], s[4:5]
	s_or_b64 s[4:5], vcc, s[0:1]
	v_mov_b64_e32 v[24:25], v[26:27]
	s_and_saveexec_b64 s[0:1], s[4:5]
; %bb.44:
	v_mov_b32_e32 v8, v51
	v_mov_b32_e32 v9, v50
	v_mov_b64_e32 v[24:25], v[50:51]
	v_mov_b64_e32 v[50:51], v[26:27]
	v_mov_b32_e32 v11, v27
	v_mov_b32_e32 v10, v26
; %bb.45:
	s_or_b64 exec, exec, s[0:1]
	v_cmp_ge_i32_e64 s[0:1], v3, v6
	v_cmp_lt_i32_e64 s[4:5], v7, v2
	v_cmp_lt_i32_e32 vcc, v6, v3
	s_and_b64 s[0:1], s[0:1], s[4:5]
	s_or_b64 s[4:5], vcc, s[0:1]
	v_mov_b64_e32 v[26:27], v[52:53]
	s_and_saveexec_b64 s[0:1], s[4:5]
; %bb.46:
	v_mov_b32_e32 v2, v53
	v_mov_b32_e32 v3, v52
	;; [unrolled: 1-line block ×4, first 2 shown]
	v_mov_b64_e32 v[26:27], v[20:21]
	v_mov_b64_e32 v[20:21], v[52:53]
; %bb.47:
	s_or_b64 exec, exec, s[0:1]
	v_cmp_ge_i32_e64 s[0:1], v5, v10
	v_cmp_lt_i32_e64 s[4:5], v11, v4
	v_cmp_lt_i32_e32 vcc, v10, v5
	s_and_b64 s[0:1], s[0:1], s[4:5]
	s_or_b64 s[4:5], vcc, s[0:1]
	v_mov_b64_e32 v[32:33], v[50:51]
	s_and_saveexec_b64 s[0:1], s[4:5]
; %bb.48:
	v_mov_b32_e32 v10, v22
	v_mov_b32_e32 v11, v23
	;; [unrolled: 1-line block ×4, first 2 shown]
	v_mov_b64_e32 v[32:33], v[22:23]
	v_mov_b64_e32 v[22:23], v[50:51]
; %bb.49:
	s_or_b64 exec, exec, s[0:1]
	v_cmp_ge_i32_e64 s[0:1], v49, v19
	v_cmp_lt_i32_e64 s[4:5], v18, v48
	v_cmp_lt_i32_e32 vcc, v19, v49
	s_and_b64 s[0:1], s[0:1], s[4:5]
	s_or_b64 vcc, vcc, s[0:1]
	v_cmp_ge_i32_e64 s[0:1], v9, v14
	v_cmp_lt_i32_e64 s[4:5], v15, v8
	v_cndmask_b32_e32 v48, v12, v0, vcc
	v_cndmask_b32_e32 v49, v13, v1, vcc
	;; [unrolled: 1-line block ×6, first 2 shown]
	v_cmp_lt_i32_e32 vcc, v14, v9
	s_and_b64 s[0:1], s[0:1], s[4:5]
	s_or_b64 vcc, vcc, s[0:1]
	v_cmp_ge_i32_e64 s[0:1], v0, v3
	v_cmp_lt_i32_e64 s[4:5], v2, v1
	v_cndmask_b32_e32 v15, v17, v25, vcc
	v_cndmask_b32_e32 v14, v16, v24, vcc
	;; [unrolled: 1-line block ×6, first 2 shown]
	v_cmp_lt_i32_e32 vcc, v3, v0
	s_and_b64 s[0:1], s[0:1], s[4:5]
	s_or_b64 vcc, vcc, s[0:1]
	v_cmp_ge_i32_e64 s[0:1], v6, v5
	v_cmp_lt_i32_e64 s[4:5], v4, v7
	v_cndmask_b32_e32 v17, v21, v49, vcc
	v_cndmask_b32_e32 v16, v20, v48, vcc
	;; [unrolled: 1-line block ×4, first 2 shown]
	v_cmp_lt_i32_e32 vcc, v5, v6
	s_and_b64 s[0:1], s[0:1], s[4:5]
	s_or_b64 vcc, vcc, s[0:1]
	v_cmp_ge_i32_e64 s[0:1], v10, v9
	v_cmp_lt_i32_e64 s[4:5], v8, v11
	v_cndmask_b32_e32 v21, v23, v27, vcc
	v_cndmask_b32_e32 v20, v22, v26, vcc
	;; [unrolled: 1-line block ×4, first 2 shown]
	v_cmp_lt_i32_e32 vcc, v9, v10
	s_and_b64 s[0:1], s[0:1], s[4:5]
	s_or_b64 vcc, vcc, s[0:1]
	v_cndmask_b32_e32 v25, v19, v33, vcc
	v_cndmask_b32_e32 v24, v18, v32, vcc
	;; [unrolled: 1-line block ×4, first 2 shown]
	v_mov_b64_e32 v[0:1], v[12:13]
.LBB624_50:
	s_or_b64 exec, exec, s[6:7]
	v_mbcnt_lo_u32_b32 v4, -1, 0
	v_mbcnt_hi_u32_b32 v9, -1, v4
	v_and_b32_e32 v4, 0xfffffe00, v47
	s_movk_i32 s0, 0x800
	v_lshlrev_b32_e32 v8, 6, v9
	v_lshlrev_b32_e32 v9, 3, v9
	v_sub_u32_e64 v5, s0, v4 clamp
	v_or_b32_e32 v12, 8, v9
	v_lshlrev_b32_e32 v4, 3, v4
	v_min_u32_e32 v12, v5, v12
	v_add_u32_e32 v8, v4, v8
	v_mov_b32_e32 v18, v6
	v_mov_b32_e32 v19, v7
	;; [unrolled: 1-line block ×4, first 2 shown]
	v_add_u32_e32 v13, 8, v12
	ds_write_b128 v8, v[16:19] offset:16
	ds_write_b128 v8, v[20:23] offset:32
	v_mov_b32_e32 v26, v14
	v_mov_b32_e32 v27, v15
	v_and_b32_e32 v22, 0x3f0, v9
	v_min_u32_e32 v13, v5, v13
	v_and_b32_e32 v18, 8, v9
	ds_write_b128 v8, v[24:27] offset:48
	v_min_u32_e32 v23, v5, v18
	v_sub_u32_e32 v26, v12, v22
	v_sub_u32_e32 v19, v13, v12
	v_sub_u32_e64 v19, v23, v19 clamp
	v_min_u32_e32 v26, v23, v26
	v_lshl_add_u32 v18, v22, 3, v4
	v_cmp_lt_u32_e32 vcc, v19, v26
	ds_write_b128 v8, v[0:3]
	; wave barrier
	s_and_saveexec_b64 s[6:7], vcc
	s_cbranch_execz .LBB624_54
; %bb.51:
	v_lshlrev_b32_e32 v27, 3, v12
	v_lshlrev_b32_e32 v32, 3, v23
	v_add3_u32 v27, v4, v27, v32
	s_mov_b64 s[8:9], 0
.LBB624_52:                             ; =>This Inner Loop Header: Depth=1
	v_add_u32_e32 v32, v26, v19
	v_lshrrev_b32_e32 v47, 1, v32
	v_not_b32_e32 v32, v47
	v_lshl_add_u32 v33, v47, 3, v18
	v_lshl_add_u32 v48, v32, 3, v27
	ds_read_b64 v[32:33], v33
	ds_read_b64 v[48:49], v48
	v_add_u32_e32 v50, 1, v47
	s_waitcnt lgkmcnt(0)
	v_cmp_ge_i32_e64 s[0:1], v32, v48
	v_cmp_lt_i32_e64 s[4:5], v49, v33
	v_cmp_lt_i32_e32 vcc, v48, v32
	s_and_b64 s[0:1], s[0:1], s[4:5]
	s_or_b64 vcc, vcc, s[0:1]
	v_cndmask_b32_e32 v26, v26, v47, vcc
	v_cndmask_b32_e32 v19, v50, v19, vcc
	v_cmp_ge_u32_e32 vcc, v19, v26
	s_or_b64 s[8:9], vcc, s[8:9]
	s_andn2_b64 exec, exec, s[8:9]
	s_cbranch_execnz .LBB624_52
; %bb.53:
	s_or_b64 exec, exec, s[8:9]
.LBB624_54:
	s_or_b64 exec, exec, s[6:7]
	v_add_u32_e32 v23, v12, v23
	v_add_u32_e32 v22, v19, v22
	v_sub_u32_e32 v23, v23, v19
	v_cmp_le_u32_e32 vcc, v22, v12
	v_cmp_le_u32_e64 s[0:1], v23, v13
	s_or_b64 s[0:1], vcc, s[0:1]
	s_and_saveexec_b64 s[34:35], s[0:1]
	s_cbranch_execz .LBB624_62
; %bb.55:
	v_cmp_lt_u32_e32 vcc, v22, v12
	v_mov_b32_e32 v0, 0
	v_mov_b32_e32 v2, 0
	;; [unrolled: 1-line block ×3, first 2 shown]
	s_and_saveexec_b64 s[0:1], vcc
; %bb.56:
	v_lshl_add_u32 v1, v19, 3, v18
	ds_read_b64 v[2:3], v1
; %bb.57:
	s_or_b64 exec, exec, s[0:1]
	v_cmp_ge_u32_e64 s[0:1], v23, v13
	v_cmp_lt_u32_e64 s[4:5], v23, v13
	v_mov_b32_e32 v1, 0
	s_and_saveexec_b64 s[6:7], s[4:5]
; %bb.58:
	v_lshl_add_u32 v0, v23, 3, v4
	ds_read_b64 v[0:1], v0
; %bb.59:
	s_or_b64 exec, exec, s[6:7]
	s_waitcnt lgkmcnt(0)
	v_cmp_ge_i32_e64 s[4:5], v0, v2
	v_cmp_lt_i32_e64 s[6:7], v2, v0
	v_cmp_ge_i32_e64 s[8:9], v1, v3
	s_or_b64 s[6:7], s[6:7], s[8:9]
	s_and_b64 s[4:5], vcc, s[4:5]
	s_and_b64 s[4:5], s[4:5], s[6:7]
	s_or_b64 vcc, s[0:1], s[4:5]
	v_cndmask_b32_e32 v6, v23, v22, vcc
	v_cndmask_b32_e32 v7, v13, v12, vcc
	v_add_u32_e32 v14, 1, v6
	v_add_u32_e32 v6, -1, v7
	v_min_u32_e32 v6, v14, v6
	v_lshl_add_u32 v6, v6, 3, v4
	ds_read_b64 v[10:11], v6
	v_cndmask_b32_e32 v19, v22, v14, vcc
	v_cmp_lt_u32_e64 s[4:5], v19, v12
	v_cndmask_b32_e32 v18, v14, v23, vcc
	v_cmp_ge_u32_e64 s[0:1], v18, v13
	s_waitcnt lgkmcnt(0)
	v_cndmask_b32_e32 v6, v10, v0, vcc
	v_cndmask_b32_e32 v7, v11, v1, vcc
	;; [unrolled: 1-line block ×4, first 2 shown]
	v_cmp_ge_i32_e64 s[6:7], v6, v10
	v_cmp_lt_i32_e64 s[8:9], v10, v6
	v_cmp_ge_i32_e64 s[10:11], v7, v11
	s_or_b64 s[8:9], s[8:9], s[10:11]
	s_and_b64 s[4:5], s[4:5], s[6:7]
	s_and_b64 s[4:5], s[4:5], s[8:9]
	s_or_b64 s[0:1], s[0:1], s[4:5]
	v_cndmask_b32_e64 v14, v18, v19, s[0:1]
	v_cndmask_b32_e64 v15, v13, v12, s[0:1]
	v_add_u32_e32 v20, 1, v14
	v_add_u32_e32 v14, -1, v15
	v_min_u32_e32 v14, v20, v14
	v_lshl_add_u32 v14, v14, 3, v4
	ds_read_b64 v[16:17], v14
	v_cndmask_b32_e64 v23, v19, v20, s[0:1]
	v_cmp_lt_u32_e64 s[6:7], v23, v12
	v_cndmask_b32_e64 v22, v20, v18, s[0:1]
	v_cmp_ge_u32_e64 s[4:5], v22, v13
	s_waitcnt lgkmcnt(0)
	v_cndmask_b32_e64 v14, v16, v6, s[0:1]
	v_cndmask_b32_e64 v15, v17, v7, s[0:1]
	v_cndmask_b32_e64 v16, v10, v16, s[0:1]
	v_cndmask_b32_e64 v17, v11, v17, s[0:1]
	v_cmp_ge_i32_e64 s[8:9], v14, v16
	v_cmp_lt_i32_e64 s[10:11], v16, v14
	v_cmp_ge_i32_e64 s[12:13], v15, v17
	s_or_b64 s[10:11], s[10:11], s[12:13]
	s_and_b64 s[6:7], s[6:7], s[8:9]
	s_and_b64 s[6:7], s[6:7], s[10:11]
	s_or_b64 s[12:13], s[4:5], s[6:7]
	v_cndmask_b32_e64 v18, v22, v23, s[12:13]
	v_cndmask_b32_e64 v19, v13, v12, s[12:13]
	v_add_u32_e32 v24, 1, v18
	v_add_u32_e32 v18, -1, v19
	v_min_u32_e32 v18, v24, v18
	v_lshl_add_u32 v18, v18, 3, v4
	ds_read_b64 v[20:21], v18
	v_cndmask_b32_e64 v27, v23, v24, s[12:13]
	v_cmp_lt_u32_e64 s[6:7], v27, v12
	v_cndmask_b32_e64 v26, v24, v22, s[12:13]
	v_cmp_ge_u32_e64 s[4:5], v26, v13
	s_waitcnt lgkmcnt(0)
	v_cndmask_b32_e64 v18, v20, v14, s[12:13]
	v_cndmask_b32_e64 v19, v21, v15, s[12:13]
	v_cndmask_b32_e64 v20, v16, v20, s[12:13]
	v_cndmask_b32_e64 v21, v17, v21, s[12:13]
	;; [unrolled: 23-line block ×5, first 2 shown]
	v_cmp_ge_i32_e64 s[16:17], v47, v49
	v_cmp_lt_i32_e64 s[18:19], v49, v47
	v_cmp_ge_i32_e64 s[20:21], v48, v50
	s_or_b64 s[18:19], s[18:19], s[20:21]
	s_and_b64 s[14:15], s[14:15], s[16:17]
	s_and_b64 s[14:15], s[14:15], s[18:19]
	s_or_b64 s[10:11], s[10:11], s[14:15]
	v_cndmask_b32_e64 v51, v57, v55, s[10:11]
	v_cndmask_b32_e64 v52, v13, v12, s[10:11]
	v_add_u32_e32 v56, 1, v51
	v_add_u32_e32 v51, -1, v52
	v_min_u32_e32 v51, v56, v51
	v_lshl_add_u32 v51, v51, 3, v4
	ds_read_b64 v[58:59], v51
	v_cndmask_b32_e64 v57, v56, v57, s[10:11]
	v_cmp_lt_u32_e64 s[14:15], v57, v13
	s_mov_b64 s[16:17], -1
	s_waitcnt lgkmcnt(0)
	v_cndmask_b32_e64 v51, v58, v47, s[10:11]
	v_cndmask_b32_e64 v52, v59, v48, s[10:11]
	;; [unrolled: 1-line block ×4, first 2 shown]
	s_and_saveexec_b64 s[38:39], s[14:15]
; %bb.60:
	v_cndmask_b32_e64 v13, v55, v56, s[10:11]
	v_cmp_lt_u32_e64 s[14:15], v13, v12
	v_cmp_ge_i32_e64 s[16:17], v51, v53
	v_cmp_lt_i32_e64 s[18:19], v53, v51
	v_cmp_ge_i32_e64 s[20:21], v52, v54
	s_or_b64 s[18:19], s[18:19], s[20:21]
	s_and_b64 s[14:15], s[14:15], s[16:17]
	s_and_b64 s[14:15], s[14:15], s[18:19]
	s_orn2_b64 s[16:17], s[14:15], exec
; %bb.61:
	s_or_b64 exec, exec, s[38:39]
	v_cndmask_b32_e32 v1, v1, v3, vcc
	v_cndmask_b32_e32 v0, v0, v2, vcc
	v_cndmask_b32_e64 v3, v7, v11, s[0:1]
	v_cndmask_b32_e64 v2, v6, v10, s[0:1]
	;; [unrolled: 1-line block ×14, first 2 shown]
.LBB624_62:
	s_or_b64 exec, exec, s[34:35]
	v_mov_b32_e32 v22, v10
	v_mov_b32_e32 v23, v11
	; wave barrier
	ds_write_b128 v8, v[20:23] offset:32
	v_and_b32_e32 v22, 0x3e0, v9
	v_or_b32_e32 v12, 16, v22
	v_min_u32_e32 v12, v5, v12
	v_mov_b32_e32 v18, v6
	v_mov_b32_e32 v19, v7
	v_add_u32_e32 v13, 16, v12
	ds_write_b128 v8, v[16:19] offset:16
	v_mov_b32_e32 v26, v14
	v_mov_b32_e32 v27, v15
	v_min_u32_e32 v13, v5, v13
	v_and_b32_e32 v18, 24, v9
	ds_write_b128 v8, v[24:27] offset:48
	v_min_u32_e32 v23, v5, v18
	v_sub_u32_e32 v26, v12, v22
	v_sub_u32_e32 v19, v13, v12
	v_sub_u32_e64 v19, v23, v19 clamp
	v_min_u32_e32 v26, v23, v26
	v_lshl_add_u32 v18, v22, 3, v4
	v_cmp_lt_u32_e32 vcc, v19, v26
	ds_write_b128 v8, v[0:3]
	; wave barrier
	s_and_saveexec_b64 s[6:7], vcc
	s_cbranch_execz .LBB624_66
; %bb.63:
	v_lshlrev_b32_e32 v27, 3, v12
	v_lshlrev_b32_e32 v32, 3, v23
	v_add3_u32 v27, v4, v27, v32
	s_mov_b64 s[8:9], 0
.LBB624_64:                             ; =>This Inner Loop Header: Depth=1
	v_add_u32_e32 v32, v26, v19
	v_lshrrev_b32_e32 v47, 1, v32
	v_not_b32_e32 v32, v47
	v_lshl_add_u32 v33, v47, 3, v18
	v_lshl_add_u32 v48, v32, 3, v27
	ds_read_b64 v[32:33], v33
	ds_read_b64 v[48:49], v48
	v_add_u32_e32 v50, 1, v47
	s_waitcnt lgkmcnt(0)
	v_cmp_ge_i32_e64 s[0:1], v32, v48
	v_cmp_lt_i32_e64 s[4:5], v49, v33
	v_cmp_lt_i32_e32 vcc, v48, v32
	s_and_b64 s[0:1], s[0:1], s[4:5]
	s_or_b64 vcc, vcc, s[0:1]
	v_cndmask_b32_e32 v26, v26, v47, vcc
	v_cndmask_b32_e32 v19, v50, v19, vcc
	v_cmp_ge_u32_e32 vcc, v19, v26
	s_or_b64 s[8:9], vcc, s[8:9]
	s_andn2_b64 exec, exec, s[8:9]
	s_cbranch_execnz .LBB624_64
; %bb.65:
	s_or_b64 exec, exec, s[8:9]
.LBB624_66:
	s_or_b64 exec, exec, s[6:7]
	v_add_u32_e32 v23, v12, v23
	v_add_u32_e32 v22, v19, v22
	v_sub_u32_e32 v23, v23, v19
	v_cmp_le_u32_e32 vcc, v22, v12
	v_cmp_le_u32_e64 s[0:1], v23, v13
	s_or_b64 s[0:1], vcc, s[0:1]
	s_and_saveexec_b64 s[34:35], s[0:1]
	s_cbranch_execz .LBB624_74
; %bb.67:
	v_cmp_lt_u32_e32 vcc, v22, v12
	v_mov_b32_e32 v0, 0
	v_mov_b32_e32 v2, 0
	;; [unrolled: 1-line block ×3, first 2 shown]
	s_and_saveexec_b64 s[0:1], vcc
; %bb.68:
	v_lshl_add_u32 v1, v19, 3, v18
	ds_read_b64 v[2:3], v1
; %bb.69:
	s_or_b64 exec, exec, s[0:1]
	v_cmp_ge_u32_e64 s[0:1], v23, v13
	v_cmp_lt_u32_e64 s[4:5], v23, v13
	v_mov_b32_e32 v1, 0
	s_and_saveexec_b64 s[6:7], s[4:5]
; %bb.70:
	v_lshl_add_u32 v0, v23, 3, v4
	ds_read_b64 v[0:1], v0
; %bb.71:
	s_or_b64 exec, exec, s[6:7]
	s_waitcnt lgkmcnt(0)
	v_cmp_ge_i32_e64 s[4:5], v0, v2
	v_cmp_lt_i32_e64 s[6:7], v2, v0
	v_cmp_ge_i32_e64 s[8:9], v1, v3
	s_or_b64 s[6:7], s[6:7], s[8:9]
	s_and_b64 s[4:5], vcc, s[4:5]
	s_and_b64 s[4:5], s[4:5], s[6:7]
	s_or_b64 vcc, s[0:1], s[4:5]
	v_cndmask_b32_e32 v6, v23, v22, vcc
	v_cndmask_b32_e32 v7, v13, v12, vcc
	v_add_u32_e32 v14, 1, v6
	v_add_u32_e32 v6, -1, v7
	v_min_u32_e32 v6, v14, v6
	v_lshl_add_u32 v6, v6, 3, v4
	ds_read_b64 v[10:11], v6
	v_cndmask_b32_e32 v19, v22, v14, vcc
	v_cmp_lt_u32_e64 s[4:5], v19, v12
	v_cndmask_b32_e32 v18, v14, v23, vcc
	v_cmp_ge_u32_e64 s[0:1], v18, v13
	s_waitcnt lgkmcnt(0)
	v_cndmask_b32_e32 v6, v10, v0, vcc
	v_cndmask_b32_e32 v7, v11, v1, vcc
	;; [unrolled: 1-line block ×4, first 2 shown]
	v_cmp_ge_i32_e64 s[6:7], v6, v10
	v_cmp_lt_i32_e64 s[8:9], v10, v6
	v_cmp_ge_i32_e64 s[10:11], v7, v11
	s_or_b64 s[8:9], s[8:9], s[10:11]
	s_and_b64 s[4:5], s[4:5], s[6:7]
	s_and_b64 s[4:5], s[4:5], s[8:9]
	s_or_b64 s[0:1], s[0:1], s[4:5]
	v_cndmask_b32_e64 v14, v18, v19, s[0:1]
	v_cndmask_b32_e64 v15, v13, v12, s[0:1]
	v_add_u32_e32 v20, 1, v14
	v_add_u32_e32 v14, -1, v15
	v_min_u32_e32 v14, v20, v14
	v_lshl_add_u32 v14, v14, 3, v4
	ds_read_b64 v[16:17], v14
	v_cndmask_b32_e64 v23, v19, v20, s[0:1]
	v_cmp_lt_u32_e64 s[6:7], v23, v12
	v_cndmask_b32_e64 v22, v20, v18, s[0:1]
	v_cmp_ge_u32_e64 s[4:5], v22, v13
	s_waitcnt lgkmcnt(0)
	v_cndmask_b32_e64 v14, v16, v6, s[0:1]
	v_cndmask_b32_e64 v15, v17, v7, s[0:1]
	v_cndmask_b32_e64 v16, v10, v16, s[0:1]
	v_cndmask_b32_e64 v17, v11, v17, s[0:1]
	v_cmp_ge_i32_e64 s[8:9], v14, v16
	v_cmp_lt_i32_e64 s[10:11], v16, v14
	v_cmp_ge_i32_e64 s[12:13], v15, v17
	s_or_b64 s[10:11], s[10:11], s[12:13]
	s_and_b64 s[6:7], s[6:7], s[8:9]
	s_and_b64 s[6:7], s[6:7], s[10:11]
	s_or_b64 s[12:13], s[4:5], s[6:7]
	v_cndmask_b32_e64 v18, v22, v23, s[12:13]
	v_cndmask_b32_e64 v19, v13, v12, s[12:13]
	v_add_u32_e32 v24, 1, v18
	v_add_u32_e32 v18, -1, v19
	v_min_u32_e32 v18, v24, v18
	v_lshl_add_u32 v18, v18, 3, v4
	ds_read_b64 v[20:21], v18
	v_cndmask_b32_e64 v27, v23, v24, s[12:13]
	v_cmp_lt_u32_e64 s[6:7], v27, v12
	v_cndmask_b32_e64 v26, v24, v22, s[12:13]
	v_cmp_ge_u32_e64 s[4:5], v26, v13
	s_waitcnt lgkmcnt(0)
	v_cndmask_b32_e64 v18, v20, v14, s[12:13]
	v_cndmask_b32_e64 v19, v21, v15, s[12:13]
	v_cndmask_b32_e64 v20, v16, v20, s[12:13]
	v_cndmask_b32_e64 v21, v17, v21, s[12:13]
	;; [unrolled: 23-line block ×5, first 2 shown]
	v_cmp_ge_i32_e64 s[16:17], v47, v49
	v_cmp_lt_i32_e64 s[18:19], v49, v47
	v_cmp_ge_i32_e64 s[20:21], v48, v50
	s_or_b64 s[18:19], s[18:19], s[20:21]
	s_and_b64 s[14:15], s[14:15], s[16:17]
	s_and_b64 s[14:15], s[14:15], s[18:19]
	s_or_b64 s[10:11], s[10:11], s[14:15]
	v_cndmask_b32_e64 v51, v57, v55, s[10:11]
	v_cndmask_b32_e64 v52, v13, v12, s[10:11]
	v_add_u32_e32 v56, 1, v51
	v_add_u32_e32 v51, -1, v52
	v_min_u32_e32 v51, v56, v51
	v_lshl_add_u32 v51, v51, 3, v4
	ds_read_b64 v[58:59], v51
	v_cndmask_b32_e64 v57, v56, v57, s[10:11]
	v_cmp_lt_u32_e64 s[14:15], v57, v13
	s_mov_b64 s[16:17], -1
	s_waitcnt lgkmcnt(0)
	v_cndmask_b32_e64 v51, v58, v47, s[10:11]
	v_cndmask_b32_e64 v52, v59, v48, s[10:11]
	v_cndmask_b32_e64 v53, v49, v58, s[10:11]
	v_cndmask_b32_e64 v54, v50, v59, s[10:11]
	s_and_saveexec_b64 s[38:39], s[14:15]
; %bb.72:
	v_cndmask_b32_e64 v13, v55, v56, s[10:11]
	v_cmp_lt_u32_e64 s[14:15], v13, v12
	v_cmp_ge_i32_e64 s[16:17], v51, v53
	v_cmp_lt_i32_e64 s[18:19], v53, v51
	v_cmp_ge_i32_e64 s[20:21], v52, v54
	s_or_b64 s[18:19], s[18:19], s[20:21]
	s_and_b64 s[14:15], s[14:15], s[16:17]
	s_and_b64 s[14:15], s[14:15], s[18:19]
	s_orn2_b64 s[16:17], s[14:15], exec
; %bb.73:
	s_or_b64 exec, exec, s[38:39]
	v_cndmask_b32_e32 v1, v1, v3, vcc
	v_cndmask_b32_e32 v0, v0, v2, vcc
	v_cndmask_b32_e64 v3, v7, v11, s[0:1]
	v_cndmask_b32_e64 v2, v6, v10, s[0:1]
	;; [unrolled: 1-line block ×14, first 2 shown]
.LBB624_74:
	s_or_b64 exec, exec, s[34:35]
	v_mov_b32_e32 v22, v10
	v_mov_b32_e32 v23, v11
	; wave barrier
	ds_write_b128 v8, v[20:23] offset:32
	v_and_b32_e32 v22, 0x3c0, v9
	v_or_b32_e32 v12, 32, v22
	v_min_u32_e32 v12, v5, v12
	v_mov_b32_e32 v18, v6
	v_mov_b32_e32 v19, v7
	v_add_u32_e32 v13, 32, v12
	ds_write_b128 v8, v[16:19] offset:16
	v_mov_b32_e32 v26, v14
	v_mov_b32_e32 v27, v15
	v_min_u32_e32 v13, v5, v13
	v_and_b32_e32 v18, 56, v9
	ds_write_b128 v8, v[24:27] offset:48
	v_min_u32_e32 v23, v5, v18
	v_sub_u32_e32 v26, v12, v22
	v_sub_u32_e32 v19, v13, v12
	v_sub_u32_e64 v19, v23, v19 clamp
	v_min_u32_e32 v26, v23, v26
	v_lshl_add_u32 v18, v22, 3, v4
	v_cmp_lt_u32_e32 vcc, v19, v26
	ds_write_b128 v8, v[0:3]
	; wave barrier
	s_and_saveexec_b64 s[6:7], vcc
	s_cbranch_execz .LBB624_78
; %bb.75:
	v_lshlrev_b32_e32 v27, 3, v12
	v_lshlrev_b32_e32 v32, 3, v23
	v_add3_u32 v27, v4, v27, v32
	s_mov_b64 s[8:9], 0
.LBB624_76:                             ; =>This Inner Loop Header: Depth=1
	v_add_u32_e32 v32, v26, v19
	v_lshrrev_b32_e32 v47, 1, v32
	v_not_b32_e32 v32, v47
	v_lshl_add_u32 v33, v47, 3, v18
	v_lshl_add_u32 v48, v32, 3, v27
	ds_read_b64 v[32:33], v33
	ds_read_b64 v[48:49], v48
	v_add_u32_e32 v50, 1, v47
	s_waitcnt lgkmcnt(0)
	v_cmp_ge_i32_e64 s[0:1], v32, v48
	v_cmp_lt_i32_e64 s[4:5], v49, v33
	v_cmp_lt_i32_e32 vcc, v48, v32
	s_and_b64 s[0:1], s[0:1], s[4:5]
	s_or_b64 vcc, vcc, s[0:1]
	v_cndmask_b32_e32 v26, v26, v47, vcc
	v_cndmask_b32_e32 v19, v50, v19, vcc
	v_cmp_ge_u32_e32 vcc, v19, v26
	s_or_b64 s[8:9], vcc, s[8:9]
	s_andn2_b64 exec, exec, s[8:9]
	s_cbranch_execnz .LBB624_76
; %bb.77:
	s_or_b64 exec, exec, s[8:9]
.LBB624_78:
	s_or_b64 exec, exec, s[6:7]
	v_add_u32_e32 v23, v12, v23
	v_add_u32_e32 v22, v19, v22
	v_sub_u32_e32 v23, v23, v19
	v_cmp_le_u32_e32 vcc, v22, v12
	v_cmp_le_u32_e64 s[0:1], v23, v13
	s_or_b64 s[0:1], vcc, s[0:1]
	s_and_saveexec_b64 s[34:35], s[0:1]
	s_cbranch_execz .LBB624_86
; %bb.79:
	v_cmp_lt_u32_e32 vcc, v22, v12
	v_mov_b32_e32 v0, 0
	v_mov_b32_e32 v2, 0
	;; [unrolled: 1-line block ×3, first 2 shown]
	s_and_saveexec_b64 s[0:1], vcc
; %bb.80:
	v_lshl_add_u32 v1, v19, 3, v18
	ds_read_b64 v[2:3], v1
; %bb.81:
	s_or_b64 exec, exec, s[0:1]
	v_cmp_ge_u32_e64 s[0:1], v23, v13
	v_cmp_lt_u32_e64 s[4:5], v23, v13
	v_mov_b32_e32 v1, 0
	s_and_saveexec_b64 s[6:7], s[4:5]
; %bb.82:
	v_lshl_add_u32 v0, v23, 3, v4
	ds_read_b64 v[0:1], v0
; %bb.83:
	s_or_b64 exec, exec, s[6:7]
	s_waitcnt lgkmcnt(0)
	v_cmp_ge_i32_e64 s[4:5], v0, v2
	v_cmp_lt_i32_e64 s[6:7], v2, v0
	v_cmp_ge_i32_e64 s[8:9], v1, v3
	s_or_b64 s[6:7], s[6:7], s[8:9]
	s_and_b64 s[4:5], vcc, s[4:5]
	s_and_b64 s[4:5], s[4:5], s[6:7]
	s_or_b64 vcc, s[0:1], s[4:5]
	v_cndmask_b32_e32 v6, v23, v22, vcc
	v_cndmask_b32_e32 v7, v13, v12, vcc
	v_add_u32_e32 v14, 1, v6
	v_add_u32_e32 v6, -1, v7
	v_min_u32_e32 v6, v14, v6
	v_lshl_add_u32 v6, v6, 3, v4
	ds_read_b64 v[10:11], v6
	v_cndmask_b32_e32 v19, v22, v14, vcc
	v_cmp_lt_u32_e64 s[4:5], v19, v12
	v_cndmask_b32_e32 v18, v14, v23, vcc
	v_cmp_ge_u32_e64 s[0:1], v18, v13
	s_waitcnt lgkmcnt(0)
	v_cndmask_b32_e32 v6, v10, v0, vcc
	v_cndmask_b32_e32 v7, v11, v1, vcc
	;; [unrolled: 1-line block ×4, first 2 shown]
	v_cmp_ge_i32_e64 s[6:7], v6, v10
	v_cmp_lt_i32_e64 s[8:9], v10, v6
	v_cmp_ge_i32_e64 s[10:11], v7, v11
	s_or_b64 s[8:9], s[8:9], s[10:11]
	s_and_b64 s[4:5], s[4:5], s[6:7]
	s_and_b64 s[4:5], s[4:5], s[8:9]
	s_or_b64 s[0:1], s[0:1], s[4:5]
	v_cndmask_b32_e64 v14, v18, v19, s[0:1]
	v_cndmask_b32_e64 v15, v13, v12, s[0:1]
	v_add_u32_e32 v20, 1, v14
	v_add_u32_e32 v14, -1, v15
	v_min_u32_e32 v14, v20, v14
	v_lshl_add_u32 v14, v14, 3, v4
	ds_read_b64 v[16:17], v14
	v_cndmask_b32_e64 v23, v19, v20, s[0:1]
	v_cmp_lt_u32_e64 s[6:7], v23, v12
	v_cndmask_b32_e64 v22, v20, v18, s[0:1]
	v_cmp_ge_u32_e64 s[4:5], v22, v13
	s_waitcnt lgkmcnt(0)
	v_cndmask_b32_e64 v14, v16, v6, s[0:1]
	v_cndmask_b32_e64 v15, v17, v7, s[0:1]
	v_cndmask_b32_e64 v16, v10, v16, s[0:1]
	v_cndmask_b32_e64 v17, v11, v17, s[0:1]
	v_cmp_ge_i32_e64 s[8:9], v14, v16
	v_cmp_lt_i32_e64 s[10:11], v16, v14
	v_cmp_ge_i32_e64 s[12:13], v15, v17
	s_or_b64 s[10:11], s[10:11], s[12:13]
	s_and_b64 s[6:7], s[6:7], s[8:9]
	s_and_b64 s[6:7], s[6:7], s[10:11]
	s_or_b64 s[12:13], s[4:5], s[6:7]
	v_cndmask_b32_e64 v18, v22, v23, s[12:13]
	v_cndmask_b32_e64 v19, v13, v12, s[12:13]
	v_add_u32_e32 v24, 1, v18
	v_add_u32_e32 v18, -1, v19
	v_min_u32_e32 v18, v24, v18
	v_lshl_add_u32 v18, v18, 3, v4
	ds_read_b64 v[20:21], v18
	v_cndmask_b32_e64 v27, v23, v24, s[12:13]
	v_cmp_lt_u32_e64 s[6:7], v27, v12
	v_cndmask_b32_e64 v26, v24, v22, s[12:13]
	v_cmp_ge_u32_e64 s[4:5], v26, v13
	s_waitcnt lgkmcnt(0)
	v_cndmask_b32_e64 v18, v20, v14, s[12:13]
	v_cndmask_b32_e64 v19, v21, v15, s[12:13]
	v_cndmask_b32_e64 v20, v16, v20, s[12:13]
	v_cndmask_b32_e64 v21, v17, v21, s[12:13]
	;; [unrolled: 23-line block ×5, first 2 shown]
	v_cmp_ge_i32_e64 s[16:17], v47, v49
	v_cmp_lt_i32_e64 s[18:19], v49, v47
	v_cmp_ge_i32_e64 s[20:21], v48, v50
	s_or_b64 s[18:19], s[18:19], s[20:21]
	s_and_b64 s[14:15], s[14:15], s[16:17]
	s_and_b64 s[14:15], s[14:15], s[18:19]
	s_or_b64 s[10:11], s[10:11], s[14:15]
	v_cndmask_b32_e64 v51, v57, v55, s[10:11]
	v_cndmask_b32_e64 v52, v13, v12, s[10:11]
	v_add_u32_e32 v56, 1, v51
	v_add_u32_e32 v51, -1, v52
	v_min_u32_e32 v51, v56, v51
	v_lshl_add_u32 v51, v51, 3, v4
	ds_read_b64 v[58:59], v51
	v_cndmask_b32_e64 v57, v56, v57, s[10:11]
	v_cmp_lt_u32_e64 s[14:15], v57, v13
	s_mov_b64 s[16:17], -1
	s_waitcnt lgkmcnt(0)
	v_cndmask_b32_e64 v51, v58, v47, s[10:11]
	v_cndmask_b32_e64 v52, v59, v48, s[10:11]
	;; [unrolled: 1-line block ×4, first 2 shown]
	s_and_saveexec_b64 s[38:39], s[14:15]
; %bb.84:
	v_cndmask_b32_e64 v13, v55, v56, s[10:11]
	v_cmp_lt_u32_e64 s[14:15], v13, v12
	v_cmp_ge_i32_e64 s[16:17], v51, v53
	v_cmp_lt_i32_e64 s[18:19], v53, v51
	v_cmp_ge_i32_e64 s[20:21], v52, v54
	s_or_b64 s[18:19], s[18:19], s[20:21]
	s_and_b64 s[14:15], s[14:15], s[16:17]
	s_and_b64 s[14:15], s[14:15], s[18:19]
	s_orn2_b64 s[16:17], s[14:15], exec
; %bb.85:
	s_or_b64 exec, exec, s[38:39]
	v_cndmask_b32_e32 v1, v1, v3, vcc
	v_cndmask_b32_e32 v0, v0, v2, vcc
	v_cndmask_b32_e64 v3, v7, v11, s[0:1]
	v_cndmask_b32_e64 v2, v6, v10, s[0:1]
	;; [unrolled: 1-line block ×14, first 2 shown]
.LBB624_86:
	s_or_b64 exec, exec, s[34:35]
	v_mov_b32_e32 v18, v6
	v_mov_b32_e32 v19, v7
	;; [unrolled: 1-line block ×6, first 2 shown]
	v_and_b32_e32 v13, 0x380, v9
	; wave barrier
	ds_write_b128 v8, v[0:3]
	ds_write_b128 v8, v[16:19] offset:16
	ds_write_b128 v8, v[20:23] offset:32
	;; [unrolled: 1-line block ×3, first 2 shown]
	v_or_b32_e32 v8, 64, v13
	v_min_u32_e32 v8, v5, v8
	v_add_u32_e32 v12, 64, v8
	v_min_u32_e32 v12, v5, v12
	v_and_b32_e32 v9, 0x78, v9
	v_min_u32_e32 v18, v5, v9
	v_sub_u32_e32 v19, v8, v13
	v_sub_u32_e32 v9, v12, v8
	v_sub_u32_e64 v9, v18, v9 clamp
	v_min_u32_e32 v19, v18, v19
	v_lshl_add_u32 v5, v13, 3, v4
	v_cmp_lt_u32_e32 vcc, v9, v19
	; wave barrier
	s_and_saveexec_b64 s[6:7], vcc
	s_cbranch_execz .LBB624_90
; %bb.87:
	v_lshlrev_b32_e32 v22, 3, v8
	v_lshlrev_b32_e32 v23, 3, v18
	v_add3_u32 v22, v4, v22, v23
	s_mov_b64 s[8:9], 0
.LBB624_88:                             ; =>This Inner Loop Header: Depth=1
	v_add_u32_e32 v23, v19, v9
	v_lshrrev_b32_e32 v23, 1, v23
	v_not_b32_e32 v26, v23
	v_lshl_add_u32 v27, v23, 3, v5
	v_lshl_add_u32 v32, v26, 3, v22
	ds_read_b64 v[26:27], v27
	ds_read_b64 v[32:33], v32
	v_add_u32_e32 v47, 1, v23
	s_waitcnt lgkmcnt(0)
	v_cmp_ge_i32_e64 s[0:1], v26, v32
	v_cmp_lt_i32_e64 s[4:5], v33, v27
	v_cmp_lt_i32_e32 vcc, v32, v26
	s_and_b64 s[0:1], s[0:1], s[4:5]
	s_or_b64 vcc, vcc, s[0:1]
	v_cndmask_b32_e32 v19, v19, v23, vcc
	v_cndmask_b32_e32 v9, v47, v9, vcc
	v_cmp_ge_u32_e32 vcc, v9, v19
	s_or_b64 s[8:9], vcc, s[8:9]
	s_andn2_b64 exec, exec, s[8:9]
	s_cbranch_execnz .LBB624_88
; %bb.89:
	s_or_b64 exec, exec, s[8:9]
.LBB624_90:
	s_or_b64 exec, exec, s[6:7]
	v_add_u32_e32 v18, v8, v18
	v_add_u32_e32 v13, v9, v13
	v_sub_u32_e32 v18, v18, v9
	v_cmp_le_u32_e32 vcc, v13, v8
	v_cmp_le_u32_e64 s[0:1], v18, v12
	s_or_b64 s[0:1], vcc, s[0:1]
	s_and_saveexec_b64 s[34:35], s[0:1]
	s_cbranch_execz .LBB624_98
; %bb.91:
	v_cmp_lt_u32_e32 vcc, v13, v8
	v_mov_b32_e32 v0, 0
	v_mov_b32_e32 v2, 0
	;; [unrolled: 1-line block ×3, first 2 shown]
	s_and_saveexec_b64 s[0:1], vcc
; %bb.92:
	v_lshl_add_u32 v1, v9, 3, v5
	ds_read_b64 v[2:3], v1
; %bb.93:
	s_or_b64 exec, exec, s[0:1]
	v_cmp_ge_u32_e64 s[0:1], v18, v12
	v_cmp_lt_u32_e64 s[4:5], v18, v12
	v_mov_b32_e32 v1, 0
	s_and_saveexec_b64 s[6:7], s[4:5]
; %bb.94:
	v_lshl_add_u32 v0, v18, 3, v4
	ds_read_b64 v[0:1], v0
; %bb.95:
	s_or_b64 exec, exec, s[6:7]
	s_waitcnt lgkmcnt(0)
	v_cmp_ge_i32_e64 s[4:5], v0, v2
	v_cmp_lt_i32_e64 s[6:7], v2, v0
	v_cmp_ge_i32_e64 s[8:9], v1, v3
	s_or_b64 s[6:7], s[6:7], s[8:9]
	s_and_b64 s[4:5], vcc, s[4:5]
	s_and_b64 s[4:5], s[4:5], s[6:7]
	s_or_b64 vcc, s[0:1], s[4:5]
	v_cndmask_b32_e32 v5, v18, v13, vcc
	v_cndmask_b32_e32 v6, v12, v8, vcc
	v_add_u32_e32 v14, 1, v5
	v_add_u32_e32 v5, -1, v6
	v_min_u32_e32 v5, v14, v5
	v_lshl_add_u32 v5, v5, 3, v4
	ds_read_b64 v[10:11], v5
	v_cndmask_b32_e32 v17, v13, v14, vcc
	v_cmp_lt_u32_e64 s[4:5], v17, v8
	v_cndmask_b32_e32 v16, v14, v18, vcc
	v_cmp_ge_u32_e64 s[0:1], v16, v12
	s_waitcnt lgkmcnt(0)
	v_cndmask_b32_e32 v5, v10, v0, vcc
	v_cndmask_b32_e32 v6, v11, v1, vcc
	;; [unrolled: 1-line block ×4, first 2 shown]
	v_cmp_ge_i32_e64 s[6:7], v5, v7
	v_cmp_lt_i32_e64 s[8:9], v7, v5
	v_cmp_ge_i32_e64 s[10:11], v6, v9
	s_or_b64 s[8:9], s[8:9], s[10:11]
	s_and_b64 s[4:5], s[4:5], s[6:7]
	s_and_b64 s[4:5], s[4:5], s[8:9]
	s_or_b64 s[0:1], s[0:1], s[4:5]
	v_cndmask_b32_e64 v10, v16, v17, s[0:1]
	v_cndmask_b32_e64 v11, v12, v8, s[0:1]
	v_add_u32_e32 v18, 1, v10
	v_add_u32_e32 v10, -1, v11
	v_min_u32_e32 v10, v18, v10
	v_lshl_add_u32 v10, v10, 3, v4
	ds_read_b64 v[14:15], v10
	v_cndmask_b32_e64 v22, v17, v18, s[0:1]
	v_cmp_lt_u32_e64 s[6:7], v22, v8
	v_cndmask_b32_e64 v21, v18, v16, s[0:1]
	v_cmp_ge_u32_e64 s[4:5], v21, v12
	s_waitcnt lgkmcnt(0)
	v_cndmask_b32_e64 v10, v14, v5, s[0:1]
	v_cndmask_b32_e64 v11, v15, v6, s[0:1]
	v_cndmask_b32_e64 v13, v7, v14, s[0:1]
	v_cndmask_b32_e64 v14, v9, v15, s[0:1]
	v_cmp_ge_i32_e64 s[8:9], v10, v13
	v_cmp_lt_i32_e64 s[10:11], v13, v10
	v_cmp_ge_i32_e64 s[12:13], v11, v14
	s_or_b64 s[10:11], s[10:11], s[12:13]
	s_and_b64 s[6:7], s[6:7], s[8:9]
	s_and_b64 s[6:7], s[6:7], s[10:11]
	s_or_b64 s[12:13], s[4:5], s[6:7]
	v_cndmask_b32_e64 v15, v21, v22, s[12:13]
	v_cndmask_b32_e64 v16, v12, v8, s[12:13]
	v_add_u32_e32 v23, 1, v15
	v_add_u32_e32 v15, -1, v16
	v_min_u32_e32 v15, v23, v15
	v_lshl_add_u32 v15, v15, 3, v4
	ds_read_b64 v[16:17], v15
	v_cndmask_b32_e64 v26, v22, v23, s[12:13]
	v_cmp_lt_u32_e64 s[6:7], v26, v8
	v_cndmask_b32_e64 v25, v23, v21, s[12:13]
	v_cmp_ge_u32_e64 s[4:5], v25, v12
	s_waitcnt lgkmcnt(0)
	v_cndmask_b32_e64 v15, v16, v10, s[12:13]
	v_cndmask_b32_e64 v18, v17, v11, s[12:13]
	v_cndmask_b32_e64 v19, v13, v16, s[12:13]
	v_cndmask_b32_e64 v20, v14, v17, s[12:13]
	;; [unrolled: 23-line block ×4, first 2 shown]
	v_cmp_ge_i32_e64 s[14:15], v25, v27
	v_cmp_lt_i32_e64 s[16:17], v27, v25
	v_cmp_ge_i32_e64 s[18:19], v26, v32
	s_or_b64 s[16:17], s[16:17], s[18:19]
	s_and_b64 s[10:11], s[10:11], s[14:15]
	s_and_b64 s[10:11], s[10:11], s[16:17]
	s_or_b64 s[8:9], s[8:9], s[10:11]
	v_cndmask_b32_e64 v16, v50, v51, s[8:9]
	v_cndmask_b32_e64 v17, v12, v8, s[8:9]
	v_add_u32_e32 v52, 1, v16
	v_add_u32_e32 v16, -1, v17
	v_min_u32_e32 v16, v52, v16
	v_lshl_add_u32 v16, v16, 3, v4
	ds_read_b64 v[16:17], v16
	v_cndmask_b32_e64 v54, v52, v50, s[8:9]
	v_cmp_ge_u32_e64 s[10:11], v54, v12
	s_waitcnt lgkmcnt(0)
	v_cndmask_b32_e64 v33, v16, v25, s[8:9]
	v_cndmask_b32_e64 v47, v17, v26, s[8:9]
	;; [unrolled: 1-line block ×5, first 2 shown]
	v_cmp_lt_u32_e64 s[14:15], v16, v8
	v_cmp_ge_i32_e64 s[16:17], v33, v48
	v_cmp_lt_i32_e64 s[18:19], v48, v33
	v_cmp_ge_i32_e64 s[20:21], v47, v49
	s_or_b64 s[18:19], s[18:19], s[20:21]
	s_and_b64 s[14:15], s[14:15], s[16:17]
	s_and_b64 s[14:15], s[14:15], s[18:19]
	s_or_b64 s[10:11], s[10:11], s[14:15]
	v_cndmask_b32_e64 v17, v54, v16, s[10:11]
	v_cndmask_b32_e64 v50, v12, v8, s[10:11]
	v_add_u32_e32 v17, 1, v17
	v_add_u32_e32 v50, -1, v50
	v_min_u32_e32 v50, v17, v50
	v_lshl_add_u32 v4, v50, 3, v4
	ds_read_b64 v[52:53], v4
	s_mov_b64 s[16:17], -1
	s_waitcnt lgkmcnt(0)
	v_cndmask_b32_e64 v4, v52, v33, s[10:11]
	v_cndmask_b32_e64 v50, v53, v47, s[10:11]
	;; [unrolled: 1-line block ×5, first 2 shown]
	v_cmp_lt_u32_e64 s[14:15], v53, v12
	s_and_saveexec_b64 s[38:39], s[14:15]
; %bb.96:
	v_cndmask_b32_e64 v12, v16, v17, s[10:11]
	v_cmp_lt_u32_e64 s[14:15], v12, v8
	v_cmp_ge_i32_e64 s[16:17], v4, v51
	v_cmp_lt_i32_e64 s[18:19], v51, v4
	v_cmp_ge_i32_e64 s[20:21], v50, v52
	s_or_b64 s[18:19], s[18:19], s[20:21]
	s_and_b64 s[14:15], s[14:15], s[16:17]
	s_and_b64 s[14:15], s[14:15], s[18:19]
	s_orn2_b64 s[16:17], s[14:15], exec
; %bb.97:
	s_or_b64 exec, exec, s[38:39]
	v_cndmask_b32_e32 v1, v1, v3, vcc
	v_cndmask_b32_e32 v0, v0, v2, vcc
	v_cndmask_b32_e64 v3, v6, v9, s[0:1]
	v_cndmask_b32_e64 v2, v5, v7, s[0:1]
	;; [unrolled: 1-line block ×14, first 2 shown]
.LBB624_98:
	s_or_b64 exec, exec, s[34:35]
	v_and_b32_e32 v12, 0x1f00, v30
	v_or_b32_e32 v5, 0x80, v12
	v_min_u32_e32 v4, 0x800, v5
	v_min_u32_e32 v5, 0x780, v5
	v_mov_b32_e32 v18, v6
	v_mov_b32_e32 v19, v7
	v_add_u32_e32 v5, 0x80, v5
	; wave barrier
	s_waitcnt lgkmcnt(0)
	s_barrier
	ds_write_b128 v34, v[16:19] offset:16
	v_and_b32_e32 v13, 0xf8, v30
	v_sub_u32_e32 v18, v4, v12
	v_sub_u32_e32 v9, v5, v4
	v_sub_u32_e64 v9, v13, v9 clamp
	v_min_u32_e32 v18, v13, v18
	v_mov_b32_e32 v22, v10
	v_mov_b32_e32 v23, v11
	;; [unrolled: 1-line block ×4, first 2 shown]
	v_lshlrev_b32_e32 v8, 3, v12
	v_cmp_lt_u32_e32 vcc, v9, v18
	ds_write_b128 v34, v[0:3]
	ds_write_b128 v34, v[20:23] offset:32
	ds_write_b128 v34, v[24:27] offset:48
	s_waitcnt lgkmcnt(0)
	s_barrier
	s_and_saveexec_b64 s[6:7], vcc
	s_cbranch_execz .LBB624_102
; %bb.99:
	v_lshlrev_b32_e32 v19, 3, v13
	v_lshl_add_u32 v19, v4, 3, v19
	s_mov_b64 s[8:9], 0
.LBB624_100:                            ; =>This Inner Loop Header: Depth=1
	v_add_u32_e32 v22, v18, v9
	v_lshrrev_b32_e32 v32, 1, v22
	v_not_b32_e32 v22, v32
	v_lshl_add_u32 v23, v32, 3, v8
	v_lshl_add_u32 v26, v22, 3, v19
	ds_read_b64 v[22:23], v23
	ds_read_b64 v[26:27], v26
	v_add_u32_e32 v33, 1, v32
	s_waitcnt lgkmcnt(0)
	v_cmp_ge_i32_e64 s[0:1], v22, v26
	v_cmp_lt_i32_e64 s[4:5], v27, v23
	v_cmp_lt_i32_e32 vcc, v26, v22
	s_and_b64 s[0:1], s[0:1], s[4:5]
	s_or_b64 vcc, vcc, s[0:1]
	v_cndmask_b32_e32 v18, v18, v32, vcc
	v_cndmask_b32_e32 v9, v33, v9, vcc
	v_cmp_ge_u32_e32 vcc, v9, v18
	s_or_b64 s[8:9], vcc, s[8:9]
	s_andn2_b64 exec, exec, s[8:9]
	s_cbranch_execnz .LBB624_100
; %bb.101:
	s_or_b64 exec, exec, s[8:9]
.LBB624_102:
	s_or_b64 exec, exec, s[6:7]
	v_sub_u32_e32 v13, v13, v9
	v_add_u32_e32 v12, v9, v12
	v_add_u32_e32 v13, v13, v4
	v_cmp_le_u32_e32 vcc, v12, v4
	v_cmp_le_u32_e64 s[0:1], v13, v5
	s_or_b64 s[0:1], vcc, s[0:1]
	s_and_saveexec_b64 s[34:35], s[0:1]
	s_cbranch_execz .LBB624_110
; %bb.103:
	v_cmp_lt_u32_e32 vcc, v12, v4
	v_mov_b32_e32 v0, 0
	v_mov_b32_e32 v2, 0
	;; [unrolled: 1-line block ×3, first 2 shown]
	s_and_saveexec_b64 s[0:1], vcc
; %bb.104:
	v_lshl_add_u32 v1, v9, 3, v8
	ds_read_b64 v[2:3], v1
; %bb.105:
	s_or_b64 exec, exec, s[0:1]
	v_cmp_ge_u32_e64 s[0:1], v13, v5
	v_cmp_lt_u32_e64 s[4:5], v13, v5
	v_mov_b32_e32 v1, 0
	s_and_saveexec_b64 s[6:7], s[4:5]
; %bb.106:
	v_lshlrev_b32_e32 v0, 3, v13
	ds_read_b64 v[0:1], v0
; %bb.107:
	s_or_b64 exec, exec, s[6:7]
	s_waitcnt lgkmcnt(0)
	v_cmp_ge_i32_e64 s[4:5], v0, v2
	v_cmp_lt_i32_e64 s[6:7], v2, v0
	v_cmp_ge_i32_e64 s[8:9], v1, v3
	s_or_b64 s[6:7], s[6:7], s[8:9]
	s_and_b64 s[4:5], vcc, s[4:5]
	s_and_b64 s[4:5], s[4:5], s[6:7]
	s_or_b64 vcc, s[0:1], s[4:5]
	v_cndmask_b32_e32 v6, v13, v12, vcc
	v_cndmask_b32_e32 v7, v5, v4, vcc
	v_add_u32_e32 v10, 1, v6
	v_add_u32_e32 v6, -1, v7
	v_min_u32_e32 v6, v10, v6
	v_lshlrev_b32_e32 v6, 3, v6
	ds_read_b64 v[8:9], v6
	v_cndmask_b32_e32 v15, v12, v10, vcc
	v_cmp_lt_u32_e64 s[4:5], v15, v4
	v_cndmask_b32_e32 v14, v10, v13, vcc
	v_cmp_ge_u32_e64 s[0:1], v14, v5
	s_waitcnt lgkmcnt(0)
	v_cndmask_b32_e32 v6, v8, v0, vcc
	v_cndmask_b32_e32 v7, v9, v1, vcc
	;; [unrolled: 1-line block ×4, first 2 shown]
	v_cmp_ge_i32_e64 s[6:7], v6, v8
	v_cmp_lt_i32_e64 s[8:9], v8, v6
	v_cmp_ge_i32_e64 s[10:11], v7, v9
	s_or_b64 s[8:9], s[8:9], s[10:11]
	s_and_b64 s[4:5], s[4:5], s[6:7]
	s_and_b64 s[4:5], s[4:5], s[8:9]
	s_or_b64 s[0:1], s[0:1], s[4:5]
	v_cndmask_b32_e64 v10, v14, v15, s[0:1]
	v_cndmask_b32_e64 v11, v5, v4, s[0:1]
	v_add_u32_e32 v16, 1, v10
	v_add_u32_e32 v10, -1, v11
	v_min_u32_e32 v10, v16, v10
	v_lshlrev_b32_e32 v10, 3, v10
	ds_read_b64 v[12:13], v10
	v_cndmask_b32_e64 v21, v15, v16, s[0:1]
	v_cmp_lt_u32_e64 s[6:7], v21, v4
	v_cndmask_b32_e64 v20, v16, v14, s[0:1]
	v_cmp_ge_u32_e64 s[4:5], v20, v5
	s_waitcnt lgkmcnt(0)
	v_cndmask_b32_e64 v10, v12, v6, s[0:1]
	v_cndmask_b32_e64 v11, v13, v7, s[0:1]
	v_cndmask_b32_e64 v12, v8, v12, s[0:1]
	v_cndmask_b32_e64 v13, v9, v13, s[0:1]
	v_cmp_ge_i32_e64 s[8:9], v10, v12
	v_cmp_lt_i32_e64 s[10:11], v12, v10
	v_cmp_ge_i32_e64 s[12:13], v11, v13
	s_or_b64 s[10:11], s[10:11], s[12:13]
	s_and_b64 s[6:7], s[6:7], s[8:9]
	s_and_b64 s[6:7], s[6:7], s[10:11]
	s_or_b64 s[12:13], s[4:5], s[6:7]
	v_cndmask_b32_e64 v14, v20, v21, s[12:13]
	v_cndmask_b32_e64 v15, v5, v4, s[12:13]
	v_add_u32_e32 v22, 1, v14
	v_add_u32_e32 v14, -1, v15
	v_min_u32_e32 v14, v22, v14
	v_lshlrev_b32_e32 v14, 3, v14
	ds_read_b64 v[16:17], v14
	v_cndmask_b32_e64 v25, v21, v22, s[12:13]
	v_cmp_lt_u32_e64 s[6:7], v25, v4
	v_cndmask_b32_e64 v24, v22, v20, s[12:13]
	v_cmp_ge_u32_e64 s[4:5], v24, v5
	s_waitcnt lgkmcnt(0)
	v_cndmask_b32_e64 v14, v16, v10, s[12:13]
	v_cndmask_b32_e64 v15, v17, v11, s[12:13]
	v_cndmask_b32_e64 v18, v12, v16, s[12:13]
	v_cndmask_b32_e64 v19, v13, v17, s[12:13]
	;; [unrolled: 23-line block ×4, first 2 shown]
	v_cmp_ge_i32_e64 s[14:15], v24, v26
	v_cmp_lt_i32_e64 s[16:17], v26, v24
	v_cmp_ge_i32_e64 s[18:19], v25, v27
	s_or_b64 s[16:17], s[16:17], s[18:19]
	s_and_b64 s[10:11], s[10:11], s[14:15]
	s_and_b64 s[10:11], s[10:11], s[16:17]
	s_or_b64 s[8:9], s[8:9], s[10:11]
	v_cndmask_b32_e64 v16, v49, v50, s[8:9]
	v_cndmask_b32_e64 v17, v5, v4, s[8:9]
	v_add_u32_e32 v51, 1, v16
	v_add_u32_e32 v16, -1, v17
	v_min_u32_e32 v16, v51, v16
	v_lshlrev_b32_e32 v16, 3, v16
	ds_read_b64 v[16:17], v16
	v_cndmask_b32_e64 v54, v51, v49, s[8:9]
	v_cmp_ge_u32_e64 s[10:11], v54, v5
	s_waitcnt lgkmcnt(0)
	v_cndmask_b32_e64 v32, v16, v24, s[8:9]
	v_cndmask_b32_e64 v33, v17, v25, s[8:9]
	;; [unrolled: 1-line block ×5, first 2 shown]
	v_cmp_lt_u32_e64 s[14:15], v16, v4
	v_cmp_ge_i32_e64 s[16:17], v32, v47
	v_cmp_lt_i32_e64 s[18:19], v47, v32
	v_cmp_ge_i32_e64 s[20:21], v33, v48
	s_or_b64 s[18:19], s[18:19], s[20:21]
	s_and_b64 s[14:15], s[14:15], s[16:17]
	s_and_b64 s[14:15], s[14:15], s[18:19]
	s_or_b64 s[10:11], s[10:11], s[14:15]
	v_cndmask_b32_e64 v17, v54, v16, s[10:11]
	v_cndmask_b32_e64 v49, v5, v4, s[10:11]
	v_add_u32_e32 v17, 1, v17
	v_add_u32_e32 v49, -1, v49
	v_min_u32_e32 v49, v17, v49
	v_lshlrev_b32_e32 v49, 3, v49
	ds_read_b64 v[52:53], v49
	s_mov_b64 s[16:17], -1
	s_waitcnt lgkmcnt(0)
	v_cndmask_b32_e64 v49, v52, v32, s[10:11]
	v_cndmask_b32_e64 v50, v53, v33, s[10:11]
	;; [unrolled: 1-line block ×5, first 2 shown]
	v_cmp_lt_u32_e64 s[14:15], v53, v5
	s_and_saveexec_b64 s[38:39], s[14:15]
; %bb.108:
	v_cndmask_b32_e64 v5, v16, v17, s[10:11]
	v_cmp_lt_u32_e64 s[14:15], v5, v4
	v_cmp_ge_i32_e64 s[16:17], v49, v51
	v_cmp_lt_i32_e64 s[18:19], v51, v49
	v_cmp_ge_i32_e64 s[20:21], v50, v52
	s_or_b64 s[18:19], s[18:19], s[20:21]
	s_and_b64 s[14:15], s[14:15], s[16:17]
	s_and_b64 s[14:15], s[14:15], s[18:19]
	s_orn2_b64 s[16:17], s[14:15], exec
; %bb.109:
	s_or_b64 exec, exec, s[38:39]
	v_cndmask_b32_e32 v1, v1, v3, vcc
	v_cndmask_b32_e32 v0, v0, v2, vcc
	v_cndmask_b32_e64 v3, v7, v9, s[0:1]
	v_cndmask_b32_e64 v2, v6, v8, s[0:1]
	;; [unrolled: 1-line block ×14, first 2 shown]
.LBB624_110:
	s_or_b64 exec, exec, s[34:35]
	v_and_b32_e32 v12, 0x1e00, v30
	v_or_b32_e32 v5, 0x100, v12
	v_min_u32_e32 v4, 0x800, v5
	v_min_u32_e32 v5, 0x700, v5
	v_mov_b32_e32 v18, v6
	v_mov_b32_e32 v19, v7
	v_add_u32_e32 v5, 0x100, v5
	s_barrier
	ds_write_b128 v34, v[16:19] offset:16
	v_and_b32_e32 v13, 0x1f8, v30
	v_sub_u32_e32 v18, v4, v12
	v_sub_u32_e32 v9, v5, v4
	v_sub_u32_e64 v9, v13, v9 clamp
	v_min_u32_e32 v18, v13, v18
	v_mov_b32_e32 v22, v10
	v_mov_b32_e32 v23, v11
	v_mov_b32_e32 v26, v14
	v_mov_b32_e32 v27, v15
	v_lshlrev_b32_e32 v8, 3, v12
	v_cmp_lt_u32_e32 vcc, v9, v18
	ds_write_b128 v34, v[0:3]
	ds_write_b128 v34, v[20:23] offset:32
	ds_write_b128 v34, v[24:27] offset:48
	s_waitcnt lgkmcnt(0)
	s_barrier
	s_and_saveexec_b64 s[6:7], vcc
	s_cbranch_execz .LBB624_114
; %bb.111:
	v_lshlrev_b32_e32 v19, 3, v13
	v_lshl_add_u32 v19, v4, 3, v19
	s_mov_b64 s[8:9], 0
.LBB624_112:                            ; =>This Inner Loop Header: Depth=1
	v_add_u32_e32 v22, v18, v9
	v_lshrrev_b32_e32 v32, 1, v22
	v_not_b32_e32 v22, v32
	v_lshl_add_u32 v23, v32, 3, v8
	v_lshl_add_u32 v26, v22, 3, v19
	ds_read_b64 v[22:23], v23
	ds_read_b64 v[26:27], v26
	v_add_u32_e32 v33, 1, v32
	s_waitcnt lgkmcnt(0)
	v_cmp_ge_i32_e64 s[0:1], v22, v26
	v_cmp_lt_i32_e64 s[4:5], v27, v23
	v_cmp_lt_i32_e32 vcc, v26, v22
	s_and_b64 s[0:1], s[0:1], s[4:5]
	s_or_b64 vcc, vcc, s[0:1]
	v_cndmask_b32_e32 v18, v18, v32, vcc
	v_cndmask_b32_e32 v9, v33, v9, vcc
	v_cmp_ge_u32_e32 vcc, v9, v18
	s_or_b64 s[8:9], vcc, s[8:9]
	s_andn2_b64 exec, exec, s[8:9]
	s_cbranch_execnz .LBB624_112
; %bb.113:
	s_or_b64 exec, exec, s[8:9]
.LBB624_114:
	s_or_b64 exec, exec, s[6:7]
	v_sub_u32_e32 v13, v13, v9
	v_add_u32_e32 v12, v9, v12
	v_add_u32_e32 v13, v13, v4
	v_cmp_le_u32_e32 vcc, v12, v4
	v_cmp_le_u32_e64 s[0:1], v13, v5
	s_or_b64 s[0:1], vcc, s[0:1]
	s_and_saveexec_b64 s[34:35], s[0:1]
	s_cbranch_execz .LBB624_122
; %bb.115:
	v_cmp_lt_u32_e32 vcc, v12, v4
	v_mov_b32_e32 v0, 0
	v_mov_b32_e32 v2, 0
	;; [unrolled: 1-line block ×3, first 2 shown]
	s_and_saveexec_b64 s[0:1], vcc
; %bb.116:
	v_lshl_add_u32 v1, v9, 3, v8
	ds_read_b64 v[2:3], v1
; %bb.117:
	s_or_b64 exec, exec, s[0:1]
	v_cmp_ge_u32_e64 s[0:1], v13, v5
	v_cmp_lt_u32_e64 s[4:5], v13, v5
	v_mov_b32_e32 v1, 0
	s_and_saveexec_b64 s[6:7], s[4:5]
; %bb.118:
	v_lshlrev_b32_e32 v0, 3, v13
	ds_read_b64 v[0:1], v0
; %bb.119:
	s_or_b64 exec, exec, s[6:7]
	s_waitcnt lgkmcnt(0)
	v_cmp_ge_i32_e64 s[4:5], v0, v2
	v_cmp_lt_i32_e64 s[6:7], v2, v0
	v_cmp_ge_i32_e64 s[8:9], v1, v3
	s_or_b64 s[6:7], s[6:7], s[8:9]
	s_and_b64 s[4:5], vcc, s[4:5]
	s_and_b64 s[4:5], s[4:5], s[6:7]
	s_or_b64 vcc, s[0:1], s[4:5]
	v_cndmask_b32_e32 v6, v13, v12, vcc
	v_cndmask_b32_e32 v7, v5, v4, vcc
	v_add_u32_e32 v10, 1, v6
	v_add_u32_e32 v6, -1, v7
	v_min_u32_e32 v6, v10, v6
	v_lshlrev_b32_e32 v6, 3, v6
	ds_read_b64 v[8:9], v6
	v_cndmask_b32_e32 v15, v12, v10, vcc
	v_cmp_lt_u32_e64 s[4:5], v15, v4
	v_cndmask_b32_e32 v14, v10, v13, vcc
	v_cmp_ge_u32_e64 s[0:1], v14, v5
	s_waitcnt lgkmcnt(0)
	v_cndmask_b32_e32 v6, v8, v0, vcc
	v_cndmask_b32_e32 v7, v9, v1, vcc
	;; [unrolled: 1-line block ×4, first 2 shown]
	v_cmp_ge_i32_e64 s[6:7], v6, v8
	v_cmp_lt_i32_e64 s[8:9], v8, v6
	v_cmp_ge_i32_e64 s[10:11], v7, v9
	s_or_b64 s[8:9], s[8:9], s[10:11]
	s_and_b64 s[4:5], s[4:5], s[6:7]
	s_and_b64 s[4:5], s[4:5], s[8:9]
	s_or_b64 s[0:1], s[0:1], s[4:5]
	v_cndmask_b32_e64 v10, v14, v15, s[0:1]
	v_cndmask_b32_e64 v11, v5, v4, s[0:1]
	v_add_u32_e32 v16, 1, v10
	v_add_u32_e32 v10, -1, v11
	v_min_u32_e32 v10, v16, v10
	v_lshlrev_b32_e32 v10, 3, v10
	ds_read_b64 v[12:13], v10
	v_cndmask_b32_e64 v21, v15, v16, s[0:1]
	v_cmp_lt_u32_e64 s[6:7], v21, v4
	v_cndmask_b32_e64 v20, v16, v14, s[0:1]
	v_cmp_ge_u32_e64 s[4:5], v20, v5
	s_waitcnt lgkmcnt(0)
	v_cndmask_b32_e64 v10, v12, v6, s[0:1]
	v_cndmask_b32_e64 v11, v13, v7, s[0:1]
	v_cndmask_b32_e64 v12, v8, v12, s[0:1]
	v_cndmask_b32_e64 v13, v9, v13, s[0:1]
	v_cmp_ge_i32_e64 s[8:9], v10, v12
	v_cmp_lt_i32_e64 s[10:11], v12, v10
	v_cmp_ge_i32_e64 s[12:13], v11, v13
	s_or_b64 s[10:11], s[10:11], s[12:13]
	s_and_b64 s[6:7], s[6:7], s[8:9]
	s_and_b64 s[6:7], s[6:7], s[10:11]
	s_or_b64 s[12:13], s[4:5], s[6:7]
	v_cndmask_b32_e64 v14, v20, v21, s[12:13]
	v_cndmask_b32_e64 v15, v5, v4, s[12:13]
	v_add_u32_e32 v22, 1, v14
	v_add_u32_e32 v14, -1, v15
	v_min_u32_e32 v14, v22, v14
	v_lshlrev_b32_e32 v14, 3, v14
	ds_read_b64 v[16:17], v14
	v_cndmask_b32_e64 v25, v21, v22, s[12:13]
	v_cmp_lt_u32_e64 s[6:7], v25, v4
	v_cndmask_b32_e64 v24, v22, v20, s[12:13]
	v_cmp_ge_u32_e64 s[4:5], v24, v5
	s_waitcnt lgkmcnt(0)
	v_cndmask_b32_e64 v14, v16, v10, s[12:13]
	v_cndmask_b32_e64 v15, v17, v11, s[12:13]
	v_cndmask_b32_e64 v18, v12, v16, s[12:13]
	v_cndmask_b32_e64 v19, v13, v17, s[12:13]
	;; [unrolled: 23-line block ×4, first 2 shown]
	v_cmp_ge_i32_e64 s[14:15], v24, v26
	v_cmp_lt_i32_e64 s[16:17], v26, v24
	v_cmp_ge_i32_e64 s[18:19], v25, v27
	s_or_b64 s[16:17], s[16:17], s[18:19]
	s_and_b64 s[10:11], s[10:11], s[14:15]
	s_and_b64 s[10:11], s[10:11], s[16:17]
	s_or_b64 s[8:9], s[8:9], s[10:11]
	v_cndmask_b32_e64 v16, v49, v50, s[8:9]
	v_cndmask_b32_e64 v17, v5, v4, s[8:9]
	v_add_u32_e32 v51, 1, v16
	v_add_u32_e32 v16, -1, v17
	v_min_u32_e32 v16, v51, v16
	v_lshlrev_b32_e32 v16, 3, v16
	ds_read_b64 v[16:17], v16
	v_cndmask_b32_e64 v54, v51, v49, s[8:9]
	v_cmp_ge_u32_e64 s[10:11], v54, v5
	s_waitcnt lgkmcnt(0)
	v_cndmask_b32_e64 v32, v16, v24, s[8:9]
	v_cndmask_b32_e64 v33, v17, v25, s[8:9]
	;; [unrolled: 1-line block ×5, first 2 shown]
	v_cmp_lt_u32_e64 s[14:15], v16, v4
	v_cmp_ge_i32_e64 s[16:17], v32, v47
	v_cmp_lt_i32_e64 s[18:19], v47, v32
	v_cmp_ge_i32_e64 s[20:21], v33, v48
	s_or_b64 s[18:19], s[18:19], s[20:21]
	s_and_b64 s[14:15], s[14:15], s[16:17]
	s_and_b64 s[14:15], s[14:15], s[18:19]
	s_or_b64 s[10:11], s[10:11], s[14:15]
	v_cndmask_b32_e64 v17, v54, v16, s[10:11]
	v_cndmask_b32_e64 v49, v5, v4, s[10:11]
	v_add_u32_e32 v17, 1, v17
	v_add_u32_e32 v49, -1, v49
	v_min_u32_e32 v49, v17, v49
	v_lshlrev_b32_e32 v49, 3, v49
	ds_read_b64 v[52:53], v49
	s_mov_b64 s[16:17], -1
	s_waitcnt lgkmcnt(0)
	v_cndmask_b32_e64 v49, v52, v32, s[10:11]
	v_cndmask_b32_e64 v50, v53, v33, s[10:11]
	;; [unrolled: 1-line block ×5, first 2 shown]
	v_cmp_lt_u32_e64 s[14:15], v53, v5
	s_and_saveexec_b64 s[38:39], s[14:15]
; %bb.120:
	v_cndmask_b32_e64 v5, v16, v17, s[10:11]
	v_cmp_lt_u32_e64 s[14:15], v5, v4
	v_cmp_ge_i32_e64 s[16:17], v49, v51
	v_cmp_lt_i32_e64 s[18:19], v51, v49
	v_cmp_ge_i32_e64 s[20:21], v50, v52
	s_or_b64 s[18:19], s[18:19], s[20:21]
	s_and_b64 s[14:15], s[14:15], s[16:17]
	s_and_b64 s[14:15], s[14:15], s[18:19]
	s_orn2_b64 s[16:17], s[14:15], exec
; %bb.121:
	s_or_b64 exec, exec, s[38:39]
	v_cndmask_b32_e32 v1, v1, v3, vcc
	v_cndmask_b32_e32 v0, v0, v2, vcc
	v_cndmask_b32_e64 v3, v7, v9, s[0:1]
	v_cndmask_b32_e64 v2, v6, v8, s[0:1]
	;; [unrolled: 1-line block ×14, first 2 shown]
.LBB624_122:
	s_or_b64 exec, exec, s[34:35]
	v_and_b32_e32 v12, 0x1c00, v30
	v_or_b32_e32 v5, 0x200, v12
	v_min_u32_e32 v4, 0x800, v5
	v_min_u32_e32 v5, 0x600, v5
	v_mov_b32_e32 v18, v6
	v_mov_b32_e32 v19, v7
	v_add_u32_e32 v5, 0x200, v5
	s_barrier
	ds_write_b128 v34, v[16:19] offset:16
	v_and_b32_e32 v13, 0x3f8, v30
	v_sub_u32_e32 v18, v4, v12
	v_sub_u32_e32 v9, v5, v4
	v_sub_u32_e64 v9, v13, v9 clamp
	v_min_u32_e32 v18, v13, v18
	v_mov_b32_e32 v22, v10
	v_mov_b32_e32 v23, v11
	;; [unrolled: 1-line block ×4, first 2 shown]
	v_lshlrev_b32_e32 v8, 3, v12
	v_cmp_lt_u32_e32 vcc, v9, v18
	ds_write_b128 v34, v[0:3]
	ds_write_b128 v34, v[20:23] offset:32
	ds_write_b128 v34, v[24:27] offset:48
	s_waitcnt lgkmcnt(0)
	s_barrier
	s_and_saveexec_b64 s[6:7], vcc
	s_cbranch_execz .LBB624_126
; %bb.123:
	v_lshlrev_b32_e32 v19, 3, v13
	v_lshl_add_u32 v19, v4, 3, v19
	s_mov_b64 s[8:9], 0
.LBB624_124:                            ; =>This Inner Loop Header: Depth=1
	v_add_u32_e32 v22, v18, v9
	v_lshrrev_b32_e32 v32, 1, v22
	v_not_b32_e32 v22, v32
	v_lshl_add_u32 v23, v32, 3, v8
	v_lshl_add_u32 v26, v22, 3, v19
	ds_read_b64 v[22:23], v23
	ds_read_b64 v[26:27], v26
	v_add_u32_e32 v33, 1, v32
	s_waitcnt lgkmcnt(0)
	v_cmp_ge_i32_e64 s[0:1], v22, v26
	v_cmp_lt_i32_e64 s[4:5], v27, v23
	v_cmp_lt_i32_e32 vcc, v26, v22
	s_and_b64 s[0:1], s[0:1], s[4:5]
	s_or_b64 vcc, vcc, s[0:1]
	v_cndmask_b32_e32 v18, v18, v32, vcc
	v_cndmask_b32_e32 v9, v33, v9, vcc
	v_cmp_ge_u32_e32 vcc, v9, v18
	s_or_b64 s[8:9], vcc, s[8:9]
	s_andn2_b64 exec, exec, s[8:9]
	s_cbranch_execnz .LBB624_124
; %bb.125:
	s_or_b64 exec, exec, s[8:9]
.LBB624_126:
	s_or_b64 exec, exec, s[6:7]
	v_sub_u32_e32 v13, v13, v9
	v_add_u32_e32 v12, v9, v12
	v_add_u32_e32 v13, v13, v4
	v_cmp_le_u32_e32 vcc, v12, v4
	v_cmp_le_u32_e64 s[0:1], v13, v5
	s_or_b64 s[0:1], vcc, s[0:1]
	s_and_saveexec_b64 s[34:35], s[0:1]
	s_cbranch_execz .LBB624_134
; %bb.127:
	v_cmp_lt_u32_e32 vcc, v12, v4
	v_mov_b32_e32 v0, 0
	v_mov_b32_e32 v2, 0
	;; [unrolled: 1-line block ×3, first 2 shown]
	s_and_saveexec_b64 s[0:1], vcc
; %bb.128:
	v_lshl_add_u32 v1, v9, 3, v8
	ds_read_b64 v[2:3], v1
; %bb.129:
	s_or_b64 exec, exec, s[0:1]
	v_cmp_ge_u32_e64 s[0:1], v13, v5
	v_cmp_lt_u32_e64 s[4:5], v13, v5
	v_mov_b32_e32 v1, 0
	s_and_saveexec_b64 s[6:7], s[4:5]
; %bb.130:
	v_lshlrev_b32_e32 v0, 3, v13
	ds_read_b64 v[0:1], v0
; %bb.131:
	s_or_b64 exec, exec, s[6:7]
	s_waitcnt lgkmcnt(0)
	v_cmp_ge_i32_e64 s[4:5], v0, v2
	v_cmp_lt_i32_e64 s[6:7], v2, v0
	v_cmp_ge_i32_e64 s[8:9], v1, v3
	s_or_b64 s[6:7], s[6:7], s[8:9]
	s_and_b64 s[4:5], vcc, s[4:5]
	s_and_b64 s[4:5], s[4:5], s[6:7]
	s_or_b64 vcc, s[0:1], s[4:5]
	v_cndmask_b32_e32 v6, v13, v12, vcc
	v_cndmask_b32_e32 v7, v5, v4, vcc
	v_add_u32_e32 v10, 1, v6
	v_add_u32_e32 v6, -1, v7
	v_min_u32_e32 v6, v10, v6
	v_lshlrev_b32_e32 v6, 3, v6
	ds_read_b64 v[8:9], v6
	v_cndmask_b32_e32 v15, v12, v10, vcc
	v_cmp_lt_u32_e64 s[4:5], v15, v4
	v_cndmask_b32_e32 v14, v10, v13, vcc
	v_cmp_ge_u32_e64 s[0:1], v14, v5
	s_waitcnt lgkmcnt(0)
	v_cndmask_b32_e32 v6, v8, v0, vcc
	v_cndmask_b32_e32 v7, v9, v1, vcc
	;; [unrolled: 1-line block ×4, first 2 shown]
	v_cmp_ge_i32_e64 s[6:7], v6, v8
	v_cmp_lt_i32_e64 s[8:9], v8, v6
	v_cmp_ge_i32_e64 s[10:11], v7, v9
	s_or_b64 s[8:9], s[8:9], s[10:11]
	s_and_b64 s[4:5], s[4:5], s[6:7]
	s_and_b64 s[4:5], s[4:5], s[8:9]
	s_or_b64 s[0:1], s[0:1], s[4:5]
	v_cndmask_b32_e64 v10, v14, v15, s[0:1]
	v_cndmask_b32_e64 v11, v5, v4, s[0:1]
	v_add_u32_e32 v16, 1, v10
	v_add_u32_e32 v10, -1, v11
	v_min_u32_e32 v10, v16, v10
	v_lshlrev_b32_e32 v10, 3, v10
	ds_read_b64 v[12:13], v10
	v_cndmask_b32_e64 v21, v15, v16, s[0:1]
	v_cmp_lt_u32_e64 s[6:7], v21, v4
	v_cndmask_b32_e64 v20, v16, v14, s[0:1]
	v_cmp_ge_u32_e64 s[4:5], v20, v5
	s_waitcnt lgkmcnt(0)
	v_cndmask_b32_e64 v10, v12, v6, s[0:1]
	v_cndmask_b32_e64 v11, v13, v7, s[0:1]
	v_cndmask_b32_e64 v12, v8, v12, s[0:1]
	v_cndmask_b32_e64 v13, v9, v13, s[0:1]
	v_cmp_ge_i32_e64 s[8:9], v10, v12
	v_cmp_lt_i32_e64 s[10:11], v12, v10
	v_cmp_ge_i32_e64 s[12:13], v11, v13
	s_or_b64 s[10:11], s[10:11], s[12:13]
	s_and_b64 s[6:7], s[6:7], s[8:9]
	s_and_b64 s[6:7], s[6:7], s[10:11]
	s_or_b64 s[12:13], s[4:5], s[6:7]
	v_cndmask_b32_e64 v14, v20, v21, s[12:13]
	v_cndmask_b32_e64 v15, v5, v4, s[12:13]
	v_add_u32_e32 v22, 1, v14
	v_add_u32_e32 v14, -1, v15
	v_min_u32_e32 v14, v22, v14
	v_lshlrev_b32_e32 v14, 3, v14
	ds_read_b64 v[16:17], v14
	v_cndmask_b32_e64 v25, v21, v22, s[12:13]
	v_cmp_lt_u32_e64 s[6:7], v25, v4
	v_cndmask_b32_e64 v24, v22, v20, s[12:13]
	v_cmp_ge_u32_e64 s[4:5], v24, v5
	s_waitcnt lgkmcnt(0)
	v_cndmask_b32_e64 v14, v16, v10, s[12:13]
	v_cndmask_b32_e64 v15, v17, v11, s[12:13]
	v_cndmask_b32_e64 v18, v12, v16, s[12:13]
	v_cndmask_b32_e64 v19, v13, v17, s[12:13]
	;; [unrolled: 23-line block ×4, first 2 shown]
	v_cmp_ge_i32_e64 s[14:15], v24, v26
	v_cmp_lt_i32_e64 s[16:17], v26, v24
	v_cmp_ge_i32_e64 s[18:19], v25, v27
	s_or_b64 s[16:17], s[16:17], s[18:19]
	s_and_b64 s[10:11], s[10:11], s[14:15]
	s_and_b64 s[10:11], s[10:11], s[16:17]
	s_or_b64 s[8:9], s[8:9], s[10:11]
	v_cndmask_b32_e64 v16, v49, v50, s[8:9]
	v_cndmask_b32_e64 v17, v5, v4, s[8:9]
	v_add_u32_e32 v51, 1, v16
	v_add_u32_e32 v16, -1, v17
	v_min_u32_e32 v16, v51, v16
	v_lshlrev_b32_e32 v16, 3, v16
	ds_read_b64 v[16:17], v16
	v_cndmask_b32_e64 v54, v51, v49, s[8:9]
	v_cmp_ge_u32_e64 s[10:11], v54, v5
	s_waitcnt lgkmcnt(0)
	v_cndmask_b32_e64 v32, v16, v24, s[8:9]
	v_cndmask_b32_e64 v33, v17, v25, s[8:9]
	;; [unrolled: 1-line block ×5, first 2 shown]
	v_cmp_lt_u32_e64 s[14:15], v16, v4
	v_cmp_ge_i32_e64 s[16:17], v32, v47
	v_cmp_lt_i32_e64 s[18:19], v47, v32
	v_cmp_ge_i32_e64 s[20:21], v33, v48
	s_or_b64 s[18:19], s[18:19], s[20:21]
	s_and_b64 s[14:15], s[14:15], s[16:17]
	s_and_b64 s[14:15], s[14:15], s[18:19]
	s_or_b64 s[10:11], s[10:11], s[14:15]
	v_cndmask_b32_e64 v17, v54, v16, s[10:11]
	v_cndmask_b32_e64 v49, v5, v4, s[10:11]
	v_add_u32_e32 v17, 1, v17
	v_add_u32_e32 v49, -1, v49
	v_min_u32_e32 v49, v17, v49
	v_lshlrev_b32_e32 v49, 3, v49
	ds_read_b64 v[52:53], v49
	s_mov_b64 s[16:17], -1
	s_waitcnt lgkmcnt(0)
	v_cndmask_b32_e64 v49, v52, v32, s[10:11]
	v_cndmask_b32_e64 v50, v53, v33, s[10:11]
	;; [unrolled: 1-line block ×5, first 2 shown]
	v_cmp_lt_u32_e64 s[14:15], v53, v5
	s_and_saveexec_b64 s[38:39], s[14:15]
; %bb.132:
	v_cndmask_b32_e64 v5, v16, v17, s[10:11]
	v_cmp_lt_u32_e64 s[14:15], v5, v4
	v_cmp_ge_i32_e64 s[16:17], v49, v51
	v_cmp_lt_i32_e64 s[18:19], v51, v49
	v_cmp_ge_i32_e64 s[20:21], v50, v52
	s_or_b64 s[18:19], s[18:19], s[20:21]
	s_and_b64 s[14:15], s[14:15], s[16:17]
	s_and_b64 s[14:15], s[14:15], s[18:19]
	s_orn2_b64 s[16:17], s[14:15], exec
; %bb.133:
	s_or_b64 exec, exec, s[38:39]
	v_cndmask_b32_e32 v1, v1, v3, vcc
	v_cndmask_b32_e32 v0, v0, v2, vcc
	v_cndmask_b32_e64 v3, v7, v9, s[0:1]
	v_cndmask_b32_e64 v2, v6, v8, s[0:1]
	v_cndmask_b32_e64 v17, v11, v13, s[12:13]
	v_cndmask_b32_e64 v16, v10, v12, s[12:13]
	v_cndmask_b32_e64 v7, v15, v19, s[4:5]
	v_cndmask_b32_e64 v6, v14, v18, s[4:5]
	v_cndmask_b32_e64 v21, v21, v23, s[6:7]
	v_cndmask_b32_e64 v20, v20, v22, s[6:7]
	v_cndmask_b32_e64 v11, v25, v27, s[8:9]
	v_cndmask_b32_e64 v10, v24, v26, s[8:9]
	v_cndmask_b32_e64 v25, v33, v48, s[10:11]
	v_cndmask_b32_e64 v24, v32, v47, s[10:11]
	v_cndmask_b32_e64 v15, v50, v52, s[16:17]
	v_cndmask_b32_e64 v14, v49, v51, s[16:17]
.LBB624_134:
	s_or_b64 exec, exec, s[34:35]
	v_and_b32_e32 v9, 0x1800, v30
	v_or_b32_e32 v4, 0x400, v9
	v_min_u32_e32 v4, 0x800, v4
	v_and_b32_e32 v12, 0x7f8, v30
	v_sub_u32_e32 v13, v4, v9
	v_sub_u32_e32 v8, 0x800, v4
	v_sub_u32_e64 v8, v12, v8 clamp
	v_min_u32_e32 v13, v12, v13
	v_mov_b32_e32 v18, v6
	v_mov_b32_e32 v19, v7
	;; [unrolled: 1-line block ×6, first 2 shown]
	v_lshlrev_b32_e32 v5, 3, v9
	v_cmp_lt_u32_e32 vcc, v8, v13
	s_barrier
	ds_write_b128 v34, v[0:3]
	ds_write_b128 v34, v[16:19] offset:16
	ds_write_b128 v34, v[20:23] offset:32
	;; [unrolled: 1-line block ×3, first 2 shown]
	s_waitcnt lgkmcnt(0)
	s_barrier
	s_and_saveexec_b64 s[6:7], vcc
	s_cbranch_execz .LBB624_138
; %bb.135:
	v_lshlrev_b32_e32 v18, 3, v12
	v_lshl_add_u32 v18, v4, 3, v18
	s_mov_b64 s[8:9], 0
.LBB624_136:                            ; =>This Inner Loop Header: Depth=1
	v_add_u32_e32 v19, v13, v8
	v_lshrrev_b32_e32 v19, 1, v19
	v_not_b32_e32 v22, v19
	v_lshl_add_u32 v23, v19, 3, v5
	v_lshl_add_u32 v26, v22, 3, v18
	ds_read_b64 v[22:23], v23
	ds_read_b64 v[26:27], v26
	v_add_u32_e32 v32, 1, v19
	s_waitcnt lgkmcnt(0)
	v_cmp_ge_i32_e64 s[0:1], v22, v26
	v_cmp_lt_i32_e64 s[4:5], v27, v23
	v_cmp_lt_i32_e32 vcc, v26, v22
	s_and_b64 s[0:1], s[0:1], s[4:5]
	s_or_b64 vcc, vcc, s[0:1]
	v_cndmask_b32_e32 v13, v13, v19, vcc
	v_cndmask_b32_e32 v8, v32, v8, vcc
	v_cmp_ge_u32_e32 vcc, v8, v13
	s_or_b64 s[8:9], vcc, s[8:9]
	s_andn2_b64 exec, exec, s[8:9]
	s_cbranch_execnz .LBB624_136
; %bb.137:
	s_or_b64 exec, exec, s[8:9]
.LBB624_138:
	s_or_b64 exec, exec, s[6:7]
	v_sub_u32_e32 v12, v12, v8
	v_add_u32_e32 v9, v8, v9
	v_add_u32_e32 v12, v12, v4
	s_movk_i32 s0, 0x801
	v_cmp_le_u32_e32 vcc, v9, v4
	v_cmp_gt_u32_e64 s[0:1], s0, v12
	s_or_b64 s[0:1], vcc, s[0:1]
	s_and_saveexec_b64 s[34:35], s[0:1]
	s_cbranch_execz .LBB624_146
; %bb.139:
	v_cmp_lt_u32_e32 vcc, v9, v4
	v_mov_b32_e32 v0, 0
	v_mov_b32_e32 v2, 0
	;; [unrolled: 1-line block ×3, first 2 shown]
	s_and_saveexec_b64 s[0:1], vcc
; %bb.140:
	v_lshl_add_u32 v1, v8, 3, v5
	ds_read_b64 v[2:3], v1
; %bb.141:
	s_or_b64 exec, exec, s[0:1]
	s_movk_i32 s20, 0x7ff
	s_movk_i32 s3, 0x800
	v_cmp_lt_u32_e64 s[0:1], s20, v12
	v_cmp_gt_u32_e64 s[4:5], s3, v12
	v_mov_b32_e32 v1, 0
	s_and_saveexec_b64 s[6:7], s[4:5]
; %bb.142:
	v_lshlrev_b32_e32 v0, 3, v12
	ds_read_b64 v[0:1], v0
; %bb.143:
	s_or_b64 exec, exec, s[6:7]
	s_waitcnt lgkmcnt(0)
	v_cmp_ge_i32_e64 s[4:5], v0, v2
	v_cmp_lt_i32_e64 s[6:7], v2, v0
	v_cmp_ge_i32_e64 s[8:9], v1, v3
	s_or_b64 s[6:7], s[6:7], s[8:9]
	s_and_b64 s[4:5], vcc, s[4:5]
	s_and_b64 s[4:5], s[4:5], s[6:7]
	s_or_b64 vcc, s[0:1], s[4:5]
	v_cndmask_b32_e32 v5, v12, v9, vcc
	v_add_u32_e32 v48, -1, v4
	v_mov_b32_e32 v49, 0x7ff
	v_add_u32_e32 v13, 1, v5
	v_cndmask_b32_e32 v5, v49, v48, vcc
	v_min_u32_e32 v5, v13, v5
	v_lshlrev_b32_e32 v5, 3, v5
	ds_read_b64 v[10:11], v5
	v_cndmask_b32_e32 v15, v9, v13, vcc
	v_cmp_lt_u32_e64 s[4:5], v15, v4
	v_cndmask_b32_e32 v14, v13, v12, vcc
	v_cmp_lt_u32_e64 s[0:1], s20, v14
	s_waitcnt lgkmcnt(0)
	v_cndmask_b32_e32 v5, v10, v0, vcc
	v_cndmask_b32_e32 v6, v11, v1, vcc
	;; [unrolled: 1-line block ×4, first 2 shown]
	v_cmp_ge_i32_e64 s[6:7], v5, v7
	v_cmp_lt_i32_e64 s[8:9], v7, v5
	v_cmp_ge_i32_e64 s[10:11], v6, v8
	s_or_b64 s[8:9], s[8:9], s[10:11]
	s_and_b64 s[4:5], s[4:5], s[6:7]
	s_and_b64 s[4:5], s[4:5], s[8:9]
	s_or_b64 s[0:1], s[0:1], s[4:5]
	v_cndmask_b32_e64 v9, v14, v15, s[0:1]
	v_add_u32_e32 v16, 1, v9
	v_cndmask_b32_e64 v9, v49, v48, s[0:1]
	v_min_u32_e32 v9, v16, v9
	v_lshlrev_b32_e32 v9, 3, v9
	ds_read_b64 v[12:13], v9
	v_cndmask_b32_e64 v20, v15, v16, s[0:1]
	v_cmp_lt_u32_e64 s[6:7], v20, v4
	v_cndmask_b32_e64 v19, v16, v14, s[0:1]
	v_cmp_lt_u32_e64 s[4:5], s20, v19
	s_waitcnt lgkmcnt(0)
	v_cndmask_b32_e64 v9, v12, v5, s[0:1]
	v_cndmask_b32_e64 v10, v13, v6, s[0:1]
	v_cndmask_b32_e64 v11, v7, v12, s[0:1]
	v_cndmask_b32_e64 v12, v8, v13, s[0:1]
	v_cmp_ge_i32_e64 s[8:9], v9, v11
	v_cmp_lt_i32_e64 s[10:11], v11, v9
	v_cmp_ge_i32_e64 s[12:13], v10, v12
	s_or_b64 s[10:11], s[10:11], s[12:13]
	s_and_b64 s[6:7], s[6:7], s[8:9]
	s_and_b64 s[6:7], s[6:7], s[10:11]
	s_or_b64 s[12:13], s[4:5], s[6:7]
	v_cndmask_b32_e64 v13, v19, v20, s[12:13]
	v_add_u32_e32 v21, 1, v13
	v_cndmask_b32_e64 v13, v49, v48, s[12:13]
	v_min_u32_e32 v13, v21, v13
	v_lshlrev_b32_e32 v13, 3, v13
	ds_read_b64 v[16:17], v13
	v_cndmask_b32_e64 v24, v20, v21, s[12:13]
	v_cmp_lt_u32_e64 s[6:7], v24, v4
	v_cndmask_b32_e64 v23, v21, v19, s[12:13]
	v_cmp_lt_u32_e64 s[4:5], s20, v23
	s_waitcnt lgkmcnt(0)
	v_cndmask_b32_e64 v13, v16, v9, s[12:13]
	v_cndmask_b32_e64 v14, v17, v10, s[12:13]
	v_cndmask_b32_e64 v15, v11, v16, s[12:13]
	v_cndmask_b32_e64 v18, v12, v17, s[12:13]
	;; [unrolled: 22-line block ×4, first 2 shown]
	v_cmp_ge_i32_e64 s[14:15], v23, v25
	v_cmp_lt_i32_e64 s[16:17], v25, v23
	v_cmp_ge_i32_e64 s[18:19], v24, v26
	s_or_b64 s[16:17], s[16:17], s[18:19]
	s_and_b64 s[10:11], s[10:11], s[14:15]
	s_and_b64 s[10:11], s[10:11], s[16:17]
	s_or_b64 s[8:9], s[8:9], s[10:11]
	v_cndmask_b32_e64 v16, v50, v51, s[8:9]
	v_add_u32_e32 v52, 1, v16
	v_cndmask_b32_e64 v16, v49, v48, s[8:9]
	v_min_u32_e32 v16, v52, v16
	v_lshlrev_b32_e32 v16, 3, v16
	ds_read_b64 v[16:17], v16
	v_cndmask_b32_e64 v53, v52, v50, s[8:9]
	v_cmp_lt_u32_e64 s[10:11], s20, v53
	s_waitcnt lgkmcnt(0)
	v_cndmask_b32_e64 v27, v16, v23, s[8:9]
	v_cndmask_b32_e64 v32, v17, v24, s[8:9]
	;; [unrolled: 1-line block ×5, first 2 shown]
	v_cmp_lt_u32_e64 s[14:15], v16, v4
	v_cmp_ge_i32_e64 s[16:17], v27, v33
	v_cmp_lt_i32_e64 s[18:19], v33, v27
	v_cmp_ge_i32_e64 s[20:21], v32, v47
	s_or_b64 s[18:19], s[18:19], s[20:21]
	s_and_b64 s[14:15], s[14:15], s[16:17]
	s_and_b64 s[14:15], s[14:15], s[18:19]
	s_or_b64 s[10:11], s[10:11], s[14:15]
	v_cndmask_b32_e64 v17, v53, v16, s[10:11]
	v_add_u32_e32 v17, 1, v17
	v_cndmask_b32_e64 v48, v49, v48, s[10:11]
	v_min_u32_e32 v48, v17, v48
	v_lshlrev_b32_e32 v48, 3, v48
	ds_read_b64 v[50:51], v48
	v_cndmask_b32_e64 v52, v17, v53, s[10:11]
	v_cmp_gt_u32_e64 s[14:15], s3, v52
	s_mov_b64 s[16:17], -1
	s_waitcnt lgkmcnt(0)
	v_cndmask_b32_e64 v48, v50, v27, s[10:11]
	v_cndmask_b32_e64 v49, v51, v32, s[10:11]
	;; [unrolled: 1-line block ×4, first 2 shown]
	s_and_saveexec_b64 s[38:39], s[14:15]
; %bb.144:
	v_cndmask_b32_e64 v16, v16, v17, s[10:11]
	v_cmp_lt_u32_e64 s[14:15], v16, v4
	v_cmp_ge_i32_e64 s[16:17], v48, v50
	v_cmp_lt_i32_e64 s[18:19], v50, v48
	v_cmp_ge_i32_e64 s[20:21], v49, v51
	s_or_b64 s[18:19], s[18:19], s[20:21]
	s_and_b64 s[14:15], s[14:15], s[16:17]
	s_and_b64 s[14:15], s[14:15], s[18:19]
	s_orn2_b64 s[16:17], s[14:15], exec
; %bb.145:
	s_or_b64 exec, exec, s[38:39]
	v_cndmask_b32_e32 v1, v1, v3, vcc
	v_cndmask_b32_e32 v0, v0, v2, vcc
	v_cndmask_b32_e64 v3, v6, v8, s[0:1]
	v_cndmask_b32_e64 v2, v5, v7, s[0:1]
	;; [unrolled: 1-line block ×14, first 2 shown]
.LBB624_146:
	s_or_b64 exec, exec, s[34:35]
	s_barrier
	s_barrier
	ds_write2_b64 v39, v[0:1], v[2:3] offset1:1
	v_mov_b32_e32 v0, v6
	v_mov_b32_e32 v1, v7
	ds_write2_b64 v39, v[16:17], v[0:1] offset0:2 offset1:3
	v_mov_b32_e32 v0, v10
	v_mov_b32_e32 v1, v11
	ds_write2_b64 v39, v[20:21], v[0:1] offset0:4 offset1:5
	;; [unrolled: 3-line block ×3, first 2 shown]
	s_waitcnt lgkmcnt(0)
	s_barrier
	ds_read_b64 v[0:1], v31
	ds_read_b64 v[2:3], v40 offset:2048
	ds_read_b64 v[4:5], v41 offset:4096
	;; [unrolled: 1-line block ×7, first 2 shown]
	v_mov_b32_e32 v31, 0
	v_lshl_add_u64 v[16:17], s[36:37], 0, v[30:31]
	s_movk_i32 s0, 0x1000
	s_waitcnt lgkmcnt(7)
	flat_store_dwordx2 v[16:17], v[0:1]
	s_waitcnt lgkmcnt(0)
	flat_store_dwordx2 v[16:17], v[2:3] offset:2048
	v_add_co_u32_e32 v0, vcc, s0, v16
	s_nop 1
	v_addc_co_u32_e32 v1, vcc, 0, v17, vcc
	flat_store_dwordx2 v[0:1], v[4:5]
	flat_store_dwordx2 v[0:1], v[6:7] offset:2048
	v_add_co_u32_e32 v0, vcc, 0x2000, v16
	s_mov_b64 s[38:39], -1
	s_nop 0
	v_addc_co_u32_e32 v1, vcc, 0, v17, vcc
	flat_store_dwordx2 v[0:1], v[8:9]
	flat_store_dwordx2 v[0:1], v[10:11] offset:2048
	v_add_co_u32_e32 v0, vcc, 0x3000, v16
	s_nop 1
	v_addc_co_u32_e32 v1, vcc, 0, v17, vcc
	flat_store_dwordx2 v[0:1], v[12:13]
	s_branch .LBB624_266
.LBB624_147:
	s_mov_b64 s[38:39], 0
                                        ; implicit-def: $vgpr14_vgpr15
	s_cbranch_execz .LBB624_266
; %bb.148:
	s_lshl_b64 s[0:1], s[26:27], 11
	s_sub_i32 s33, s30, s0
	v_cmp_gt_u32_e32 vcc, s33, v28
	v_mov_b64_e32 v[8:9], 0
	v_mov_b64_e32 v[10:11], 0
	s_and_saveexec_b64 s[0:1], vcc
	s_cbranch_execz .LBB624_150
; %bb.149:
	v_mov_b32_e32 v31, 0
	v_lshl_add_u64 v[0:1], s[28:29], 0, v[30:31]
	flat_load_dwordx2 v[10:11], v[0:1]
.LBB624_150:
	s_or_b64 exec, exec, s[0:1]
	v_add_u32_e32 v0, 0x100, v28
	v_cmp_gt_u32_e64 s[0:1], s33, v0
	s_and_saveexec_b64 s[4:5], s[0:1]
	s_cbranch_execz .LBB624_152
; %bb.151:
	v_mov_b32_e32 v31, 0
	v_lshl_add_u64 v[2:3], s[28:29], 0, v[30:31]
	flat_load_dwordx2 v[8:9], v[2:3] offset:2048
.LBB624_152:
	s_or_b64 exec, exec, s[4:5]
	v_add_u32_e32 v1, 0x200, v28
	v_cmp_gt_u32_e64 s[26:27], s33, v1
	v_mov_b64_e32 v[12:13], 0
	v_mov_b64_e32 v[14:15], 0
	s_and_saveexec_b64 s[4:5], s[26:27]
	s_cbranch_execz .LBB624_154
; %bb.153:
	v_lshlrev_b32_e32 v2, 3, v1
	v_mov_b32_e32 v3, 0
	v_lshl_add_u64 v[2:3], s[28:29], 0, v[2:3]
	flat_load_dwordx2 v[14:15], v[2:3]
.LBB624_154:
	s_or_b64 exec, exec, s[4:5]
	v_add_u32_e32 v2, 0x300, v28
	v_cmp_gt_u32_e64 s[4:5], s33, v2
	s_and_saveexec_b64 s[6:7], s[4:5]
	s_cbranch_execz .LBB624_156
; %bb.155:
	v_lshlrev_b32_e32 v4, 3, v2
	v_mov_b32_e32 v5, 0
	v_lshl_add_u64 v[4:5], s[28:29], 0, v[4:5]
	flat_load_dwordx2 v[12:13], v[4:5]
.LBB624_156:
	s_or_b64 exec, exec, s[6:7]
	v_or_b32_e32 v3, 0x400, v28
	v_cmp_gt_u32_e64 s[6:7], s33, v3
	v_mov_b64_e32 v[22:23], 0
	v_mov_b64_e32 v[24:25], 0
	s_and_saveexec_b64 s[8:9], s[6:7]
	s_cbranch_execz .LBB624_158
; %bb.157:
	v_lshlrev_b32_e32 v4, 3, v3
	v_mov_b32_e32 v5, 0
	v_lshl_add_u64 v[4:5], s[28:29], 0, v[4:5]
	flat_load_dwordx2 v[24:25], v[4:5]
.LBB624_158:
	s_or_b64 exec, exec, s[8:9]
	v_add_u32_e32 v4, 0x500, v28
	v_cmp_gt_u32_e64 s[8:9], s33, v4
	s_and_saveexec_b64 s[10:11], s[8:9]
	s_cbranch_execz .LBB624_160
; %bb.159:
	v_lshlrev_b32_e32 v6, 3, v4
	v_mov_b32_e32 v7, 0
	v_lshl_add_u64 v[6:7], s[28:29], 0, v[6:7]
	flat_load_dwordx2 v[22:23], v[6:7]
.LBB624_160:
	s_or_b64 exec, exec, s[10:11]
	v_add_u32_e32 v5, 0x600, v28
	v_cmp_gt_u32_e64 s[10:11], s33, v5
	v_mov_b64_e32 v[26:27], 0
	v_mov_b64_e32 v[32:33], 0
	s_and_saveexec_b64 s[12:13], s[10:11]
	s_cbranch_execz .LBB624_162
; %bb.161:
	v_lshlrev_b32_e32 v6, 3, v5
	v_mov_b32_e32 v7, 0
	v_lshl_add_u64 v[6:7], s[28:29], 0, v[6:7]
	flat_load_dwordx2 v[32:33], v[6:7]
.LBB624_162:
	s_or_b64 exec, exec, s[12:13]
	v_add_u32_e32 v6, 0x700, v28
	v_cmp_gt_u32_e64 s[38:39], s33, v6
	s_and_saveexec_b64 s[12:13], s[38:39]
	s_cbranch_execz .LBB624_164
; %bb.163:
	v_lshlrev_b32_e32 v16, 3, v6
	v_mov_b32_e32 v17, 0
	v_lshl_add_u64 v[16:17], s[28:29], 0, v[16:17]
	flat_load_dwordx2 v[26:27], v[16:17]
.LBB624_164:
	s_or_b64 exec, exec, s[12:13]
	v_lshrrev_b32_e32 v0, 2, v0
	v_and_b32_e32 v0, 0x1f8, v0
	v_add_u32_e32 v17, v0, v30
	v_lshrrev_b32_e32 v0, 2, v1
	v_and_b32_e32 v0, 0x1f8, v0
	v_add_u32_e32 v18, v0, v30
	;; [unrolled: 3-line block ×5, first 2 shown]
	v_lshrrev_b32_e32 v0, 2, v5
	v_and_b32_e32 v0, 0x3f8, v0
	s_waitcnt vmcnt(0) lgkmcnt(0)
	ds_write_b64 v21, v[22:23] offset:10240
	v_add_u32_e32 v22, v0, v30
	v_lshrrev_b32_e32 v0, 2, v6
	v_and_b32_e32 v0, 0x3f8, v0
	v_and_b32_e32 v7, 0xf8, v38
	v_add_u32_e32 v23, v0, v30
	v_and_b32_e32 v0, 0x7f8, v37
	v_add_u32_e32 v16, v7, v30
	ds_write_b64 v20, v[24:25] offset:8192
	v_add_u32_e32 v24, v0, v34
	ds_write_b64 v16, v[10:11]
	ds_write_b64 v17, v[8:9] offset:2048
	ds_write_b64 v18, v[14:15] offset:4096
	;; [unrolled: 1-line block ×5, first 2 shown]
	s_waitcnt lgkmcnt(0)
	s_barrier
	ds_read2_b64 v[0:3], v24 offset1:1
	ds_read2_b64 v[4:7], v24 offset0:2 offset1:3
	ds_read2_b64 v[8:11], v24 offset0:4 offset1:5
	;; [unrolled: 1-line block ×3, first 2 shown]
	s_waitcnt lgkmcnt(0)
	s_barrier
	s_load_dword s3, s[22:23], 0xc
	v_mov_b32_e32 v25, 0
	s_waitcnt lgkmcnt(0)
	s_lshr_b32 s12, s3, 16
	s_cmp_lt_u32 s2, s24
	s_cselect_b32 s2, 12, 18
	s_add_u32 s2, s22, s2
	s_addc_u32 s3, s23, 0
	global_load_ushort v25, v25, s[2:3]
	v_mad_u32_u24 v26, v36, s12, v35
	s_waitcnt vmcnt(0)
	v_mul_lo_u32 v25, v26, v25
	v_add_lshl_u32 v25, v25, v28, 3
	v_sub_u32_e64 v26, s33, v25 clamp
	v_cmp_lt_u32_e64 s[12:13], 1, v26
	s_and_saveexec_b64 s[18:19], s[12:13]
	s_cbranch_execnz .LBB624_269
; %bb.165:
	s_or_b64 exec, exec, s[18:19]
	v_cmp_lt_u32_e64 s[14:15], 3, v26
	s_and_saveexec_b64 s[20:21], s[14:15]
	s_cbranch_execnz .LBB624_270
.LBB624_166:
	s_or_b64 exec, exec, s[20:21]
	v_cmp_lt_u32_e64 s[16:17], 5, v26
	s_and_saveexec_b64 s[22:23], s[16:17]
	s_cbranch_execnz .LBB624_271
.LBB624_167:
	s_or_b64 exec, exec, s[22:23]
	v_cmp_lt_u32_e64 s[18:19], 7, v26
	s_and_saveexec_b64 s[24:25], s[18:19]
	s_cbranch_execz .LBB624_169
.LBB624_168:
	v_cmp_ge_i32_e64 s[20:21], v12, v14
	v_cmp_lt_i32_e64 s[22:23], v15, v13
	v_cmp_lt_i32_e64 s[2:3], v14, v12
	s_and_b64 s[20:21], s[20:21], s[22:23]
	s_or_b64 s[2:3], s[2:3], s[20:21]
	v_cndmask_b32_e64 v33, v15, v13, s[2:3]
	v_cndmask_b32_e64 v32, v14, v12, s[2:3]
	;; [unrolled: 1-line block ×4, first 2 shown]
	v_mov_b64_e32 v[14:15], v[32:33]
.LBB624_169:
	s_or_b64 exec, exec, s[24:25]
	v_cmp_lt_u32_e64 s[20:21], 2, v26
	s_and_saveexec_b64 s[2:3], s[20:21]
	s_xor_b64 s[28:29], exec, s[2:3]
	s_cbranch_execnz .LBB624_272
; %bb.170:
	s_or_b64 exec, exec, s[28:29]
	v_cmp_lt_u32_e64 s[22:23], 4, v26
	s_and_saveexec_b64 s[30:31], s[22:23]
	s_cbranch_execnz .LBB624_273
.LBB624_171:
	s_or_b64 exec, exec, s[30:31]
	v_cmp_lt_u32_e64 s[24:25], 6, v26
	s_and_saveexec_b64 s[34:35], s[24:25]
	s_cbranch_execnz .LBB624_274
.LBB624_172:
	s_or_b64 exec, exec, s[34:35]
	s_and_saveexec_b64 s[34:35], s[12:13]
	s_cbranch_execnz .LBB624_275
.LBB624_173:
	s_or_b64 exec, exec, s[34:35]
	s_and_saveexec_b64 s[34:35], s[14:15]
	s_cbranch_execnz .LBB624_276
.LBB624_174:
	s_or_b64 exec, exec, s[34:35]
	s_and_saveexec_b64 s[34:35], s[16:17]
	s_cbranch_execnz .LBB624_277
.LBB624_175:
	s_or_b64 exec, exec, s[34:35]
	s_and_saveexec_b64 s[34:35], s[18:19]
	s_cbranch_execnz .LBB624_278
.LBB624_176:
	s_or_b64 exec, exec, s[34:35]
	s_and_saveexec_b64 s[34:35], s[20:21]
	s_cbranch_execnz .LBB624_279
.LBB624_177:
	s_or_b64 exec, exec, s[34:35]
	s_and_saveexec_b64 s[34:35], s[22:23]
	s_cbranch_execnz .LBB624_280
.LBB624_178:
	s_or_b64 exec, exec, s[34:35]
	s_and_saveexec_b64 s[34:35], s[24:25]
	s_cbranch_execnz .LBB624_281
.LBB624_179:
	s_or_b64 exec, exec, s[34:35]
	s_and_saveexec_b64 s[34:35], s[12:13]
	s_cbranch_execnz .LBB624_282
.LBB624_180:
	s_or_b64 exec, exec, s[34:35]
	s_and_saveexec_b64 s[34:35], s[14:15]
	s_cbranch_execnz .LBB624_283
.LBB624_181:
	s_or_b64 exec, exec, s[34:35]
	s_and_saveexec_b64 s[34:35], s[16:17]
	s_cbranch_execnz .LBB624_284
.LBB624_182:
	s_or_b64 exec, exec, s[34:35]
	s_and_saveexec_b64 s[34:35], s[18:19]
	s_cbranch_execnz .LBB624_285
.LBB624_183:
	s_or_b64 exec, exec, s[34:35]
	s_and_saveexec_b64 s[34:35], s[20:21]
	s_cbranch_execnz .LBB624_286
.LBB624_184:
	s_or_b64 exec, exec, s[34:35]
	s_and_saveexec_b64 s[34:35], s[22:23]
	s_cbranch_execnz .LBB624_287
.LBB624_185:
	s_or_b64 exec, exec, s[34:35]
	s_and_saveexec_b64 s[34:35], s[24:25]
	s_cbranch_execnz .LBB624_288
.LBB624_186:
	s_or_b64 exec, exec, s[34:35]
	s_and_saveexec_b64 s[30:31], s[12:13]
	s_cbranch_execnz .LBB624_289
.LBB624_187:
	s_or_b64 exec, exec, s[30:31]
	s_and_saveexec_b64 s[28:29], s[14:15]
	s_cbranch_execnz .LBB624_290
.LBB624_188:
	s_or_b64 exec, exec, s[28:29]
	s_and_saveexec_b64 s[28:29], s[16:17]
	s_cbranch_execnz .LBB624_291
.LBB624_189:
	s_or_b64 exec, exec, s[28:29]
	s_and_saveexec_b64 s[16:17], s[18:19]
	s_cbranch_execnz .LBB624_292
.LBB624_190:
	s_or_b64 exec, exec, s[16:17]
	s_and_saveexec_b64 s[16:17], s[20:21]
	s_cbranch_execnz .LBB624_293
.LBB624_191:
	s_or_b64 exec, exec, s[16:17]
	s_and_saveexec_b64 s[16:17], s[22:23]
	s_cbranch_execnz .LBB624_294
.LBB624_192:
	s_or_b64 exec, exec, s[16:17]
	s_and_saveexec_b64 s[16:17], s[24:25]
	s_cbranch_execz .LBB624_194
.LBB624_193:
	v_cmp_ge_i32_e64 s[12:13], v10, v12
	v_cmp_lt_i32_e64 s[14:15], v13, v11
	v_cmp_lt_i32_e64 s[2:3], v12, v10
	s_and_b64 s[12:13], s[12:13], s[14:15]
	s_or_b64 s[2:3], s[2:3], s[12:13]
	v_cndmask_b32_e64 v27, v13, v11, s[2:3]
	v_cndmask_b32_e64 v26, v12, v10, s[2:3]
	;; [unrolled: 1-line block ×4, first 2 shown]
	v_mov_b64_e32 v[12:13], v[26:27]
.LBB624_194:
	s_or_b64 exec, exec, s[16:17]
	v_mbcnt_lo_u32_b32 v26, -1, 0
	v_mbcnt_hi_u32_b32 v29, -1, v26
	v_and_b32_e32 v25, 0xfffffe00, v25
	v_lshlrev_b32_e32 v27, 6, v29
	v_lshlrev_b32_e32 v29, 3, v29
	v_sub_u32_e64 v26, s33, v25 clamp
	v_or_b32_e32 v31, 8, v29
	v_min_u32_e32 v31, v26, v31
	v_add_u32_e32 v32, 8, v31
	v_and_b32_e32 v36, 0x3f0, v29
	v_min_u32_e32 v32, v26, v32
	v_and_b32_e32 v33, 8, v29
	v_min_u32_e32 v37, v26, v33
	v_sub_u32_e32 v38, v31, v36
	v_sub_u32_e32 v35, v32, v31
	v_lshlrev_b32_e32 v25, 3, v25
	v_sub_u32_e64 v35, v37, v35 clamp
	v_min_u32_e32 v38, v37, v38
	v_add_u32_e32 v27, v25, v27
	v_lshl_add_u32 v33, v36, 3, v25
	v_cmp_lt_u32_e64 s[2:3], v35, v38
	ds_write_b128 v27, v[0:3]
	ds_write_b128 v27, v[4:7] offset:16
	ds_write_b128 v27, v[8:11] offset:32
	ds_write_b128 v27, v[12:15] offset:48
	; wave barrier
	s_and_saveexec_b64 s[16:17], s[2:3]
	s_cbranch_execz .LBB624_198
; %bb.195:
	v_lshlrev_b32_e32 v39, 3, v31
	v_lshlrev_b32_e32 v40, 3, v37
	v_add3_u32 v39, v25, v39, v40
	s_mov_b64 s[18:19], 0
.LBB624_196:                            ; =>This Inner Loop Header: Depth=1
	v_add_u32_e32 v40, v38, v35
	v_lshrrev_b32_e32 v44, 1, v40
	v_not_b32_e32 v40, v44
	v_lshl_add_u32 v41, v44, 3, v33
	v_lshl_add_u32 v42, v40, 3, v39
	ds_read_b64 v[40:41], v41
	ds_read_b64 v[42:43], v42
	v_add_u32_e32 v45, 1, v44
	s_waitcnt lgkmcnt(0)
	v_cmp_ge_i32_e64 s[12:13], v40, v42
	v_cmp_lt_i32_e64 s[14:15], v43, v41
	v_cmp_lt_i32_e64 s[2:3], v42, v40
	s_and_b64 s[12:13], s[12:13], s[14:15]
	s_or_b64 s[2:3], s[2:3], s[12:13]
	v_cndmask_b32_e64 v38, v38, v44, s[2:3]
	v_cndmask_b32_e64 v35, v45, v35, s[2:3]
	v_cmp_ge_u32_e64 s[2:3], v35, v38
	s_or_b64 s[18:19], s[2:3], s[18:19]
	s_andn2_b64 exec, exec, s[18:19]
	s_cbranch_execnz .LBB624_196
; %bb.197:
	s_or_b64 exec, exec, s[18:19]
.LBB624_198:
	s_or_b64 exec, exec, s[16:17]
	v_add_u32_e32 v37, v31, v37
	v_add_u32_e32 v36, v35, v36
	v_sub_u32_e32 v37, v37, v35
	v_cmp_le_u32_e64 s[2:3], v36, v31
	v_cmp_le_u32_e64 s[12:13], v37, v32
	s_or_b64 s[2:3], s[2:3], s[12:13]
	s_and_saveexec_b64 s[40:41], s[2:3]
	s_cbranch_execz .LBB624_206
; %bb.199:
	v_cmp_lt_u32_e64 s[12:13], v36, v31
	v_mov_b32_e32 v0, 0
	v_mov_b32_e32 v2, 0
	;; [unrolled: 1-line block ×3, first 2 shown]
	s_and_saveexec_b64 s[2:3], s[12:13]
; %bb.200:
	v_lshl_add_u32 v1, v35, 3, v33
	ds_read_b64 v[2:3], v1
; %bb.201:
	s_or_b64 exec, exec, s[2:3]
	v_cmp_ge_u32_e64 s[14:15], v37, v32
	v_cmp_lt_u32_e64 s[2:3], v37, v32
	v_mov_b32_e32 v1, 0
	s_and_saveexec_b64 s[16:17], s[2:3]
; %bb.202:
	v_lshl_add_u32 v0, v37, 3, v25
	ds_read_b64 v[0:1], v0
; %bb.203:
	s_or_b64 exec, exec, s[16:17]
	s_waitcnt lgkmcnt(0)
	v_cmp_ge_i32_e64 s[2:3], v0, v2
	v_cmp_lt_i32_e64 s[16:17], v2, v0
	v_cmp_ge_i32_e64 s[18:19], v1, v3
	s_or_b64 s[16:17], s[16:17], s[18:19]
	s_and_b64 s[2:3], s[12:13], s[2:3]
	s_and_b64 s[2:3], s[2:3], s[16:17]
	s_or_b64 s[12:13], s[14:15], s[2:3]
	v_cndmask_b32_e64 v4, v37, v36, s[12:13]
	v_cndmask_b32_e64 v5, v32, v31, s[12:13]
	v_add_u32_e32 v8, 1, v4
	v_add_u32_e32 v4, -1, v5
	v_min_u32_e32 v4, v8, v4
	v_lshl_add_u32 v4, v4, 3, v25
	ds_read_b64 v[6:7], v4
	v_cndmask_b32_e64 v13, v36, v8, s[12:13]
	v_cmp_lt_u32_e64 s[14:15], v13, v31
	v_cndmask_b32_e64 v12, v8, v37, s[12:13]
	v_cmp_ge_u32_e64 s[2:3], v12, v32
	s_waitcnt lgkmcnt(0)
	v_cndmask_b32_e64 v4, v6, v0, s[12:13]
	v_cndmask_b32_e64 v5, v7, v1, s[12:13]
	v_cndmask_b32_e64 v6, v2, v6, s[12:13]
	v_cndmask_b32_e64 v7, v3, v7, s[12:13]
	v_cmp_ge_i32_e64 s[16:17], v4, v6
	v_cmp_lt_i32_e64 s[18:19], v6, v4
	v_cmp_ge_i32_e64 s[20:21], v5, v7
	s_or_b64 s[18:19], s[18:19], s[20:21]
	s_and_b64 s[14:15], s[14:15], s[16:17]
	s_and_b64 s[14:15], s[14:15], s[18:19]
	s_or_b64 s[14:15], s[2:3], s[14:15]
	v_cndmask_b32_e64 v8, v12, v13, s[14:15]
	v_cndmask_b32_e64 v9, v32, v31, s[14:15]
	v_add_u32_e32 v14, 1, v8
	v_add_u32_e32 v8, -1, v9
	v_min_u32_e32 v8, v14, v8
	v_lshl_add_u32 v8, v8, 3, v25
	ds_read_b64 v[10:11], v8
	v_cndmask_b32_e64 v35, v13, v14, s[14:15]
	v_cmp_lt_u32_e64 s[16:17], v35, v31
	v_cndmask_b32_e64 v33, v14, v12, s[14:15]
	v_cmp_ge_u32_e64 s[2:3], v33, v32
	s_waitcnt lgkmcnt(0)
	v_cndmask_b32_e64 v8, v10, v4, s[14:15]
	v_cndmask_b32_e64 v9, v11, v5, s[14:15]
	v_cndmask_b32_e64 v10, v6, v10, s[14:15]
	v_cndmask_b32_e64 v11, v7, v11, s[14:15]
	;; [unrolled: 23-line block ×6, first 2 shown]
	v_cmp_ge_i32_e64 s[28:29], v42, v44
	v_cmp_lt_i32_e64 s[30:31], v44, v42
	v_cmp_ge_i32_e64 s[34:35], v43, v45
	s_or_b64 s[30:31], s[30:31], s[34:35]
	s_and_b64 s[24:25], s[24:25], s[28:29]
	s_and_b64 s[24:25], s[24:25], s[30:31]
	s_or_b64 s[24:25], s[2:3], s[24:25]
	v_cndmask_b32_e64 v46, v52, v50, s[24:25]
	v_cndmask_b32_e64 v47, v32, v31, s[24:25]
	v_add_u32_e32 v51, 1, v46
	v_add_u32_e32 v46, -1, v47
	v_min_u32_e32 v46, v51, v46
	v_lshl_add_u32 v46, v46, 3, v25
	ds_read_b64 v[48:49], v46
	v_cndmask_b32_e64 v52, v51, v52, s[24:25]
	v_cmp_lt_u32_e64 s[2:3], v52, v32
	s_mov_b64 s[28:29], -1
	s_waitcnt lgkmcnt(0)
	v_cndmask_b32_e64 v46, v48, v42, s[24:25]
	v_cndmask_b32_e64 v47, v49, v43, s[24:25]
	;; [unrolled: 1-line block ×4, first 2 shown]
	s_and_saveexec_b64 s[42:43], s[2:3]
; %bb.204:
	v_cndmask_b32_e64 v32, v50, v51, s[24:25]
	v_cmp_lt_u32_e64 s[2:3], v32, v31
	v_cmp_ge_i32_e64 s[28:29], v46, v48
	v_cmp_lt_i32_e64 s[30:31], v48, v46
	v_cmp_ge_i32_e64 s[34:35], v47, v49
	s_or_b64 s[30:31], s[30:31], s[34:35]
	s_and_b64 s[2:3], s[2:3], s[28:29]
	s_and_b64 s[2:3], s[2:3], s[30:31]
	s_orn2_b64 s[28:29], s[2:3], exec
; %bb.205:
	s_or_b64 exec, exec, s[42:43]
	v_cndmask_b32_e64 v1, v1, v3, s[12:13]
	v_cndmask_b32_e64 v0, v0, v2, s[12:13]
	v_cndmask_b32_e64 v3, v5, v7, s[14:15]
	v_cndmask_b32_e64 v2, v4, v6, s[14:15]
	v_cndmask_b32_e64 v5, v9, v11, s[16:17]
	v_cndmask_b32_e64 v4, v8, v10, s[16:17]
	v_cndmask_b32_e64 v7, v13, v15, s[18:19]
	v_cndmask_b32_e64 v6, v12, v14, s[18:19]
	v_cndmask_b32_e64 v9, v35, v37, s[20:21]
	v_cndmask_b32_e64 v8, v33, v36, s[20:21]
	v_cndmask_b32_e64 v11, v39, v41, s[22:23]
	v_cndmask_b32_e64 v10, v38, v40, s[22:23]
	v_cndmask_b32_e64 v13, v43, v45, s[24:25]
	v_cndmask_b32_e64 v12, v42, v44, s[24:25]
	v_cndmask_b32_e64 v15, v47, v49, s[28:29]
	v_cndmask_b32_e64 v14, v46, v48, s[28:29]
.LBB624_206:
	s_or_b64 exec, exec, s[40:41]
	v_and_b32_e32 v36, 0x3e0, v29
	v_or_b32_e32 v31, 16, v36
	v_min_u32_e32 v31, v26, v31
	v_add_u32_e32 v32, 16, v31
	v_min_u32_e32 v32, v26, v32
	v_and_b32_e32 v33, 24, v29
	v_min_u32_e32 v37, v26, v33
	v_sub_u32_e32 v38, v31, v36
	v_sub_u32_e32 v35, v32, v31
	v_sub_u32_e64 v35, v37, v35 clamp
	v_min_u32_e32 v38, v37, v38
	v_lshl_add_u32 v33, v36, 3, v25
	v_cmp_lt_u32_e64 s[2:3], v35, v38
	; wave barrier
	ds_write_b128 v27, v[0:3]
	ds_write_b128 v27, v[4:7] offset:16
	ds_write_b128 v27, v[8:11] offset:32
	;; [unrolled: 1-line block ×3, first 2 shown]
	; wave barrier
	s_and_saveexec_b64 s[16:17], s[2:3]
	s_cbranch_execz .LBB624_210
; %bb.207:
	v_lshlrev_b32_e32 v39, 3, v31
	v_lshlrev_b32_e32 v40, 3, v37
	v_add3_u32 v39, v25, v39, v40
	s_mov_b64 s[18:19], 0
.LBB624_208:                            ; =>This Inner Loop Header: Depth=1
	v_add_u32_e32 v40, v38, v35
	v_lshrrev_b32_e32 v44, 1, v40
	v_not_b32_e32 v40, v44
	v_lshl_add_u32 v41, v44, 3, v33
	v_lshl_add_u32 v42, v40, 3, v39
	ds_read_b64 v[40:41], v41
	ds_read_b64 v[42:43], v42
	v_add_u32_e32 v45, 1, v44
	s_waitcnt lgkmcnt(0)
	v_cmp_ge_i32_e64 s[12:13], v40, v42
	v_cmp_lt_i32_e64 s[14:15], v43, v41
	v_cmp_lt_i32_e64 s[2:3], v42, v40
	s_and_b64 s[12:13], s[12:13], s[14:15]
	s_or_b64 s[2:3], s[2:3], s[12:13]
	v_cndmask_b32_e64 v38, v38, v44, s[2:3]
	v_cndmask_b32_e64 v35, v45, v35, s[2:3]
	v_cmp_ge_u32_e64 s[2:3], v35, v38
	s_or_b64 s[18:19], s[2:3], s[18:19]
	s_andn2_b64 exec, exec, s[18:19]
	s_cbranch_execnz .LBB624_208
; %bb.209:
	s_or_b64 exec, exec, s[18:19]
.LBB624_210:
	s_or_b64 exec, exec, s[16:17]
	v_add_u32_e32 v37, v31, v37
	v_add_u32_e32 v36, v35, v36
	v_sub_u32_e32 v37, v37, v35
	v_cmp_le_u32_e64 s[2:3], v36, v31
	v_cmp_le_u32_e64 s[12:13], v37, v32
	s_or_b64 s[2:3], s[2:3], s[12:13]
	s_and_saveexec_b64 s[40:41], s[2:3]
	s_cbranch_execz .LBB624_218
; %bb.211:
	v_cmp_lt_u32_e64 s[12:13], v36, v31
	v_mov_b32_e32 v0, 0
	v_mov_b32_e32 v2, 0
	;; [unrolled: 1-line block ×3, first 2 shown]
	s_and_saveexec_b64 s[2:3], s[12:13]
; %bb.212:
	v_lshl_add_u32 v1, v35, 3, v33
	ds_read_b64 v[2:3], v1
; %bb.213:
	s_or_b64 exec, exec, s[2:3]
	v_cmp_ge_u32_e64 s[14:15], v37, v32
	v_cmp_lt_u32_e64 s[2:3], v37, v32
	v_mov_b32_e32 v1, 0
	s_and_saveexec_b64 s[16:17], s[2:3]
; %bb.214:
	v_lshl_add_u32 v0, v37, 3, v25
	ds_read_b64 v[0:1], v0
; %bb.215:
	s_or_b64 exec, exec, s[16:17]
	s_waitcnt lgkmcnt(0)
	v_cmp_ge_i32_e64 s[2:3], v0, v2
	v_cmp_lt_i32_e64 s[16:17], v2, v0
	v_cmp_ge_i32_e64 s[18:19], v1, v3
	s_or_b64 s[16:17], s[16:17], s[18:19]
	s_and_b64 s[2:3], s[12:13], s[2:3]
	s_and_b64 s[2:3], s[2:3], s[16:17]
	s_or_b64 s[12:13], s[14:15], s[2:3]
	v_cndmask_b32_e64 v4, v37, v36, s[12:13]
	v_cndmask_b32_e64 v5, v32, v31, s[12:13]
	v_add_u32_e32 v8, 1, v4
	v_add_u32_e32 v4, -1, v5
	v_min_u32_e32 v4, v8, v4
	v_lshl_add_u32 v4, v4, 3, v25
	ds_read_b64 v[6:7], v4
	v_cndmask_b32_e64 v13, v36, v8, s[12:13]
	v_cmp_lt_u32_e64 s[14:15], v13, v31
	v_cndmask_b32_e64 v12, v8, v37, s[12:13]
	v_cmp_ge_u32_e64 s[2:3], v12, v32
	s_waitcnt lgkmcnt(0)
	v_cndmask_b32_e64 v4, v6, v0, s[12:13]
	v_cndmask_b32_e64 v5, v7, v1, s[12:13]
	v_cndmask_b32_e64 v6, v2, v6, s[12:13]
	v_cndmask_b32_e64 v7, v3, v7, s[12:13]
	v_cmp_ge_i32_e64 s[16:17], v4, v6
	v_cmp_lt_i32_e64 s[18:19], v6, v4
	v_cmp_ge_i32_e64 s[20:21], v5, v7
	s_or_b64 s[18:19], s[18:19], s[20:21]
	s_and_b64 s[14:15], s[14:15], s[16:17]
	s_and_b64 s[14:15], s[14:15], s[18:19]
	s_or_b64 s[14:15], s[2:3], s[14:15]
	v_cndmask_b32_e64 v8, v12, v13, s[14:15]
	v_cndmask_b32_e64 v9, v32, v31, s[14:15]
	v_add_u32_e32 v14, 1, v8
	v_add_u32_e32 v8, -1, v9
	v_min_u32_e32 v8, v14, v8
	v_lshl_add_u32 v8, v8, 3, v25
	ds_read_b64 v[10:11], v8
	v_cndmask_b32_e64 v35, v13, v14, s[14:15]
	v_cmp_lt_u32_e64 s[16:17], v35, v31
	v_cndmask_b32_e64 v33, v14, v12, s[14:15]
	v_cmp_ge_u32_e64 s[2:3], v33, v32
	s_waitcnt lgkmcnt(0)
	v_cndmask_b32_e64 v8, v10, v4, s[14:15]
	v_cndmask_b32_e64 v9, v11, v5, s[14:15]
	v_cndmask_b32_e64 v10, v6, v10, s[14:15]
	v_cndmask_b32_e64 v11, v7, v11, s[14:15]
	;; [unrolled: 23-line block ×6, first 2 shown]
	v_cmp_ge_i32_e64 s[28:29], v42, v44
	v_cmp_lt_i32_e64 s[30:31], v44, v42
	v_cmp_ge_i32_e64 s[34:35], v43, v45
	s_or_b64 s[30:31], s[30:31], s[34:35]
	s_and_b64 s[24:25], s[24:25], s[28:29]
	s_and_b64 s[24:25], s[24:25], s[30:31]
	s_or_b64 s[24:25], s[2:3], s[24:25]
	v_cndmask_b32_e64 v46, v52, v50, s[24:25]
	v_cndmask_b32_e64 v47, v32, v31, s[24:25]
	v_add_u32_e32 v51, 1, v46
	v_add_u32_e32 v46, -1, v47
	v_min_u32_e32 v46, v51, v46
	v_lshl_add_u32 v46, v46, 3, v25
	ds_read_b64 v[48:49], v46
	v_cndmask_b32_e64 v52, v51, v52, s[24:25]
	v_cmp_lt_u32_e64 s[2:3], v52, v32
	s_mov_b64 s[28:29], -1
	s_waitcnt lgkmcnt(0)
	v_cndmask_b32_e64 v46, v48, v42, s[24:25]
	v_cndmask_b32_e64 v47, v49, v43, s[24:25]
	;; [unrolled: 1-line block ×4, first 2 shown]
	s_and_saveexec_b64 s[42:43], s[2:3]
; %bb.216:
	v_cndmask_b32_e64 v32, v50, v51, s[24:25]
	v_cmp_lt_u32_e64 s[2:3], v32, v31
	v_cmp_ge_i32_e64 s[28:29], v46, v48
	v_cmp_lt_i32_e64 s[30:31], v48, v46
	v_cmp_ge_i32_e64 s[34:35], v47, v49
	s_or_b64 s[30:31], s[30:31], s[34:35]
	s_and_b64 s[2:3], s[2:3], s[28:29]
	s_and_b64 s[2:3], s[2:3], s[30:31]
	s_orn2_b64 s[28:29], s[2:3], exec
; %bb.217:
	s_or_b64 exec, exec, s[42:43]
	v_cndmask_b32_e64 v1, v1, v3, s[12:13]
	v_cndmask_b32_e64 v0, v0, v2, s[12:13]
	;; [unrolled: 1-line block ×16, first 2 shown]
.LBB624_218:
	s_or_b64 exec, exec, s[40:41]
	v_and_b32_e32 v36, 0x3c0, v29
	v_or_b32_e32 v31, 32, v36
	v_min_u32_e32 v31, v26, v31
	v_add_u32_e32 v32, 32, v31
	v_min_u32_e32 v32, v26, v32
	v_and_b32_e32 v33, 56, v29
	v_min_u32_e32 v37, v26, v33
	v_sub_u32_e32 v38, v31, v36
	v_sub_u32_e32 v35, v32, v31
	v_sub_u32_e64 v35, v37, v35 clamp
	v_min_u32_e32 v38, v37, v38
	v_lshl_add_u32 v33, v36, 3, v25
	v_cmp_lt_u32_e64 s[2:3], v35, v38
	; wave barrier
	ds_write_b128 v27, v[0:3]
	ds_write_b128 v27, v[4:7] offset:16
	ds_write_b128 v27, v[8:11] offset:32
	;; [unrolled: 1-line block ×3, first 2 shown]
	; wave barrier
	s_and_saveexec_b64 s[16:17], s[2:3]
	s_cbranch_execz .LBB624_222
; %bb.219:
	v_lshlrev_b32_e32 v39, 3, v31
	v_lshlrev_b32_e32 v40, 3, v37
	v_add3_u32 v39, v25, v39, v40
	s_mov_b64 s[18:19], 0
.LBB624_220:                            ; =>This Inner Loop Header: Depth=1
	v_add_u32_e32 v40, v38, v35
	v_lshrrev_b32_e32 v44, 1, v40
	v_not_b32_e32 v40, v44
	v_lshl_add_u32 v41, v44, 3, v33
	v_lshl_add_u32 v42, v40, 3, v39
	ds_read_b64 v[40:41], v41
	ds_read_b64 v[42:43], v42
	v_add_u32_e32 v45, 1, v44
	s_waitcnt lgkmcnt(0)
	v_cmp_ge_i32_e64 s[12:13], v40, v42
	v_cmp_lt_i32_e64 s[14:15], v43, v41
	v_cmp_lt_i32_e64 s[2:3], v42, v40
	s_and_b64 s[12:13], s[12:13], s[14:15]
	s_or_b64 s[2:3], s[2:3], s[12:13]
	v_cndmask_b32_e64 v38, v38, v44, s[2:3]
	v_cndmask_b32_e64 v35, v45, v35, s[2:3]
	v_cmp_ge_u32_e64 s[2:3], v35, v38
	s_or_b64 s[18:19], s[2:3], s[18:19]
	s_andn2_b64 exec, exec, s[18:19]
	s_cbranch_execnz .LBB624_220
; %bb.221:
	s_or_b64 exec, exec, s[18:19]
.LBB624_222:
	s_or_b64 exec, exec, s[16:17]
	v_add_u32_e32 v37, v31, v37
	v_add_u32_e32 v36, v35, v36
	v_sub_u32_e32 v37, v37, v35
	v_cmp_le_u32_e64 s[2:3], v36, v31
	v_cmp_le_u32_e64 s[12:13], v37, v32
	s_or_b64 s[2:3], s[2:3], s[12:13]
	s_and_saveexec_b64 s[40:41], s[2:3]
	s_cbranch_execz .LBB624_230
; %bb.223:
	v_cmp_lt_u32_e64 s[12:13], v36, v31
	v_mov_b32_e32 v0, 0
	v_mov_b32_e32 v2, 0
	;; [unrolled: 1-line block ×3, first 2 shown]
	s_and_saveexec_b64 s[2:3], s[12:13]
; %bb.224:
	v_lshl_add_u32 v1, v35, 3, v33
	ds_read_b64 v[2:3], v1
; %bb.225:
	s_or_b64 exec, exec, s[2:3]
	v_cmp_ge_u32_e64 s[14:15], v37, v32
	v_cmp_lt_u32_e64 s[2:3], v37, v32
	v_mov_b32_e32 v1, 0
	s_and_saveexec_b64 s[16:17], s[2:3]
; %bb.226:
	v_lshl_add_u32 v0, v37, 3, v25
	ds_read_b64 v[0:1], v0
; %bb.227:
	s_or_b64 exec, exec, s[16:17]
	s_waitcnt lgkmcnt(0)
	v_cmp_ge_i32_e64 s[2:3], v0, v2
	v_cmp_lt_i32_e64 s[16:17], v2, v0
	v_cmp_ge_i32_e64 s[18:19], v1, v3
	s_or_b64 s[16:17], s[16:17], s[18:19]
	s_and_b64 s[2:3], s[12:13], s[2:3]
	s_and_b64 s[2:3], s[2:3], s[16:17]
	s_or_b64 s[12:13], s[14:15], s[2:3]
	v_cndmask_b32_e64 v4, v37, v36, s[12:13]
	v_cndmask_b32_e64 v5, v32, v31, s[12:13]
	v_add_u32_e32 v8, 1, v4
	v_add_u32_e32 v4, -1, v5
	v_min_u32_e32 v4, v8, v4
	v_lshl_add_u32 v4, v4, 3, v25
	ds_read_b64 v[6:7], v4
	v_cndmask_b32_e64 v13, v36, v8, s[12:13]
	v_cmp_lt_u32_e64 s[14:15], v13, v31
	v_cndmask_b32_e64 v12, v8, v37, s[12:13]
	v_cmp_ge_u32_e64 s[2:3], v12, v32
	s_waitcnt lgkmcnt(0)
	v_cndmask_b32_e64 v4, v6, v0, s[12:13]
	v_cndmask_b32_e64 v5, v7, v1, s[12:13]
	v_cndmask_b32_e64 v6, v2, v6, s[12:13]
	v_cndmask_b32_e64 v7, v3, v7, s[12:13]
	v_cmp_ge_i32_e64 s[16:17], v4, v6
	v_cmp_lt_i32_e64 s[18:19], v6, v4
	v_cmp_ge_i32_e64 s[20:21], v5, v7
	s_or_b64 s[18:19], s[18:19], s[20:21]
	s_and_b64 s[14:15], s[14:15], s[16:17]
	s_and_b64 s[14:15], s[14:15], s[18:19]
	s_or_b64 s[14:15], s[2:3], s[14:15]
	v_cndmask_b32_e64 v8, v12, v13, s[14:15]
	v_cndmask_b32_e64 v9, v32, v31, s[14:15]
	v_add_u32_e32 v14, 1, v8
	v_add_u32_e32 v8, -1, v9
	v_min_u32_e32 v8, v14, v8
	v_lshl_add_u32 v8, v8, 3, v25
	ds_read_b64 v[10:11], v8
	v_cndmask_b32_e64 v35, v13, v14, s[14:15]
	v_cmp_lt_u32_e64 s[16:17], v35, v31
	v_cndmask_b32_e64 v33, v14, v12, s[14:15]
	v_cmp_ge_u32_e64 s[2:3], v33, v32
	s_waitcnt lgkmcnt(0)
	v_cndmask_b32_e64 v8, v10, v4, s[14:15]
	v_cndmask_b32_e64 v9, v11, v5, s[14:15]
	v_cndmask_b32_e64 v10, v6, v10, s[14:15]
	v_cndmask_b32_e64 v11, v7, v11, s[14:15]
	;; [unrolled: 23-line block ×6, first 2 shown]
	v_cmp_ge_i32_e64 s[28:29], v42, v44
	v_cmp_lt_i32_e64 s[30:31], v44, v42
	v_cmp_ge_i32_e64 s[34:35], v43, v45
	s_or_b64 s[30:31], s[30:31], s[34:35]
	s_and_b64 s[24:25], s[24:25], s[28:29]
	s_and_b64 s[24:25], s[24:25], s[30:31]
	s_or_b64 s[24:25], s[2:3], s[24:25]
	v_cndmask_b32_e64 v46, v52, v50, s[24:25]
	v_cndmask_b32_e64 v47, v32, v31, s[24:25]
	v_add_u32_e32 v51, 1, v46
	v_add_u32_e32 v46, -1, v47
	v_min_u32_e32 v46, v51, v46
	v_lshl_add_u32 v46, v46, 3, v25
	ds_read_b64 v[48:49], v46
	v_cndmask_b32_e64 v52, v51, v52, s[24:25]
	v_cmp_lt_u32_e64 s[2:3], v52, v32
	s_mov_b64 s[28:29], -1
	s_waitcnt lgkmcnt(0)
	v_cndmask_b32_e64 v46, v48, v42, s[24:25]
	v_cndmask_b32_e64 v47, v49, v43, s[24:25]
	;; [unrolled: 1-line block ×4, first 2 shown]
	s_and_saveexec_b64 s[42:43], s[2:3]
; %bb.228:
	v_cndmask_b32_e64 v32, v50, v51, s[24:25]
	v_cmp_lt_u32_e64 s[2:3], v32, v31
	v_cmp_ge_i32_e64 s[28:29], v46, v48
	v_cmp_lt_i32_e64 s[30:31], v48, v46
	v_cmp_ge_i32_e64 s[34:35], v47, v49
	s_or_b64 s[30:31], s[30:31], s[34:35]
	s_and_b64 s[2:3], s[2:3], s[28:29]
	s_and_b64 s[2:3], s[2:3], s[30:31]
	s_orn2_b64 s[28:29], s[2:3], exec
; %bb.229:
	s_or_b64 exec, exec, s[42:43]
	v_cndmask_b32_e64 v1, v1, v3, s[12:13]
	v_cndmask_b32_e64 v0, v0, v2, s[12:13]
	v_cndmask_b32_e64 v3, v5, v7, s[14:15]
	v_cndmask_b32_e64 v2, v4, v6, s[14:15]
	v_cndmask_b32_e64 v5, v9, v11, s[16:17]
	v_cndmask_b32_e64 v4, v8, v10, s[16:17]
	v_cndmask_b32_e64 v7, v13, v15, s[18:19]
	v_cndmask_b32_e64 v6, v12, v14, s[18:19]
	v_cndmask_b32_e64 v9, v35, v37, s[20:21]
	v_cndmask_b32_e64 v8, v33, v36, s[20:21]
	v_cndmask_b32_e64 v11, v39, v41, s[22:23]
	v_cndmask_b32_e64 v10, v38, v40, s[22:23]
	v_cndmask_b32_e64 v13, v43, v45, s[24:25]
	v_cndmask_b32_e64 v12, v42, v44, s[24:25]
	v_cndmask_b32_e64 v15, v47, v49, s[28:29]
	v_cndmask_b32_e64 v14, v46, v48, s[28:29]
.LBB624_230:
	s_or_b64 exec, exec, s[40:41]
	v_and_b32_e32 v32, 0x380, v29
	; wave barrier
	ds_write_b128 v27, v[0:3]
	ds_write_b128 v27, v[4:7] offset:16
	ds_write_b128 v27, v[8:11] offset:32
	;; [unrolled: 1-line block ×3, first 2 shown]
	v_or_b32_e32 v27, 64, v32
	v_min_u32_e32 v27, v26, v27
	v_add_u32_e32 v31, 64, v27
	v_min_u32_e32 v31, v26, v31
	v_and_b32_e32 v29, 0x78, v29
	v_min_u32_e32 v33, v26, v29
	v_sub_u32_e32 v35, v27, v32
	v_sub_u32_e32 v29, v31, v27
	v_sub_u32_e64 v29, v33, v29 clamp
	v_min_u32_e32 v35, v33, v35
	v_lshl_add_u32 v26, v32, 3, v25
	v_cmp_lt_u32_e64 s[2:3], v29, v35
	; wave barrier
	s_and_saveexec_b64 s[16:17], s[2:3]
	s_cbranch_execz .LBB624_234
; %bb.231:
	v_lshlrev_b32_e32 v36, 3, v27
	v_lshlrev_b32_e32 v37, 3, v33
	v_add3_u32 v36, v25, v36, v37
	s_mov_b64 s[18:19], 0
.LBB624_232:                            ; =>This Inner Loop Header: Depth=1
	v_add_u32_e32 v37, v35, v29
	v_lshrrev_b32_e32 v37, 1, v37
	v_not_b32_e32 v38, v37
	v_lshl_add_u32 v39, v37, 3, v26
	v_lshl_add_u32 v40, v38, 3, v36
	ds_read_b64 v[38:39], v39
	ds_read_b64 v[40:41], v40
	v_add_u32_e32 v42, 1, v37
	s_waitcnt lgkmcnt(0)
	v_cmp_ge_i32_e64 s[12:13], v38, v40
	v_cmp_lt_i32_e64 s[14:15], v41, v39
	v_cmp_lt_i32_e64 s[2:3], v40, v38
	s_and_b64 s[12:13], s[12:13], s[14:15]
	s_or_b64 s[2:3], s[2:3], s[12:13]
	v_cndmask_b32_e64 v35, v35, v37, s[2:3]
	v_cndmask_b32_e64 v29, v42, v29, s[2:3]
	v_cmp_ge_u32_e64 s[2:3], v29, v35
	s_or_b64 s[18:19], s[2:3], s[18:19]
	s_andn2_b64 exec, exec, s[18:19]
	s_cbranch_execnz .LBB624_232
; %bb.233:
	s_or_b64 exec, exec, s[18:19]
.LBB624_234:
	s_or_b64 exec, exec, s[16:17]
	v_add_u32_e32 v33, v27, v33
	v_add_u32_e32 v32, v29, v32
	v_sub_u32_e32 v33, v33, v29
	v_cmp_le_u32_e64 s[2:3], v32, v27
	v_cmp_le_u32_e64 s[12:13], v33, v31
	s_or_b64 s[2:3], s[2:3], s[12:13]
	s_and_saveexec_b64 s[40:41], s[2:3]
	s_cbranch_execz .LBB624_242
; %bb.235:
	v_cmp_lt_u32_e64 s[12:13], v32, v27
	v_mov_b32_e32 v0, 0
	v_mov_b32_e32 v2, 0
	;; [unrolled: 1-line block ×3, first 2 shown]
	s_and_saveexec_b64 s[2:3], s[12:13]
; %bb.236:
	v_lshl_add_u32 v1, v29, 3, v26
	ds_read_b64 v[2:3], v1
; %bb.237:
	s_or_b64 exec, exec, s[2:3]
	v_cmp_ge_u32_e64 s[14:15], v33, v31
	v_cmp_lt_u32_e64 s[2:3], v33, v31
	v_mov_b32_e32 v1, 0
	s_and_saveexec_b64 s[16:17], s[2:3]
; %bb.238:
	v_lshl_add_u32 v0, v33, 3, v25
	ds_read_b64 v[0:1], v0
; %bb.239:
	s_or_b64 exec, exec, s[16:17]
	s_waitcnt lgkmcnt(0)
	v_cmp_ge_i32_e64 s[2:3], v0, v2
	v_cmp_lt_i32_e64 s[16:17], v2, v0
	v_cmp_ge_i32_e64 s[18:19], v1, v3
	s_or_b64 s[16:17], s[16:17], s[18:19]
	s_and_b64 s[2:3], s[12:13], s[2:3]
	s_and_b64 s[2:3], s[2:3], s[16:17]
	s_or_b64 s[12:13], s[14:15], s[2:3]
	v_cndmask_b32_e64 v4, v33, v32, s[12:13]
	v_cndmask_b32_e64 v5, v31, v27, s[12:13]
	v_add_u32_e32 v8, 1, v4
	v_add_u32_e32 v4, -1, v5
	v_min_u32_e32 v4, v8, v4
	v_lshl_add_u32 v4, v4, 3, v25
	ds_read_b64 v[6:7], v4
	v_cndmask_b32_e64 v13, v32, v8, s[12:13]
	v_cmp_lt_u32_e64 s[14:15], v13, v27
	v_cndmask_b32_e64 v12, v8, v33, s[12:13]
	v_cmp_ge_u32_e64 s[2:3], v12, v31
	s_waitcnt lgkmcnt(0)
	v_cndmask_b32_e64 v4, v6, v0, s[12:13]
	v_cndmask_b32_e64 v5, v7, v1, s[12:13]
	v_cndmask_b32_e64 v6, v2, v6, s[12:13]
	v_cndmask_b32_e64 v7, v3, v7, s[12:13]
	v_cmp_ge_i32_e64 s[16:17], v4, v6
	v_cmp_lt_i32_e64 s[18:19], v6, v4
	v_cmp_ge_i32_e64 s[20:21], v5, v7
	s_or_b64 s[18:19], s[18:19], s[20:21]
	s_and_b64 s[14:15], s[14:15], s[16:17]
	s_and_b64 s[14:15], s[14:15], s[18:19]
	s_or_b64 s[14:15], s[2:3], s[14:15]
	v_cndmask_b32_e64 v8, v12, v13, s[14:15]
	v_cndmask_b32_e64 v9, v31, v27, s[14:15]
	v_add_u32_e32 v14, 1, v8
	v_add_u32_e32 v8, -1, v9
	v_min_u32_e32 v8, v14, v8
	v_lshl_add_u32 v8, v8, 3, v25
	ds_read_b64 v[10:11], v8
	v_cndmask_b32_e64 v29, v13, v14, s[14:15]
	v_cmp_lt_u32_e64 s[16:17], v29, v27
	v_cndmask_b32_e64 v26, v14, v12, s[14:15]
	v_cmp_ge_u32_e64 s[2:3], v26, v31
	s_waitcnt lgkmcnt(0)
	v_cndmask_b32_e64 v8, v10, v4, s[14:15]
	v_cndmask_b32_e64 v9, v11, v5, s[14:15]
	v_cndmask_b32_e64 v10, v6, v10, s[14:15]
	v_cndmask_b32_e64 v11, v7, v11, s[14:15]
	;; [unrolled: 23-line block ×5, first 2 shown]
	v_cmp_ge_i32_e64 s[24:25], v35, v37
	v_cmp_lt_i32_e64 s[28:29], v37, v35
	v_cmp_ge_i32_e64 s[30:31], v36, v38
	s_or_b64 s[28:29], s[28:29], s[30:31]
	s_and_b64 s[22:23], s[22:23], s[24:25]
	s_and_b64 s[22:23], s[22:23], s[28:29]
	s_or_b64 s[22:23], s[2:3], s[22:23]
	v_cndmask_b32_e64 v39, v44, v45, s[22:23]
	v_cndmask_b32_e64 v40, v31, v27, s[22:23]
	v_add_u32_e32 v46, 1, v39
	v_add_u32_e32 v39, -1, v40
	v_min_u32_e32 v39, v46, v39
	v_lshl_add_u32 v39, v39, 3, v25
	ds_read_b64 v[42:43], v39
	v_cndmask_b32_e64 v48, v46, v44, s[22:23]
	v_cndmask_b32_e64 v46, v45, v46, s[22:23]
	v_cmp_lt_u32_e64 s[24:25], v46, v27
	v_cmp_ge_u32_e64 s[2:3], v48, v31
	s_waitcnt lgkmcnt(0)
	v_cndmask_b32_e64 v39, v42, v35, s[22:23]
	v_cndmask_b32_e64 v40, v43, v36, s[22:23]
	;; [unrolled: 1-line block ×4, first 2 shown]
	v_cmp_ge_i32_e64 s[28:29], v39, v41
	v_cmp_lt_i32_e64 s[30:31], v41, v39
	v_cmp_ge_i32_e64 s[34:35], v40, v42
	s_or_b64 s[30:31], s[30:31], s[34:35]
	s_and_b64 s[24:25], s[24:25], s[28:29]
	s_and_b64 s[24:25], s[24:25], s[30:31]
	s_or_b64 s[24:25], s[2:3], s[24:25]
	v_cndmask_b32_e64 v43, v48, v46, s[24:25]
	v_cndmask_b32_e64 v44, v31, v27, s[24:25]
	v_add_u32_e32 v47, 1, v43
	v_add_u32_e32 v43, -1, v44
	v_min_u32_e32 v43, v47, v43
	v_lshl_add_u32 v25, v43, 3, v25
	ds_read_b64 v[44:45], v25
	v_cndmask_b32_e64 v48, v47, v48, s[24:25]
	v_cmp_lt_u32_e64 s[2:3], v48, v31
	s_mov_b64 s[28:29], -1
	s_waitcnt lgkmcnt(0)
	v_cndmask_b32_e64 v25, v44, v39, s[24:25]
	v_cndmask_b32_e64 v43, v45, v40, s[24:25]
	v_cndmask_b32_e64 v44, v41, v44, s[24:25]
	v_cndmask_b32_e64 v45, v42, v45, s[24:25]
	s_and_saveexec_b64 s[42:43], s[2:3]
; %bb.240:
	v_cndmask_b32_e64 v31, v46, v47, s[24:25]
	v_cmp_lt_u32_e64 s[2:3], v31, v27
	v_cmp_ge_i32_e64 s[28:29], v25, v44
	v_cmp_lt_i32_e64 s[30:31], v44, v25
	v_cmp_ge_i32_e64 s[34:35], v43, v45
	s_or_b64 s[30:31], s[30:31], s[34:35]
	s_and_b64 s[2:3], s[2:3], s[28:29]
	s_and_b64 s[2:3], s[2:3], s[30:31]
	s_orn2_b64 s[28:29], s[2:3], exec
; %bb.241:
	s_or_b64 exec, exec, s[42:43]
	v_cndmask_b32_e64 v1, v1, v3, s[12:13]
	v_cndmask_b32_e64 v0, v0, v2, s[12:13]
	;; [unrolled: 1-line block ×16, first 2 shown]
.LBB624_242:
	s_or_b64 exec, exec, s[40:41]
	s_cmpk_lt_u32 s33, 0x81
	; wave barrier
	s_waitcnt lgkmcnt(0)
	s_barrier
	s_cbranch_scc1 .LBB624_257
; %bb.243:
	s_movk_i32 s44, 0x80
	s_branch .LBB624_246
.LBB624_244:                            ;   in Loop: Header=BB624_246 Depth=1
	s_or_b64 exec, exec, s[42:43]
	v_cndmask_b32_e64 v1, v1, v3, s[12:13]
	v_cndmask_b32_e64 v0, v0, v2, s[12:13]
	;; [unrolled: 1-line block ×16, first 2 shown]
.LBB624_245:                            ;   in Loop: Header=BB624_246 Depth=1
	s_or_b64 exec, exec, s[40:41]
	s_cmp_lt_u32 s44, s33
	s_barrier
	s_cbranch_scc0 .LBB624_257
.LBB624_246:                            ; =>This Loop Header: Depth=1
                                        ;     Child Loop BB624_248 Depth 2
	s_mov_b32 s2, s44
	s_lshl_b32 s44, s44, 1
	s_sub_i32 s12, 0, s44
	v_and_b32_e32 v31, s12, v30
	v_add_u32_e32 v25, s2, v31
	v_min_u32_e32 v25, s33, v25
	s_add_i32 s3, s44, -1
	v_add_u32_e32 v26, s2, v25
	v_min_u32_e32 v26, s33, v26
	v_and_b32_e32 v27, s3, v30
	v_min_u32_e32 v32, s33, v27
	v_sub_u32_e32 v33, v25, v31
	v_sub_u32_e32 v29, v26, v25
	v_sub_u32_e64 v29, v32, v29 clamp
	v_min_u32_e32 v33, v32, v33
	v_lshlrev_b32_e32 v27, 3, v31
	v_cmp_lt_u32_e64 s[2:3], v29, v33
	ds_write_b128 v34, v[0:3]
	ds_write_b128 v34, v[4:7] offset:16
	ds_write_b128 v34, v[8:11] offset:32
	;; [unrolled: 1-line block ×3, first 2 shown]
	s_waitcnt lgkmcnt(0)
	s_barrier
	s_and_saveexec_b64 s[16:17], s[2:3]
	s_cbranch_execz .LBB624_250
; %bb.247:                              ;   in Loop: Header=BB624_246 Depth=1
	v_lshlrev_b32_e32 v35, 3, v32
	v_lshl_add_u32 v35, v25, 3, v35
	s_mov_b64 s[18:19], 0
.LBB624_248:                            ;   Parent Loop BB624_246 Depth=1
                                        ; =>  This Inner Loop Header: Depth=2
	v_add_u32_e32 v36, v33, v29
	v_lshrrev_b32_e32 v40, 1, v36
	v_not_b32_e32 v36, v40
	v_lshl_add_u32 v37, v40, 3, v27
	v_lshl_add_u32 v38, v36, 3, v35
	ds_read_b64 v[36:37], v37
	ds_read_b64 v[38:39], v38
	v_add_u32_e32 v41, 1, v40
	s_waitcnt lgkmcnt(0)
	v_cmp_ge_i32_e64 s[12:13], v36, v38
	v_cmp_lt_i32_e64 s[14:15], v39, v37
	v_cmp_lt_i32_e64 s[2:3], v38, v36
	s_and_b64 s[12:13], s[12:13], s[14:15]
	s_or_b64 s[2:3], s[2:3], s[12:13]
	v_cndmask_b32_e64 v33, v33, v40, s[2:3]
	v_cndmask_b32_e64 v29, v41, v29, s[2:3]
	v_cmp_ge_u32_e64 s[2:3], v29, v33
	s_or_b64 s[18:19], s[2:3], s[18:19]
	s_andn2_b64 exec, exec, s[18:19]
	s_cbranch_execnz .LBB624_248
; %bb.249:                              ;   in Loop: Header=BB624_246 Depth=1
	s_or_b64 exec, exec, s[18:19]
.LBB624_250:                            ;   in Loop: Header=BB624_246 Depth=1
	s_or_b64 exec, exec, s[16:17]
	v_sub_u32_e32 v32, v32, v29
	v_add_u32_e32 v31, v29, v31
	v_add_u32_e32 v32, v32, v25
	v_cmp_le_u32_e64 s[2:3], v31, v25
	v_cmp_le_u32_e64 s[12:13], v32, v26
	s_or_b64 s[2:3], s[2:3], s[12:13]
	s_and_saveexec_b64 s[40:41], s[2:3]
	s_cbranch_execz .LBB624_245
; %bb.251:                              ;   in Loop: Header=BB624_246 Depth=1
	v_cmp_lt_u32_e64 s[12:13], v31, v25
	v_mov_b32_e32 v0, 0
	v_mov_b32_e32 v2, 0
	;; [unrolled: 1-line block ×3, first 2 shown]
	s_and_saveexec_b64 s[2:3], s[12:13]
; %bb.252:                              ;   in Loop: Header=BB624_246 Depth=1
	v_lshl_add_u32 v1, v29, 3, v27
	ds_read_b64 v[2:3], v1
; %bb.253:                              ;   in Loop: Header=BB624_246 Depth=1
	s_or_b64 exec, exec, s[2:3]
	v_cmp_ge_u32_e64 s[14:15], v32, v26
	v_cmp_lt_u32_e64 s[2:3], v32, v26
	v_mov_b32_e32 v1, 0
	s_and_saveexec_b64 s[16:17], s[2:3]
; %bb.254:                              ;   in Loop: Header=BB624_246 Depth=1
	v_lshlrev_b32_e32 v0, 3, v32
	ds_read_b64 v[0:1], v0
; %bb.255:                              ;   in Loop: Header=BB624_246 Depth=1
	s_or_b64 exec, exec, s[16:17]
	s_waitcnt lgkmcnt(0)
	v_cmp_ge_i32_e64 s[2:3], v0, v2
	v_cmp_lt_i32_e64 s[16:17], v2, v0
	v_cmp_ge_i32_e64 s[18:19], v1, v3
	s_or_b64 s[16:17], s[16:17], s[18:19]
	s_and_b64 s[2:3], s[12:13], s[2:3]
	s_and_b64 s[2:3], s[2:3], s[16:17]
	s_or_b64 s[12:13], s[14:15], s[2:3]
	v_cndmask_b32_e64 v4, v32, v31, s[12:13]
	v_cndmask_b32_e64 v5, v26, v25, s[12:13]
	v_add_u32_e32 v8, 1, v4
	v_add_u32_e32 v4, -1, v5
	v_min_u32_e32 v4, v8, v4
	v_lshlrev_b32_e32 v4, 3, v4
	ds_read_b64 v[6:7], v4
	v_cndmask_b32_e64 v13, v31, v8, s[12:13]
	v_cmp_lt_u32_e64 s[14:15], v13, v25
	v_cndmask_b32_e64 v12, v8, v32, s[12:13]
	v_cmp_ge_u32_e64 s[2:3], v12, v26
	s_waitcnt lgkmcnt(0)
	v_cndmask_b32_e64 v4, v6, v0, s[12:13]
	v_cndmask_b32_e64 v5, v7, v1, s[12:13]
	v_cndmask_b32_e64 v6, v2, v6, s[12:13]
	v_cndmask_b32_e64 v7, v3, v7, s[12:13]
	v_cmp_ge_i32_e64 s[16:17], v4, v6
	v_cmp_lt_i32_e64 s[18:19], v6, v4
	v_cmp_ge_i32_e64 s[20:21], v5, v7
	s_or_b64 s[18:19], s[18:19], s[20:21]
	s_and_b64 s[14:15], s[14:15], s[16:17]
	s_and_b64 s[14:15], s[14:15], s[18:19]
	s_or_b64 s[14:15], s[2:3], s[14:15]
	v_cndmask_b32_e64 v8, v12, v13, s[14:15]
	v_cndmask_b32_e64 v9, v26, v25, s[14:15]
	v_add_u32_e32 v14, 1, v8
	v_add_u32_e32 v8, -1, v9
	v_min_u32_e32 v8, v14, v8
	v_lshlrev_b32_e32 v8, 3, v8
	ds_read_b64 v[10:11], v8
	v_cndmask_b32_e64 v29, v13, v14, s[14:15]
	v_cmp_lt_u32_e64 s[16:17], v29, v25
	v_cndmask_b32_e64 v27, v14, v12, s[14:15]
	v_cmp_ge_u32_e64 s[2:3], v27, v26
	s_waitcnt lgkmcnt(0)
	v_cndmask_b32_e64 v8, v10, v4, s[14:15]
	v_cndmask_b32_e64 v9, v11, v5, s[14:15]
	v_cndmask_b32_e64 v10, v6, v10, s[14:15]
	v_cndmask_b32_e64 v11, v7, v11, s[14:15]
	;; [unrolled: 23-line block ×6, first 2 shown]
	v_cmp_ge_i32_e64 s[28:29], v38, v40
	v_cmp_lt_i32_e64 s[30:31], v40, v38
	v_cmp_ge_i32_e64 s[34:35], v39, v41
	s_or_b64 s[30:31], s[30:31], s[34:35]
	s_and_b64 s[24:25], s[24:25], s[28:29]
	s_and_b64 s[24:25], s[24:25], s[30:31]
	s_or_b64 s[24:25], s[2:3], s[24:25]
	v_cndmask_b32_e64 v42, v48, v46, s[24:25]
	v_cndmask_b32_e64 v43, v26, v25, s[24:25]
	v_add_u32_e32 v47, 1, v42
	v_add_u32_e32 v42, -1, v43
	v_min_u32_e32 v42, v47, v42
	v_lshlrev_b32_e32 v42, 3, v42
	ds_read_b64 v[44:45], v42
	v_cndmask_b32_e64 v48, v47, v48, s[24:25]
	v_cmp_lt_u32_e64 s[2:3], v48, v26
	s_mov_b64 s[28:29], -1
	s_waitcnt lgkmcnt(0)
	v_cndmask_b32_e64 v42, v44, v38, s[24:25]
	v_cndmask_b32_e64 v43, v45, v39, s[24:25]
	;; [unrolled: 1-line block ×4, first 2 shown]
	s_and_saveexec_b64 s[42:43], s[2:3]
	s_cbranch_execz .LBB624_244
; %bb.256:                              ;   in Loop: Header=BB624_246 Depth=1
	v_cndmask_b32_e64 v26, v46, v47, s[24:25]
	v_cmp_lt_u32_e64 s[2:3], v26, v25
	v_cmp_ge_i32_e64 s[28:29], v42, v44
	v_cmp_lt_i32_e64 s[30:31], v44, v42
	v_cmp_ge_i32_e64 s[34:35], v43, v45
	s_or_b64 s[30:31], s[30:31], s[34:35]
	s_and_b64 s[2:3], s[2:3], s[28:29]
	s_and_b64 s[2:3], s[2:3], s[30:31]
	s_orn2_b64 s[28:29], s[2:3], exec
	s_branch .LBB624_244
.LBB624_257:
	s_barrier
	ds_write2_b64 v24, v[0:1], v[2:3] offset1:1
	ds_write2_b64 v24, v[4:5], v[6:7] offset0:2 offset1:3
	ds_write2_b64 v24, v[8:9], v[10:11] offset0:4 offset1:5
	;; [unrolled: 1-line block ×3, first 2 shown]
	s_waitcnt lgkmcnt(0)
	s_barrier
	ds_read_b64 v[12:13], v17 offset:2048
	ds_read_b64 v[10:11], v18 offset:4096
	;; [unrolled: 1-line block ×7, first 2 shown]
	v_mov_b32_e32 v31, 0
	v_lshl_add_u64 v[2:3], s[36:37], 0, v[30:31]
	s_and_saveexec_b64 s[2:3], vcc
	s_cbranch_execnz .LBB624_295
; %bb.258:
	s_or_b64 exec, exec, s[2:3]
	s_and_saveexec_b64 s[2:3], s[0:1]
	s_cbranch_execnz .LBB624_296
.LBB624_259:
	s_or_b64 exec, exec, s[2:3]
	s_and_saveexec_b64 s[0:1], s[26:27]
	s_cbranch_execnz .LBB624_297
.LBB624_260:
	s_or_b64 exec, exec, s[0:1]
	s_and_saveexec_b64 s[0:1], s[4:5]
	s_cbranch_execnz .LBB624_298
.LBB624_261:
	s_or_b64 exec, exec, s[0:1]
	s_and_saveexec_b64 s[0:1], s[6:7]
	s_cbranch_execnz .LBB624_299
.LBB624_262:
	s_or_b64 exec, exec, s[0:1]
	s_and_saveexec_b64 s[0:1], s[8:9]
	s_cbranch_execnz .LBB624_300
.LBB624_263:
	s_or_b64 exec, exec, s[0:1]
	s_and_saveexec_b64 s[0:1], s[10:11]
	s_cbranch_execz .LBB624_265
.LBB624_264:
	v_add_co_u32_e32 v2, vcc, 0x3000, v2
	s_nop 1
	v_addc_co_u32_e32 v3, vcc, 0, v3, vcc
	s_waitcnt lgkmcnt(0)
	flat_store_dwordx2 v[2:3], v[0:1]
.LBB624_265:
	s_or_b64 exec, exec, s[0:1]
	v_mov_b32_e32 v29, v31
.LBB624_266:
	s_and_saveexec_b64 s[0:1], s[38:39]
	s_cbranch_execz .LBB624_268
; %bb.267:
	s_waitcnt lgkmcnt(0)
	v_lshl_add_u64 v[0:1], v[28:29], 3, s[36:37]
	v_add_co_u32_e32 v0, vcc, 0x3000, v0
	s_nop 1
	v_addc_co_u32_e32 v1, vcc, 0, v1, vcc
	flat_store_dwordx2 v[0:1], v[14:15] offset:2048
.LBB624_268:
	s_endpgm
.LBB624_269:
	v_cmp_ge_i32_e64 s[14:15], v0, v2
	v_cmp_lt_i32_e64 s[16:17], v3, v1
	v_cmp_lt_i32_e64 s[2:3], v2, v0
	s_and_b64 s[14:15], s[14:15], s[16:17]
	s_or_b64 s[2:3], s[2:3], s[14:15]
	v_cndmask_b32_e64 v33, v3, v1, s[2:3]
	v_cndmask_b32_e64 v32, v2, v0, s[2:3]
	;; [unrolled: 1-line block ×4, first 2 shown]
	v_mov_b64_e32 v[2:3], v[32:33]
	s_or_b64 exec, exec, s[18:19]
	v_cmp_lt_u32_e64 s[14:15], 3, v26
	s_and_saveexec_b64 s[20:21], s[14:15]
	s_cbranch_execz .LBB624_166
.LBB624_270:
	v_cmp_ge_i32_e64 s[16:17], v4, v6
	v_cmp_lt_i32_e64 s[18:19], v7, v5
	v_cmp_lt_i32_e64 s[2:3], v6, v4
	s_and_b64 s[16:17], s[16:17], s[18:19]
	s_or_b64 s[2:3], s[2:3], s[16:17]
	v_cndmask_b32_e64 v33, v7, v5, s[2:3]
	v_cndmask_b32_e64 v32, v6, v4, s[2:3]
	;; [unrolled: 1-line block ×4, first 2 shown]
	v_mov_b64_e32 v[6:7], v[32:33]
	s_or_b64 exec, exec, s[20:21]
	v_cmp_lt_u32_e64 s[16:17], 5, v26
	s_and_saveexec_b64 s[22:23], s[16:17]
	s_cbranch_execz .LBB624_167
.LBB624_271:
	v_cmp_ge_i32_e64 s[18:19], v8, v10
	v_cmp_lt_i32_e64 s[20:21], v11, v9
	v_cmp_lt_i32_e64 s[2:3], v10, v8
	s_and_b64 s[18:19], s[18:19], s[20:21]
	s_or_b64 s[2:3], s[2:3], s[18:19]
	v_cndmask_b32_e64 v33, v11, v9, s[2:3]
	v_cndmask_b32_e64 v32, v10, v8, s[2:3]
	;; [unrolled: 1-line block ×4, first 2 shown]
	v_mov_b64_e32 v[10:11], v[32:33]
	s_or_b64 exec, exec, s[22:23]
	v_cmp_lt_u32_e64 s[18:19], 7, v26
	s_and_saveexec_b64 s[24:25], s[18:19]
	s_cbranch_execnz .LBB624_168
	s_branch .LBB624_169
.LBB624_272:
	v_cmp_ge_i32_e64 s[22:23], v2, v4
	v_cmp_lt_i32_e64 s[24:25], v5, v3
	v_cmp_lt_i32_e64 s[2:3], v4, v2
	s_and_b64 s[22:23], s[22:23], s[24:25]
	s_or_b64 s[2:3], s[2:3], s[22:23]
	v_cndmask_b32_e64 v33, v5, v3, s[2:3]
	v_cndmask_b32_e64 v32, v4, v2, s[2:3]
	;; [unrolled: 1-line block ×4, first 2 shown]
	v_mov_b64_e32 v[4:5], v[32:33]
	s_or_b64 exec, exec, s[28:29]
	v_cmp_lt_u32_e64 s[22:23], 4, v26
	s_and_saveexec_b64 s[30:31], s[22:23]
	s_cbranch_execz .LBB624_171
.LBB624_273:
	v_cmp_ge_i32_e64 s[24:25], v6, v8
	v_cmp_lt_i32_e64 s[28:29], v9, v7
	v_cmp_lt_i32_e64 s[2:3], v8, v6
	s_and_b64 s[24:25], s[24:25], s[28:29]
	s_or_b64 s[2:3], s[2:3], s[24:25]
	v_cndmask_b32_e64 v33, v9, v7, s[2:3]
	v_cndmask_b32_e64 v32, v8, v6, s[2:3]
	;; [unrolled: 1-line block ×4, first 2 shown]
	v_mov_b64_e32 v[8:9], v[32:33]
	s_or_b64 exec, exec, s[30:31]
	v_cmp_lt_u32_e64 s[24:25], 6, v26
	s_and_saveexec_b64 s[34:35], s[24:25]
	s_cbranch_execz .LBB624_172
.LBB624_274:
	v_cmp_ge_i32_e64 s[28:29], v10, v12
	v_cmp_lt_i32_e64 s[30:31], v13, v11
	v_cmp_lt_i32_e64 s[2:3], v12, v10
	s_and_b64 s[28:29], s[28:29], s[30:31]
	s_or_b64 s[2:3], s[2:3], s[28:29]
	v_cndmask_b32_e64 v27, v13, v11, s[2:3]
	v_cndmask_b32_e64 v26, v12, v10, s[2:3]
	;; [unrolled: 1-line block ×4, first 2 shown]
	v_mov_b64_e32 v[12:13], v[26:27]
	s_or_b64 exec, exec, s[34:35]
	s_and_saveexec_b64 s[34:35], s[12:13]
	s_cbranch_execz .LBB624_173
.LBB624_275:
	v_cmp_ge_i32_e64 s[28:29], v0, v2
	v_cmp_lt_i32_e64 s[30:31], v3, v1
	v_cmp_lt_i32_e64 s[2:3], v2, v0
	s_and_b64 s[28:29], s[28:29], s[30:31]
	s_or_b64 s[2:3], s[2:3], s[28:29]
	v_cndmask_b32_e64 v27, v3, v1, s[2:3]
	v_cndmask_b32_e64 v26, v2, v0, s[2:3]
	v_cndmask_b32_e64 v1, v1, v3, s[2:3]
	v_cndmask_b32_e64 v0, v0, v2, s[2:3]
	v_mov_b64_e32 v[2:3], v[26:27]
	s_or_b64 exec, exec, s[34:35]
	s_and_saveexec_b64 s[34:35], s[14:15]
	s_cbranch_execz .LBB624_174
.LBB624_276:
	v_cmp_ge_i32_e64 s[28:29], v4, v6
	v_cmp_lt_i32_e64 s[30:31], v7, v5
	v_cmp_lt_i32_e64 s[2:3], v6, v4
	s_and_b64 s[28:29], s[28:29], s[30:31]
	s_or_b64 s[2:3], s[2:3], s[28:29]
	v_cndmask_b32_e64 v27, v7, v5, s[2:3]
	v_cndmask_b32_e64 v26, v6, v4, s[2:3]
	;; [unrolled: 1-line block ×4, first 2 shown]
	v_mov_b64_e32 v[6:7], v[26:27]
	s_or_b64 exec, exec, s[34:35]
	s_and_saveexec_b64 s[34:35], s[16:17]
	s_cbranch_execz .LBB624_175
.LBB624_277:
	v_cmp_ge_i32_e64 s[28:29], v8, v10
	v_cmp_lt_i32_e64 s[30:31], v11, v9
	v_cmp_lt_i32_e64 s[2:3], v10, v8
	s_and_b64 s[28:29], s[28:29], s[30:31]
	s_or_b64 s[2:3], s[2:3], s[28:29]
	v_cndmask_b32_e64 v27, v11, v9, s[2:3]
	v_cndmask_b32_e64 v26, v10, v8, s[2:3]
	;; [unrolled: 1-line block ×4, first 2 shown]
	v_mov_b64_e32 v[10:11], v[26:27]
	s_or_b64 exec, exec, s[34:35]
	s_and_saveexec_b64 s[34:35], s[18:19]
	s_cbranch_execz .LBB624_176
.LBB624_278:
	v_cmp_ge_i32_e64 s[28:29], v12, v14
	v_cmp_lt_i32_e64 s[30:31], v15, v13
	v_cmp_lt_i32_e64 s[2:3], v14, v12
	s_and_b64 s[28:29], s[28:29], s[30:31]
	s_or_b64 s[2:3], s[2:3], s[28:29]
	v_cndmask_b32_e64 v27, v15, v13, s[2:3]
	v_cndmask_b32_e64 v26, v14, v12, s[2:3]
	;; [unrolled: 1-line block ×4, first 2 shown]
	v_mov_b64_e32 v[14:15], v[26:27]
	s_or_b64 exec, exec, s[34:35]
	s_and_saveexec_b64 s[34:35], s[20:21]
	s_cbranch_execz .LBB624_177
.LBB624_279:
	v_cmp_ge_i32_e64 s[28:29], v2, v4
	v_cmp_lt_i32_e64 s[30:31], v5, v3
	v_cmp_lt_i32_e64 s[2:3], v4, v2
	s_and_b64 s[28:29], s[28:29], s[30:31]
	s_or_b64 s[2:3], s[2:3], s[28:29]
	v_cndmask_b32_e64 v27, v5, v3, s[2:3]
	v_cndmask_b32_e64 v26, v4, v2, s[2:3]
	;; [unrolled: 1-line block ×4, first 2 shown]
	v_mov_b64_e32 v[4:5], v[26:27]
	s_or_b64 exec, exec, s[34:35]
	s_and_saveexec_b64 s[34:35], s[22:23]
	s_cbranch_execz .LBB624_178
.LBB624_280:
	v_cmp_ge_i32_e64 s[28:29], v6, v8
	v_cmp_lt_i32_e64 s[30:31], v9, v7
	v_cmp_lt_i32_e64 s[2:3], v8, v6
	s_and_b64 s[28:29], s[28:29], s[30:31]
	s_or_b64 s[2:3], s[2:3], s[28:29]
	v_cndmask_b32_e64 v27, v9, v7, s[2:3]
	v_cndmask_b32_e64 v26, v8, v6, s[2:3]
	;; [unrolled: 1-line block ×4, first 2 shown]
	v_mov_b64_e32 v[8:9], v[26:27]
	s_or_b64 exec, exec, s[34:35]
	s_and_saveexec_b64 s[34:35], s[24:25]
	s_cbranch_execz .LBB624_179
.LBB624_281:
	v_cmp_ge_i32_e64 s[28:29], v10, v12
	v_cmp_lt_i32_e64 s[30:31], v13, v11
	v_cmp_lt_i32_e64 s[2:3], v12, v10
	s_and_b64 s[28:29], s[28:29], s[30:31]
	s_or_b64 s[2:3], s[2:3], s[28:29]
	v_cndmask_b32_e64 v27, v13, v11, s[2:3]
	v_cndmask_b32_e64 v26, v12, v10, s[2:3]
	;; [unrolled: 1-line block ×4, first 2 shown]
	v_mov_b64_e32 v[12:13], v[26:27]
	s_or_b64 exec, exec, s[34:35]
	s_and_saveexec_b64 s[34:35], s[12:13]
	s_cbranch_execz .LBB624_180
.LBB624_282:
	v_cmp_ge_i32_e64 s[28:29], v0, v2
	v_cmp_lt_i32_e64 s[30:31], v3, v1
	v_cmp_lt_i32_e64 s[2:3], v2, v0
	s_and_b64 s[28:29], s[28:29], s[30:31]
	s_or_b64 s[2:3], s[2:3], s[28:29]
	v_cndmask_b32_e64 v27, v3, v1, s[2:3]
	v_cndmask_b32_e64 v26, v2, v0, s[2:3]
	;; [unrolled: 1-line block ×4, first 2 shown]
	v_mov_b64_e32 v[2:3], v[26:27]
	s_or_b64 exec, exec, s[34:35]
	s_and_saveexec_b64 s[34:35], s[14:15]
	s_cbranch_execz .LBB624_181
.LBB624_283:
	v_cmp_ge_i32_e64 s[28:29], v4, v6
	v_cmp_lt_i32_e64 s[30:31], v7, v5
	v_cmp_lt_i32_e64 s[2:3], v6, v4
	s_and_b64 s[28:29], s[28:29], s[30:31]
	s_or_b64 s[2:3], s[2:3], s[28:29]
	v_cndmask_b32_e64 v27, v7, v5, s[2:3]
	v_cndmask_b32_e64 v26, v6, v4, s[2:3]
	;; [unrolled: 1-line block ×4, first 2 shown]
	v_mov_b64_e32 v[6:7], v[26:27]
	s_or_b64 exec, exec, s[34:35]
	s_and_saveexec_b64 s[34:35], s[16:17]
	s_cbranch_execz .LBB624_182
.LBB624_284:
	v_cmp_ge_i32_e64 s[28:29], v8, v10
	v_cmp_lt_i32_e64 s[30:31], v11, v9
	v_cmp_lt_i32_e64 s[2:3], v10, v8
	s_and_b64 s[28:29], s[28:29], s[30:31]
	s_or_b64 s[2:3], s[2:3], s[28:29]
	v_cndmask_b32_e64 v27, v11, v9, s[2:3]
	v_cndmask_b32_e64 v26, v10, v8, s[2:3]
	;; [unrolled: 1-line block ×4, first 2 shown]
	v_mov_b64_e32 v[10:11], v[26:27]
	s_or_b64 exec, exec, s[34:35]
	s_and_saveexec_b64 s[34:35], s[18:19]
	s_cbranch_execz .LBB624_183
.LBB624_285:
	v_cmp_ge_i32_e64 s[28:29], v12, v14
	v_cmp_lt_i32_e64 s[30:31], v15, v13
	v_cmp_lt_i32_e64 s[2:3], v14, v12
	s_and_b64 s[28:29], s[28:29], s[30:31]
	s_or_b64 s[2:3], s[2:3], s[28:29]
	v_cndmask_b32_e64 v27, v15, v13, s[2:3]
	v_cndmask_b32_e64 v26, v14, v12, s[2:3]
	;; [unrolled: 1-line block ×4, first 2 shown]
	v_mov_b64_e32 v[14:15], v[26:27]
	s_or_b64 exec, exec, s[34:35]
	s_and_saveexec_b64 s[34:35], s[20:21]
	s_cbranch_execz .LBB624_184
.LBB624_286:
	v_cmp_ge_i32_e64 s[28:29], v2, v4
	v_cmp_lt_i32_e64 s[30:31], v5, v3
	v_cmp_lt_i32_e64 s[2:3], v4, v2
	s_and_b64 s[28:29], s[28:29], s[30:31]
	s_or_b64 s[2:3], s[2:3], s[28:29]
	v_cndmask_b32_e64 v27, v5, v3, s[2:3]
	v_cndmask_b32_e64 v26, v4, v2, s[2:3]
	;; [unrolled: 1-line block ×4, first 2 shown]
	v_mov_b64_e32 v[4:5], v[26:27]
	s_or_b64 exec, exec, s[34:35]
	s_and_saveexec_b64 s[34:35], s[22:23]
	s_cbranch_execz .LBB624_185
.LBB624_287:
	v_cmp_ge_i32_e64 s[28:29], v6, v8
	v_cmp_lt_i32_e64 s[30:31], v9, v7
	v_cmp_lt_i32_e64 s[2:3], v8, v6
	s_and_b64 s[28:29], s[28:29], s[30:31]
	s_or_b64 s[2:3], s[2:3], s[28:29]
	v_cndmask_b32_e64 v27, v9, v7, s[2:3]
	v_cndmask_b32_e64 v26, v8, v6, s[2:3]
	;; [unrolled: 1-line block ×4, first 2 shown]
	v_mov_b64_e32 v[8:9], v[26:27]
	s_or_b64 exec, exec, s[34:35]
	s_and_saveexec_b64 s[34:35], s[24:25]
	s_cbranch_execz .LBB624_186
.LBB624_288:
	v_cmp_ge_i32_e64 s[28:29], v10, v12
	v_cmp_lt_i32_e64 s[30:31], v13, v11
	v_cmp_lt_i32_e64 s[2:3], v12, v10
	s_and_b64 s[28:29], s[28:29], s[30:31]
	s_or_b64 s[2:3], s[2:3], s[28:29]
	v_cndmask_b32_e64 v27, v13, v11, s[2:3]
	v_cndmask_b32_e64 v26, v12, v10, s[2:3]
	;; [unrolled: 1-line block ×4, first 2 shown]
	v_mov_b64_e32 v[12:13], v[26:27]
	s_or_b64 exec, exec, s[34:35]
	s_and_saveexec_b64 s[30:31], s[12:13]
	s_cbranch_execz .LBB624_187
.LBB624_289:
	v_cmp_ge_i32_e64 s[12:13], v0, v2
	v_cmp_lt_i32_e64 s[28:29], v3, v1
	v_cmp_lt_i32_e64 s[2:3], v2, v0
	s_and_b64 s[12:13], s[12:13], s[28:29]
	s_or_b64 s[2:3], s[2:3], s[12:13]
	v_cndmask_b32_e64 v27, v3, v1, s[2:3]
	v_cndmask_b32_e64 v26, v2, v0, s[2:3]
	;; [unrolled: 1-line block ×4, first 2 shown]
	v_mov_b64_e32 v[2:3], v[26:27]
	s_or_b64 exec, exec, s[30:31]
	s_and_saveexec_b64 s[28:29], s[14:15]
	s_cbranch_execz .LBB624_188
.LBB624_290:
	v_cmp_ge_i32_e64 s[12:13], v4, v6
	v_cmp_lt_i32_e64 s[14:15], v7, v5
	v_cmp_lt_i32_e64 s[2:3], v6, v4
	s_and_b64 s[12:13], s[12:13], s[14:15]
	s_or_b64 s[2:3], s[2:3], s[12:13]
	v_cndmask_b32_e64 v27, v7, v5, s[2:3]
	v_cndmask_b32_e64 v26, v6, v4, s[2:3]
	;; [unrolled: 1-line block ×4, first 2 shown]
	v_mov_b64_e32 v[6:7], v[26:27]
	s_or_b64 exec, exec, s[28:29]
	s_and_saveexec_b64 s[28:29], s[16:17]
	s_cbranch_execz .LBB624_189
.LBB624_291:
	v_cmp_ge_i32_e64 s[12:13], v8, v10
	v_cmp_lt_i32_e64 s[14:15], v11, v9
	v_cmp_lt_i32_e64 s[2:3], v10, v8
	s_and_b64 s[12:13], s[12:13], s[14:15]
	s_or_b64 s[2:3], s[2:3], s[12:13]
	v_cndmask_b32_e64 v27, v11, v9, s[2:3]
	v_cndmask_b32_e64 v26, v10, v8, s[2:3]
	;; [unrolled: 1-line block ×4, first 2 shown]
	v_mov_b64_e32 v[10:11], v[26:27]
	s_or_b64 exec, exec, s[28:29]
	s_and_saveexec_b64 s[16:17], s[18:19]
	s_cbranch_execz .LBB624_190
.LBB624_292:
	v_cmp_ge_i32_e64 s[12:13], v12, v14
	v_cmp_lt_i32_e64 s[14:15], v15, v13
	v_cmp_lt_i32_e64 s[2:3], v14, v12
	s_and_b64 s[12:13], s[12:13], s[14:15]
	s_or_b64 s[2:3], s[2:3], s[12:13]
	v_cndmask_b32_e64 v27, v15, v13, s[2:3]
	v_cndmask_b32_e64 v26, v14, v12, s[2:3]
	;; [unrolled: 1-line block ×4, first 2 shown]
	v_mov_b64_e32 v[14:15], v[26:27]
	s_or_b64 exec, exec, s[16:17]
	s_and_saveexec_b64 s[16:17], s[20:21]
	s_cbranch_execz .LBB624_191
.LBB624_293:
	v_cmp_ge_i32_e64 s[12:13], v2, v4
	v_cmp_lt_i32_e64 s[14:15], v5, v3
	v_cmp_lt_i32_e64 s[2:3], v4, v2
	s_and_b64 s[12:13], s[12:13], s[14:15]
	s_or_b64 s[2:3], s[2:3], s[12:13]
	v_cndmask_b32_e64 v27, v5, v3, s[2:3]
	v_cndmask_b32_e64 v26, v4, v2, s[2:3]
	;; [unrolled: 1-line block ×4, first 2 shown]
	v_mov_b64_e32 v[4:5], v[26:27]
	s_or_b64 exec, exec, s[16:17]
	s_and_saveexec_b64 s[16:17], s[22:23]
	s_cbranch_execz .LBB624_192
.LBB624_294:
	v_cmp_ge_i32_e64 s[12:13], v6, v8
	v_cmp_lt_i32_e64 s[14:15], v9, v7
	v_cmp_lt_i32_e64 s[2:3], v8, v6
	s_and_b64 s[12:13], s[12:13], s[14:15]
	s_or_b64 s[2:3], s[2:3], s[12:13]
	v_cndmask_b32_e64 v27, v9, v7, s[2:3]
	v_cndmask_b32_e64 v26, v8, v6, s[2:3]
	;; [unrolled: 1-line block ×4, first 2 shown]
	v_mov_b64_e32 v[8:9], v[26:27]
	s_or_b64 exec, exec, s[16:17]
	s_and_saveexec_b64 s[16:17], s[24:25]
	s_cbranch_execnz .LBB624_193
	s_branch .LBB624_194
.LBB624_295:
	ds_read_b64 v[16:17], v16
	s_waitcnt lgkmcnt(0)
	flat_store_dwordx2 v[2:3], v[16:17]
	s_or_b64 exec, exec, s[2:3]
	s_and_saveexec_b64 s[2:3], s[0:1]
	s_cbranch_execz .LBB624_259
.LBB624_296:
	s_waitcnt lgkmcnt(0)
	flat_store_dwordx2 v[2:3], v[12:13] offset:2048
	s_or_b64 exec, exec, s[2:3]
	s_and_saveexec_b64 s[0:1], s[26:27]
	s_cbranch_execz .LBB624_260
.LBB624_297:
	s_waitcnt lgkmcnt(0)
	v_add_co_u32_e32 v12, vcc, 0x1000, v2
	s_nop 1
	v_addc_co_u32_e32 v13, vcc, 0, v3, vcc
	flat_store_dwordx2 v[12:13], v[10:11]
	s_or_b64 exec, exec, s[0:1]
	s_and_saveexec_b64 s[0:1], s[4:5]
	s_cbranch_execz .LBB624_261
.LBB624_298:
	s_waitcnt lgkmcnt(0)
	v_add_co_u32_e32 v10, vcc, 0x1000, v2
	s_nop 1
	v_addc_co_u32_e32 v11, vcc, 0, v3, vcc
	flat_store_dwordx2 v[10:11], v[8:9] offset:2048
	s_or_b64 exec, exec, s[0:1]
	s_and_saveexec_b64 s[0:1], s[6:7]
	s_cbranch_execz .LBB624_262
.LBB624_299:
	s_waitcnt lgkmcnt(0)
	v_add_co_u32_e32 v8, vcc, 0x2000, v2
	s_nop 1
	v_addc_co_u32_e32 v9, vcc, 0, v3, vcc
	flat_store_dwordx2 v[8:9], v[6:7]
	s_or_b64 exec, exec, s[0:1]
	s_and_saveexec_b64 s[0:1], s[8:9]
	s_cbranch_execz .LBB624_263
.LBB624_300:
	s_waitcnt lgkmcnt(0)
	v_add_co_u32_e32 v6, vcc, 0x2000, v2
	s_nop 1
	v_addc_co_u32_e32 v7, vcc, 0, v3, vcc
	flat_store_dwordx2 v[6:7], v[4:5] offset:2048
	s_or_b64 exec, exec, s[0:1]
	s_and_saveexec_b64 s[0:1], s[10:11]
	s_cbranch_execnz .LBB624_264
	s_branch .LBB624_265
	.section	.rodata,"a",@progbits
	.p2align	6, 0x0
	.amdhsa_kernel _ZN7rocprim17ROCPRIM_400000_NS6detail17trampoline_kernelINS0_14default_configENS1_37merge_sort_block_sort_config_selectorIN6thrust23THRUST_200600_302600_NS4pairIiiEENS0_10empty_typeEEEZNS1_21merge_sort_block_sortIS3_NS6_6detail15normal_iteratorINS6_10device_ptrIS8_EEEESG_PS9_SH_NS6_4lessIS8_EEEE10hipError_tT0_T1_T2_T3_mRjT4_P12ihipStream_tbNS1_7vsmem_tEEUlT_E_NS1_11comp_targetILNS1_3genE0ELNS1_11target_archE4294967295ELNS1_3gpuE0ELNS1_3repE0EEENS1_30default_config_static_selectorELNS0_4arch9wavefront6targetE1EEEvSM_
		.amdhsa_group_segment_fixed_size 16896
		.amdhsa_private_segment_fixed_size 0
		.amdhsa_kernarg_size 320
		.amdhsa_user_sgpr_count 2
		.amdhsa_user_sgpr_dispatch_ptr 0
		.amdhsa_user_sgpr_queue_ptr 0
		.amdhsa_user_sgpr_kernarg_segment_ptr 1
		.amdhsa_user_sgpr_dispatch_id 0
		.amdhsa_user_sgpr_kernarg_preload_length 0
		.amdhsa_user_sgpr_kernarg_preload_offset 0
		.amdhsa_user_sgpr_private_segment_size 0
		.amdhsa_uses_dynamic_stack 0
		.amdhsa_enable_private_segment 0
		.amdhsa_system_sgpr_workgroup_id_x 1
		.amdhsa_system_sgpr_workgroup_id_y 1
		.amdhsa_system_sgpr_workgroup_id_z 1
		.amdhsa_system_sgpr_workgroup_info 0
		.amdhsa_system_vgpr_workitem_id 2
		.amdhsa_next_free_vgpr 60
		.amdhsa_next_free_sgpr 45
		.amdhsa_accum_offset 60
		.amdhsa_reserve_vcc 1
		.amdhsa_float_round_mode_32 0
		.amdhsa_float_round_mode_16_64 0
		.amdhsa_float_denorm_mode_32 3
		.amdhsa_float_denorm_mode_16_64 3
		.amdhsa_dx10_clamp 1
		.amdhsa_ieee_mode 1
		.amdhsa_fp16_overflow 0
		.amdhsa_tg_split 0
		.amdhsa_exception_fp_ieee_invalid_op 0
		.amdhsa_exception_fp_denorm_src 0
		.amdhsa_exception_fp_ieee_div_zero 0
		.amdhsa_exception_fp_ieee_overflow 0
		.amdhsa_exception_fp_ieee_underflow 0
		.amdhsa_exception_fp_ieee_inexact 0
		.amdhsa_exception_int_div_zero 0
	.end_amdhsa_kernel
	.section	.text._ZN7rocprim17ROCPRIM_400000_NS6detail17trampoline_kernelINS0_14default_configENS1_37merge_sort_block_sort_config_selectorIN6thrust23THRUST_200600_302600_NS4pairIiiEENS0_10empty_typeEEEZNS1_21merge_sort_block_sortIS3_NS6_6detail15normal_iteratorINS6_10device_ptrIS8_EEEESG_PS9_SH_NS6_4lessIS8_EEEE10hipError_tT0_T1_T2_T3_mRjT4_P12ihipStream_tbNS1_7vsmem_tEEUlT_E_NS1_11comp_targetILNS1_3genE0ELNS1_11target_archE4294967295ELNS1_3gpuE0ELNS1_3repE0EEENS1_30default_config_static_selectorELNS0_4arch9wavefront6targetE1EEEvSM_,"axG",@progbits,_ZN7rocprim17ROCPRIM_400000_NS6detail17trampoline_kernelINS0_14default_configENS1_37merge_sort_block_sort_config_selectorIN6thrust23THRUST_200600_302600_NS4pairIiiEENS0_10empty_typeEEEZNS1_21merge_sort_block_sortIS3_NS6_6detail15normal_iteratorINS6_10device_ptrIS8_EEEESG_PS9_SH_NS6_4lessIS8_EEEE10hipError_tT0_T1_T2_T3_mRjT4_P12ihipStream_tbNS1_7vsmem_tEEUlT_E_NS1_11comp_targetILNS1_3genE0ELNS1_11target_archE4294967295ELNS1_3gpuE0ELNS1_3repE0EEENS1_30default_config_static_selectorELNS0_4arch9wavefront6targetE1EEEvSM_,comdat
.Lfunc_end624:
	.size	_ZN7rocprim17ROCPRIM_400000_NS6detail17trampoline_kernelINS0_14default_configENS1_37merge_sort_block_sort_config_selectorIN6thrust23THRUST_200600_302600_NS4pairIiiEENS0_10empty_typeEEEZNS1_21merge_sort_block_sortIS3_NS6_6detail15normal_iteratorINS6_10device_ptrIS8_EEEESG_PS9_SH_NS6_4lessIS8_EEEE10hipError_tT0_T1_T2_T3_mRjT4_P12ihipStream_tbNS1_7vsmem_tEEUlT_E_NS1_11comp_targetILNS1_3genE0ELNS1_11target_archE4294967295ELNS1_3gpuE0ELNS1_3repE0EEENS1_30default_config_static_selectorELNS0_4arch9wavefront6targetE1EEEvSM_, .Lfunc_end624-_ZN7rocprim17ROCPRIM_400000_NS6detail17trampoline_kernelINS0_14default_configENS1_37merge_sort_block_sort_config_selectorIN6thrust23THRUST_200600_302600_NS4pairIiiEENS0_10empty_typeEEEZNS1_21merge_sort_block_sortIS3_NS6_6detail15normal_iteratorINS6_10device_ptrIS8_EEEESG_PS9_SH_NS6_4lessIS8_EEEE10hipError_tT0_T1_T2_T3_mRjT4_P12ihipStream_tbNS1_7vsmem_tEEUlT_E_NS1_11comp_targetILNS1_3genE0ELNS1_11target_archE4294967295ELNS1_3gpuE0ELNS1_3repE0EEENS1_30default_config_static_selectorELNS0_4arch9wavefront6targetE1EEEvSM_
                                        ; -- End function
	.set _ZN7rocprim17ROCPRIM_400000_NS6detail17trampoline_kernelINS0_14default_configENS1_37merge_sort_block_sort_config_selectorIN6thrust23THRUST_200600_302600_NS4pairIiiEENS0_10empty_typeEEEZNS1_21merge_sort_block_sortIS3_NS6_6detail15normal_iteratorINS6_10device_ptrIS8_EEEESG_PS9_SH_NS6_4lessIS8_EEEE10hipError_tT0_T1_T2_T3_mRjT4_P12ihipStream_tbNS1_7vsmem_tEEUlT_E_NS1_11comp_targetILNS1_3genE0ELNS1_11target_archE4294967295ELNS1_3gpuE0ELNS1_3repE0EEENS1_30default_config_static_selectorELNS0_4arch9wavefront6targetE1EEEvSM_.num_vgpr, 60
	.set _ZN7rocprim17ROCPRIM_400000_NS6detail17trampoline_kernelINS0_14default_configENS1_37merge_sort_block_sort_config_selectorIN6thrust23THRUST_200600_302600_NS4pairIiiEENS0_10empty_typeEEEZNS1_21merge_sort_block_sortIS3_NS6_6detail15normal_iteratorINS6_10device_ptrIS8_EEEESG_PS9_SH_NS6_4lessIS8_EEEE10hipError_tT0_T1_T2_T3_mRjT4_P12ihipStream_tbNS1_7vsmem_tEEUlT_E_NS1_11comp_targetILNS1_3genE0ELNS1_11target_archE4294967295ELNS1_3gpuE0ELNS1_3repE0EEENS1_30default_config_static_selectorELNS0_4arch9wavefront6targetE1EEEvSM_.num_agpr, 0
	.set _ZN7rocprim17ROCPRIM_400000_NS6detail17trampoline_kernelINS0_14default_configENS1_37merge_sort_block_sort_config_selectorIN6thrust23THRUST_200600_302600_NS4pairIiiEENS0_10empty_typeEEEZNS1_21merge_sort_block_sortIS3_NS6_6detail15normal_iteratorINS6_10device_ptrIS8_EEEESG_PS9_SH_NS6_4lessIS8_EEEE10hipError_tT0_T1_T2_T3_mRjT4_P12ihipStream_tbNS1_7vsmem_tEEUlT_E_NS1_11comp_targetILNS1_3genE0ELNS1_11target_archE4294967295ELNS1_3gpuE0ELNS1_3repE0EEENS1_30default_config_static_selectorELNS0_4arch9wavefront6targetE1EEEvSM_.numbered_sgpr, 45
	.set _ZN7rocprim17ROCPRIM_400000_NS6detail17trampoline_kernelINS0_14default_configENS1_37merge_sort_block_sort_config_selectorIN6thrust23THRUST_200600_302600_NS4pairIiiEENS0_10empty_typeEEEZNS1_21merge_sort_block_sortIS3_NS6_6detail15normal_iteratorINS6_10device_ptrIS8_EEEESG_PS9_SH_NS6_4lessIS8_EEEE10hipError_tT0_T1_T2_T3_mRjT4_P12ihipStream_tbNS1_7vsmem_tEEUlT_E_NS1_11comp_targetILNS1_3genE0ELNS1_11target_archE4294967295ELNS1_3gpuE0ELNS1_3repE0EEENS1_30default_config_static_selectorELNS0_4arch9wavefront6targetE1EEEvSM_.num_named_barrier, 0
	.set _ZN7rocprim17ROCPRIM_400000_NS6detail17trampoline_kernelINS0_14default_configENS1_37merge_sort_block_sort_config_selectorIN6thrust23THRUST_200600_302600_NS4pairIiiEENS0_10empty_typeEEEZNS1_21merge_sort_block_sortIS3_NS6_6detail15normal_iteratorINS6_10device_ptrIS8_EEEESG_PS9_SH_NS6_4lessIS8_EEEE10hipError_tT0_T1_T2_T3_mRjT4_P12ihipStream_tbNS1_7vsmem_tEEUlT_E_NS1_11comp_targetILNS1_3genE0ELNS1_11target_archE4294967295ELNS1_3gpuE0ELNS1_3repE0EEENS1_30default_config_static_selectorELNS0_4arch9wavefront6targetE1EEEvSM_.private_seg_size, 0
	.set _ZN7rocprim17ROCPRIM_400000_NS6detail17trampoline_kernelINS0_14default_configENS1_37merge_sort_block_sort_config_selectorIN6thrust23THRUST_200600_302600_NS4pairIiiEENS0_10empty_typeEEEZNS1_21merge_sort_block_sortIS3_NS6_6detail15normal_iteratorINS6_10device_ptrIS8_EEEESG_PS9_SH_NS6_4lessIS8_EEEE10hipError_tT0_T1_T2_T3_mRjT4_P12ihipStream_tbNS1_7vsmem_tEEUlT_E_NS1_11comp_targetILNS1_3genE0ELNS1_11target_archE4294967295ELNS1_3gpuE0ELNS1_3repE0EEENS1_30default_config_static_selectorELNS0_4arch9wavefront6targetE1EEEvSM_.uses_vcc, 1
	.set _ZN7rocprim17ROCPRIM_400000_NS6detail17trampoline_kernelINS0_14default_configENS1_37merge_sort_block_sort_config_selectorIN6thrust23THRUST_200600_302600_NS4pairIiiEENS0_10empty_typeEEEZNS1_21merge_sort_block_sortIS3_NS6_6detail15normal_iteratorINS6_10device_ptrIS8_EEEESG_PS9_SH_NS6_4lessIS8_EEEE10hipError_tT0_T1_T2_T3_mRjT4_P12ihipStream_tbNS1_7vsmem_tEEUlT_E_NS1_11comp_targetILNS1_3genE0ELNS1_11target_archE4294967295ELNS1_3gpuE0ELNS1_3repE0EEENS1_30default_config_static_selectorELNS0_4arch9wavefront6targetE1EEEvSM_.uses_flat_scratch, 0
	.set _ZN7rocprim17ROCPRIM_400000_NS6detail17trampoline_kernelINS0_14default_configENS1_37merge_sort_block_sort_config_selectorIN6thrust23THRUST_200600_302600_NS4pairIiiEENS0_10empty_typeEEEZNS1_21merge_sort_block_sortIS3_NS6_6detail15normal_iteratorINS6_10device_ptrIS8_EEEESG_PS9_SH_NS6_4lessIS8_EEEE10hipError_tT0_T1_T2_T3_mRjT4_P12ihipStream_tbNS1_7vsmem_tEEUlT_E_NS1_11comp_targetILNS1_3genE0ELNS1_11target_archE4294967295ELNS1_3gpuE0ELNS1_3repE0EEENS1_30default_config_static_selectorELNS0_4arch9wavefront6targetE1EEEvSM_.has_dyn_sized_stack, 0
	.set _ZN7rocprim17ROCPRIM_400000_NS6detail17trampoline_kernelINS0_14default_configENS1_37merge_sort_block_sort_config_selectorIN6thrust23THRUST_200600_302600_NS4pairIiiEENS0_10empty_typeEEEZNS1_21merge_sort_block_sortIS3_NS6_6detail15normal_iteratorINS6_10device_ptrIS8_EEEESG_PS9_SH_NS6_4lessIS8_EEEE10hipError_tT0_T1_T2_T3_mRjT4_P12ihipStream_tbNS1_7vsmem_tEEUlT_E_NS1_11comp_targetILNS1_3genE0ELNS1_11target_archE4294967295ELNS1_3gpuE0ELNS1_3repE0EEENS1_30default_config_static_selectorELNS0_4arch9wavefront6targetE1EEEvSM_.has_recursion, 0
	.set _ZN7rocprim17ROCPRIM_400000_NS6detail17trampoline_kernelINS0_14default_configENS1_37merge_sort_block_sort_config_selectorIN6thrust23THRUST_200600_302600_NS4pairIiiEENS0_10empty_typeEEEZNS1_21merge_sort_block_sortIS3_NS6_6detail15normal_iteratorINS6_10device_ptrIS8_EEEESG_PS9_SH_NS6_4lessIS8_EEEE10hipError_tT0_T1_T2_T3_mRjT4_P12ihipStream_tbNS1_7vsmem_tEEUlT_E_NS1_11comp_targetILNS1_3genE0ELNS1_11target_archE4294967295ELNS1_3gpuE0ELNS1_3repE0EEENS1_30default_config_static_selectorELNS0_4arch9wavefront6targetE1EEEvSM_.has_indirect_call, 0
	.section	.AMDGPU.csdata,"",@progbits
; Kernel info:
; codeLenInByte = 27640
; TotalNumSgprs: 51
; NumVgprs: 60
; NumAgprs: 0
; TotalNumVgprs: 60
; ScratchSize: 0
; MemoryBound: 0
; FloatMode: 240
; IeeeMode: 1
; LDSByteSize: 16896 bytes/workgroup (compile time only)
; SGPRBlocks: 6
; VGPRBlocks: 7
; NumSGPRsForWavesPerEU: 51
; NumVGPRsForWavesPerEU: 60
; AccumOffset: 60
; Occupancy: 8
; WaveLimiterHint : 1
; COMPUTE_PGM_RSRC2:SCRATCH_EN: 0
; COMPUTE_PGM_RSRC2:USER_SGPR: 2
; COMPUTE_PGM_RSRC2:TRAP_HANDLER: 0
; COMPUTE_PGM_RSRC2:TGID_X_EN: 1
; COMPUTE_PGM_RSRC2:TGID_Y_EN: 1
; COMPUTE_PGM_RSRC2:TGID_Z_EN: 1
; COMPUTE_PGM_RSRC2:TIDIG_COMP_CNT: 2
; COMPUTE_PGM_RSRC3_GFX90A:ACCUM_OFFSET: 14
; COMPUTE_PGM_RSRC3_GFX90A:TG_SPLIT: 0
	.section	.text._ZN7rocprim17ROCPRIM_400000_NS6detail17trampoline_kernelINS0_14default_configENS1_37merge_sort_block_sort_config_selectorIN6thrust23THRUST_200600_302600_NS4pairIiiEENS0_10empty_typeEEEZNS1_21merge_sort_block_sortIS3_NS6_6detail15normal_iteratorINS6_10device_ptrIS8_EEEESG_PS9_SH_NS6_4lessIS8_EEEE10hipError_tT0_T1_T2_T3_mRjT4_P12ihipStream_tbNS1_7vsmem_tEEUlT_E_NS1_11comp_targetILNS1_3genE5ELNS1_11target_archE942ELNS1_3gpuE9ELNS1_3repE0EEENS1_30default_config_static_selectorELNS0_4arch9wavefront6targetE1EEEvSM_,"axG",@progbits,_ZN7rocprim17ROCPRIM_400000_NS6detail17trampoline_kernelINS0_14default_configENS1_37merge_sort_block_sort_config_selectorIN6thrust23THRUST_200600_302600_NS4pairIiiEENS0_10empty_typeEEEZNS1_21merge_sort_block_sortIS3_NS6_6detail15normal_iteratorINS6_10device_ptrIS8_EEEESG_PS9_SH_NS6_4lessIS8_EEEE10hipError_tT0_T1_T2_T3_mRjT4_P12ihipStream_tbNS1_7vsmem_tEEUlT_E_NS1_11comp_targetILNS1_3genE5ELNS1_11target_archE942ELNS1_3gpuE9ELNS1_3repE0EEENS1_30default_config_static_selectorELNS0_4arch9wavefront6targetE1EEEvSM_,comdat
	.protected	_ZN7rocprim17ROCPRIM_400000_NS6detail17trampoline_kernelINS0_14default_configENS1_37merge_sort_block_sort_config_selectorIN6thrust23THRUST_200600_302600_NS4pairIiiEENS0_10empty_typeEEEZNS1_21merge_sort_block_sortIS3_NS6_6detail15normal_iteratorINS6_10device_ptrIS8_EEEESG_PS9_SH_NS6_4lessIS8_EEEE10hipError_tT0_T1_T2_T3_mRjT4_P12ihipStream_tbNS1_7vsmem_tEEUlT_E_NS1_11comp_targetILNS1_3genE5ELNS1_11target_archE942ELNS1_3gpuE9ELNS1_3repE0EEENS1_30default_config_static_selectorELNS0_4arch9wavefront6targetE1EEEvSM_ ; -- Begin function _ZN7rocprim17ROCPRIM_400000_NS6detail17trampoline_kernelINS0_14default_configENS1_37merge_sort_block_sort_config_selectorIN6thrust23THRUST_200600_302600_NS4pairIiiEENS0_10empty_typeEEEZNS1_21merge_sort_block_sortIS3_NS6_6detail15normal_iteratorINS6_10device_ptrIS8_EEEESG_PS9_SH_NS6_4lessIS8_EEEE10hipError_tT0_T1_T2_T3_mRjT4_P12ihipStream_tbNS1_7vsmem_tEEUlT_E_NS1_11comp_targetILNS1_3genE5ELNS1_11target_archE942ELNS1_3gpuE9ELNS1_3repE0EEENS1_30default_config_static_selectorELNS0_4arch9wavefront6targetE1EEEvSM_
	.globl	_ZN7rocprim17ROCPRIM_400000_NS6detail17trampoline_kernelINS0_14default_configENS1_37merge_sort_block_sort_config_selectorIN6thrust23THRUST_200600_302600_NS4pairIiiEENS0_10empty_typeEEEZNS1_21merge_sort_block_sortIS3_NS6_6detail15normal_iteratorINS6_10device_ptrIS8_EEEESG_PS9_SH_NS6_4lessIS8_EEEE10hipError_tT0_T1_T2_T3_mRjT4_P12ihipStream_tbNS1_7vsmem_tEEUlT_E_NS1_11comp_targetILNS1_3genE5ELNS1_11target_archE942ELNS1_3gpuE9ELNS1_3repE0EEENS1_30default_config_static_selectorELNS0_4arch9wavefront6targetE1EEEvSM_
	.p2align	8
	.type	_ZN7rocprim17ROCPRIM_400000_NS6detail17trampoline_kernelINS0_14default_configENS1_37merge_sort_block_sort_config_selectorIN6thrust23THRUST_200600_302600_NS4pairIiiEENS0_10empty_typeEEEZNS1_21merge_sort_block_sortIS3_NS6_6detail15normal_iteratorINS6_10device_ptrIS8_EEEESG_PS9_SH_NS6_4lessIS8_EEEE10hipError_tT0_T1_T2_T3_mRjT4_P12ihipStream_tbNS1_7vsmem_tEEUlT_E_NS1_11comp_targetILNS1_3genE5ELNS1_11target_archE942ELNS1_3gpuE9ELNS1_3repE0EEENS1_30default_config_static_selectorELNS0_4arch9wavefront6targetE1EEEvSM_,@function
_ZN7rocprim17ROCPRIM_400000_NS6detail17trampoline_kernelINS0_14default_configENS1_37merge_sort_block_sort_config_selectorIN6thrust23THRUST_200600_302600_NS4pairIiiEENS0_10empty_typeEEEZNS1_21merge_sort_block_sortIS3_NS6_6detail15normal_iteratorINS6_10device_ptrIS8_EEEESG_PS9_SH_NS6_4lessIS8_EEEE10hipError_tT0_T1_T2_T3_mRjT4_P12ihipStream_tbNS1_7vsmem_tEEUlT_E_NS1_11comp_targetILNS1_3genE5ELNS1_11target_archE942ELNS1_3gpuE9ELNS1_3repE0EEENS1_30default_config_static_selectorELNS0_4arch9wavefront6targetE1EEEvSM_: ; @_ZN7rocprim17ROCPRIM_400000_NS6detail17trampoline_kernelINS0_14default_configENS1_37merge_sort_block_sort_config_selectorIN6thrust23THRUST_200600_302600_NS4pairIiiEENS0_10empty_typeEEEZNS1_21merge_sort_block_sortIS3_NS6_6detail15normal_iteratorINS6_10device_ptrIS8_EEEESG_PS9_SH_NS6_4lessIS8_EEEE10hipError_tT0_T1_T2_T3_mRjT4_P12ihipStream_tbNS1_7vsmem_tEEUlT_E_NS1_11comp_targetILNS1_3genE5ELNS1_11target_archE942ELNS1_3gpuE9ELNS1_3repE0EEENS1_30default_config_static_selectorELNS0_4arch9wavefront6targetE1EEEvSM_
; %bb.0:
	.section	.rodata,"a",@progbits
	.p2align	6, 0x0
	.amdhsa_kernel _ZN7rocprim17ROCPRIM_400000_NS6detail17trampoline_kernelINS0_14default_configENS1_37merge_sort_block_sort_config_selectorIN6thrust23THRUST_200600_302600_NS4pairIiiEENS0_10empty_typeEEEZNS1_21merge_sort_block_sortIS3_NS6_6detail15normal_iteratorINS6_10device_ptrIS8_EEEESG_PS9_SH_NS6_4lessIS8_EEEE10hipError_tT0_T1_T2_T3_mRjT4_P12ihipStream_tbNS1_7vsmem_tEEUlT_E_NS1_11comp_targetILNS1_3genE5ELNS1_11target_archE942ELNS1_3gpuE9ELNS1_3repE0EEENS1_30default_config_static_selectorELNS0_4arch9wavefront6targetE1EEEvSM_
		.amdhsa_group_segment_fixed_size 0
		.amdhsa_private_segment_fixed_size 0
		.amdhsa_kernarg_size 64
		.amdhsa_user_sgpr_count 2
		.amdhsa_user_sgpr_dispatch_ptr 0
		.amdhsa_user_sgpr_queue_ptr 0
		.amdhsa_user_sgpr_kernarg_segment_ptr 1
		.amdhsa_user_sgpr_dispatch_id 0
		.amdhsa_user_sgpr_kernarg_preload_length 0
		.amdhsa_user_sgpr_kernarg_preload_offset 0
		.amdhsa_user_sgpr_private_segment_size 0
		.amdhsa_uses_dynamic_stack 0
		.amdhsa_enable_private_segment 0
		.amdhsa_system_sgpr_workgroup_id_x 1
		.amdhsa_system_sgpr_workgroup_id_y 0
		.amdhsa_system_sgpr_workgroup_id_z 0
		.amdhsa_system_sgpr_workgroup_info 0
		.amdhsa_system_vgpr_workitem_id 0
		.amdhsa_next_free_vgpr 1
		.amdhsa_next_free_sgpr 0
		.amdhsa_accum_offset 4
		.amdhsa_reserve_vcc 0
		.amdhsa_float_round_mode_32 0
		.amdhsa_float_round_mode_16_64 0
		.amdhsa_float_denorm_mode_32 3
		.amdhsa_float_denorm_mode_16_64 3
		.amdhsa_dx10_clamp 1
		.amdhsa_ieee_mode 1
		.amdhsa_fp16_overflow 0
		.amdhsa_tg_split 0
		.amdhsa_exception_fp_ieee_invalid_op 0
		.amdhsa_exception_fp_denorm_src 0
		.amdhsa_exception_fp_ieee_div_zero 0
		.amdhsa_exception_fp_ieee_overflow 0
		.amdhsa_exception_fp_ieee_underflow 0
		.amdhsa_exception_fp_ieee_inexact 0
		.amdhsa_exception_int_div_zero 0
	.end_amdhsa_kernel
	.section	.text._ZN7rocprim17ROCPRIM_400000_NS6detail17trampoline_kernelINS0_14default_configENS1_37merge_sort_block_sort_config_selectorIN6thrust23THRUST_200600_302600_NS4pairIiiEENS0_10empty_typeEEEZNS1_21merge_sort_block_sortIS3_NS6_6detail15normal_iteratorINS6_10device_ptrIS8_EEEESG_PS9_SH_NS6_4lessIS8_EEEE10hipError_tT0_T1_T2_T3_mRjT4_P12ihipStream_tbNS1_7vsmem_tEEUlT_E_NS1_11comp_targetILNS1_3genE5ELNS1_11target_archE942ELNS1_3gpuE9ELNS1_3repE0EEENS1_30default_config_static_selectorELNS0_4arch9wavefront6targetE1EEEvSM_,"axG",@progbits,_ZN7rocprim17ROCPRIM_400000_NS6detail17trampoline_kernelINS0_14default_configENS1_37merge_sort_block_sort_config_selectorIN6thrust23THRUST_200600_302600_NS4pairIiiEENS0_10empty_typeEEEZNS1_21merge_sort_block_sortIS3_NS6_6detail15normal_iteratorINS6_10device_ptrIS8_EEEESG_PS9_SH_NS6_4lessIS8_EEEE10hipError_tT0_T1_T2_T3_mRjT4_P12ihipStream_tbNS1_7vsmem_tEEUlT_E_NS1_11comp_targetILNS1_3genE5ELNS1_11target_archE942ELNS1_3gpuE9ELNS1_3repE0EEENS1_30default_config_static_selectorELNS0_4arch9wavefront6targetE1EEEvSM_,comdat
.Lfunc_end625:
	.size	_ZN7rocprim17ROCPRIM_400000_NS6detail17trampoline_kernelINS0_14default_configENS1_37merge_sort_block_sort_config_selectorIN6thrust23THRUST_200600_302600_NS4pairIiiEENS0_10empty_typeEEEZNS1_21merge_sort_block_sortIS3_NS6_6detail15normal_iteratorINS6_10device_ptrIS8_EEEESG_PS9_SH_NS6_4lessIS8_EEEE10hipError_tT0_T1_T2_T3_mRjT4_P12ihipStream_tbNS1_7vsmem_tEEUlT_E_NS1_11comp_targetILNS1_3genE5ELNS1_11target_archE942ELNS1_3gpuE9ELNS1_3repE0EEENS1_30default_config_static_selectorELNS0_4arch9wavefront6targetE1EEEvSM_, .Lfunc_end625-_ZN7rocprim17ROCPRIM_400000_NS6detail17trampoline_kernelINS0_14default_configENS1_37merge_sort_block_sort_config_selectorIN6thrust23THRUST_200600_302600_NS4pairIiiEENS0_10empty_typeEEEZNS1_21merge_sort_block_sortIS3_NS6_6detail15normal_iteratorINS6_10device_ptrIS8_EEEESG_PS9_SH_NS6_4lessIS8_EEEE10hipError_tT0_T1_T2_T3_mRjT4_P12ihipStream_tbNS1_7vsmem_tEEUlT_E_NS1_11comp_targetILNS1_3genE5ELNS1_11target_archE942ELNS1_3gpuE9ELNS1_3repE0EEENS1_30default_config_static_selectorELNS0_4arch9wavefront6targetE1EEEvSM_
                                        ; -- End function
	.set _ZN7rocprim17ROCPRIM_400000_NS6detail17trampoline_kernelINS0_14default_configENS1_37merge_sort_block_sort_config_selectorIN6thrust23THRUST_200600_302600_NS4pairIiiEENS0_10empty_typeEEEZNS1_21merge_sort_block_sortIS3_NS6_6detail15normal_iteratorINS6_10device_ptrIS8_EEEESG_PS9_SH_NS6_4lessIS8_EEEE10hipError_tT0_T1_T2_T3_mRjT4_P12ihipStream_tbNS1_7vsmem_tEEUlT_E_NS1_11comp_targetILNS1_3genE5ELNS1_11target_archE942ELNS1_3gpuE9ELNS1_3repE0EEENS1_30default_config_static_selectorELNS0_4arch9wavefront6targetE1EEEvSM_.num_vgpr, 0
	.set _ZN7rocprim17ROCPRIM_400000_NS6detail17trampoline_kernelINS0_14default_configENS1_37merge_sort_block_sort_config_selectorIN6thrust23THRUST_200600_302600_NS4pairIiiEENS0_10empty_typeEEEZNS1_21merge_sort_block_sortIS3_NS6_6detail15normal_iteratorINS6_10device_ptrIS8_EEEESG_PS9_SH_NS6_4lessIS8_EEEE10hipError_tT0_T1_T2_T3_mRjT4_P12ihipStream_tbNS1_7vsmem_tEEUlT_E_NS1_11comp_targetILNS1_3genE5ELNS1_11target_archE942ELNS1_3gpuE9ELNS1_3repE0EEENS1_30default_config_static_selectorELNS0_4arch9wavefront6targetE1EEEvSM_.num_agpr, 0
	.set _ZN7rocprim17ROCPRIM_400000_NS6detail17trampoline_kernelINS0_14default_configENS1_37merge_sort_block_sort_config_selectorIN6thrust23THRUST_200600_302600_NS4pairIiiEENS0_10empty_typeEEEZNS1_21merge_sort_block_sortIS3_NS6_6detail15normal_iteratorINS6_10device_ptrIS8_EEEESG_PS9_SH_NS6_4lessIS8_EEEE10hipError_tT0_T1_T2_T3_mRjT4_P12ihipStream_tbNS1_7vsmem_tEEUlT_E_NS1_11comp_targetILNS1_3genE5ELNS1_11target_archE942ELNS1_3gpuE9ELNS1_3repE0EEENS1_30default_config_static_selectorELNS0_4arch9wavefront6targetE1EEEvSM_.numbered_sgpr, 0
	.set _ZN7rocprim17ROCPRIM_400000_NS6detail17trampoline_kernelINS0_14default_configENS1_37merge_sort_block_sort_config_selectorIN6thrust23THRUST_200600_302600_NS4pairIiiEENS0_10empty_typeEEEZNS1_21merge_sort_block_sortIS3_NS6_6detail15normal_iteratorINS6_10device_ptrIS8_EEEESG_PS9_SH_NS6_4lessIS8_EEEE10hipError_tT0_T1_T2_T3_mRjT4_P12ihipStream_tbNS1_7vsmem_tEEUlT_E_NS1_11comp_targetILNS1_3genE5ELNS1_11target_archE942ELNS1_3gpuE9ELNS1_3repE0EEENS1_30default_config_static_selectorELNS0_4arch9wavefront6targetE1EEEvSM_.num_named_barrier, 0
	.set _ZN7rocprim17ROCPRIM_400000_NS6detail17trampoline_kernelINS0_14default_configENS1_37merge_sort_block_sort_config_selectorIN6thrust23THRUST_200600_302600_NS4pairIiiEENS0_10empty_typeEEEZNS1_21merge_sort_block_sortIS3_NS6_6detail15normal_iteratorINS6_10device_ptrIS8_EEEESG_PS9_SH_NS6_4lessIS8_EEEE10hipError_tT0_T1_T2_T3_mRjT4_P12ihipStream_tbNS1_7vsmem_tEEUlT_E_NS1_11comp_targetILNS1_3genE5ELNS1_11target_archE942ELNS1_3gpuE9ELNS1_3repE0EEENS1_30default_config_static_selectorELNS0_4arch9wavefront6targetE1EEEvSM_.private_seg_size, 0
	.set _ZN7rocprim17ROCPRIM_400000_NS6detail17trampoline_kernelINS0_14default_configENS1_37merge_sort_block_sort_config_selectorIN6thrust23THRUST_200600_302600_NS4pairIiiEENS0_10empty_typeEEEZNS1_21merge_sort_block_sortIS3_NS6_6detail15normal_iteratorINS6_10device_ptrIS8_EEEESG_PS9_SH_NS6_4lessIS8_EEEE10hipError_tT0_T1_T2_T3_mRjT4_P12ihipStream_tbNS1_7vsmem_tEEUlT_E_NS1_11comp_targetILNS1_3genE5ELNS1_11target_archE942ELNS1_3gpuE9ELNS1_3repE0EEENS1_30default_config_static_selectorELNS0_4arch9wavefront6targetE1EEEvSM_.uses_vcc, 0
	.set _ZN7rocprim17ROCPRIM_400000_NS6detail17trampoline_kernelINS0_14default_configENS1_37merge_sort_block_sort_config_selectorIN6thrust23THRUST_200600_302600_NS4pairIiiEENS0_10empty_typeEEEZNS1_21merge_sort_block_sortIS3_NS6_6detail15normal_iteratorINS6_10device_ptrIS8_EEEESG_PS9_SH_NS6_4lessIS8_EEEE10hipError_tT0_T1_T2_T3_mRjT4_P12ihipStream_tbNS1_7vsmem_tEEUlT_E_NS1_11comp_targetILNS1_3genE5ELNS1_11target_archE942ELNS1_3gpuE9ELNS1_3repE0EEENS1_30default_config_static_selectorELNS0_4arch9wavefront6targetE1EEEvSM_.uses_flat_scratch, 0
	.set _ZN7rocprim17ROCPRIM_400000_NS6detail17trampoline_kernelINS0_14default_configENS1_37merge_sort_block_sort_config_selectorIN6thrust23THRUST_200600_302600_NS4pairIiiEENS0_10empty_typeEEEZNS1_21merge_sort_block_sortIS3_NS6_6detail15normal_iteratorINS6_10device_ptrIS8_EEEESG_PS9_SH_NS6_4lessIS8_EEEE10hipError_tT0_T1_T2_T3_mRjT4_P12ihipStream_tbNS1_7vsmem_tEEUlT_E_NS1_11comp_targetILNS1_3genE5ELNS1_11target_archE942ELNS1_3gpuE9ELNS1_3repE0EEENS1_30default_config_static_selectorELNS0_4arch9wavefront6targetE1EEEvSM_.has_dyn_sized_stack, 0
	.set _ZN7rocprim17ROCPRIM_400000_NS6detail17trampoline_kernelINS0_14default_configENS1_37merge_sort_block_sort_config_selectorIN6thrust23THRUST_200600_302600_NS4pairIiiEENS0_10empty_typeEEEZNS1_21merge_sort_block_sortIS3_NS6_6detail15normal_iteratorINS6_10device_ptrIS8_EEEESG_PS9_SH_NS6_4lessIS8_EEEE10hipError_tT0_T1_T2_T3_mRjT4_P12ihipStream_tbNS1_7vsmem_tEEUlT_E_NS1_11comp_targetILNS1_3genE5ELNS1_11target_archE942ELNS1_3gpuE9ELNS1_3repE0EEENS1_30default_config_static_selectorELNS0_4arch9wavefront6targetE1EEEvSM_.has_recursion, 0
	.set _ZN7rocprim17ROCPRIM_400000_NS6detail17trampoline_kernelINS0_14default_configENS1_37merge_sort_block_sort_config_selectorIN6thrust23THRUST_200600_302600_NS4pairIiiEENS0_10empty_typeEEEZNS1_21merge_sort_block_sortIS3_NS6_6detail15normal_iteratorINS6_10device_ptrIS8_EEEESG_PS9_SH_NS6_4lessIS8_EEEE10hipError_tT0_T1_T2_T3_mRjT4_P12ihipStream_tbNS1_7vsmem_tEEUlT_E_NS1_11comp_targetILNS1_3genE5ELNS1_11target_archE942ELNS1_3gpuE9ELNS1_3repE0EEENS1_30default_config_static_selectorELNS0_4arch9wavefront6targetE1EEEvSM_.has_indirect_call, 0
	.section	.AMDGPU.csdata,"",@progbits
; Kernel info:
; codeLenInByte = 0
; TotalNumSgprs: 6
; NumVgprs: 0
; NumAgprs: 0
; TotalNumVgprs: 0
; ScratchSize: 0
; MemoryBound: 0
; FloatMode: 240
; IeeeMode: 1
; LDSByteSize: 0 bytes/workgroup (compile time only)
; SGPRBlocks: 0
; VGPRBlocks: 0
; NumSGPRsForWavesPerEU: 6
; NumVGPRsForWavesPerEU: 1
; AccumOffset: 4
; Occupancy: 8
; WaveLimiterHint : 0
; COMPUTE_PGM_RSRC2:SCRATCH_EN: 0
; COMPUTE_PGM_RSRC2:USER_SGPR: 2
; COMPUTE_PGM_RSRC2:TRAP_HANDLER: 0
; COMPUTE_PGM_RSRC2:TGID_X_EN: 1
; COMPUTE_PGM_RSRC2:TGID_Y_EN: 0
; COMPUTE_PGM_RSRC2:TGID_Z_EN: 0
; COMPUTE_PGM_RSRC2:TIDIG_COMP_CNT: 0
; COMPUTE_PGM_RSRC3_GFX90A:ACCUM_OFFSET: 0
; COMPUTE_PGM_RSRC3_GFX90A:TG_SPLIT: 0
	.section	.text._ZN7rocprim17ROCPRIM_400000_NS6detail17trampoline_kernelINS0_14default_configENS1_37merge_sort_block_sort_config_selectorIN6thrust23THRUST_200600_302600_NS4pairIiiEENS0_10empty_typeEEEZNS1_21merge_sort_block_sortIS3_NS6_6detail15normal_iteratorINS6_10device_ptrIS8_EEEESG_PS9_SH_NS6_4lessIS8_EEEE10hipError_tT0_T1_T2_T3_mRjT4_P12ihipStream_tbNS1_7vsmem_tEEUlT_E_NS1_11comp_targetILNS1_3genE4ELNS1_11target_archE910ELNS1_3gpuE8ELNS1_3repE0EEENS1_30default_config_static_selectorELNS0_4arch9wavefront6targetE1EEEvSM_,"axG",@progbits,_ZN7rocprim17ROCPRIM_400000_NS6detail17trampoline_kernelINS0_14default_configENS1_37merge_sort_block_sort_config_selectorIN6thrust23THRUST_200600_302600_NS4pairIiiEENS0_10empty_typeEEEZNS1_21merge_sort_block_sortIS3_NS6_6detail15normal_iteratorINS6_10device_ptrIS8_EEEESG_PS9_SH_NS6_4lessIS8_EEEE10hipError_tT0_T1_T2_T3_mRjT4_P12ihipStream_tbNS1_7vsmem_tEEUlT_E_NS1_11comp_targetILNS1_3genE4ELNS1_11target_archE910ELNS1_3gpuE8ELNS1_3repE0EEENS1_30default_config_static_selectorELNS0_4arch9wavefront6targetE1EEEvSM_,comdat
	.protected	_ZN7rocprim17ROCPRIM_400000_NS6detail17trampoline_kernelINS0_14default_configENS1_37merge_sort_block_sort_config_selectorIN6thrust23THRUST_200600_302600_NS4pairIiiEENS0_10empty_typeEEEZNS1_21merge_sort_block_sortIS3_NS6_6detail15normal_iteratorINS6_10device_ptrIS8_EEEESG_PS9_SH_NS6_4lessIS8_EEEE10hipError_tT0_T1_T2_T3_mRjT4_P12ihipStream_tbNS1_7vsmem_tEEUlT_E_NS1_11comp_targetILNS1_3genE4ELNS1_11target_archE910ELNS1_3gpuE8ELNS1_3repE0EEENS1_30default_config_static_selectorELNS0_4arch9wavefront6targetE1EEEvSM_ ; -- Begin function _ZN7rocprim17ROCPRIM_400000_NS6detail17trampoline_kernelINS0_14default_configENS1_37merge_sort_block_sort_config_selectorIN6thrust23THRUST_200600_302600_NS4pairIiiEENS0_10empty_typeEEEZNS1_21merge_sort_block_sortIS3_NS6_6detail15normal_iteratorINS6_10device_ptrIS8_EEEESG_PS9_SH_NS6_4lessIS8_EEEE10hipError_tT0_T1_T2_T3_mRjT4_P12ihipStream_tbNS1_7vsmem_tEEUlT_E_NS1_11comp_targetILNS1_3genE4ELNS1_11target_archE910ELNS1_3gpuE8ELNS1_3repE0EEENS1_30default_config_static_selectorELNS0_4arch9wavefront6targetE1EEEvSM_
	.globl	_ZN7rocprim17ROCPRIM_400000_NS6detail17trampoline_kernelINS0_14default_configENS1_37merge_sort_block_sort_config_selectorIN6thrust23THRUST_200600_302600_NS4pairIiiEENS0_10empty_typeEEEZNS1_21merge_sort_block_sortIS3_NS6_6detail15normal_iteratorINS6_10device_ptrIS8_EEEESG_PS9_SH_NS6_4lessIS8_EEEE10hipError_tT0_T1_T2_T3_mRjT4_P12ihipStream_tbNS1_7vsmem_tEEUlT_E_NS1_11comp_targetILNS1_3genE4ELNS1_11target_archE910ELNS1_3gpuE8ELNS1_3repE0EEENS1_30default_config_static_selectorELNS0_4arch9wavefront6targetE1EEEvSM_
	.p2align	8
	.type	_ZN7rocprim17ROCPRIM_400000_NS6detail17trampoline_kernelINS0_14default_configENS1_37merge_sort_block_sort_config_selectorIN6thrust23THRUST_200600_302600_NS4pairIiiEENS0_10empty_typeEEEZNS1_21merge_sort_block_sortIS3_NS6_6detail15normal_iteratorINS6_10device_ptrIS8_EEEESG_PS9_SH_NS6_4lessIS8_EEEE10hipError_tT0_T1_T2_T3_mRjT4_P12ihipStream_tbNS1_7vsmem_tEEUlT_E_NS1_11comp_targetILNS1_3genE4ELNS1_11target_archE910ELNS1_3gpuE8ELNS1_3repE0EEENS1_30default_config_static_selectorELNS0_4arch9wavefront6targetE1EEEvSM_,@function
_ZN7rocprim17ROCPRIM_400000_NS6detail17trampoline_kernelINS0_14default_configENS1_37merge_sort_block_sort_config_selectorIN6thrust23THRUST_200600_302600_NS4pairIiiEENS0_10empty_typeEEEZNS1_21merge_sort_block_sortIS3_NS6_6detail15normal_iteratorINS6_10device_ptrIS8_EEEESG_PS9_SH_NS6_4lessIS8_EEEE10hipError_tT0_T1_T2_T3_mRjT4_P12ihipStream_tbNS1_7vsmem_tEEUlT_E_NS1_11comp_targetILNS1_3genE4ELNS1_11target_archE910ELNS1_3gpuE8ELNS1_3repE0EEENS1_30default_config_static_selectorELNS0_4arch9wavefront6targetE1EEEvSM_: ; @_ZN7rocprim17ROCPRIM_400000_NS6detail17trampoline_kernelINS0_14default_configENS1_37merge_sort_block_sort_config_selectorIN6thrust23THRUST_200600_302600_NS4pairIiiEENS0_10empty_typeEEEZNS1_21merge_sort_block_sortIS3_NS6_6detail15normal_iteratorINS6_10device_ptrIS8_EEEESG_PS9_SH_NS6_4lessIS8_EEEE10hipError_tT0_T1_T2_T3_mRjT4_P12ihipStream_tbNS1_7vsmem_tEEUlT_E_NS1_11comp_targetILNS1_3genE4ELNS1_11target_archE910ELNS1_3gpuE8ELNS1_3repE0EEENS1_30default_config_static_selectorELNS0_4arch9wavefront6targetE1EEEvSM_
; %bb.0:
	.section	.rodata,"a",@progbits
	.p2align	6, 0x0
	.amdhsa_kernel _ZN7rocprim17ROCPRIM_400000_NS6detail17trampoline_kernelINS0_14default_configENS1_37merge_sort_block_sort_config_selectorIN6thrust23THRUST_200600_302600_NS4pairIiiEENS0_10empty_typeEEEZNS1_21merge_sort_block_sortIS3_NS6_6detail15normal_iteratorINS6_10device_ptrIS8_EEEESG_PS9_SH_NS6_4lessIS8_EEEE10hipError_tT0_T1_T2_T3_mRjT4_P12ihipStream_tbNS1_7vsmem_tEEUlT_E_NS1_11comp_targetILNS1_3genE4ELNS1_11target_archE910ELNS1_3gpuE8ELNS1_3repE0EEENS1_30default_config_static_selectorELNS0_4arch9wavefront6targetE1EEEvSM_
		.amdhsa_group_segment_fixed_size 0
		.amdhsa_private_segment_fixed_size 0
		.amdhsa_kernarg_size 64
		.amdhsa_user_sgpr_count 2
		.amdhsa_user_sgpr_dispatch_ptr 0
		.amdhsa_user_sgpr_queue_ptr 0
		.amdhsa_user_sgpr_kernarg_segment_ptr 1
		.amdhsa_user_sgpr_dispatch_id 0
		.amdhsa_user_sgpr_kernarg_preload_length 0
		.amdhsa_user_sgpr_kernarg_preload_offset 0
		.amdhsa_user_sgpr_private_segment_size 0
		.amdhsa_uses_dynamic_stack 0
		.amdhsa_enable_private_segment 0
		.amdhsa_system_sgpr_workgroup_id_x 1
		.amdhsa_system_sgpr_workgroup_id_y 0
		.amdhsa_system_sgpr_workgroup_id_z 0
		.amdhsa_system_sgpr_workgroup_info 0
		.amdhsa_system_vgpr_workitem_id 0
		.amdhsa_next_free_vgpr 1
		.amdhsa_next_free_sgpr 0
		.amdhsa_accum_offset 4
		.amdhsa_reserve_vcc 0
		.amdhsa_float_round_mode_32 0
		.amdhsa_float_round_mode_16_64 0
		.amdhsa_float_denorm_mode_32 3
		.amdhsa_float_denorm_mode_16_64 3
		.amdhsa_dx10_clamp 1
		.amdhsa_ieee_mode 1
		.amdhsa_fp16_overflow 0
		.amdhsa_tg_split 0
		.amdhsa_exception_fp_ieee_invalid_op 0
		.amdhsa_exception_fp_denorm_src 0
		.amdhsa_exception_fp_ieee_div_zero 0
		.amdhsa_exception_fp_ieee_overflow 0
		.amdhsa_exception_fp_ieee_underflow 0
		.amdhsa_exception_fp_ieee_inexact 0
		.amdhsa_exception_int_div_zero 0
	.end_amdhsa_kernel
	.section	.text._ZN7rocprim17ROCPRIM_400000_NS6detail17trampoline_kernelINS0_14default_configENS1_37merge_sort_block_sort_config_selectorIN6thrust23THRUST_200600_302600_NS4pairIiiEENS0_10empty_typeEEEZNS1_21merge_sort_block_sortIS3_NS6_6detail15normal_iteratorINS6_10device_ptrIS8_EEEESG_PS9_SH_NS6_4lessIS8_EEEE10hipError_tT0_T1_T2_T3_mRjT4_P12ihipStream_tbNS1_7vsmem_tEEUlT_E_NS1_11comp_targetILNS1_3genE4ELNS1_11target_archE910ELNS1_3gpuE8ELNS1_3repE0EEENS1_30default_config_static_selectorELNS0_4arch9wavefront6targetE1EEEvSM_,"axG",@progbits,_ZN7rocprim17ROCPRIM_400000_NS6detail17trampoline_kernelINS0_14default_configENS1_37merge_sort_block_sort_config_selectorIN6thrust23THRUST_200600_302600_NS4pairIiiEENS0_10empty_typeEEEZNS1_21merge_sort_block_sortIS3_NS6_6detail15normal_iteratorINS6_10device_ptrIS8_EEEESG_PS9_SH_NS6_4lessIS8_EEEE10hipError_tT0_T1_T2_T3_mRjT4_P12ihipStream_tbNS1_7vsmem_tEEUlT_E_NS1_11comp_targetILNS1_3genE4ELNS1_11target_archE910ELNS1_3gpuE8ELNS1_3repE0EEENS1_30default_config_static_selectorELNS0_4arch9wavefront6targetE1EEEvSM_,comdat
.Lfunc_end626:
	.size	_ZN7rocprim17ROCPRIM_400000_NS6detail17trampoline_kernelINS0_14default_configENS1_37merge_sort_block_sort_config_selectorIN6thrust23THRUST_200600_302600_NS4pairIiiEENS0_10empty_typeEEEZNS1_21merge_sort_block_sortIS3_NS6_6detail15normal_iteratorINS6_10device_ptrIS8_EEEESG_PS9_SH_NS6_4lessIS8_EEEE10hipError_tT0_T1_T2_T3_mRjT4_P12ihipStream_tbNS1_7vsmem_tEEUlT_E_NS1_11comp_targetILNS1_3genE4ELNS1_11target_archE910ELNS1_3gpuE8ELNS1_3repE0EEENS1_30default_config_static_selectorELNS0_4arch9wavefront6targetE1EEEvSM_, .Lfunc_end626-_ZN7rocprim17ROCPRIM_400000_NS6detail17trampoline_kernelINS0_14default_configENS1_37merge_sort_block_sort_config_selectorIN6thrust23THRUST_200600_302600_NS4pairIiiEENS0_10empty_typeEEEZNS1_21merge_sort_block_sortIS3_NS6_6detail15normal_iteratorINS6_10device_ptrIS8_EEEESG_PS9_SH_NS6_4lessIS8_EEEE10hipError_tT0_T1_T2_T3_mRjT4_P12ihipStream_tbNS1_7vsmem_tEEUlT_E_NS1_11comp_targetILNS1_3genE4ELNS1_11target_archE910ELNS1_3gpuE8ELNS1_3repE0EEENS1_30default_config_static_selectorELNS0_4arch9wavefront6targetE1EEEvSM_
                                        ; -- End function
	.set _ZN7rocprim17ROCPRIM_400000_NS6detail17trampoline_kernelINS0_14default_configENS1_37merge_sort_block_sort_config_selectorIN6thrust23THRUST_200600_302600_NS4pairIiiEENS0_10empty_typeEEEZNS1_21merge_sort_block_sortIS3_NS6_6detail15normal_iteratorINS6_10device_ptrIS8_EEEESG_PS9_SH_NS6_4lessIS8_EEEE10hipError_tT0_T1_T2_T3_mRjT4_P12ihipStream_tbNS1_7vsmem_tEEUlT_E_NS1_11comp_targetILNS1_3genE4ELNS1_11target_archE910ELNS1_3gpuE8ELNS1_3repE0EEENS1_30default_config_static_selectorELNS0_4arch9wavefront6targetE1EEEvSM_.num_vgpr, 0
	.set _ZN7rocprim17ROCPRIM_400000_NS6detail17trampoline_kernelINS0_14default_configENS1_37merge_sort_block_sort_config_selectorIN6thrust23THRUST_200600_302600_NS4pairIiiEENS0_10empty_typeEEEZNS1_21merge_sort_block_sortIS3_NS6_6detail15normal_iteratorINS6_10device_ptrIS8_EEEESG_PS9_SH_NS6_4lessIS8_EEEE10hipError_tT0_T1_T2_T3_mRjT4_P12ihipStream_tbNS1_7vsmem_tEEUlT_E_NS1_11comp_targetILNS1_3genE4ELNS1_11target_archE910ELNS1_3gpuE8ELNS1_3repE0EEENS1_30default_config_static_selectorELNS0_4arch9wavefront6targetE1EEEvSM_.num_agpr, 0
	.set _ZN7rocprim17ROCPRIM_400000_NS6detail17trampoline_kernelINS0_14default_configENS1_37merge_sort_block_sort_config_selectorIN6thrust23THRUST_200600_302600_NS4pairIiiEENS0_10empty_typeEEEZNS1_21merge_sort_block_sortIS3_NS6_6detail15normal_iteratorINS6_10device_ptrIS8_EEEESG_PS9_SH_NS6_4lessIS8_EEEE10hipError_tT0_T1_T2_T3_mRjT4_P12ihipStream_tbNS1_7vsmem_tEEUlT_E_NS1_11comp_targetILNS1_3genE4ELNS1_11target_archE910ELNS1_3gpuE8ELNS1_3repE0EEENS1_30default_config_static_selectorELNS0_4arch9wavefront6targetE1EEEvSM_.numbered_sgpr, 0
	.set _ZN7rocprim17ROCPRIM_400000_NS6detail17trampoline_kernelINS0_14default_configENS1_37merge_sort_block_sort_config_selectorIN6thrust23THRUST_200600_302600_NS4pairIiiEENS0_10empty_typeEEEZNS1_21merge_sort_block_sortIS3_NS6_6detail15normal_iteratorINS6_10device_ptrIS8_EEEESG_PS9_SH_NS6_4lessIS8_EEEE10hipError_tT0_T1_T2_T3_mRjT4_P12ihipStream_tbNS1_7vsmem_tEEUlT_E_NS1_11comp_targetILNS1_3genE4ELNS1_11target_archE910ELNS1_3gpuE8ELNS1_3repE0EEENS1_30default_config_static_selectorELNS0_4arch9wavefront6targetE1EEEvSM_.num_named_barrier, 0
	.set _ZN7rocprim17ROCPRIM_400000_NS6detail17trampoline_kernelINS0_14default_configENS1_37merge_sort_block_sort_config_selectorIN6thrust23THRUST_200600_302600_NS4pairIiiEENS0_10empty_typeEEEZNS1_21merge_sort_block_sortIS3_NS6_6detail15normal_iteratorINS6_10device_ptrIS8_EEEESG_PS9_SH_NS6_4lessIS8_EEEE10hipError_tT0_T1_T2_T3_mRjT4_P12ihipStream_tbNS1_7vsmem_tEEUlT_E_NS1_11comp_targetILNS1_3genE4ELNS1_11target_archE910ELNS1_3gpuE8ELNS1_3repE0EEENS1_30default_config_static_selectorELNS0_4arch9wavefront6targetE1EEEvSM_.private_seg_size, 0
	.set _ZN7rocprim17ROCPRIM_400000_NS6detail17trampoline_kernelINS0_14default_configENS1_37merge_sort_block_sort_config_selectorIN6thrust23THRUST_200600_302600_NS4pairIiiEENS0_10empty_typeEEEZNS1_21merge_sort_block_sortIS3_NS6_6detail15normal_iteratorINS6_10device_ptrIS8_EEEESG_PS9_SH_NS6_4lessIS8_EEEE10hipError_tT0_T1_T2_T3_mRjT4_P12ihipStream_tbNS1_7vsmem_tEEUlT_E_NS1_11comp_targetILNS1_3genE4ELNS1_11target_archE910ELNS1_3gpuE8ELNS1_3repE0EEENS1_30default_config_static_selectorELNS0_4arch9wavefront6targetE1EEEvSM_.uses_vcc, 0
	.set _ZN7rocprim17ROCPRIM_400000_NS6detail17trampoline_kernelINS0_14default_configENS1_37merge_sort_block_sort_config_selectorIN6thrust23THRUST_200600_302600_NS4pairIiiEENS0_10empty_typeEEEZNS1_21merge_sort_block_sortIS3_NS6_6detail15normal_iteratorINS6_10device_ptrIS8_EEEESG_PS9_SH_NS6_4lessIS8_EEEE10hipError_tT0_T1_T2_T3_mRjT4_P12ihipStream_tbNS1_7vsmem_tEEUlT_E_NS1_11comp_targetILNS1_3genE4ELNS1_11target_archE910ELNS1_3gpuE8ELNS1_3repE0EEENS1_30default_config_static_selectorELNS0_4arch9wavefront6targetE1EEEvSM_.uses_flat_scratch, 0
	.set _ZN7rocprim17ROCPRIM_400000_NS6detail17trampoline_kernelINS0_14default_configENS1_37merge_sort_block_sort_config_selectorIN6thrust23THRUST_200600_302600_NS4pairIiiEENS0_10empty_typeEEEZNS1_21merge_sort_block_sortIS3_NS6_6detail15normal_iteratorINS6_10device_ptrIS8_EEEESG_PS9_SH_NS6_4lessIS8_EEEE10hipError_tT0_T1_T2_T3_mRjT4_P12ihipStream_tbNS1_7vsmem_tEEUlT_E_NS1_11comp_targetILNS1_3genE4ELNS1_11target_archE910ELNS1_3gpuE8ELNS1_3repE0EEENS1_30default_config_static_selectorELNS0_4arch9wavefront6targetE1EEEvSM_.has_dyn_sized_stack, 0
	.set _ZN7rocprim17ROCPRIM_400000_NS6detail17trampoline_kernelINS0_14default_configENS1_37merge_sort_block_sort_config_selectorIN6thrust23THRUST_200600_302600_NS4pairIiiEENS0_10empty_typeEEEZNS1_21merge_sort_block_sortIS3_NS6_6detail15normal_iteratorINS6_10device_ptrIS8_EEEESG_PS9_SH_NS6_4lessIS8_EEEE10hipError_tT0_T1_T2_T3_mRjT4_P12ihipStream_tbNS1_7vsmem_tEEUlT_E_NS1_11comp_targetILNS1_3genE4ELNS1_11target_archE910ELNS1_3gpuE8ELNS1_3repE0EEENS1_30default_config_static_selectorELNS0_4arch9wavefront6targetE1EEEvSM_.has_recursion, 0
	.set _ZN7rocprim17ROCPRIM_400000_NS6detail17trampoline_kernelINS0_14default_configENS1_37merge_sort_block_sort_config_selectorIN6thrust23THRUST_200600_302600_NS4pairIiiEENS0_10empty_typeEEEZNS1_21merge_sort_block_sortIS3_NS6_6detail15normal_iteratorINS6_10device_ptrIS8_EEEESG_PS9_SH_NS6_4lessIS8_EEEE10hipError_tT0_T1_T2_T3_mRjT4_P12ihipStream_tbNS1_7vsmem_tEEUlT_E_NS1_11comp_targetILNS1_3genE4ELNS1_11target_archE910ELNS1_3gpuE8ELNS1_3repE0EEENS1_30default_config_static_selectorELNS0_4arch9wavefront6targetE1EEEvSM_.has_indirect_call, 0
	.section	.AMDGPU.csdata,"",@progbits
; Kernel info:
; codeLenInByte = 0
; TotalNumSgprs: 6
; NumVgprs: 0
; NumAgprs: 0
; TotalNumVgprs: 0
; ScratchSize: 0
; MemoryBound: 0
; FloatMode: 240
; IeeeMode: 1
; LDSByteSize: 0 bytes/workgroup (compile time only)
; SGPRBlocks: 0
; VGPRBlocks: 0
; NumSGPRsForWavesPerEU: 6
; NumVGPRsForWavesPerEU: 1
; AccumOffset: 4
; Occupancy: 8
; WaveLimiterHint : 0
; COMPUTE_PGM_RSRC2:SCRATCH_EN: 0
; COMPUTE_PGM_RSRC2:USER_SGPR: 2
; COMPUTE_PGM_RSRC2:TRAP_HANDLER: 0
; COMPUTE_PGM_RSRC2:TGID_X_EN: 1
; COMPUTE_PGM_RSRC2:TGID_Y_EN: 0
; COMPUTE_PGM_RSRC2:TGID_Z_EN: 0
; COMPUTE_PGM_RSRC2:TIDIG_COMP_CNT: 0
; COMPUTE_PGM_RSRC3_GFX90A:ACCUM_OFFSET: 0
; COMPUTE_PGM_RSRC3_GFX90A:TG_SPLIT: 0
	.section	.text._ZN7rocprim17ROCPRIM_400000_NS6detail17trampoline_kernelINS0_14default_configENS1_37merge_sort_block_sort_config_selectorIN6thrust23THRUST_200600_302600_NS4pairIiiEENS0_10empty_typeEEEZNS1_21merge_sort_block_sortIS3_NS6_6detail15normal_iteratorINS6_10device_ptrIS8_EEEESG_PS9_SH_NS6_4lessIS8_EEEE10hipError_tT0_T1_T2_T3_mRjT4_P12ihipStream_tbNS1_7vsmem_tEEUlT_E_NS1_11comp_targetILNS1_3genE3ELNS1_11target_archE908ELNS1_3gpuE7ELNS1_3repE0EEENS1_30default_config_static_selectorELNS0_4arch9wavefront6targetE1EEEvSM_,"axG",@progbits,_ZN7rocprim17ROCPRIM_400000_NS6detail17trampoline_kernelINS0_14default_configENS1_37merge_sort_block_sort_config_selectorIN6thrust23THRUST_200600_302600_NS4pairIiiEENS0_10empty_typeEEEZNS1_21merge_sort_block_sortIS3_NS6_6detail15normal_iteratorINS6_10device_ptrIS8_EEEESG_PS9_SH_NS6_4lessIS8_EEEE10hipError_tT0_T1_T2_T3_mRjT4_P12ihipStream_tbNS1_7vsmem_tEEUlT_E_NS1_11comp_targetILNS1_3genE3ELNS1_11target_archE908ELNS1_3gpuE7ELNS1_3repE0EEENS1_30default_config_static_selectorELNS0_4arch9wavefront6targetE1EEEvSM_,comdat
	.protected	_ZN7rocprim17ROCPRIM_400000_NS6detail17trampoline_kernelINS0_14default_configENS1_37merge_sort_block_sort_config_selectorIN6thrust23THRUST_200600_302600_NS4pairIiiEENS0_10empty_typeEEEZNS1_21merge_sort_block_sortIS3_NS6_6detail15normal_iteratorINS6_10device_ptrIS8_EEEESG_PS9_SH_NS6_4lessIS8_EEEE10hipError_tT0_T1_T2_T3_mRjT4_P12ihipStream_tbNS1_7vsmem_tEEUlT_E_NS1_11comp_targetILNS1_3genE3ELNS1_11target_archE908ELNS1_3gpuE7ELNS1_3repE0EEENS1_30default_config_static_selectorELNS0_4arch9wavefront6targetE1EEEvSM_ ; -- Begin function _ZN7rocprim17ROCPRIM_400000_NS6detail17trampoline_kernelINS0_14default_configENS1_37merge_sort_block_sort_config_selectorIN6thrust23THRUST_200600_302600_NS4pairIiiEENS0_10empty_typeEEEZNS1_21merge_sort_block_sortIS3_NS6_6detail15normal_iteratorINS6_10device_ptrIS8_EEEESG_PS9_SH_NS6_4lessIS8_EEEE10hipError_tT0_T1_T2_T3_mRjT4_P12ihipStream_tbNS1_7vsmem_tEEUlT_E_NS1_11comp_targetILNS1_3genE3ELNS1_11target_archE908ELNS1_3gpuE7ELNS1_3repE0EEENS1_30default_config_static_selectorELNS0_4arch9wavefront6targetE1EEEvSM_
	.globl	_ZN7rocprim17ROCPRIM_400000_NS6detail17trampoline_kernelINS0_14default_configENS1_37merge_sort_block_sort_config_selectorIN6thrust23THRUST_200600_302600_NS4pairIiiEENS0_10empty_typeEEEZNS1_21merge_sort_block_sortIS3_NS6_6detail15normal_iteratorINS6_10device_ptrIS8_EEEESG_PS9_SH_NS6_4lessIS8_EEEE10hipError_tT0_T1_T2_T3_mRjT4_P12ihipStream_tbNS1_7vsmem_tEEUlT_E_NS1_11comp_targetILNS1_3genE3ELNS1_11target_archE908ELNS1_3gpuE7ELNS1_3repE0EEENS1_30default_config_static_selectorELNS0_4arch9wavefront6targetE1EEEvSM_
	.p2align	8
	.type	_ZN7rocprim17ROCPRIM_400000_NS6detail17trampoline_kernelINS0_14default_configENS1_37merge_sort_block_sort_config_selectorIN6thrust23THRUST_200600_302600_NS4pairIiiEENS0_10empty_typeEEEZNS1_21merge_sort_block_sortIS3_NS6_6detail15normal_iteratorINS6_10device_ptrIS8_EEEESG_PS9_SH_NS6_4lessIS8_EEEE10hipError_tT0_T1_T2_T3_mRjT4_P12ihipStream_tbNS1_7vsmem_tEEUlT_E_NS1_11comp_targetILNS1_3genE3ELNS1_11target_archE908ELNS1_3gpuE7ELNS1_3repE0EEENS1_30default_config_static_selectorELNS0_4arch9wavefront6targetE1EEEvSM_,@function
_ZN7rocprim17ROCPRIM_400000_NS6detail17trampoline_kernelINS0_14default_configENS1_37merge_sort_block_sort_config_selectorIN6thrust23THRUST_200600_302600_NS4pairIiiEENS0_10empty_typeEEEZNS1_21merge_sort_block_sortIS3_NS6_6detail15normal_iteratorINS6_10device_ptrIS8_EEEESG_PS9_SH_NS6_4lessIS8_EEEE10hipError_tT0_T1_T2_T3_mRjT4_P12ihipStream_tbNS1_7vsmem_tEEUlT_E_NS1_11comp_targetILNS1_3genE3ELNS1_11target_archE908ELNS1_3gpuE7ELNS1_3repE0EEENS1_30default_config_static_selectorELNS0_4arch9wavefront6targetE1EEEvSM_: ; @_ZN7rocprim17ROCPRIM_400000_NS6detail17trampoline_kernelINS0_14default_configENS1_37merge_sort_block_sort_config_selectorIN6thrust23THRUST_200600_302600_NS4pairIiiEENS0_10empty_typeEEEZNS1_21merge_sort_block_sortIS3_NS6_6detail15normal_iteratorINS6_10device_ptrIS8_EEEESG_PS9_SH_NS6_4lessIS8_EEEE10hipError_tT0_T1_T2_T3_mRjT4_P12ihipStream_tbNS1_7vsmem_tEEUlT_E_NS1_11comp_targetILNS1_3genE3ELNS1_11target_archE908ELNS1_3gpuE7ELNS1_3repE0EEENS1_30default_config_static_selectorELNS0_4arch9wavefront6targetE1EEEvSM_
; %bb.0:
	.section	.rodata,"a",@progbits
	.p2align	6, 0x0
	.amdhsa_kernel _ZN7rocprim17ROCPRIM_400000_NS6detail17trampoline_kernelINS0_14default_configENS1_37merge_sort_block_sort_config_selectorIN6thrust23THRUST_200600_302600_NS4pairIiiEENS0_10empty_typeEEEZNS1_21merge_sort_block_sortIS3_NS6_6detail15normal_iteratorINS6_10device_ptrIS8_EEEESG_PS9_SH_NS6_4lessIS8_EEEE10hipError_tT0_T1_T2_T3_mRjT4_P12ihipStream_tbNS1_7vsmem_tEEUlT_E_NS1_11comp_targetILNS1_3genE3ELNS1_11target_archE908ELNS1_3gpuE7ELNS1_3repE0EEENS1_30default_config_static_selectorELNS0_4arch9wavefront6targetE1EEEvSM_
		.amdhsa_group_segment_fixed_size 0
		.amdhsa_private_segment_fixed_size 0
		.amdhsa_kernarg_size 64
		.amdhsa_user_sgpr_count 2
		.amdhsa_user_sgpr_dispatch_ptr 0
		.amdhsa_user_sgpr_queue_ptr 0
		.amdhsa_user_sgpr_kernarg_segment_ptr 1
		.amdhsa_user_sgpr_dispatch_id 0
		.amdhsa_user_sgpr_kernarg_preload_length 0
		.amdhsa_user_sgpr_kernarg_preload_offset 0
		.amdhsa_user_sgpr_private_segment_size 0
		.amdhsa_uses_dynamic_stack 0
		.amdhsa_enable_private_segment 0
		.amdhsa_system_sgpr_workgroup_id_x 1
		.amdhsa_system_sgpr_workgroup_id_y 0
		.amdhsa_system_sgpr_workgroup_id_z 0
		.amdhsa_system_sgpr_workgroup_info 0
		.amdhsa_system_vgpr_workitem_id 0
		.amdhsa_next_free_vgpr 1
		.amdhsa_next_free_sgpr 0
		.amdhsa_accum_offset 4
		.amdhsa_reserve_vcc 0
		.amdhsa_float_round_mode_32 0
		.amdhsa_float_round_mode_16_64 0
		.amdhsa_float_denorm_mode_32 3
		.amdhsa_float_denorm_mode_16_64 3
		.amdhsa_dx10_clamp 1
		.amdhsa_ieee_mode 1
		.amdhsa_fp16_overflow 0
		.amdhsa_tg_split 0
		.amdhsa_exception_fp_ieee_invalid_op 0
		.amdhsa_exception_fp_denorm_src 0
		.amdhsa_exception_fp_ieee_div_zero 0
		.amdhsa_exception_fp_ieee_overflow 0
		.amdhsa_exception_fp_ieee_underflow 0
		.amdhsa_exception_fp_ieee_inexact 0
		.amdhsa_exception_int_div_zero 0
	.end_amdhsa_kernel
	.section	.text._ZN7rocprim17ROCPRIM_400000_NS6detail17trampoline_kernelINS0_14default_configENS1_37merge_sort_block_sort_config_selectorIN6thrust23THRUST_200600_302600_NS4pairIiiEENS0_10empty_typeEEEZNS1_21merge_sort_block_sortIS3_NS6_6detail15normal_iteratorINS6_10device_ptrIS8_EEEESG_PS9_SH_NS6_4lessIS8_EEEE10hipError_tT0_T1_T2_T3_mRjT4_P12ihipStream_tbNS1_7vsmem_tEEUlT_E_NS1_11comp_targetILNS1_3genE3ELNS1_11target_archE908ELNS1_3gpuE7ELNS1_3repE0EEENS1_30default_config_static_selectorELNS0_4arch9wavefront6targetE1EEEvSM_,"axG",@progbits,_ZN7rocprim17ROCPRIM_400000_NS6detail17trampoline_kernelINS0_14default_configENS1_37merge_sort_block_sort_config_selectorIN6thrust23THRUST_200600_302600_NS4pairIiiEENS0_10empty_typeEEEZNS1_21merge_sort_block_sortIS3_NS6_6detail15normal_iteratorINS6_10device_ptrIS8_EEEESG_PS9_SH_NS6_4lessIS8_EEEE10hipError_tT0_T1_T2_T3_mRjT4_P12ihipStream_tbNS1_7vsmem_tEEUlT_E_NS1_11comp_targetILNS1_3genE3ELNS1_11target_archE908ELNS1_3gpuE7ELNS1_3repE0EEENS1_30default_config_static_selectorELNS0_4arch9wavefront6targetE1EEEvSM_,comdat
.Lfunc_end627:
	.size	_ZN7rocprim17ROCPRIM_400000_NS6detail17trampoline_kernelINS0_14default_configENS1_37merge_sort_block_sort_config_selectorIN6thrust23THRUST_200600_302600_NS4pairIiiEENS0_10empty_typeEEEZNS1_21merge_sort_block_sortIS3_NS6_6detail15normal_iteratorINS6_10device_ptrIS8_EEEESG_PS9_SH_NS6_4lessIS8_EEEE10hipError_tT0_T1_T2_T3_mRjT4_P12ihipStream_tbNS1_7vsmem_tEEUlT_E_NS1_11comp_targetILNS1_3genE3ELNS1_11target_archE908ELNS1_3gpuE7ELNS1_3repE0EEENS1_30default_config_static_selectorELNS0_4arch9wavefront6targetE1EEEvSM_, .Lfunc_end627-_ZN7rocprim17ROCPRIM_400000_NS6detail17trampoline_kernelINS0_14default_configENS1_37merge_sort_block_sort_config_selectorIN6thrust23THRUST_200600_302600_NS4pairIiiEENS0_10empty_typeEEEZNS1_21merge_sort_block_sortIS3_NS6_6detail15normal_iteratorINS6_10device_ptrIS8_EEEESG_PS9_SH_NS6_4lessIS8_EEEE10hipError_tT0_T1_T2_T3_mRjT4_P12ihipStream_tbNS1_7vsmem_tEEUlT_E_NS1_11comp_targetILNS1_3genE3ELNS1_11target_archE908ELNS1_3gpuE7ELNS1_3repE0EEENS1_30default_config_static_selectorELNS0_4arch9wavefront6targetE1EEEvSM_
                                        ; -- End function
	.set _ZN7rocprim17ROCPRIM_400000_NS6detail17trampoline_kernelINS0_14default_configENS1_37merge_sort_block_sort_config_selectorIN6thrust23THRUST_200600_302600_NS4pairIiiEENS0_10empty_typeEEEZNS1_21merge_sort_block_sortIS3_NS6_6detail15normal_iteratorINS6_10device_ptrIS8_EEEESG_PS9_SH_NS6_4lessIS8_EEEE10hipError_tT0_T1_T2_T3_mRjT4_P12ihipStream_tbNS1_7vsmem_tEEUlT_E_NS1_11comp_targetILNS1_3genE3ELNS1_11target_archE908ELNS1_3gpuE7ELNS1_3repE0EEENS1_30default_config_static_selectorELNS0_4arch9wavefront6targetE1EEEvSM_.num_vgpr, 0
	.set _ZN7rocprim17ROCPRIM_400000_NS6detail17trampoline_kernelINS0_14default_configENS1_37merge_sort_block_sort_config_selectorIN6thrust23THRUST_200600_302600_NS4pairIiiEENS0_10empty_typeEEEZNS1_21merge_sort_block_sortIS3_NS6_6detail15normal_iteratorINS6_10device_ptrIS8_EEEESG_PS9_SH_NS6_4lessIS8_EEEE10hipError_tT0_T1_T2_T3_mRjT4_P12ihipStream_tbNS1_7vsmem_tEEUlT_E_NS1_11comp_targetILNS1_3genE3ELNS1_11target_archE908ELNS1_3gpuE7ELNS1_3repE0EEENS1_30default_config_static_selectorELNS0_4arch9wavefront6targetE1EEEvSM_.num_agpr, 0
	.set _ZN7rocprim17ROCPRIM_400000_NS6detail17trampoline_kernelINS0_14default_configENS1_37merge_sort_block_sort_config_selectorIN6thrust23THRUST_200600_302600_NS4pairIiiEENS0_10empty_typeEEEZNS1_21merge_sort_block_sortIS3_NS6_6detail15normal_iteratorINS6_10device_ptrIS8_EEEESG_PS9_SH_NS6_4lessIS8_EEEE10hipError_tT0_T1_T2_T3_mRjT4_P12ihipStream_tbNS1_7vsmem_tEEUlT_E_NS1_11comp_targetILNS1_3genE3ELNS1_11target_archE908ELNS1_3gpuE7ELNS1_3repE0EEENS1_30default_config_static_selectorELNS0_4arch9wavefront6targetE1EEEvSM_.numbered_sgpr, 0
	.set _ZN7rocprim17ROCPRIM_400000_NS6detail17trampoline_kernelINS0_14default_configENS1_37merge_sort_block_sort_config_selectorIN6thrust23THRUST_200600_302600_NS4pairIiiEENS0_10empty_typeEEEZNS1_21merge_sort_block_sortIS3_NS6_6detail15normal_iteratorINS6_10device_ptrIS8_EEEESG_PS9_SH_NS6_4lessIS8_EEEE10hipError_tT0_T1_T2_T3_mRjT4_P12ihipStream_tbNS1_7vsmem_tEEUlT_E_NS1_11comp_targetILNS1_3genE3ELNS1_11target_archE908ELNS1_3gpuE7ELNS1_3repE0EEENS1_30default_config_static_selectorELNS0_4arch9wavefront6targetE1EEEvSM_.num_named_barrier, 0
	.set _ZN7rocprim17ROCPRIM_400000_NS6detail17trampoline_kernelINS0_14default_configENS1_37merge_sort_block_sort_config_selectorIN6thrust23THRUST_200600_302600_NS4pairIiiEENS0_10empty_typeEEEZNS1_21merge_sort_block_sortIS3_NS6_6detail15normal_iteratorINS6_10device_ptrIS8_EEEESG_PS9_SH_NS6_4lessIS8_EEEE10hipError_tT0_T1_T2_T3_mRjT4_P12ihipStream_tbNS1_7vsmem_tEEUlT_E_NS1_11comp_targetILNS1_3genE3ELNS1_11target_archE908ELNS1_3gpuE7ELNS1_3repE0EEENS1_30default_config_static_selectorELNS0_4arch9wavefront6targetE1EEEvSM_.private_seg_size, 0
	.set _ZN7rocprim17ROCPRIM_400000_NS6detail17trampoline_kernelINS0_14default_configENS1_37merge_sort_block_sort_config_selectorIN6thrust23THRUST_200600_302600_NS4pairIiiEENS0_10empty_typeEEEZNS1_21merge_sort_block_sortIS3_NS6_6detail15normal_iteratorINS6_10device_ptrIS8_EEEESG_PS9_SH_NS6_4lessIS8_EEEE10hipError_tT0_T1_T2_T3_mRjT4_P12ihipStream_tbNS1_7vsmem_tEEUlT_E_NS1_11comp_targetILNS1_3genE3ELNS1_11target_archE908ELNS1_3gpuE7ELNS1_3repE0EEENS1_30default_config_static_selectorELNS0_4arch9wavefront6targetE1EEEvSM_.uses_vcc, 0
	.set _ZN7rocprim17ROCPRIM_400000_NS6detail17trampoline_kernelINS0_14default_configENS1_37merge_sort_block_sort_config_selectorIN6thrust23THRUST_200600_302600_NS4pairIiiEENS0_10empty_typeEEEZNS1_21merge_sort_block_sortIS3_NS6_6detail15normal_iteratorINS6_10device_ptrIS8_EEEESG_PS9_SH_NS6_4lessIS8_EEEE10hipError_tT0_T1_T2_T3_mRjT4_P12ihipStream_tbNS1_7vsmem_tEEUlT_E_NS1_11comp_targetILNS1_3genE3ELNS1_11target_archE908ELNS1_3gpuE7ELNS1_3repE0EEENS1_30default_config_static_selectorELNS0_4arch9wavefront6targetE1EEEvSM_.uses_flat_scratch, 0
	.set _ZN7rocprim17ROCPRIM_400000_NS6detail17trampoline_kernelINS0_14default_configENS1_37merge_sort_block_sort_config_selectorIN6thrust23THRUST_200600_302600_NS4pairIiiEENS0_10empty_typeEEEZNS1_21merge_sort_block_sortIS3_NS6_6detail15normal_iteratorINS6_10device_ptrIS8_EEEESG_PS9_SH_NS6_4lessIS8_EEEE10hipError_tT0_T1_T2_T3_mRjT4_P12ihipStream_tbNS1_7vsmem_tEEUlT_E_NS1_11comp_targetILNS1_3genE3ELNS1_11target_archE908ELNS1_3gpuE7ELNS1_3repE0EEENS1_30default_config_static_selectorELNS0_4arch9wavefront6targetE1EEEvSM_.has_dyn_sized_stack, 0
	.set _ZN7rocprim17ROCPRIM_400000_NS6detail17trampoline_kernelINS0_14default_configENS1_37merge_sort_block_sort_config_selectorIN6thrust23THRUST_200600_302600_NS4pairIiiEENS0_10empty_typeEEEZNS1_21merge_sort_block_sortIS3_NS6_6detail15normal_iteratorINS6_10device_ptrIS8_EEEESG_PS9_SH_NS6_4lessIS8_EEEE10hipError_tT0_T1_T2_T3_mRjT4_P12ihipStream_tbNS1_7vsmem_tEEUlT_E_NS1_11comp_targetILNS1_3genE3ELNS1_11target_archE908ELNS1_3gpuE7ELNS1_3repE0EEENS1_30default_config_static_selectorELNS0_4arch9wavefront6targetE1EEEvSM_.has_recursion, 0
	.set _ZN7rocprim17ROCPRIM_400000_NS6detail17trampoline_kernelINS0_14default_configENS1_37merge_sort_block_sort_config_selectorIN6thrust23THRUST_200600_302600_NS4pairIiiEENS0_10empty_typeEEEZNS1_21merge_sort_block_sortIS3_NS6_6detail15normal_iteratorINS6_10device_ptrIS8_EEEESG_PS9_SH_NS6_4lessIS8_EEEE10hipError_tT0_T1_T2_T3_mRjT4_P12ihipStream_tbNS1_7vsmem_tEEUlT_E_NS1_11comp_targetILNS1_3genE3ELNS1_11target_archE908ELNS1_3gpuE7ELNS1_3repE0EEENS1_30default_config_static_selectorELNS0_4arch9wavefront6targetE1EEEvSM_.has_indirect_call, 0
	.section	.AMDGPU.csdata,"",@progbits
; Kernel info:
; codeLenInByte = 0
; TotalNumSgprs: 6
; NumVgprs: 0
; NumAgprs: 0
; TotalNumVgprs: 0
; ScratchSize: 0
; MemoryBound: 0
; FloatMode: 240
; IeeeMode: 1
; LDSByteSize: 0 bytes/workgroup (compile time only)
; SGPRBlocks: 0
; VGPRBlocks: 0
; NumSGPRsForWavesPerEU: 6
; NumVGPRsForWavesPerEU: 1
; AccumOffset: 4
; Occupancy: 8
; WaveLimiterHint : 0
; COMPUTE_PGM_RSRC2:SCRATCH_EN: 0
; COMPUTE_PGM_RSRC2:USER_SGPR: 2
; COMPUTE_PGM_RSRC2:TRAP_HANDLER: 0
; COMPUTE_PGM_RSRC2:TGID_X_EN: 1
; COMPUTE_PGM_RSRC2:TGID_Y_EN: 0
; COMPUTE_PGM_RSRC2:TGID_Z_EN: 0
; COMPUTE_PGM_RSRC2:TIDIG_COMP_CNT: 0
; COMPUTE_PGM_RSRC3_GFX90A:ACCUM_OFFSET: 0
; COMPUTE_PGM_RSRC3_GFX90A:TG_SPLIT: 0
	.section	.text._ZN7rocprim17ROCPRIM_400000_NS6detail17trampoline_kernelINS0_14default_configENS1_37merge_sort_block_sort_config_selectorIN6thrust23THRUST_200600_302600_NS4pairIiiEENS0_10empty_typeEEEZNS1_21merge_sort_block_sortIS3_NS6_6detail15normal_iteratorINS6_10device_ptrIS8_EEEESG_PS9_SH_NS6_4lessIS8_EEEE10hipError_tT0_T1_T2_T3_mRjT4_P12ihipStream_tbNS1_7vsmem_tEEUlT_E_NS1_11comp_targetILNS1_3genE2ELNS1_11target_archE906ELNS1_3gpuE6ELNS1_3repE0EEENS1_30default_config_static_selectorELNS0_4arch9wavefront6targetE1EEEvSM_,"axG",@progbits,_ZN7rocprim17ROCPRIM_400000_NS6detail17trampoline_kernelINS0_14default_configENS1_37merge_sort_block_sort_config_selectorIN6thrust23THRUST_200600_302600_NS4pairIiiEENS0_10empty_typeEEEZNS1_21merge_sort_block_sortIS3_NS6_6detail15normal_iteratorINS6_10device_ptrIS8_EEEESG_PS9_SH_NS6_4lessIS8_EEEE10hipError_tT0_T1_T2_T3_mRjT4_P12ihipStream_tbNS1_7vsmem_tEEUlT_E_NS1_11comp_targetILNS1_3genE2ELNS1_11target_archE906ELNS1_3gpuE6ELNS1_3repE0EEENS1_30default_config_static_selectorELNS0_4arch9wavefront6targetE1EEEvSM_,comdat
	.protected	_ZN7rocprim17ROCPRIM_400000_NS6detail17trampoline_kernelINS0_14default_configENS1_37merge_sort_block_sort_config_selectorIN6thrust23THRUST_200600_302600_NS4pairIiiEENS0_10empty_typeEEEZNS1_21merge_sort_block_sortIS3_NS6_6detail15normal_iteratorINS6_10device_ptrIS8_EEEESG_PS9_SH_NS6_4lessIS8_EEEE10hipError_tT0_T1_T2_T3_mRjT4_P12ihipStream_tbNS1_7vsmem_tEEUlT_E_NS1_11comp_targetILNS1_3genE2ELNS1_11target_archE906ELNS1_3gpuE6ELNS1_3repE0EEENS1_30default_config_static_selectorELNS0_4arch9wavefront6targetE1EEEvSM_ ; -- Begin function _ZN7rocprim17ROCPRIM_400000_NS6detail17trampoline_kernelINS0_14default_configENS1_37merge_sort_block_sort_config_selectorIN6thrust23THRUST_200600_302600_NS4pairIiiEENS0_10empty_typeEEEZNS1_21merge_sort_block_sortIS3_NS6_6detail15normal_iteratorINS6_10device_ptrIS8_EEEESG_PS9_SH_NS6_4lessIS8_EEEE10hipError_tT0_T1_T2_T3_mRjT4_P12ihipStream_tbNS1_7vsmem_tEEUlT_E_NS1_11comp_targetILNS1_3genE2ELNS1_11target_archE906ELNS1_3gpuE6ELNS1_3repE0EEENS1_30default_config_static_selectorELNS0_4arch9wavefront6targetE1EEEvSM_
	.globl	_ZN7rocprim17ROCPRIM_400000_NS6detail17trampoline_kernelINS0_14default_configENS1_37merge_sort_block_sort_config_selectorIN6thrust23THRUST_200600_302600_NS4pairIiiEENS0_10empty_typeEEEZNS1_21merge_sort_block_sortIS3_NS6_6detail15normal_iteratorINS6_10device_ptrIS8_EEEESG_PS9_SH_NS6_4lessIS8_EEEE10hipError_tT0_T1_T2_T3_mRjT4_P12ihipStream_tbNS1_7vsmem_tEEUlT_E_NS1_11comp_targetILNS1_3genE2ELNS1_11target_archE906ELNS1_3gpuE6ELNS1_3repE0EEENS1_30default_config_static_selectorELNS0_4arch9wavefront6targetE1EEEvSM_
	.p2align	8
	.type	_ZN7rocprim17ROCPRIM_400000_NS6detail17trampoline_kernelINS0_14default_configENS1_37merge_sort_block_sort_config_selectorIN6thrust23THRUST_200600_302600_NS4pairIiiEENS0_10empty_typeEEEZNS1_21merge_sort_block_sortIS3_NS6_6detail15normal_iteratorINS6_10device_ptrIS8_EEEESG_PS9_SH_NS6_4lessIS8_EEEE10hipError_tT0_T1_T2_T3_mRjT4_P12ihipStream_tbNS1_7vsmem_tEEUlT_E_NS1_11comp_targetILNS1_3genE2ELNS1_11target_archE906ELNS1_3gpuE6ELNS1_3repE0EEENS1_30default_config_static_selectorELNS0_4arch9wavefront6targetE1EEEvSM_,@function
_ZN7rocprim17ROCPRIM_400000_NS6detail17trampoline_kernelINS0_14default_configENS1_37merge_sort_block_sort_config_selectorIN6thrust23THRUST_200600_302600_NS4pairIiiEENS0_10empty_typeEEEZNS1_21merge_sort_block_sortIS3_NS6_6detail15normal_iteratorINS6_10device_ptrIS8_EEEESG_PS9_SH_NS6_4lessIS8_EEEE10hipError_tT0_T1_T2_T3_mRjT4_P12ihipStream_tbNS1_7vsmem_tEEUlT_E_NS1_11comp_targetILNS1_3genE2ELNS1_11target_archE906ELNS1_3gpuE6ELNS1_3repE0EEENS1_30default_config_static_selectorELNS0_4arch9wavefront6targetE1EEEvSM_: ; @_ZN7rocprim17ROCPRIM_400000_NS6detail17trampoline_kernelINS0_14default_configENS1_37merge_sort_block_sort_config_selectorIN6thrust23THRUST_200600_302600_NS4pairIiiEENS0_10empty_typeEEEZNS1_21merge_sort_block_sortIS3_NS6_6detail15normal_iteratorINS6_10device_ptrIS8_EEEESG_PS9_SH_NS6_4lessIS8_EEEE10hipError_tT0_T1_T2_T3_mRjT4_P12ihipStream_tbNS1_7vsmem_tEEUlT_E_NS1_11comp_targetILNS1_3genE2ELNS1_11target_archE906ELNS1_3gpuE6ELNS1_3repE0EEENS1_30default_config_static_selectorELNS0_4arch9wavefront6targetE1EEEvSM_
; %bb.0:
	.section	.rodata,"a",@progbits
	.p2align	6, 0x0
	.amdhsa_kernel _ZN7rocprim17ROCPRIM_400000_NS6detail17trampoline_kernelINS0_14default_configENS1_37merge_sort_block_sort_config_selectorIN6thrust23THRUST_200600_302600_NS4pairIiiEENS0_10empty_typeEEEZNS1_21merge_sort_block_sortIS3_NS6_6detail15normal_iteratorINS6_10device_ptrIS8_EEEESG_PS9_SH_NS6_4lessIS8_EEEE10hipError_tT0_T1_T2_T3_mRjT4_P12ihipStream_tbNS1_7vsmem_tEEUlT_E_NS1_11comp_targetILNS1_3genE2ELNS1_11target_archE906ELNS1_3gpuE6ELNS1_3repE0EEENS1_30default_config_static_selectorELNS0_4arch9wavefront6targetE1EEEvSM_
		.amdhsa_group_segment_fixed_size 0
		.amdhsa_private_segment_fixed_size 0
		.amdhsa_kernarg_size 64
		.amdhsa_user_sgpr_count 2
		.amdhsa_user_sgpr_dispatch_ptr 0
		.amdhsa_user_sgpr_queue_ptr 0
		.amdhsa_user_sgpr_kernarg_segment_ptr 1
		.amdhsa_user_sgpr_dispatch_id 0
		.amdhsa_user_sgpr_kernarg_preload_length 0
		.amdhsa_user_sgpr_kernarg_preload_offset 0
		.amdhsa_user_sgpr_private_segment_size 0
		.amdhsa_uses_dynamic_stack 0
		.amdhsa_enable_private_segment 0
		.amdhsa_system_sgpr_workgroup_id_x 1
		.amdhsa_system_sgpr_workgroup_id_y 0
		.amdhsa_system_sgpr_workgroup_id_z 0
		.amdhsa_system_sgpr_workgroup_info 0
		.amdhsa_system_vgpr_workitem_id 0
		.amdhsa_next_free_vgpr 1
		.amdhsa_next_free_sgpr 0
		.amdhsa_accum_offset 4
		.amdhsa_reserve_vcc 0
		.amdhsa_float_round_mode_32 0
		.amdhsa_float_round_mode_16_64 0
		.amdhsa_float_denorm_mode_32 3
		.amdhsa_float_denorm_mode_16_64 3
		.amdhsa_dx10_clamp 1
		.amdhsa_ieee_mode 1
		.amdhsa_fp16_overflow 0
		.amdhsa_tg_split 0
		.amdhsa_exception_fp_ieee_invalid_op 0
		.amdhsa_exception_fp_denorm_src 0
		.amdhsa_exception_fp_ieee_div_zero 0
		.amdhsa_exception_fp_ieee_overflow 0
		.amdhsa_exception_fp_ieee_underflow 0
		.amdhsa_exception_fp_ieee_inexact 0
		.amdhsa_exception_int_div_zero 0
	.end_amdhsa_kernel
	.section	.text._ZN7rocprim17ROCPRIM_400000_NS6detail17trampoline_kernelINS0_14default_configENS1_37merge_sort_block_sort_config_selectorIN6thrust23THRUST_200600_302600_NS4pairIiiEENS0_10empty_typeEEEZNS1_21merge_sort_block_sortIS3_NS6_6detail15normal_iteratorINS6_10device_ptrIS8_EEEESG_PS9_SH_NS6_4lessIS8_EEEE10hipError_tT0_T1_T2_T3_mRjT4_P12ihipStream_tbNS1_7vsmem_tEEUlT_E_NS1_11comp_targetILNS1_3genE2ELNS1_11target_archE906ELNS1_3gpuE6ELNS1_3repE0EEENS1_30default_config_static_selectorELNS0_4arch9wavefront6targetE1EEEvSM_,"axG",@progbits,_ZN7rocprim17ROCPRIM_400000_NS6detail17trampoline_kernelINS0_14default_configENS1_37merge_sort_block_sort_config_selectorIN6thrust23THRUST_200600_302600_NS4pairIiiEENS0_10empty_typeEEEZNS1_21merge_sort_block_sortIS3_NS6_6detail15normal_iteratorINS6_10device_ptrIS8_EEEESG_PS9_SH_NS6_4lessIS8_EEEE10hipError_tT0_T1_T2_T3_mRjT4_P12ihipStream_tbNS1_7vsmem_tEEUlT_E_NS1_11comp_targetILNS1_3genE2ELNS1_11target_archE906ELNS1_3gpuE6ELNS1_3repE0EEENS1_30default_config_static_selectorELNS0_4arch9wavefront6targetE1EEEvSM_,comdat
.Lfunc_end628:
	.size	_ZN7rocprim17ROCPRIM_400000_NS6detail17trampoline_kernelINS0_14default_configENS1_37merge_sort_block_sort_config_selectorIN6thrust23THRUST_200600_302600_NS4pairIiiEENS0_10empty_typeEEEZNS1_21merge_sort_block_sortIS3_NS6_6detail15normal_iteratorINS6_10device_ptrIS8_EEEESG_PS9_SH_NS6_4lessIS8_EEEE10hipError_tT0_T1_T2_T3_mRjT4_P12ihipStream_tbNS1_7vsmem_tEEUlT_E_NS1_11comp_targetILNS1_3genE2ELNS1_11target_archE906ELNS1_3gpuE6ELNS1_3repE0EEENS1_30default_config_static_selectorELNS0_4arch9wavefront6targetE1EEEvSM_, .Lfunc_end628-_ZN7rocprim17ROCPRIM_400000_NS6detail17trampoline_kernelINS0_14default_configENS1_37merge_sort_block_sort_config_selectorIN6thrust23THRUST_200600_302600_NS4pairIiiEENS0_10empty_typeEEEZNS1_21merge_sort_block_sortIS3_NS6_6detail15normal_iteratorINS6_10device_ptrIS8_EEEESG_PS9_SH_NS6_4lessIS8_EEEE10hipError_tT0_T1_T2_T3_mRjT4_P12ihipStream_tbNS1_7vsmem_tEEUlT_E_NS1_11comp_targetILNS1_3genE2ELNS1_11target_archE906ELNS1_3gpuE6ELNS1_3repE0EEENS1_30default_config_static_selectorELNS0_4arch9wavefront6targetE1EEEvSM_
                                        ; -- End function
	.set _ZN7rocprim17ROCPRIM_400000_NS6detail17trampoline_kernelINS0_14default_configENS1_37merge_sort_block_sort_config_selectorIN6thrust23THRUST_200600_302600_NS4pairIiiEENS0_10empty_typeEEEZNS1_21merge_sort_block_sortIS3_NS6_6detail15normal_iteratorINS6_10device_ptrIS8_EEEESG_PS9_SH_NS6_4lessIS8_EEEE10hipError_tT0_T1_T2_T3_mRjT4_P12ihipStream_tbNS1_7vsmem_tEEUlT_E_NS1_11comp_targetILNS1_3genE2ELNS1_11target_archE906ELNS1_3gpuE6ELNS1_3repE0EEENS1_30default_config_static_selectorELNS0_4arch9wavefront6targetE1EEEvSM_.num_vgpr, 0
	.set _ZN7rocprim17ROCPRIM_400000_NS6detail17trampoline_kernelINS0_14default_configENS1_37merge_sort_block_sort_config_selectorIN6thrust23THRUST_200600_302600_NS4pairIiiEENS0_10empty_typeEEEZNS1_21merge_sort_block_sortIS3_NS6_6detail15normal_iteratorINS6_10device_ptrIS8_EEEESG_PS9_SH_NS6_4lessIS8_EEEE10hipError_tT0_T1_T2_T3_mRjT4_P12ihipStream_tbNS1_7vsmem_tEEUlT_E_NS1_11comp_targetILNS1_3genE2ELNS1_11target_archE906ELNS1_3gpuE6ELNS1_3repE0EEENS1_30default_config_static_selectorELNS0_4arch9wavefront6targetE1EEEvSM_.num_agpr, 0
	.set _ZN7rocprim17ROCPRIM_400000_NS6detail17trampoline_kernelINS0_14default_configENS1_37merge_sort_block_sort_config_selectorIN6thrust23THRUST_200600_302600_NS4pairIiiEENS0_10empty_typeEEEZNS1_21merge_sort_block_sortIS3_NS6_6detail15normal_iteratorINS6_10device_ptrIS8_EEEESG_PS9_SH_NS6_4lessIS8_EEEE10hipError_tT0_T1_T2_T3_mRjT4_P12ihipStream_tbNS1_7vsmem_tEEUlT_E_NS1_11comp_targetILNS1_3genE2ELNS1_11target_archE906ELNS1_3gpuE6ELNS1_3repE0EEENS1_30default_config_static_selectorELNS0_4arch9wavefront6targetE1EEEvSM_.numbered_sgpr, 0
	.set _ZN7rocprim17ROCPRIM_400000_NS6detail17trampoline_kernelINS0_14default_configENS1_37merge_sort_block_sort_config_selectorIN6thrust23THRUST_200600_302600_NS4pairIiiEENS0_10empty_typeEEEZNS1_21merge_sort_block_sortIS3_NS6_6detail15normal_iteratorINS6_10device_ptrIS8_EEEESG_PS9_SH_NS6_4lessIS8_EEEE10hipError_tT0_T1_T2_T3_mRjT4_P12ihipStream_tbNS1_7vsmem_tEEUlT_E_NS1_11comp_targetILNS1_3genE2ELNS1_11target_archE906ELNS1_3gpuE6ELNS1_3repE0EEENS1_30default_config_static_selectorELNS0_4arch9wavefront6targetE1EEEvSM_.num_named_barrier, 0
	.set _ZN7rocprim17ROCPRIM_400000_NS6detail17trampoline_kernelINS0_14default_configENS1_37merge_sort_block_sort_config_selectorIN6thrust23THRUST_200600_302600_NS4pairIiiEENS0_10empty_typeEEEZNS1_21merge_sort_block_sortIS3_NS6_6detail15normal_iteratorINS6_10device_ptrIS8_EEEESG_PS9_SH_NS6_4lessIS8_EEEE10hipError_tT0_T1_T2_T3_mRjT4_P12ihipStream_tbNS1_7vsmem_tEEUlT_E_NS1_11comp_targetILNS1_3genE2ELNS1_11target_archE906ELNS1_3gpuE6ELNS1_3repE0EEENS1_30default_config_static_selectorELNS0_4arch9wavefront6targetE1EEEvSM_.private_seg_size, 0
	.set _ZN7rocprim17ROCPRIM_400000_NS6detail17trampoline_kernelINS0_14default_configENS1_37merge_sort_block_sort_config_selectorIN6thrust23THRUST_200600_302600_NS4pairIiiEENS0_10empty_typeEEEZNS1_21merge_sort_block_sortIS3_NS6_6detail15normal_iteratorINS6_10device_ptrIS8_EEEESG_PS9_SH_NS6_4lessIS8_EEEE10hipError_tT0_T1_T2_T3_mRjT4_P12ihipStream_tbNS1_7vsmem_tEEUlT_E_NS1_11comp_targetILNS1_3genE2ELNS1_11target_archE906ELNS1_3gpuE6ELNS1_3repE0EEENS1_30default_config_static_selectorELNS0_4arch9wavefront6targetE1EEEvSM_.uses_vcc, 0
	.set _ZN7rocprim17ROCPRIM_400000_NS6detail17trampoline_kernelINS0_14default_configENS1_37merge_sort_block_sort_config_selectorIN6thrust23THRUST_200600_302600_NS4pairIiiEENS0_10empty_typeEEEZNS1_21merge_sort_block_sortIS3_NS6_6detail15normal_iteratorINS6_10device_ptrIS8_EEEESG_PS9_SH_NS6_4lessIS8_EEEE10hipError_tT0_T1_T2_T3_mRjT4_P12ihipStream_tbNS1_7vsmem_tEEUlT_E_NS1_11comp_targetILNS1_3genE2ELNS1_11target_archE906ELNS1_3gpuE6ELNS1_3repE0EEENS1_30default_config_static_selectorELNS0_4arch9wavefront6targetE1EEEvSM_.uses_flat_scratch, 0
	.set _ZN7rocprim17ROCPRIM_400000_NS6detail17trampoline_kernelINS0_14default_configENS1_37merge_sort_block_sort_config_selectorIN6thrust23THRUST_200600_302600_NS4pairIiiEENS0_10empty_typeEEEZNS1_21merge_sort_block_sortIS3_NS6_6detail15normal_iteratorINS6_10device_ptrIS8_EEEESG_PS9_SH_NS6_4lessIS8_EEEE10hipError_tT0_T1_T2_T3_mRjT4_P12ihipStream_tbNS1_7vsmem_tEEUlT_E_NS1_11comp_targetILNS1_3genE2ELNS1_11target_archE906ELNS1_3gpuE6ELNS1_3repE0EEENS1_30default_config_static_selectorELNS0_4arch9wavefront6targetE1EEEvSM_.has_dyn_sized_stack, 0
	.set _ZN7rocprim17ROCPRIM_400000_NS6detail17trampoline_kernelINS0_14default_configENS1_37merge_sort_block_sort_config_selectorIN6thrust23THRUST_200600_302600_NS4pairIiiEENS0_10empty_typeEEEZNS1_21merge_sort_block_sortIS3_NS6_6detail15normal_iteratorINS6_10device_ptrIS8_EEEESG_PS9_SH_NS6_4lessIS8_EEEE10hipError_tT0_T1_T2_T3_mRjT4_P12ihipStream_tbNS1_7vsmem_tEEUlT_E_NS1_11comp_targetILNS1_3genE2ELNS1_11target_archE906ELNS1_3gpuE6ELNS1_3repE0EEENS1_30default_config_static_selectorELNS0_4arch9wavefront6targetE1EEEvSM_.has_recursion, 0
	.set _ZN7rocprim17ROCPRIM_400000_NS6detail17trampoline_kernelINS0_14default_configENS1_37merge_sort_block_sort_config_selectorIN6thrust23THRUST_200600_302600_NS4pairIiiEENS0_10empty_typeEEEZNS1_21merge_sort_block_sortIS3_NS6_6detail15normal_iteratorINS6_10device_ptrIS8_EEEESG_PS9_SH_NS6_4lessIS8_EEEE10hipError_tT0_T1_T2_T3_mRjT4_P12ihipStream_tbNS1_7vsmem_tEEUlT_E_NS1_11comp_targetILNS1_3genE2ELNS1_11target_archE906ELNS1_3gpuE6ELNS1_3repE0EEENS1_30default_config_static_selectorELNS0_4arch9wavefront6targetE1EEEvSM_.has_indirect_call, 0
	.section	.AMDGPU.csdata,"",@progbits
; Kernel info:
; codeLenInByte = 0
; TotalNumSgprs: 6
; NumVgprs: 0
; NumAgprs: 0
; TotalNumVgprs: 0
; ScratchSize: 0
; MemoryBound: 0
; FloatMode: 240
; IeeeMode: 1
; LDSByteSize: 0 bytes/workgroup (compile time only)
; SGPRBlocks: 0
; VGPRBlocks: 0
; NumSGPRsForWavesPerEU: 6
; NumVGPRsForWavesPerEU: 1
; AccumOffset: 4
; Occupancy: 8
; WaveLimiterHint : 0
; COMPUTE_PGM_RSRC2:SCRATCH_EN: 0
; COMPUTE_PGM_RSRC2:USER_SGPR: 2
; COMPUTE_PGM_RSRC2:TRAP_HANDLER: 0
; COMPUTE_PGM_RSRC2:TGID_X_EN: 1
; COMPUTE_PGM_RSRC2:TGID_Y_EN: 0
; COMPUTE_PGM_RSRC2:TGID_Z_EN: 0
; COMPUTE_PGM_RSRC2:TIDIG_COMP_CNT: 0
; COMPUTE_PGM_RSRC3_GFX90A:ACCUM_OFFSET: 0
; COMPUTE_PGM_RSRC3_GFX90A:TG_SPLIT: 0
	.section	.text._ZN7rocprim17ROCPRIM_400000_NS6detail17trampoline_kernelINS0_14default_configENS1_37merge_sort_block_sort_config_selectorIN6thrust23THRUST_200600_302600_NS4pairIiiEENS0_10empty_typeEEEZNS1_21merge_sort_block_sortIS3_NS6_6detail15normal_iteratorINS6_10device_ptrIS8_EEEESG_PS9_SH_NS6_4lessIS8_EEEE10hipError_tT0_T1_T2_T3_mRjT4_P12ihipStream_tbNS1_7vsmem_tEEUlT_E_NS1_11comp_targetILNS1_3genE10ELNS1_11target_archE1201ELNS1_3gpuE5ELNS1_3repE0EEENS1_30default_config_static_selectorELNS0_4arch9wavefront6targetE1EEEvSM_,"axG",@progbits,_ZN7rocprim17ROCPRIM_400000_NS6detail17trampoline_kernelINS0_14default_configENS1_37merge_sort_block_sort_config_selectorIN6thrust23THRUST_200600_302600_NS4pairIiiEENS0_10empty_typeEEEZNS1_21merge_sort_block_sortIS3_NS6_6detail15normal_iteratorINS6_10device_ptrIS8_EEEESG_PS9_SH_NS6_4lessIS8_EEEE10hipError_tT0_T1_T2_T3_mRjT4_P12ihipStream_tbNS1_7vsmem_tEEUlT_E_NS1_11comp_targetILNS1_3genE10ELNS1_11target_archE1201ELNS1_3gpuE5ELNS1_3repE0EEENS1_30default_config_static_selectorELNS0_4arch9wavefront6targetE1EEEvSM_,comdat
	.protected	_ZN7rocprim17ROCPRIM_400000_NS6detail17trampoline_kernelINS0_14default_configENS1_37merge_sort_block_sort_config_selectorIN6thrust23THRUST_200600_302600_NS4pairIiiEENS0_10empty_typeEEEZNS1_21merge_sort_block_sortIS3_NS6_6detail15normal_iteratorINS6_10device_ptrIS8_EEEESG_PS9_SH_NS6_4lessIS8_EEEE10hipError_tT0_T1_T2_T3_mRjT4_P12ihipStream_tbNS1_7vsmem_tEEUlT_E_NS1_11comp_targetILNS1_3genE10ELNS1_11target_archE1201ELNS1_3gpuE5ELNS1_3repE0EEENS1_30default_config_static_selectorELNS0_4arch9wavefront6targetE1EEEvSM_ ; -- Begin function _ZN7rocprim17ROCPRIM_400000_NS6detail17trampoline_kernelINS0_14default_configENS1_37merge_sort_block_sort_config_selectorIN6thrust23THRUST_200600_302600_NS4pairIiiEENS0_10empty_typeEEEZNS1_21merge_sort_block_sortIS3_NS6_6detail15normal_iteratorINS6_10device_ptrIS8_EEEESG_PS9_SH_NS6_4lessIS8_EEEE10hipError_tT0_T1_T2_T3_mRjT4_P12ihipStream_tbNS1_7vsmem_tEEUlT_E_NS1_11comp_targetILNS1_3genE10ELNS1_11target_archE1201ELNS1_3gpuE5ELNS1_3repE0EEENS1_30default_config_static_selectorELNS0_4arch9wavefront6targetE1EEEvSM_
	.globl	_ZN7rocprim17ROCPRIM_400000_NS6detail17trampoline_kernelINS0_14default_configENS1_37merge_sort_block_sort_config_selectorIN6thrust23THRUST_200600_302600_NS4pairIiiEENS0_10empty_typeEEEZNS1_21merge_sort_block_sortIS3_NS6_6detail15normal_iteratorINS6_10device_ptrIS8_EEEESG_PS9_SH_NS6_4lessIS8_EEEE10hipError_tT0_T1_T2_T3_mRjT4_P12ihipStream_tbNS1_7vsmem_tEEUlT_E_NS1_11comp_targetILNS1_3genE10ELNS1_11target_archE1201ELNS1_3gpuE5ELNS1_3repE0EEENS1_30default_config_static_selectorELNS0_4arch9wavefront6targetE1EEEvSM_
	.p2align	8
	.type	_ZN7rocprim17ROCPRIM_400000_NS6detail17trampoline_kernelINS0_14default_configENS1_37merge_sort_block_sort_config_selectorIN6thrust23THRUST_200600_302600_NS4pairIiiEENS0_10empty_typeEEEZNS1_21merge_sort_block_sortIS3_NS6_6detail15normal_iteratorINS6_10device_ptrIS8_EEEESG_PS9_SH_NS6_4lessIS8_EEEE10hipError_tT0_T1_T2_T3_mRjT4_P12ihipStream_tbNS1_7vsmem_tEEUlT_E_NS1_11comp_targetILNS1_3genE10ELNS1_11target_archE1201ELNS1_3gpuE5ELNS1_3repE0EEENS1_30default_config_static_selectorELNS0_4arch9wavefront6targetE1EEEvSM_,@function
_ZN7rocprim17ROCPRIM_400000_NS6detail17trampoline_kernelINS0_14default_configENS1_37merge_sort_block_sort_config_selectorIN6thrust23THRUST_200600_302600_NS4pairIiiEENS0_10empty_typeEEEZNS1_21merge_sort_block_sortIS3_NS6_6detail15normal_iteratorINS6_10device_ptrIS8_EEEESG_PS9_SH_NS6_4lessIS8_EEEE10hipError_tT0_T1_T2_T3_mRjT4_P12ihipStream_tbNS1_7vsmem_tEEUlT_E_NS1_11comp_targetILNS1_3genE10ELNS1_11target_archE1201ELNS1_3gpuE5ELNS1_3repE0EEENS1_30default_config_static_selectorELNS0_4arch9wavefront6targetE1EEEvSM_: ; @_ZN7rocprim17ROCPRIM_400000_NS6detail17trampoline_kernelINS0_14default_configENS1_37merge_sort_block_sort_config_selectorIN6thrust23THRUST_200600_302600_NS4pairIiiEENS0_10empty_typeEEEZNS1_21merge_sort_block_sortIS3_NS6_6detail15normal_iteratorINS6_10device_ptrIS8_EEEESG_PS9_SH_NS6_4lessIS8_EEEE10hipError_tT0_T1_T2_T3_mRjT4_P12ihipStream_tbNS1_7vsmem_tEEUlT_E_NS1_11comp_targetILNS1_3genE10ELNS1_11target_archE1201ELNS1_3gpuE5ELNS1_3repE0EEENS1_30default_config_static_selectorELNS0_4arch9wavefront6targetE1EEEvSM_
; %bb.0:
	.section	.rodata,"a",@progbits
	.p2align	6, 0x0
	.amdhsa_kernel _ZN7rocprim17ROCPRIM_400000_NS6detail17trampoline_kernelINS0_14default_configENS1_37merge_sort_block_sort_config_selectorIN6thrust23THRUST_200600_302600_NS4pairIiiEENS0_10empty_typeEEEZNS1_21merge_sort_block_sortIS3_NS6_6detail15normal_iteratorINS6_10device_ptrIS8_EEEESG_PS9_SH_NS6_4lessIS8_EEEE10hipError_tT0_T1_T2_T3_mRjT4_P12ihipStream_tbNS1_7vsmem_tEEUlT_E_NS1_11comp_targetILNS1_3genE10ELNS1_11target_archE1201ELNS1_3gpuE5ELNS1_3repE0EEENS1_30default_config_static_selectorELNS0_4arch9wavefront6targetE1EEEvSM_
		.amdhsa_group_segment_fixed_size 0
		.amdhsa_private_segment_fixed_size 0
		.amdhsa_kernarg_size 64
		.amdhsa_user_sgpr_count 2
		.amdhsa_user_sgpr_dispatch_ptr 0
		.amdhsa_user_sgpr_queue_ptr 0
		.amdhsa_user_sgpr_kernarg_segment_ptr 1
		.amdhsa_user_sgpr_dispatch_id 0
		.amdhsa_user_sgpr_kernarg_preload_length 0
		.amdhsa_user_sgpr_kernarg_preload_offset 0
		.amdhsa_user_sgpr_private_segment_size 0
		.amdhsa_uses_dynamic_stack 0
		.amdhsa_enable_private_segment 0
		.amdhsa_system_sgpr_workgroup_id_x 1
		.amdhsa_system_sgpr_workgroup_id_y 0
		.amdhsa_system_sgpr_workgroup_id_z 0
		.amdhsa_system_sgpr_workgroup_info 0
		.amdhsa_system_vgpr_workitem_id 0
		.amdhsa_next_free_vgpr 1
		.amdhsa_next_free_sgpr 0
		.amdhsa_accum_offset 4
		.amdhsa_reserve_vcc 0
		.amdhsa_float_round_mode_32 0
		.amdhsa_float_round_mode_16_64 0
		.amdhsa_float_denorm_mode_32 3
		.amdhsa_float_denorm_mode_16_64 3
		.amdhsa_dx10_clamp 1
		.amdhsa_ieee_mode 1
		.amdhsa_fp16_overflow 0
		.amdhsa_tg_split 0
		.amdhsa_exception_fp_ieee_invalid_op 0
		.amdhsa_exception_fp_denorm_src 0
		.amdhsa_exception_fp_ieee_div_zero 0
		.amdhsa_exception_fp_ieee_overflow 0
		.amdhsa_exception_fp_ieee_underflow 0
		.amdhsa_exception_fp_ieee_inexact 0
		.amdhsa_exception_int_div_zero 0
	.end_amdhsa_kernel
	.section	.text._ZN7rocprim17ROCPRIM_400000_NS6detail17trampoline_kernelINS0_14default_configENS1_37merge_sort_block_sort_config_selectorIN6thrust23THRUST_200600_302600_NS4pairIiiEENS0_10empty_typeEEEZNS1_21merge_sort_block_sortIS3_NS6_6detail15normal_iteratorINS6_10device_ptrIS8_EEEESG_PS9_SH_NS6_4lessIS8_EEEE10hipError_tT0_T1_T2_T3_mRjT4_P12ihipStream_tbNS1_7vsmem_tEEUlT_E_NS1_11comp_targetILNS1_3genE10ELNS1_11target_archE1201ELNS1_3gpuE5ELNS1_3repE0EEENS1_30default_config_static_selectorELNS0_4arch9wavefront6targetE1EEEvSM_,"axG",@progbits,_ZN7rocprim17ROCPRIM_400000_NS6detail17trampoline_kernelINS0_14default_configENS1_37merge_sort_block_sort_config_selectorIN6thrust23THRUST_200600_302600_NS4pairIiiEENS0_10empty_typeEEEZNS1_21merge_sort_block_sortIS3_NS6_6detail15normal_iteratorINS6_10device_ptrIS8_EEEESG_PS9_SH_NS6_4lessIS8_EEEE10hipError_tT0_T1_T2_T3_mRjT4_P12ihipStream_tbNS1_7vsmem_tEEUlT_E_NS1_11comp_targetILNS1_3genE10ELNS1_11target_archE1201ELNS1_3gpuE5ELNS1_3repE0EEENS1_30default_config_static_selectorELNS0_4arch9wavefront6targetE1EEEvSM_,comdat
.Lfunc_end629:
	.size	_ZN7rocprim17ROCPRIM_400000_NS6detail17trampoline_kernelINS0_14default_configENS1_37merge_sort_block_sort_config_selectorIN6thrust23THRUST_200600_302600_NS4pairIiiEENS0_10empty_typeEEEZNS1_21merge_sort_block_sortIS3_NS6_6detail15normal_iteratorINS6_10device_ptrIS8_EEEESG_PS9_SH_NS6_4lessIS8_EEEE10hipError_tT0_T1_T2_T3_mRjT4_P12ihipStream_tbNS1_7vsmem_tEEUlT_E_NS1_11comp_targetILNS1_3genE10ELNS1_11target_archE1201ELNS1_3gpuE5ELNS1_3repE0EEENS1_30default_config_static_selectorELNS0_4arch9wavefront6targetE1EEEvSM_, .Lfunc_end629-_ZN7rocprim17ROCPRIM_400000_NS6detail17trampoline_kernelINS0_14default_configENS1_37merge_sort_block_sort_config_selectorIN6thrust23THRUST_200600_302600_NS4pairIiiEENS0_10empty_typeEEEZNS1_21merge_sort_block_sortIS3_NS6_6detail15normal_iteratorINS6_10device_ptrIS8_EEEESG_PS9_SH_NS6_4lessIS8_EEEE10hipError_tT0_T1_T2_T3_mRjT4_P12ihipStream_tbNS1_7vsmem_tEEUlT_E_NS1_11comp_targetILNS1_3genE10ELNS1_11target_archE1201ELNS1_3gpuE5ELNS1_3repE0EEENS1_30default_config_static_selectorELNS0_4arch9wavefront6targetE1EEEvSM_
                                        ; -- End function
	.set _ZN7rocprim17ROCPRIM_400000_NS6detail17trampoline_kernelINS0_14default_configENS1_37merge_sort_block_sort_config_selectorIN6thrust23THRUST_200600_302600_NS4pairIiiEENS0_10empty_typeEEEZNS1_21merge_sort_block_sortIS3_NS6_6detail15normal_iteratorINS6_10device_ptrIS8_EEEESG_PS9_SH_NS6_4lessIS8_EEEE10hipError_tT0_T1_T2_T3_mRjT4_P12ihipStream_tbNS1_7vsmem_tEEUlT_E_NS1_11comp_targetILNS1_3genE10ELNS1_11target_archE1201ELNS1_3gpuE5ELNS1_3repE0EEENS1_30default_config_static_selectorELNS0_4arch9wavefront6targetE1EEEvSM_.num_vgpr, 0
	.set _ZN7rocprim17ROCPRIM_400000_NS6detail17trampoline_kernelINS0_14default_configENS1_37merge_sort_block_sort_config_selectorIN6thrust23THRUST_200600_302600_NS4pairIiiEENS0_10empty_typeEEEZNS1_21merge_sort_block_sortIS3_NS6_6detail15normal_iteratorINS6_10device_ptrIS8_EEEESG_PS9_SH_NS6_4lessIS8_EEEE10hipError_tT0_T1_T2_T3_mRjT4_P12ihipStream_tbNS1_7vsmem_tEEUlT_E_NS1_11comp_targetILNS1_3genE10ELNS1_11target_archE1201ELNS1_3gpuE5ELNS1_3repE0EEENS1_30default_config_static_selectorELNS0_4arch9wavefront6targetE1EEEvSM_.num_agpr, 0
	.set _ZN7rocprim17ROCPRIM_400000_NS6detail17trampoline_kernelINS0_14default_configENS1_37merge_sort_block_sort_config_selectorIN6thrust23THRUST_200600_302600_NS4pairIiiEENS0_10empty_typeEEEZNS1_21merge_sort_block_sortIS3_NS6_6detail15normal_iteratorINS6_10device_ptrIS8_EEEESG_PS9_SH_NS6_4lessIS8_EEEE10hipError_tT0_T1_T2_T3_mRjT4_P12ihipStream_tbNS1_7vsmem_tEEUlT_E_NS1_11comp_targetILNS1_3genE10ELNS1_11target_archE1201ELNS1_3gpuE5ELNS1_3repE0EEENS1_30default_config_static_selectorELNS0_4arch9wavefront6targetE1EEEvSM_.numbered_sgpr, 0
	.set _ZN7rocprim17ROCPRIM_400000_NS6detail17trampoline_kernelINS0_14default_configENS1_37merge_sort_block_sort_config_selectorIN6thrust23THRUST_200600_302600_NS4pairIiiEENS0_10empty_typeEEEZNS1_21merge_sort_block_sortIS3_NS6_6detail15normal_iteratorINS6_10device_ptrIS8_EEEESG_PS9_SH_NS6_4lessIS8_EEEE10hipError_tT0_T1_T2_T3_mRjT4_P12ihipStream_tbNS1_7vsmem_tEEUlT_E_NS1_11comp_targetILNS1_3genE10ELNS1_11target_archE1201ELNS1_3gpuE5ELNS1_3repE0EEENS1_30default_config_static_selectorELNS0_4arch9wavefront6targetE1EEEvSM_.num_named_barrier, 0
	.set _ZN7rocprim17ROCPRIM_400000_NS6detail17trampoline_kernelINS0_14default_configENS1_37merge_sort_block_sort_config_selectorIN6thrust23THRUST_200600_302600_NS4pairIiiEENS0_10empty_typeEEEZNS1_21merge_sort_block_sortIS3_NS6_6detail15normal_iteratorINS6_10device_ptrIS8_EEEESG_PS9_SH_NS6_4lessIS8_EEEE10hipError_tT0_T1_T2_T3_mRjT4_P12ihipStream_tbNS1_7vsmem_tEEUlT_E_NS1_11comp_targetILNS1_3genE10ELNS1_11target_archE1201ELNS1_3gpuE5ELNS1_3repE0EEENS1_30default_config_static_selectorELNS0_4arch9wavefront6targetE1EEEvSM_.private_seg_size, 0
	.set _ZN7rocprim17ROCPRIM_400000_NS6detail17trampoline_kernelINS0_14default_configENS1_37merge_sort_block_sort_config_selectorIN6thrust23THRUST_200600_302600_NS4pairIiiEENS0_10empty_typeEEEZNS1_21merge_sort_block_sortIS3_NS6_6detail15normal_iteratorINS6_10device_ptrIS8_EEEESG_PS9_SH_NS6_4lessIS8_EEEE10hipError_tT0_T1_T2_T3_mRjT4_P12ihipStream_tbNS1_7vsmem_tEEUlT_E_NS1_11comp_targetILNS1_3genE10ELNS1_11target_archE1201ELNS1_3gpuE5ELNS1_3repE0EEENS1_30default_config_static_selectorELNS0_4arch9wavefront6targetE1EEEvSM_.uses_vcc, 0
	.set _ZN7rocprim17ROCPRIM_400000_NS6detail17trampoline_kernelINS0_14default_configENS1_37merge_sort_block_sort_config_selectorIN6thrust23THRUST_200600_302600_NS4pairIiiEENS0_10empty_typeEEEZNS1_21merge_sort_block_sortIS3_NS6_6detail15normal_iteratorINS6_10device_ptrIS8_EEEESG_PS9_SH_NS6_4lessIS8_EEEE10hipError_tT0_T1_T2_T3_mRjT4_P12ihipStream_tbNS1_7vsmem_tEEUlT_E_NS1_11comp_targetILNS1_3genE10ELNS1_11target_archE1201ELNS1_3gpuE5ELNS1_3repE0EEENS1_30default_config_static_selectorELNS0_4arch9wavefront6targetE1EEEvSM_.uses_flat_scratch, 0
	.set _ZN7rocprim17ROCPRIM_400000_NS6detail17trampoline_kernelINS0_14default_configENS1_37merge_sort_block_sort_config_selectorIN6thrust23THRUST_200600_302600_NS4pairIiiEENS0_10empty_typeEEEZNS1_21merge_sort_block_sortIS3_NS6_6detail15normal_iteratorINS6_10device_ptrIS8_EEEESG_PS9_SH_NS6_4lessIS8_EEEE10hipError_tT0_T1_T2_T3_mRjT4_P12ihipStream_tbNS1_7vsmem_tEEUlT_E_NS1_11comp_targetILNS1_3genE10ELNS1_11target_archE1201ELNS1_3gpuE5ELNS1_3repE0EEENS1_30default_config_static_selectorELNS0_4arch9wavefront6targetE1EEEvSM_.has_dyn_sized_stack, 0
	.set _ZN7rocprim17ROCPRIM_400000_NS6detail17trampoline_kernelINS0_14default_configENS1_37merge_sort_block_sort_config_selectorIN6thrust23THRUST_200600_302600_NS4pairIiiEENS0_10empty_typeEEEZNS1_21merge_sort_block_sortIS3_NS6_6detail15normal_iteratorINS6_10device_ptrIS8_EEEESG_PS9_SH_NS6_4lessIS8_EEEE10hipError_tT0_T1_T2_T3_mRjT4_P12ihipStream_tbNS1_7vsmem_tEEUlT_E_NS1_11comp_targetILNS1_3genE10ELNS1_11target_archE1201ELNS1_3gpuE5ELNS1_3repE0EEENS1_30default_config_static_selectorELNS0_4arch9wavefront6targetE1EEEvSM_.has_recursion, 0
	.set _ZN7rocprim17ROCPRIM_400000_NS6detail17trampoline_kernelINS0_14default_configENS1_37merge_sort_block_sort_config_selectorIN6thrust23THRUST_200600_302600_NS4pairIiiEENS0_10empty_typeEEEZNS1_21merge_sort_block_sortIS3_NS6_6detail15normal_iteratorINS6_10device_ptrIS8_EEEESG_PS9_SH_NS6_4lessIS8_EEEE10hipError_tT0_T1_T2_T3_mRjT4_P12ihipStream_tbNS1_7vsmem_tEEUlT_E_NS1_11comp_targetILNS1_3genE10ELNS1_11target_archE1201ELNS1_3gpuE5ELNS1_3repE0EEENS1_30default_config_static_selectorELNS0_4arch9wavefront6targetE1EEEvSM_.has_indirect_call, 0
	.section	.AMDGPU.csdata,"",@progbits
; Kernel info:
; codeLenInByte = 0
; TotalNumSgprs: 6
; NumVgprs: 0
; NumAgprs: 0
; TotalNumVgprs: 0
; ScratchSize: 0
; MemoryBound: 0
; FloatMode: 240
; IeeeMode: 1
; LDSByteSize: 0 bytes/workgroup (compile time only)
; SGPRBlocks: 0
; VGPRBlocks: 0
; NumSGPRsForWavesPerEU: 6
; NumVGPRsForWavesPerEU: 1
; AccumOffset: 4
; Occupancy: 8
; WaveLimiterHint : 0
; COMPUTE_PGM_RSRC2:SCRATCH_EN: 0
; COMPUTE_PGM_RSRC2:USER_SGPR: 2
; COMPUTE_PGM_RSRC2:TRAP_HANDLER: 0
; COMPUTE_PGM_RSRC2:TGID_X_EN: 1
; COMPUTE_PGM_RSRC2:TGID_Y_EN: 0
; COMPUTE_PGM_RSRC2:TGID_Z_EN: 0
; COMPUTE_PGM_RSRC2:TIDIG_COMP_CNT: 0
; COMPUTE_PGM_RSRC3_GFX90A:ACCUM_OFFSET: 0
; COMPUTE_PGM_RSRC3_GFX90A:TG_SPLIT: 0
	.section	.text._ZN7rocprim17ROCPRIM_400000_NS6detail17trampoline_kernelINS0_14default_configENS1_37merge_sort_block_sort_config_selectorIN6thrust23THRUST_200600_302600_NS4pairIiiEENS0_10empty_typeEEEZNS1_21merge_sort_block_sortIS3_NS6_6detail15normal_iteratorINS6_10device_ptrIS8_EEEESG_PS9_SH_NS6_4lessIS8_EEEE10hipError_tT0_T1_T2_T3_mRjT4_P12ihipStream_tbNS1_7vsmem_tEEUlT_E_NS1_11comp_targetILNS1_3genE10ELNS1_11target_archE1200ELNS1_3gpuE4ELNS1_3repE0EEENS1_30default_config_static_selectorELNS0_4arch9wavefront6targetE1EEEvSM_,"axG",@progbits,_ZN7rocprim17ROCPRIM_400000_NS6detail17trampoline_kernelINS0_14default_configENS1_37merge_sort_block_sort_config_selectorIN6thrust23THRUST_200600_302600_NS4pairIiiEENS0_10empty_typeEEEZNS1_21merge_sort_block_sortIS3_NS6_6detail15normal_iteratorINS6_10device_ptrIS8_EEEESG_PS9_SH_NS6_4lessIS8_EEEE10hipError_tT0_T1_T2_T3_mRjT4_P12ihipStream_tbNS1_7vsmem_tEEUlT_E_NS1_11comp_targetILNS1_3genE10ELNS1_11target_archE1200ELNS1_3gpuE4ELNS1_3repE0EEENS1_30default_config_static_selectorELNS0_4arch9wavefront6targetE1EEEvSM_,comdat
	.protected	_ZN7rocprim17ROCPRIM_400000_NS6detail17trampoline_kernelINS0_14default_configENS1_37merge_sort_block_sort_config_selectorIN6thrust23THRUST_200600_302600_NS4pairIiiEENS0_10empty_typeEEEZNS1_21merge_sort_block_sortIS3_NS6_6detail15normal_iteratorINS6_10device_ptrIS8_EEEESG_PS9_SH_NS6_4lessIS8_EEEE10hipError_tT0_T1_T2_T3_mRjT4_P12ihipStream_tbNS1_7vsmem_tEEUlT_E_NS1_11comp_targetILNS1_3genE10ELNS1_11target_archE1200ELNS1_3gpuE4ELNS1_3repE0EEENS1_30default_config_static_selectorELNS0_4arch9wavefront6targetE1EEEvSM_ ; -- Begin function _ZN7rocprim17ROCPRIM_400000_NS6detail17trampoline_kernelINS0_14default_configENS1_37merge_sort_block_sort_config_selectorIN6thrust23THRUST_200600_302600_NS4pairIiiEENS0_10empty_typeEEEZNS1_21merge_sort_block_sortIS3_NS6_6detail15normal_iteratorINS6_10device_ptrIS8_EEEESG_PS9_SH_NS6_4lessIS8_EEEE10hipError_tT0_T1_T2_T3_mRjT4_P12ihipStream_tbNS1_7vsmem_tEEUlT_E_NS1_11comp_targetILNS1_3genE10ELNS1_11target_archE1200ELNS1_3gpuE4ELNS1_3repE0EEENS1_30default_config_static_selectorELNS0_4arch9wavefront6targetE1EEEvSM_
	.globl	_ZN7rocprim17ROCPRIM_400000_NS6detail17trampoline_kernelINS0_14default_configENS1_37merge_sort_block_sort_config_selectorIN6thrust23THRUST_200600_302600_NS4pairIiiEENS0_10empty_typeEEEZNS1_21merge_sort_block_sortIS3_NS6_6detail15normal_iteratorINS6_10device_ptrIS8_EEEESG_PS9_SH_NS6_4lessIS8_EEEE10hipError_tT0_T1_T2_T3_mRjT4_P12ihipStream_tbNS1_7vsmem_tEEUlT_E_NS1_11comp_targetILNS1_3genE10ELNS1_11target_archE1200ELNS1_3gpuE4ELNS1_3repE0EEENS1_30default_config_static_selectorELNS0_4arch9wavefront6targetE1EEEvSM_
	.p2align	8
	.type	_ZN7rocprim17ROCPRIM_400000_NS6detail17trampoline_kernelINS0_14default_configENS1_37merge_sort_block_sort_config_selectorIN6thrust23THRUST_200600_302600_NS4pairIiiEENS0_10empty_typeEEEZNS1_21merge_sort_block_sortIS3_NS6_6detail15normal_iteratorINS6_10device_ptrIS8_EEEESG_PS9_SH_NS6_4lessIS8_EEEE10hipError_tT0_T1_T2_T3_mRjT4_P12ihipStream_tbNS1_7vsmem_tEEUlT_E_NS1_11comp_targetILNS1_3genE10ELNS1_11target_archE1200ELNS1_3gpuE4ELNS1_3repE0EEENS1_30default_config_static_selectorELNS0_4arch9wavefront6targetE1EEEvSM_,@function
_ZN7rocprim17ROCPRIM_400000_NS6detail17trampoline_kernelINS0_14default_configENS1_37merge_sort_block_sort_config_selectorIN6thrust23THRUST_200600_302600_NS4pairIiiEENS0_10empty_typeEEEZNS1_21merge_sort_block_sortIS3_NS6_6detail15normal_iteratorINS6_10device_ptrIS8_EEEESG_PS9_SH_NS6_4lessIS8_EEEE10hipError_tT0_T1_T2_T3_mRjT4_P12ihipStream_tbNS1_7vsmem_tEEUlT_E_NS1_11comp_targetILNS1_3genE10ELNS1_11target_archE1200ELNS1_3gpuE4ELNS1_3repE0EEENS1_30default_config_static_selectorELNS0_4arch9wavefront6targetE1EEEvSM_: ; @_ZN7rocprim17ROCPRIM_400000_NS6detail17trampoline_kernelINS0_14default_configENS1_37merge_sort_block_sort_config_selectorIN6thrust23THRUST_200600_302600_NS4pairIiiEENS0_10empty_typeEEEZNS1_21merge_sort_block_sortIS3_NS6_6detail15normal_iteratorINS6_10device_ptrIS8_EEEESG_PS9_SH_NS6_4lessIS8_EEEE10hipError_tT0_T1_T2_T3_mRjT4_P12ihipStream_tbNS1_7vsmem_tEEUlT_E_NS1_11comp_targetILNS1_3genE10ELNS1_11target_archE1200ELNS1_3gpuE4ELNS1_3repE0EEENS1_30default_config_static_selectorELNS0_4arch9wavefront6targetE1EEEvSM_
; %bb.0:
	.section	.rodata,"a",@progbits
	.p2align	6, 0x0
	.amdhsa_kernel _ZN7rocprim17ROCPRIM_400000_NS6detail17trampoline_kernelINS0_14default_configENS1_37merge_sort_block_sort_config_selectorIN6thrust23THRUST_200600_302600_NS4pairIiiEENS0_10empty_typeEEEZNS1_21merge_sort_block_sortIS3_NS6_6detail15normal_iteratorINS6_10device_ptrIS8_EEEESG_PS9_SH_NS6_4lessIS8_EEEE10hipError_tT0_T1_T2_T3_mRjT4_P12ihipStream_tbNS1_7vsmem_tEEUlT_E_NS1_11comp_targetILNS1_3genE10ELNS1_11target_archE1200ELNS1_3gpuE4ELNS1_3repE0EEENS1_30default_config_static_selectorELNS0_4arch9wavefront6targetE1EEEvSM_
		.amdhsa_group_segment_fixed_size 0
		.amdhsa_private_segment_fixed_size 0
		.amdhsa_kernarg_size 64
		.amdhsa_user_sgpr_count 2
		.amdhsa_user_sgpr_dispatch_ptr 0
		.amdhsa_user_sgpr_queue_ptr 0
		.amdhsa_user_sgpr_kernarg_segment_ptr 1
		.amdhsa_user_sgpr_dispatch_id 0
		.amdhsa_user_sgpr_kernarg_preload_length 0
		.amdhsa_user_sgpr_kernarg_preload_offset 0
		.amdhsa_user_sgpr_private_segment_size 0
		.amdhsa_uses_dynamic_stack 0
		.amdhsa_enable_private_segment 0
		.amdhsa_system_sgpr_workgroup_id_x 1
		.amdhsa_system_sgpr_workgroup_id_y 0
		.amdhsa_system_sgpr_workgroup_id_z 0
		.amdhsa_system_sgpr_workgroup_info 0
		.amdhsa_system_vgpr_workitem_id 0
		.amdhsa_next_free_vgpr 1
		.amdhsa_next_free_sgpr 0
		.amdhsa_accum_offset 4
		.amdhsa_reserve_vcc 0
		.amdhsa_float_round_mode_32 0
		.amdhsa_float_round_mode_16_64 0
		.amdhsa_float_denorm_mode_32 3
		.amdhsa_float_denorm_mode_16_64 3
		.amdhsa_dx10_clamp 1
		.amdhsa_ieee_mode 1
		.amdhsa_fp16_overflow 0
		.amdhsa_tg_split 0
		.amdhsa_exception_fp_ieee_invalid_op 0
		.amdhsa_exception_fp_denorm_src 0
		.amdhsa_exception_fp_ieee_div_zero 0
		.amdhsa_exception_fp_ieee_overflow 0
		.amdhsa_exception_fp_ieee_underflow 0
		.amdhsa_exception_fp_ieee_inexact 0
		.amdhsa_exception_int_div_zero 0
	.end_amdhsa_kernel
	.section	.text._ZN7rocprim17ROCPRIM_400000_NS6detail17trampoline_kernelINS0_14default_configENS1_37merge_sort_block_sort_config_selectorIN6thrust23THRUST_200600_302600_NS4pairIiiEENS0_10empty_typeEEEZNS1_21merge_sort_block_sortIS3_NS6_6detail15normal_iteratorINS6_10device_ptrIS8_EEEESG_PS9_SH_NS6_4lessIS8_EEEE10hipError_tT0_T1_T2_T3_mRjT4_P12ihipStream_tbNS1_7vsmem_tEEUlT_E_NS1_11comp_targetILNS1_3genE10ELNS1_11target_archE1200ELNS1_3gpuE4ELNS1_3repE0EEENS1_30default_config_static_selectorELNS0_4arch9wavefront6targetE1EEEvSM_,"axG",@progbits,_ZN7rocprim17ROCPRIM_400000_NS6detail17trampoline_kernelINS0_14default_configENS1_37merge_sort_block_sort_config_selectorIN6thrust23THRUST_200600_302600_NS4pairIiiEENS0_10empty_typeEEEZNS1_21merge_sort_block_sortIS3_NS6_6detail15normal_iteratorINS6_10device_ptrIS8_EEEESG_PS9_SH_NS6_4lessIS8_EEEE10hipError_tT0_T1_T2_T3_mRjT4_P12ihipStream_tbNS1_7vsmem_tEEUlT_E_NS1_11comp_targetILNS1_3genE10ELNS1_11target_archE1200ELNS1_3gpuE4ELNS1_3repE0EEENS1_30default_config_static_selectorELNS0_4arch9wavefront6targetE1EEEvSM_,comdat
.Lfunc_end630:
	.size	_ZN7rocprim17ROCPRIM_400000_NS6detail17trampoline_kernelINS0_14default_configENS1_37merge_sort_block_sort_config_selectorIN6thrust23THRUST_200600_302600_NS4pairIiiEENS0_10empty_typeEEEZNS1_21merge_sort_block_sortIS3_NS6_6detail15normal_iteratorINS6_10device_ptrIS8_EEEESG_PS9_SH_NS6_4lessIS8_EEEE10hipError_tT0_T1_T2_T3_mRjT4_P12ihipStream_tbNS1_7vsmem_tEEUlT_E_NS1_11comp_targetILNS1_3genE10ELNS1_11target_archE1200ELNS1_3gpuE4ELNS1_3repE0EEENS1_30default_config_static_selectorELNS0_4arch9wavefront6targetE1EEEvSM_, .Lfunc_end630-_ZN7rocprim17ROCPRIM_400000_NS6detail17trampoline_kernelINS0_14default_configENS1_37merge_sort_block_sort_config_selectorIN6thrust23THRUST_200600_302600_NS4pairIiiEENS0_10empty_typeEEEZNS1_21merge_sort_block_sortIS3_NS6_6detail15normal_iteratorINS6_10device_ptrIS8_EEEESG_PS9_SH_NS6_4lessIS8_EEEE10hipError_tT0_T1_T2_T3_mRjT4_P12ihipStream_tbNS1_7vsmem_tEEUlT_E_NS1_11comp_targetILNS1_3genE10ELNS1_11target_archE1200ELNS1_3gpuE4ELNS1_3repE0EEENS1_30default_config_static_selectorELNS0_4arch9wavefront6targetE1EEEvSM_
                                        ; -- End function
	.set _ZN7rocprim17ROCPRIM_400000_NS6detail17trampoline_kernelINS0_14default_configENS1_37merge_sort_block_sort_config_selectorIN6thrust23THRUST_200600_302600_NS4pairIiiEENS0_10empty_typeEEEZNS1_21merge_sort_block_sortIS3_NS6_6detail15normal_iteratorINS6_10device_ptrIS8_EEEESG_PS9_SH_NS6_4lessIS8_EEEE10hipError_tT0_T1_T2_T3_mRjT4_P12ihipStream_tbNS1_7vsmem_tEEUlT_E_NS1_11comp_targetILNS1_3genE10ELNS1_11target_archE1200ELNS1_3gpuE4ELNS1_3repE0EEENS1_30default_config_static_selectorELNS0_4arch9wavefront6targetE1EEEvSM_.num_vgpr, 0
	.set _ZN7rocprim17ROCPRIM_400000_NS6detail17trampoline_kernelINS0_14default_configENS1_37merge_sort_block_sort_config_selectorIN6thrust23THRUST_200600_302600_NS4pairIiiEENS0_10empty_typeEEEZNS1_21merge_sort_block_sortIS3_NS6_6detail15normal_iteratorINS6_10device_ptrIS8_EEEESG_PS9_SH_NS6_4lessIS8_EEEE10hipError_tT0_T1_T2_T3_mRjT4_P12ihipStream_tbNS1_7vsmem_tEEUlT_E_NS1_11comp_targetILNS1_3genE10ELNS1_11target_archE1200ELNS1_3gpuE4ELNS1_3repE0EEENS1_30default_config_static_selectorELNS0_4arch9wavefront6targetE1EEEvSM_.num_agpr, 0
	.set _ZN7rocprim17ROCPRIM_400000_NS6detail17trampoline_kernelINS0_14default_configENS1_37merge_sort_block_sort_config_selectorIN6thrust23THRUST_200600_302600_NS4pairIiiEENS0_10empty_typeEEEZNS1_21merge_sort_block_sortIS3_NS6_6detail15normal_iteratorINS6_10device_ptrIS8_EEEESG_PS9_SH_NS6_4lessIS8_EEEE10hipError_tT0_T1_T2_T3_mRjT4_P12ihipStream_tbNS1_7vsmem_tEEUlT_E_NS1_11comp_targetILNS1_3genE10ELNS1_11target_archE1200ELNS1_3gpuE4ELNS1_3repE0EEENS1_30default_config_static_selectorELNS0_4arch9wavefront6targetE1EEEvSM_.numbered_sgpr, 0
	.set _ZN7rocprim17ROCPRIM_400000_NS6detail17trampoline_kernelINS0_14default_configENS1_37merge_sort_block_sort_config_selectorIN6thrust23THRUST_200600_302600_NS4pairIiiEENS0_10empty_typeEEEZNS1_21merge_sort_block_sortIS3_NS6_6detail15normal_iteratorINS6_10device_ptrIS8_EEEESG_PS9_SH_NS6_4lessIS8_EEEE10hipError_tT0_T1_T2_T3_mRjT4_P12ihipStream_tbNS1_7vsmem_tEEUlT_E_NS1_11comp_targetILNS1_3genE10ELNS1_11target_archE1200ELNS1_3gpuE4ELNS1_3repE0EEENS1_30default_config_static_selectorELNS0_4arch9wavefront6targetE1EEEvSM_.num_named_barrier, 0
	.set _ZN7rocprim17ROCPRIM_400000_NS6detail17trampoline_kernelINS0_14default_configENS1_37merge_sort_block_sort_config_selectorIN6thrust23THRUST_200600_302600_NS4pairIiiEENS0_10empty_typeEEEZNS1_21merge_sort_block_sortIS3_NS6_6detail15normal_iteratorINS6_10device_ptrIS8_EEEESG_PS9_SH_NS6_4lessIS8_EEEE10hipError_tT0_T1_T2_T3_mRjT4_P12ihipStream_tbNS1_7vsmem_tEEUlT_E_NS1_11comp_targetILNS1_3genE10ELNS1_11target_archE1200ELNS1_3gpuE4ELNS1_3repE0EEENS1_30default_config_static_selectorELNS0_4arch9wavefront6targetE1EEEvSM_.private_seg_size, 0
	.set _ZN7rocprim17ROCPRIM_400000_NS6detail17trampoline_kernelINS0_14default_configENS1_37merge_sort_block_sort_config_selectorIN6thrust23THRUST_200600_302600_NS4pairIiiEENS0_10empty_typeEEEZNS1_21merge_sort_block_sortIS3_NS6_6detail15normal_iteratorINS6_10device_ptrIS8_EEEESG_PS9_SH_NS6_4lessIS8_EEEE10hipError_tT0_T1_T2_T3_mRjT4_P12ihipStream_tbNS1_7vsmem_tEEUlT_E_NS1_11comp_targetILNS1_3genE10ELNS1_11target_archE1200ELNS1_3gpuE4ELNS1_3repE0EEENS1_30default_config_static_selectorELNS0_4arch9wavefront6targetE1EEEvSM_.uses_vcc, 0
	.set _ZN7rocprim17ROCPRIM_400000_NS6detail17trampoline_kernelINS0_14default_configENS1_37merge_sort_block_sort_config_selectorIN6thrust23THRUST_200600_302600_NS4pairIiiEENS0_10empty_typeEEEZNS1_21merge_sort_block_sortIS3_NS6_6detail15normal_iteratorINS6_10device_ptrIS8_EEEESG_PS9_SH_NS6_4lessIS8_EEEE10hipError_tT0_T1_T2_T3_mRjT4_P12ihipStream_tbNS1_7vsmem_tEEUlT_E_NS1_11comp_targetILNS1_3genE10ELNS1_11target_archE1200ELNS1_3gpuE4ELNS1_3repE0EEENS1_30default_config_static_selectorELNS0_4arch9wavefront6targetE1EEEvSM_.uses_flat_scratch, 0
	.set _ZN7rocprim17ROCPRIM_400000_NS6detail17trampoline_kernelINS0_14default_configENS1_37merge_sort_block_sort_config_selectorIN6thrust23THRUST_200600_302600_NS4pairIiiEENS0_10empty_typeEEEZNS1_21merge_sort_block_sortIS3_NS6_6detail15normal_iteratorINS6_10device_ptrIS8_EEEESG_PS9_SH_NS6_4lessIS8_EEEE10hipError_tT0_T1_T2_T3_mRjT4_P12ihipStream_tbNS1_7vsmem_tEEUlT_E_NS1_11comp_targetILNS1_3genE10ELNS1_11target_archE1200ELNS1_3gpuE4ELNS1_3repE0EEENS1_30default_config_static_selectorELNS0_4arch9wavefront6targetE1EEEvSM_.has_dyn_sized_stack, 0
	.set _ZN7rocprim17ROCPRIM_400000_NS6detail17trampoline_kernelINS0_14default_configENS1_37merge_sort_block_sort_config_selectorIN6thrust23THRUST_200600_302600_NS4pairIiiEENS0_10empty_typeEEEZNS1_21merge_sort_block_sortIS3_NS6_6detail15normal_iteratorINS6_10device_ptrIS8_EEEESG_PS9_SH_NS6_4lessIS8_EEEE10hipError_tT0_T1_T2_T3_mRjT4_P12ihipStream_tbNS1_7vsmem_tEEUlT_E_NS1_11comp_targetILNS1_3genE10ELNS1_11target_archE1200ELNS1_3gpuE4ELNS1_3repE0EEENS1_30default_config_static_selectorELNS0_4arch9wavefront6targetE1EEEvSM_.has_recursion, 0
	.set _ZN7rocprim17ROCPRIM_400000_NS6detail17trampoline_kernelINS0_14default_configENS1_37merge_sort_block_sort_config_selectorIN6thrust23THRUST_200600_302600_NS4pairIiiEENS0_10empty_typeEEEZNS1_21merge_sort_block_sortIS3_NS6_6detail15normal_iteratorINS6_10device_ptrIS8_EEEESG_PS9_SH_NS6_4lessIS8_EEEE10hipError_tT0_T1_T2_T3_mRjT4_P12ihipStream_tbNS1_7vsmem_tEEUlT_E_NS1_11comp_targetILNS1_3genE10ELNS1_11target_archE1200ELNS1_3gpuE4ELNS1_3repE0EEENS1_30default_config_static_selectorELNS0_4arch9wavefront6targetE1EEEvSM_.has_indirect_call, 0
	.section	.AMDGPU.csdata,"",@progbits
; Kernel info:
; codeLenInByte = 0
; TotalNumSgprs: 6
; NumVgprs: 0
; NumAgprs: 0
; TotalNumVgprs: 0
; ScratchSize: 0
; MemoryBound: 0
; FloatMode: 240
; IeeeMode: 1
; LDSByteSize: 0 bytes/workgroup (compile time only)
; SGPRBlocks: 0
; VGPRBlocks: 0
; NumSGPRsForWavesPerEU: 6
; NumVGPRsForWavesPerEU: 1
; AccumOffset: 4
; Occupancy: 8
; WaveLimiterHint : 0
; COMPUTE_PGM_RSRC2:SCRATCH_EN: 0
; COMPUTE_PGM_RSRC2:USER_SGPR: 2
; COMPUTE_PGM_RSRC2:TRAP_HANDLER: 0
; COMPUTE_PGM_RSRC2:TGID_X_EN: 1
; COMPUTE_PGM_RSRC2:TGID_Y_EN: 0
; COMPUTE_PGM_RSRC2:TGID_Z_EN: 0
; COMPUTE_PGM_RSRC2:TIDIG_COMP_CNT: 0
; COMPUTE_PGM_RSRC3_GFX90A:ACCUM_OFFSET: 0
; COMPUTE_PGM_RSRC3_GFX90A:TG_SPLIT: 0
	.section	.text._ZN7rocprim17ROCPRIM_400000_NS6detail17trampoline_kernelINS0_14default_configENS1_37merge_sort_block_sort_config_selectorIN6thrust23THRUST_200600_302600_NS4pairIiiEENS0_10empty_typeEEEZNS1_21merge_sort_block_sortIS3_NS6_6detail15normal_iteratorINS6_10device_ptrIS8_EEEESG_PS9_SH_NS6_4lessIS8_EEEE10hipError_tT0_T1_T2_T3_mRjT4_P12ihipStream_tbNS1_7vsmem_tEEUlT_E_NS1_11comp_targetILNS1_3genE9ELNS1_11target_archE1100ELNS1_3gpuE3ELNS1_3repE0EEENS1_30default_config_static_selectorELNS0_4arch9wavefront6targetE1EEEvSM_,"axG",@progbits,_ZN7rocprim17ROCPRIM_400000_NS6detail17trampoline_kernelINS0_14default_configENS1_37merge_sort_block_sort_config_selectorIN6thrust23THRUST_200600_302600_NS4pairIiiEENS0_10empty_typeEEEZNS1_21merge_sort_block_sortIS3_NS6_6detail15normal_iteratorINS6_10device_ptrIS8_EEEESG_PS9_SH_NS6_4lessIS8_EEEE10hipError_tT0_T1_T2_T3_mRjT4_P12ihipStream_tbNS1_7vsmem_tEEUlT_E_NS1_11comp_targetILNS1_3genE9ELNS1_11target_archE1100ELNS1_3gpuE3ELNS1_3repE0EEENS1_30default_config_static_selectorELNS0_4arch9wavefront6targetE1EEEvSM_,comdat
	.protected	_ZN7rocprim17ROCPRIM_400000_NS6detail17trampoline_kernelINS0_14default_configENS1_37merge_sort_block_sort_config_selectorIN6thrust23THRUST_200600_302600_NS4pairIiiEENS0_10empty_typeEEEZNS1_21merge_sort_block_sortIS3_NS6_6detail15normal_iteratorINS6_10device_ptrIS8_EEEESG_PS9_SH_NS6_4lessIS8_EEEE10hipError_tT0_T1_T2_T3_mRjT4_P12ihipStream_tbNS1_7vsmem_tEEUlT_E_NS1_11comp_targetILNS1_3genE9ELNS1_11target_archE1100ELNS1_3gpuE3ELNS1_3repE0EEENS1_30default_config_static_selectorELNS0_4arch9wavefront6targetE1EEEvSM_ ; -- Begin function _ZN7rocprim17ROCPRIM_400000_NS6detail17trampoline_kernelINS0_14default_configENS1_37merge_sort_block_sort_config_selectorIN6thrust23THRUST_200600_302600_NS4pairIiiEENS0_10empty_typeEEEZNS1_21merge_sort_block_sortIS3_NS6_6detail15normal_iteratorINS6_10device_ptrIS8_EEEESG_PS9_SH_NS6_4lessIS8_EEEE10hipError_tT0_T1_T2_T3_mRjT4_P12ihipStream_tbNS1_7vsmem_tEEUlT_E_NS1_11comp_targetILNS1_3genE9ELNS1_11target_archE1100ELNS1_3gpuE3ELNS1_3repE0EEENS1_30default_config_static_selectorELNS0_4arch9wavefront6targetE1EEEvSM_
	.globl	_ZN7rocprim17ROCPRIM_400000_NS6detail17trampoline_kernelINS0_14default_configENS1_37merge_sort_block_sort_config_selectorIN6thrust23THRUST_200600_302600_NS4pairIiiEENS0_10empty_typeEEEZNS1_21merge_sort_block_sortIS3_NS6_6detail15normal_iteratorINS6_10device_ptrIS8_EEEESG_PS9_SH_NS6_4lessIS8_EEEE10hipError_tT0_T1_T2_T3_mRjT4_P12ihipStream_tbNS1_7vsmem_tEEUlT_E_NS1_11comp_targetILNS1_3genE9ELNS1_11target_archE1100ELNS1_3gpuE3ELNS1_3repE0EEENS1_30default_config_static_selectorELNS0_4arch9wavefront6targetE1EEEvSM_
	.p2align	8
	.type	_ZN7rocprim17ROCPRIM_400000_NS6detail17trampoline_kernelINS0_14default_configENS1_37merge_sort_block_sort_config_selectorIN6thrust23THRUST_200600_302600_NS4pairIiiEENS0_10empty_typeEEEZNS1_21merge_sort_block_sortIS3_NS6_6detail15normal_iteratorINS6_10device_ptrIS8_EEEESG_PS9_SH_NS6_4lessIS8_EEEE10hipError_tT0_T1_T2_T3_mRjT4_P12ihipStream_tbNS1_7vsmem_tEEUlT_E_NS1_11comp_targetILNS1_3genE9ELNS1_11target_archE1100ELNS1_3gpuE3ELNS1_3repE0EEENS1_30default_config_static_selectorELNS0_4arch9wavefront6targetE1EEEvSM_,@function
_ZN7rocprim17ROCPRIM_400000_NS6detail17trampoline_kernelINS0_14default_configENS1_37merge_sort_block_sort_config_selectorIN6thrust23THRUST_200600_302600_NS4pairIiiEENS0_10empty_typeEEEZNS1_21merge_sort_block_sortIS3_NS6_6detail15normal_iteratorINS6_10device_ptrIS8_EEEESG_PS9_SH_NS6_4lessIS8_EEEE10hipError_tT0_T1_T2_T3_mRjT4_P12ihipStream_tbNS1_7vsmem_tEEUlT_E_NS1_11comp_targetILNS1_3genE9ELNS1_11target_archE1100ELNS1_3gpuE3ELNS1_3repE0EEENS1_30default_config_static_selectorELNS0_4arch9wavefront6targetE1EEEvSM_: ; @_ZN7rocprim17ROCPRIM_400000_NS6detail17trampoline_kernelINS0_14default_configENS1_37merge_sort_block_sort_config_selectorIN6thrust23THRUST_200600_302600_NS4pairIiiEENS0_10empty_typeEEEZNS1_21merge_sort_block_sortIS3_NS6_6detail15normal_iteratorINS6_10device_ptrIS8_EEEESG_PS9_SH_NS6_4lessIS8_EEEE10hipError_tT0_T1_T2_T3_mRjT4_P12ihipStream_tbNS1_7vsmem_tEEUlT_E_NS1_11comp_targetILNS1_3genE9ELNS1_11target_archE1100ELNS1_3gpuE3ELNS1_3repE0EEENS1_30default_config_static_selectorELNS0_4arch9wavefront6targetE1EEEvSM_
; %bb.0:
	.section	.rodata,"a",@progbits
	.p2align	6, 0x0
	.amdhsa_kernel _ZN7rocprim17ROCPRIM_400000_NS6detail17trampoline_kernelINS0_14default_configENS1_37merge_sort_block_sort_config_selectorIN6thrust23THRUST_200600_302600_NS4pairIiiEENS0_10empty_typeEEEZNS1_21merge_sort_block_sortIS3_NS6_6detail15normal_iteratorINS6_10device_ptrIS8_EEEESG_PS9_SH_NS6_4lessIS8_EEEE10hipError_tT0_T1_T2_T3_mRjT4_P12ihipStream_tbNS1_7vsmem_tEEUlT_E_NS1_11comp_targetILNS1_3genE9ELNS1_11target_archE1100ELNS1_3gpuE3ELNS1_3repE0EEENS1_30default_config_static_selectorELNS0_4arch9wavefront6targetE1EEEvSM_
		.amdhsa_group_segment_fixed_size 0
		.amdhsa_private_segment_fixed_size 0
		.amdhsa_kernarg_size 64
		.amdhsa_user_sgpr_count 2
		.amdhsa_user_sgpr_dispatch_ptr 0
		.amdhsa_user_sgpr_queue_ptr 0
		.amdhsa_user_sgpr_kernarg_segment_ptr 1
		.amdhsa_user_sgpr_dispatch_id 0
		.amdhsa_user_sgpr_kernarg_preload_length 0
		.amdhsa_user_sgpr_kernarg_preload_offset 0
		.amdhsa_user_sgpr_private_segment_size 0
		.amdhsa_uses_dynamic_stack 0
		.amdhsa_enable_private_segment 0
		.amdhsa_system_sgpr_workgroup_id_x 1
		.amdhsa_system_sgpr_workgroup_id_y 0
		.amdhsa_system_sgpr_workgroup_id_z 0
		.amdhsa_system_sgpr_workgroup_info 0
		.amdhsa_system_vgpr_workitem_id 0
		.amdhsa_next_free_vgpr 1
		.amdhsa_next_free_sgpr 0
		.amdhsa_accum_offset 4
		.amdhsa_reserve_vcc 0
		.amdhsa_float_round_mode_32 0
		.amdhsa_float_round_mode_16_64 0
		.amdhsa_float_denorm_mode_32 3
		.amdhsa_float_denorm_mode_16_64 3
		.amdhsa_dx10_clamp 1
		.amdhsa_ieee_mode 1
		.amdhsa_fp16_overflow 0
		.amdhsa_tg_split 0
		.amdhsa_exception_fp_ieee_invalid_op 0
		.amdhsa_exception_fp_denorm_src 0
		.amdhsa_exception_fp_ieee_div_zero 0
		.amdhsa_exception_fp_ieee_overflow 0
		.amdhsa_exception_fp_ieee_underflow 0
		.amdhsa_exception_fp_ieee_inexact 0
		.amdhsa_exception_int_div_zero 0
	.end_amdhsa_kernel
	.section	.text._ZN7rocprim17ROCPRIM_400000_NS6detail17trampoline_kernelINS0_14default_configENS1_37merge_sort_block_sort_config_selectorIN6thrust23THRUST_200600_302600_NS4pairIiiEENS0_10empty_typeEEEZNS1_21merge_sort_block_sortIS3_NS6_6detail15normal_iteratorINS6_10device_ptrIS8_EEEESG_PS9_SH_NS6_4lessIS8_EEEE10hipError_tT0_T1_T2_T3_mRjT4_P12ihipStream_tbNS1_7vsmem_tEEUlT_E_NS1_11comp_targetILNS1_3genE9ELNS1_11target_archE1100ELNS1_3gpuE3ELNS1_3repE0EEENS1_30default_config_static_selectorELNS0_4arch9wavefront6targetE1EEEvSM_,"axG",@progbits,_ZN7rocprim17ROCPRIM_400000_NS6detail17trampoline_kernelINS0_14default_configENS1_37merge_sort_block_sort_config_selectorIN6thrust23THRUST_200600_302600_NS4pairIiiEENS0_10empty_typeEEEZNS1_21merge_sort_block_sortIS3_NS6_6detail15normal_iteratorINS6_10device_ptrIS8_EEEESG_PS9_SH_NS6_4lessIS8_EEEE10hipError_tT0_T1_T2_T3_mRjT4_P12ihipStream_tbNS1_7vsmem_tEEUlT_E_NS1_11comp_targetILNS1_3genE9ELNS1_11target_archE1100ELNS1_3gpuE3ELNS1_3repE0EEENS1_30default_config_static_selectorELNS0_4arch9wavefront6targetE1EEEvSM_,comdat
.Lfunc_end631:
	.size	_ZN7rocprim17ROCPRIM_400000_NS6detail17trampoline_kernelINS0_14default_configENS1_37merge_sort_block_sort_config_selectorIN6thrust23THRUST_200600_302600_NS4pairIiiEENS0_10empty_typeEEEZNS1_21merge_sort_block_sortIS3_NS6_6detail15normal_iteratorINS6_10device_ptrIS8_EEEESG_PS9_SH_NS6_4lessIS8_EEEE10hipError_tT0_T1_T2_T3_mRjT4_P12ihipStream_tbNS1_7vsmem_tEEUlT_E_NS1_11comp_targetILNS1_3genE9ELNS1_11target_archE1100ELNS1_3gpuE3ELNS1_3repE0EEENS1_30default_config_static_selectorELNS0_4arch9wavefront6targetE1EEEvSM_, .Lfunc_end631-_ZN7rocprim17ROCPRIM_400000_NS6detail17trampoline_kernelINS0_14default_configENS1_37merge_sort_block_sort_config_selectorIN6thrust23THRUST_200600_302600_NS4pairIiiEENS0_10empty_typeEEEZNS1_21merge_sort_block_sortIS3_NS6_6detail15normal_iteratorINS6_10device_ptrIS8_EEEESG_PS9_SH_NS6_4lessIS8_EEEE10hipError_tT0_T1_T2_T3_mRjT4_P12ihipStream_tbNS1_7vsmem_tEEUlT_E_NS1_11comp_targetILNS1_3genE9ELNS1_11target_archE1100ELNS1_3gpuE3ELNS1_3repE0EEENS1_30default_config_static_selectorELNS0_4arch9wavefront6targetE1EEEvSM_
                                        ; -- End function
	.set _ZN7rocprim17ROCPRIM_400000_NS6detail17trampoline_kernelINS0_14default_configENS1_37merge_sort_block_sort_config_selectorIN6thrust23THRUST_200600_302600_NS4pairIiiEENS0_10empty_typeEEEZNS1_21merge_sort_block_sortIS3_NS6_6detail15normal_iteratorINS6_10device_ptrIS8_EEEESG_PS9_SH_NS6_4lessIS8_EEEE10hipError_tT0_T1_T2_T3_mRjT4_P12ihipStream_tbNS1_7vsmem_tEEUlT_E_NS1_11comp_targetILNS1_3genE9ELNS1_11target_archE1100ELNS1_3gpuE3ELNS1_3repE0EEENS1_30default_config_static_selectorELNS0_4arch9wavefront6targetE1EEEvSM_.num_vgpr, 0
	.set _ZN7rocprim17ROCPRIM_400000_NS6detail17trampoline_kernelINS0_14default_configENS1_37merge_sort_block_sort_config_selectorIN6thrust23THRUST_200600_302600_NS4pairIiiEENS0_10empty_typeEEEZNS1_21merge_sort_block_sortIS3_NS6_6detail15normal_iteratorINS6_10device_ptrIS8_EEEESG_PS9_SH_NS6_4lessIS8_EEEE10hipError_tT0_T1_T2_T3_mRjT4_P12ihipStream_tbNS1_7vsmem_tEEUlT_E_NS1_11comp_targetILNS1_3genE9ELNS1_11target_archE1100ELNS1_3gpuE3ELNS1_3repE0EEENS1_30default_config_static_selectorELNS0_4arch9wavefront6targetE1EEEvSM_.num_agpr, 0
	.set _ZN7rocprim17ROCPRIM_400000_NS6detail17trampoline_kernelINS0_14default_configENS1_37merge_sort_block_sort_config_selectorIN6thrust23THRUST_200600_302600_NS4pairIiiEENS0_10empty_typeEEEZNS1_21merge_sort_block_sortIS3_NS6_6detail15normal_iteratorINS6_10device_ptrIS8_EEEESG_PS9_SH_NS6_4lessIS8_EEEE10hipError_tT0_T1_T2_T3_mRjT4_P12ihipStream_tbNS1_7vsmem_tEEUlT_E_NS1_11comp_targetILNS1_3genE9ELNS1_11target_archE1100ELNS1_3gpuE3ELNS1_3repE0EEENS1_30default_config_static_selectorELNS0_4arch9wavefront6targetE1EEEvSM_.numbered_sgpr, 0
	.set _ZN7rocprim17ROCPRIM_400000_NS6detail17trampoline_kernelINS0_14default_configENS1_37merge_sort_block_sort_config_selectorIN6thrust23THRUST_200600_302600_NS4pairIiiEENS0_10empty_typeEEEZNS1_21merge_sort_block_sortIS3_NS6_6detail15normal_iteratorINS6_10device_ptrIS8_EEEESG_PS9_SH_NS6_4lessIS8_EEEE10hipError_tT0_T1_T2_T3_mRjT4_P12ihipStream_tbNS1_7vsmem_tEEUlT_E_NS1_11comp_targetILNS1_3genE9ELNS1_11target_archE1100ELNS1_3gpuE3ELNS1_3repE0EEENS1_30default_config_static_selectorELNS0_4arch9wavefront6targetE1EEEvSM_.num_named_barrier, 0
	.set _ZN7rocprim17ROCPRIM_400000_NS6detail17trampoline_kernelINS0_14default_configENS1_37merge_sort_block_sort_config_selectorIN6thrust23THRUST_200600_302600_NS4pairIiiEENS0_10empty_typeEEEZNS1_21merge_sort_block_sortIS3_NS6_6detail15normal_iteratorINS6_10device_ptrIS8_EEEESG_PS9_SH_NS6_4lessIS8_EEEE10hipError_tT0_T1_T2_T3_mRjT4_P12ihipStream_tbNS1_7vsmem_tEEUlT_E_NS1_11comp_targetILNS1_3genE9ELNS1_11target_archE1100ELNS1_3gpuE3ELNS1_3repE0EEENS1_30default_config_static_selectorELNS0_4arch9wavefront6targetE1EEEvSM_.private_seg_size, 0
	.set _ZN7rocprim17ROCPRIM_400000_NS6detail17trampoline_kernelINS0_14default_configENS1_37merge_sort_block_sort_config_selectorIN6thrust23THRUST_200600_302600_NS4pairIiiEENS0_10empty_typeEEEZNS1_21merge_sort_block_sortIS3_NS6_6detail15normal_iteratorINS6_10device_ptrIS8_EEEESG_PS9_SH_NS6_4lessIS8_EEEE10hipError_tT0_T1_T2_T3_mRjT4_P12ihipStream_tbNS1_7vsmem_tEEUlT_E_NS1_11comp_targetILNS1_3genE9ELNS1_11target_archE1100ELNS1_3gpuE3ELNS1_3repE0EEENS1_30default_config_static_selectorELNS0_4arch9wavefront6targetE1EEEvSM_.uses_vcc, 0
	.set _ZN7rocprim17ROCPRIM_400000_NS6detail17trampoline_kernelINS0_14default_configENS1_37merge_sort_block_sort_config_selectorIN6thrust23THRUST_200600_302600_NS4pairIiiEENS0_10empty_typeEEEZNS1_21merge_sort_block_sortIS3_NS6_6detail15normal_iteratorINS6_10device_ptrIS8_EEEESG_PS9_SH_NS6_4lessIS8_EEEE10hipError_tT0_T1_T2_T3_mRjT4_P12ihipStream_tbNS1_7vsmem_tEEUlT_E_NS1_11comp_targetILNS1_3genE9ELNS1_11target_archE1100ELNS1_3gpuE3ELNS1_3repE0EEENS1_30default_config_static_selectorELNS0_4arch9wavefront6targetE1EEEvSM_.uses_flat_scratch, 0
	.set _ZN7rocprim17ROCPRIM_400000_NS6detail17trampoline_kernelINS0_14default_configENS1_37merge_sort_block_sort_config_selectorIN6thrust23THRUST_200600_302600_NS4pairIiiEENS0_10empty_typeEEEZNS1_21merge_sort_block_sortIS3_NS6_6detail15normal_iteratorINS6_10device_ptrIS8_EEEESG_PS9_SH_NS6_4lessIS8_EEEE10hipError_tT0_T1_T2_T3_mRjT4_P12ihipStream_tbNS1_7vsmem_tEEUlT_E_NS1_11comp_targetILNS1_3genE9ELNS1_11target_archE1100ELNS1_3gpuE3ELNS1_3repE0EEENS1_30default_config_static_selectorELNS0_4arch9wavefront6targetE1EEEvSM_.has_dyn_sized_stack, 0
	.set _ZN7rocprim17ROCPRIM_400000_NS6detail17trampoline_kernelINS0_14default_configENS1_37merge_sort_block_sort_config_selectorIN6thrust23THRUST_200600_302600_NS4pairIiiEENS0_10empty_typeEEEZNS1_21merge_sort_block_sortIS3_NS6_6detail15normal_iteratorINS6_10device_ptrIS8_EEEESG_PS9_SH_NS6_4lessIS8_EEEE10hipError_tT0_T1_T2_T3_mRjT4_P12ihipStream_tbNS1_7vsmem_tEEUlT_E_NS1_11comp_targetILNS1_3genE9ELNS1_11target_archE1100ELNS1_3gpuE3ELNS1_3repE0EEENS1_30default_config_static_selectorELNS0_4arch9wavefront6targetE1EEEvSM_.has_recursion, 0
	.set _ZN7rocprim17ROCPRIM_400000_NS6detail17trampoline_kernelINS0_14default_configENS1_37merge_sort_block_sort_config_selectorIN6thrust23THRUST_200600_302600_NS4pairIiiEENS0_10empty_typeEEEZNS1_21merge_sort_block_sortIS3_NS6_6detail15normal_iteratorINS6_10device_ptrIS8_EEEESG_PS9_SH_NS6_4lessIS8_EEEE10hipError_tT0_T1_T2_T3_mRjT4_P12ihipStream_tbNS1_7vsmem_tEEUlT_E_NS1_11comp_targetILNS1_3genE9ELNS1_11target_archE1100ELNS1_3gpuE3ELNS1_3repE0EEENS1_30default_config_static_selectorELNS0_4arch9wavefront6targetE1EEEvSM_.has_indirect_call, 0
	.section	.AMDGPU.csdata,"",@progbits
; Kernel info:
; codeLenInByte = 0
; TotalNumSgprs: 6
; NumVgprs: 0
; NumAgprs: 0
; TotalNumVgprs: 0
; ScratchSize: 0
; MemoryBound: 0
; FloatMode: 240
; IeeeMode: 1
; LDSByteSize: 0 bytes/workgroup (compile time only)
; SGPRBlocks: 0
; VGPRBlocks: 0
; NumSGPRsForWavesPerEU: 6
; NumVGPRsForWavesPerEU: 1
; AccumOffset: 4
; Occupancy: 8
; WaveLimiterHint : 0
; COMPUTE_PGM_RSRC2:SCRATCH_EN: 0
; COMPUTE_PGM_RSRC2:USER_SGPR: 2
; COMPUTE_PGM_RSRC2:TRAP_HANDLER: 0
; COMPUTE_PGM_RSRC2:TGID_X_EN: 1
; COMPUTE_PGM_RSRC2:TGID_Y_EN: 0
; COMPUTE_PGM_RSRC2:TGID_Z_EN: 0
; COMPUTE_PGM_RSRC2:TIDIG_COMP_CNT: 0
; COMPUTE_PGM_RSRC3_GFX90A:ACCUM_OFFSET: 0
; COMPUTE_PGM_RSRC3_GFX90A:TG_SPLIT: 0
	.section	.text._ZN7rocprim17ROCPRIM_400000_NS6detail17trampoline_kernelINS0_14default_configENS1_37merge_sort_block_sort_config_selectorIN6thrust23THRUST_200600_302600_NS4pairIiiEENS0_10empty_typeEEEZNS1_21merge_sort_block_sortIS3_NS6_6detail15normal_iteratorINS6_10device_ptrIS8_EEEESG_PS9_SH_NS6_4lessIS8_EEEE10hipError_tT0_T1_T2_T3_mRjT4_P12ihipStream_tbNS1_7vsmem_tEEUlT_E_NS1_11comp_targetILNS1_3genE8ELNS1_11target_archE1030ELNS1_3gpuE2ELNS1_3repE0EEENS1_30default_config_static_selectorELNS0_4arch9wavefront6targetE1EEEvSM_,"axG",@progbits,_ZN7rocprim17ROCPRIM_400000_NS6detail17trampoline_kernelINS0_14default_configENS1_37merge_sort_block_sort_config_selectorIN6thrust23THRUST_200600_302600_NS4pairIiiEENS0_10empty_typeEEEZNS1_21merge_sort_block_sortIS3_NS6_6detail15normal_iteratorINS6_10device_ptrIS8_EEEESG_PS9_SH_NS6_4lessIS8_EEEE10hipError_tT0_T1_T2_T3_mRjT4_P12ihipStream_tbNS1_7vsmem_tEEUlT_E_NS1_11comp_targetILNS1_3genE8ELNS1_11target_archE1030ELNS1_3gpuE2ELNS1_3repE0EEENS1_30default_config_static_selectorELNS0_4arch9wavefront6targetE1EEEvSM_,comdat
	.protected	_ZN7rocprim17ROCPRIM_400000_NS6detail17trampoline_kernelINS0_14default_configENS1_37merge_sort_block_sort_config_selectorIN6thrust23THRUST_200600_302600_NS4pairIiiEENS0_10empty_typeEEEZNS1_21merge_sort_block_sortIS3_NS6_6detail15normal_iteratorINS6_10device_ptrIS8_EEEESG_PS9_SH_NS6_4lessIS8_EEEE10hipError_tT0_T1_T2_T3_mRjT4_P12ihipStream_tbNS1_7vsmem_tEEUlT_E_NS1_11comp_targetILNS1_3genE8ELNS1_11target_archE1030ELNS1_3gpuE2ELNS1_3repE0EEENS1_30default_config_static_selectorELNS0_4arch9wavefront6targetE1EEEvSM_ ; -- Begin function _ZN7rocprim17ROCPRIM_400000_NS6detail17trampoline_kernelINS0_14default_configENS1_37merge_sort_block_sort_config_selectorIN6thrust23THRUST_200600_302600_NS4pairIiiEENS0_10empty_typeEEEZNS1_21merge_sort_block_sortIS3_NS6_6detail15normal_iteratorINS6_10device_ptrIS8_EEEESG_PS9_SH_NS6_4lessIS8_EEEE10hipError_tT0_T1_T2_T3_mRjT4_P12ihipStream_tbNS1_7vsmem_tEEUlT_E_NS1_11comp_targetILNS1_3genE8ELNS1_11target_archE1030ELNS1_3gpuE2ELNS1_3repE0EEENS1_30default_config_static_selectorELNS0_4arch9wavefront6targetE1EEEvSM_
	.globl	_ZN7rocprim17ROCPRIM_400000_NS6detail17trampoline_kernelINS0_14default_configENS1_37merge_sort_block_sort_config_selectorIN6thrust23THRUST_200600_302600_NS4pairIiiEENS0_10empty_typeEEEZNS1_21merge_sort_block_sortIS3_NS6_6detail15normal_iteratorINS6_10device_ptrIS8_EEEESG_PS9_SH_NS6_4lessIS8_EEEE10hipError_tT0_T1_T2_T3_mRjT4_P12ihipStream_tbNS1_7vsmem_tEEUlT_E_NS1_11comp_targetILNS1_3genE8ELNS1_11target_archE1030ELNS1_3gpuE2ELNS1_3repE0EEENS1_30default_config_static_selectorELNS0_4arch9wavefront6targetE1EEEvSM_
	.p2align	8
	.type	_ZN7rocprim17ROCPRIM_400000_NS6detail17trampoline_kernelINS0_14default_configENS1_37merge_sort_block_sort_config_selectorIN6thrust23THRUST_200600_302600_NS4pairIiiEENS0_10empty_typeEEEZNS1_21merge_sort_block_sortIS3_NS6_6detail15normal_iteratorINS6_10device_ptrIS8_EEEESG_PS9_SH_NS6_4lessIS8_EEEE10hipError_tT0_T1_T2_T3_mRjT4_P12ihipStream_tbNS1_7vsmem_tEEUlT_E_NS1_11comp_targetILNS1_3genE8ELNS1_11target_archE1030ELNS1_3gpuE2ELNS1_3repE0EEENS1_30default_config_static_selectorELNS0_4arch9wavefront6targetE1EEEvSM_,@function
_ZN7rocprim17ROCPRIM_400000_NS6detail17trampoline_kernelINS0_14default_configENS1_37merge_sort_block_sort_config_selectorIN6thrust23THRUST_200600_302600_NS4pairIiiEENS0_10empty_typeEEEZNS1_21merge_sort_block_sortIS3_NS6_6detail15normal_iteratorINS6_10device_ptrIS8_EEEESG_PS9_SH_NS6_4lessIS8_EEEE10hipError_tT0_T1_T2_T3_mRjT4_P12ihipStream_tbNS1_7vsmem_tEEUlT_E_NS1_11comp_targetILNS1_3genE8ELNS1_11target_archE1030ELNS1_3gpuE2ELNS1_3repE0EEENS1_30default_config_static_selectorELNS0_4arch9wavefront6targetE1EEEvSM_: ; @_ZN7rocprim17ROCPRIM_400000_NS6detail17trampoline_kernelINS0_14default_configENS1_37merge_sort_block_sort_config_selectorIN6thrust23THRUST_200600_302600_NS4pairIiiEENS0_10empty_typeEEEZNS1_21merge_sort_block_sortIS3_NS6_6detail15normal_iteratorINS6_10device_ptrIS8_EEEESG_PS9_SH_NS6_4lessIS8_EEEE10hipError_tT0_T1_T2_T3_mRjT4_P12ihipStream_tbNS1_7vsmem_tEEUlT_E_NS1_11comp_targetILNS1_3genE8ELNS1_11target_archE1030ELNS1_3gpuE2ELNS1_3repE0EEENS1_30default_config_static_selectorELNS0_4arch9wavefront6targetE1EEEvSM_
; %bb.0:
	.section	.rodata,"a",@progbits
	.p2align	6, 0x0
	.amdhsa_kernel _ZN7rocprim17ROCPRIM_400000_NS6detail17trampoline_kernelINS0_14default_configENS1_37merge_sort_block_sort_config_selectorIN6thrust23THRUST_200600_302600_NS4pairIiiEENS0_10empty_typeEEEZNS1_21merge_sort_block_sortIS3_NS6_6detail15normal_iteratorINS6_10device_ptrIS8_EEEESG_PS9_SH_NS6_4lessIS8_EEEE10hipError_tT0_T1_T2_T3_mRjT4_P12ihipStream_tbNS1_7vsmem_tEEUlT_E_NS1_11comp_targetILNS1_3genE8ELNS1_11target_archE1030ELNS1_3gpuE2ELNS1_3repE0EEENS1_30default_config_static_selectorELNS0_4arch9wavefront6targetE1EEEvSM_
		.amdhsa_group_segment_fixed_size 0
		.amdhsa_private_segment_fixed_size 0
		.amdhsa_kernarg_size 64
		.amdhsa_user_sgpr_count 2
		.amdhsa_user_sgpr_dispatch_ptr 0
		.amdhsa_user_sgpr_queue_ptr 0
		.amdhsa_user_sgpr_kernarg_segment_ptr 1
		.amdhsa_user_sgpr_dispatch_id 0
		.amdhsa_user_sgpr_kernarg_preload_length 0
		.amdhsa_user_sgpr_kernarg_preload_offset 0
		.amdhsa_user_sgpr_private_segment_size 0
		.amdhsa_uses_dynamic_stack 0
		.amdhsa_enable_private_segment 0
		.amdhsa_system_sgpr_workgroup_id_x 1
		.amdhsa_system_sgpr_workgroup_id_y 0
		.amdhsa_system_sgpr_workgroup_id_z 0
		.amdhsa_system_sgpr_workgroup_info 0
		.amdhsa_system_vgpr_workitem_id 0
		.amdhsa_next_free_vgpr 1
		.amdhsa_next_free_sgpr 0
		.amdhsa_accum_offset 4
		.amdhsa_reserve_vcc 0
		.amdhsa_float_round_mode_32 0
		.amdhsa_float_round_mode_16_64 0
		.amdhsa_float_denorm_mode_32 3
		.amdhsa_float_denorm_mode_16_64 3
		.amdhsa_dx10_clamp 1
		.amdhsa_ieee_mode 1
		.amdhsa_fp16_overflow 0
		.amdhsa_tg_split 0
		.amdhsa_exception_fp_ieee_invalid_op 0
		.amdhsa_exception_fp_denorm_src 0
		.amdhsa_exception_fp_ieee_div_zero 0
		.amdhsa_exception_fp_ieee_overflow 0
		.amdhsa_exception_fp_ieee_underflow 0
		.amdhsa_exception_fp_ieee_inexact 0
		.amdhsa_exception_int_div_zero 0
	.end_amdhsa_kernel
	.section	.text._ZN7rocprim17ROCPRIM_400000_NS6detail17trampoline_kernelINS0_14default_configENS1_37merge_sort_block_sort_config_selectorIN6thrust23THRUST_200600_302600_NS4pairIiiEENS0_10empty_typeEEEZNS1_21merge_sort_block_sortIS3_NS6_6detail15normal_iteratorINS6_10device_ptrIS8_EEEESG_PS9_SH_NS6_4lessIS8_EEEE10hipError_tT0_T1_T2_T3_mRjT4_P12ihipStream_tbNS1_7vsmem_tEEUlT_E_NS1_11comp_targetILNS1_3genE8ELNS1_11target_archE1030ELNS1_3gpuE2ELNS1_3repE0EEENS1_30default_config_static_selectorELNS0_4arch9wavefront6targetE1EEEvSM_,"axG",@progbits,_ZN7rocprim17ROCPRIM_400000_NS6detail17trampoline_kernelINS0_14default_configENS1_37merge_sort_block_sort_config_selectorIN6thrust23THRUST_200600_302600_NS4pairIiiEENS0_10empty_typeEEEZNS1_21merge_sort_block_sortIS3_NS6_6detail15normal_iteratorINS6_10device_ptrIS8_EEEESG_PS9_SH_NS6_4lessIS8_EEEE10hipError_tT0_T1_T2_T3_mRjT4_P12ihipStream_tbNS1_7vsmem_tEEUlT_E_NS1_11comp_targetILNS1_3genE8ELNS1_11target_archE1030ELNS1_3gpuE2ELNS1_3repE0EEENS1_30default_config_static_selectorELNS0_4arch9wavefront6targetE1EEEvSM_,comdat
.Lfunc_end632:
	.size	_ZN7rocprim17ROCPRIM_400000_NS6detail17trampoline_kernelINS0_14default_configENS1_37merge_sort_block_sort_config_selectorIN6thrust23THRUST_200600_302600_NS4pairIiiEENS0_10empty_typeEEEZNS1_21merge_sort_block_sortIS3_NS6_6detail15normal_iteratorINS6_10device_ptrIS8_EEEESG_PS9_SH_NS6_4lessIS8_EEEE10hipError_tT0_T1_T2_T3_mRjT4_P12ihipStream_tbNS1_7vsmem_tEEUlT_E_NS1_11comp_targetILNS1_3genE8ELNS1_11target_archE1030ELNS1_3gpuE2ELNS1_3repE0EEENS1_30default_config_static_selectorELNS0_4arch9wavefront6targetE1EEEvSM_, .Lfunc_end632-_ZN7rocprim17ROCPRIM_400000_NS6detail17trampoline_kernelINS0_14default_configENS1_37merge_sort_block_sort_config_selectorIN6thrust23THRUST_200600_302600_NS4pairIiiEENS0_10empty_typeEEEZNS1_21merge_sort_block_sortIS3_NS6_6detail15normal_iteratorINS6_10device_ptrIS8_EEEESG_PS9_SH_NS6_4lessIS8_EEEE10hipError_tT0_T1_T2_T3_mRjT4_P12ihipStream_tbNS1_7vsmem_tEEUlT_E_NS1_11comp_targetILNS1_3genE8ELNS1_11target_archE1030ELNS1_3gpuE2ELNS1_3repE0EEENS1_30default_config_static_selectorELNS0_4arch9wavefront6targetE1EEEvSM_
                                        ; -- End function
	.set _ZN7rocprim17ROCPRIM_400000_NS6detail17trampoline_kernelINS0_14default_configENS1_37merge_sort_block_sort_config_selectorIN6thrust23THRUST_200600_302600_NS4pairIiiEENS0_10empty_typeEEEZNS1_21merge_sort_block_sortIS3_NS6_6detail15normal_iteratorINS6_10device_ptrIS8_EEEESG_PS9_SH_NS6_4lessIS8_EEEE10hipError_tT0_T1_T2_T3_mRjT4_P12ihipStream_tbNS1_7vsmem_tEEUlT_E_NS1_11comp_targetILNS1_3genE8ELNS1_11target_archE1030ELNS1_3gpuE2ELNS1_3repE0EEENS1_30default_config_static_selectorELNS0_4arch9wavefront6targetE1EEEvSM_.num_vgpr, 0
	.set _ZN7rocprim17ROCPRIM_400000_NS6detail17trampoline_kernelINS0_14default_configENS1_37merge_sort_block_sort_config_selectorIN6thrust23THRUST_200600_302600_NS4pairIiiEENS0_10empty_typeEEEZNS1_21merge_sort_block_sortIS3_NS6_6detail15normal_iteratorINS6_10device_ptrIS8_EEEESG_PS9_SH_NS6_4lessIS8_EEEE10hipError_tT0_T1_T2_T3_mRjT4_P12ihipStream_tbNS1_7vsmem_tEEUlT_E_NS1_11comp_targetILNS1_3genE8ELNS1_11target_archE1030ELNS1_3gpuE2ELNS1_3repE0EEENS1_30default_config_static_selectorELNS0_4arch9wavefront6targetE1EEEvSM_.num_agpr, 0
	.set _ZN7rocprim17ROCPRIM_400000_NS6detail17trampoline_kernelINS0_14default_configENS1_37merge_sort_block_sort_config_selectorIN6thrust23THRUST_200600_302600_NS4pairIiiEENS0_10empty_typeEEEZNS1_21merge_sort_block_sortIS3_NS6_6detail15normal_iteratorINS6_10device_ptrIS8_EEEESG_PS9_SH_NS6_4lessIS8_EEEE10hipError_tT0_T1_T2_T3_mRjT4_P12ihipStream_tbNS1_7vsmem_tEEUlT_E_NS1_11comp_targetILNS1_3genE8ELNS1_11target_archE1030ELNS1_3gpuE2ELNS1_3repE0EEENS1_30default_config_static_selectorELNS0_4arch9wavefront6targetE1EEEvSM_.numbered_sgpr, 0
	.set _ZN7rocprim17ROCPRIM_400000_NS6detail17trampoline_kernelINS0_14default_configENS1_37merge_sort_block_sort_config_selectorIN6thrust23THRUST_200600_302600_NS4pairIiiEENS0_10empty_typeEEEZNS1_21merge_sort_block_sortIS3_NS6_6detail15normal_iteratorINS6_10device_ptrIS8_EEEESG_PS9_SH_NS6_4lessIS8_EEEE10hipError_tT0_T1_T2_T3_mRjT4_P12ihipStream_tbNS1_7vsmem_tEEUlT_E_NS1_11comp_targetILNS1_3genE8ELNS1_11target_archE1030ELNS1_3gpuE2ELNS1_3repE0EEENS1_30default_config_static_selectorELNS0_4arch9wavefront6targetE1EEEvSM_.num_named_barrier, 0
	.set _ZN7rocprim17ROCPRIM_400000_NS6detail17trampoline_kernelINS0_14default_configENS1_37merge_sort_block_sort_config_selectorIN6thrust23THRUST_200600_302600_NS4pairIiiEENS0_10empty_typeEEEZNS1_21merge_sort_block_sortIS3_NS6_6detail15normal_iteratorINS6_10device_ptrIS8_EEEESG_PS9_SH_NS6_4lessIS8_EEEE10hipError_tT0_T1_T2_T3_mRjT4_P12ihipStream_tbNS1_7vsmem_tEEUlT_E_NS1_11comp_targetILNS1_3genE8ELNS1_11target_archE1030ELNS1_3gpuE2ELNS1_3repE0EEENS1_30default_config_static_selectorELNS0_4arch9wavefront6targetE1EEEvSM_.private_seg_size, 0
	.set _ZN7rocprim17ROCPRIM_400000_NS6detail17trampoline_kernelINS0_14default_configENS1_37merge_sort_block_sort_config_selectorIN6thrust23THRUST_200600_302600_NS4pairIiiEENS0_10empty_typeEEEZNS1_21merge_sort_block_sortIS3_NS6_6detail15normal_iteratorINS6_10device_ptrIS8_EEEESG_PS9_SH_NS6_4lessIS8_EEEE10hipError_tT0_T1_T2_T3_mRjT4_P12ihipStream_tbNS1_7vsmem_tEEUlT_E_NS1_11comp_targetILNS1_3genE8ELNS1_11target_archE1030ELNS1_3gpuE2ELNS1_3repE0EEENS1_30default_config_static_selectorELNS0_4arch9wavefront6targetE1EEEvSM_.uses_vcc, 0
	.set _ZN7rocprim17ROCPRIM_400000_NS6detail17trampoline_kernelINS0_14default_configENS1_37merge_sort_block_sort_config_selectorIN6thrust23THRUST_200600_302600_NS4pairIiiEENS0_10empty_typeEEEZNS1_21merge_sort_block_sortIS3_NS6_6detail15normal_iteratorINS6_10device_ptrIS8_EEEESG_PS9_SH_NS6_4lessIS8_EEEE10hipError_tT0_T1_T2_T3_mRjT4_P12ihipStream_tbNS1_7vsmem_tEEUlT_E_NS1_11comp_targetILNS1_3genE8ELNS1_11target_archE1030ELNS1_3gpuE2ELNS1_3repE0EEENS1_30default_config_static_selectorELNS0_4arch9wavefront6targetE1EEEvSM_.uses_flat_scratch, 0
	.set _ZN7rocprim17ROCPRIM_400000_NS6detail17trampoline_kernelINS0_14default_configENS1_37merge_sort_block_sort_config_selectorIN6thrust23THRUST_200600_302600_NS4pairIiiEENS0_10empty_typeEEEZNS1_21merge_sort_block_sortIS3_NS6_6detail15normal_iteratorINS6_10device_ptrIS8_EEEESG_PS9_SH_NS6_4lessIS8_EEEE10hipError_tT0_T1_T2_T3_mRjT4_P12ihipStream_tbNS1_7vsmem_tEEUlT_E_NS1_11comp_targetILNS1_3genE8ELNS1_11target_archE1030ELNS1_3gpuE2ELNS1_3repE0EEENS1_30default_config_static_selectorELNS0_4arch9wavefront6targetE1EEEvSM_.has_dyn_sized_stack, 0
	.set _ZN7rocprim17ROCPRIM_400000_NS6detail17trampoline_kernelINS0_14default_configENS1_37merge_sort_block_sort_config_selectorIN6thrust23THRUST_200600_302600_NS4pairIiiEENS0_10empty_typeEEEZNS1_21merge_sort_block_sortIS3_NS6_6detail15normal_iteratorINS6_10device_ptrIS8_EEEESG_PS9_SH_NS6_4lessIS8_EEEE10hipError_tT0_T1_T2_T3_mRjT4_P12ihipStream_tbNS1_7vsmem_tEEUlT_E_NS1_11comp_targetILNS1_3genE8ELNS1_11target_archE1030ELNS1_3gpuE2ELNS1_3repE0EEENS1_30default_config_static_selectorELNS0_4arch9wavefront6targetE1EEEvSM_.has_recursion, 0
	.set _ZN7rocprim17ROCPRIM_400000_NS6detail17trampoline_kernelINS0_14default_configENS1_37merge_sort_block_sort_config_selectorIN6thrust23THRUST_200600_302600_NS4pairIiiEENS0_10empty_typeEEEZNS1_21merge_sort_block_sortIS3_NS6_6detail15normal_iteratorINS6_10device_ptrIS8_EEEESG_PS9_SH_NS6_4lessIS8_EEEE10hipError_tT0_T1_T2_T3_mRjT4_P12ihipStream_tbNS1_7vsmem_tEEUlT_E_NS1_11comp_targetILNS1_3genE8ELNS1_11target_archE1030ELNS1_3gpuE2ELNS1_3repE0EEENS1_30default_config_static_selectorELNS0_4arch9wavefront6targetE1EEEvSM_.has_indirect_call, 0
	.section	.AMDGPU.csdata,"",@progbits
; Kernel info:
; codeLenInByte = 0
; TotalNumSgprs: 6
; NumVgprs: 0
; NumAgprs: 0
; TotalNumVgprs: 0
; ScratchSize: 0
; MemoryBound: 0
; FloatMode: 240
; IeeeMode: 1
; LDSByteSize: 0 bytes/workgroup (compile time only)
; SGPRBlocks: 0
; VGPRBlocks: 0
; NumSGPRsForWavesPerEU: 6
; NumVGPRsForWavesPerEU: 1
; AccumOffset: 4
; Occupancy: 8
; WaveLimiterHint : 0
; COMPUTE_PGM_RSRC2:SCRATCH_EN: 0
; COMPUTE_PGM_RSRC2:USER_SGPR: 2
; COMPUTE_PGM_RSRC2:TRAP_HANDLER: 0
; COMPUTE_PGM_RSRC2:TGID_X_EN: 1
; COMPUTE_PGM_RSRC2:TGID_Y_EN: 0
; COMPUTE_PGM_RSRC2:TGID_Z_EN: 0
; COMPUTE_PGM_RSRC2:TIDIG_COMP_CNT: 0
; COMPUTE_PGM_RSRC3_GFX90A:ACCUM_OFFSET: 0
; COMPUTE_PGM_RSRC3_GFX90A:TG_SPLIT: 0
	.section	.text._ZN7rocprim17ROCPRIM_400000_NS6detail17trampoline_kernelINS0_14default_configENS1_38merge_sort_block_merge_config_selectorIN6thrust23THRUST_200600_302600_NS4pairIiiEENS0_10empty_typeEEEZZNS1_27merge_sort_block_merge_implIS3_NS6_6detail15normal_iteratorINS6_10device_ptrIS8_EEEEPS9_mNS6_4lessIS8_EEEE10hipError_tT0_T1_T2_jT3_P12ihipStream_tbPNSt15iterator_traitsISL_E10value_typeEPNSR_ISM_E10value_typeEPSN_NS1_7vsmem_tEENKUlT_SL_SM_SN_E_clIPS8_SG_SH_SH_EESK_S10_SL_SM_SN_EUlS10_E_NS1_11comp_targetILNS1_3genE0ELNS1_11target_archE4294967295ELNS1_3gpuE0ELNS1_3repE0EEENS1_48merge_mergepath_partition_config_static_selectorELNS0_4arch9wavefront6targetE1EEEvSM_,"axG",@progbits,_ZN7rocprim17ROCPRIM_400000_NS6detail17trampoline_kernelINS0_14default_configENS1_38merge_sort_block_merge_config_selectorIN6thrust23THRUST_200600_302600_NS4pairIiiEENS0_10empty_typeEEEZZNS1_27merge_sort_block_merge_implIS3_NS6_6detail15normal_iteratorINS6_10device_ptrIS8_EEEEPS9_mNS6_4lessIS8_EEEE10hipError_tT0_T1_T2_jT3_P12ihipStream_tbPNSt15iterator_traitsISL_E10value_typeEPNSR_ISM_E10value_typeEPSN_NS1_7vsmem_tEENKUlT_SL_SM_SN_E_clIPS8_SG_SH_SH_EESK_S10_SL_SM_SN_EUlS10_E_NS1_11comp_targetILNS1_3genE0ELNS1_11target_archE4294967295ELNS1_3gpuE0ELNS1_3repE0EEENS1_48merge_mergepath_partition_config_static_selectorELNS0_4arch9wavefront6targetE1EEEvSM_,comdat
	.protected	_ZN7rocprim17ROCPRIM_400000_NS6detail17trampoline_kernelINS0_14default_configENS1_38merge_sort_block_merge_config_selectorIN6thrust23THRUST_200600_302600_NS4pairIiiEENS0_10empty_typeEEEZZNS1_27merge_sort_block_merge_implIS3_NS6_6detail15normal_iteratorINS6_10device_ptrIS8_EEEEPS9_mNS6_4lessIS8_EEEE10hipError_tT0_T1_T2_jT3_P12ihipStream_tbPNSt15iterator_traitsISL_E10value_typeEPNSR_ISM_E10value_typeEPSN_NS1_7vsmem_tEENKUlT_SL_SM_SN_E_clIPS8_SG_SH_SH_EESK_S10_SL_SM_SN_EUlS10_E_NS1_11comp_targetILNS1_3genE0ELNS1_11target_archE4294967295ELNS1_3gpuE0ELNS1_3repE0EEENS1_48merge_mergepath_partition_config_static_selectorELNS0_4arch9wavefront6targetE1EEEvSM_ ; -- Begin function _ZN7rocprim17ROCPRIM_400000_NS6detail17trampoline_kernelINS0_14default_configENS1_38merge_sort_block_merge_config_selectorIN6thrust23THRUST_200600_302600_NS4pairIiiEENS0_10empty_typeEEEZZNS1_27merge_sort_block_merge_implIS3_NS6_6detail15normal_iteratorINS6_10device_ptrIS8_EEEEPS9_mNS6_4lessIS8_EEEE10hipError_tT0_T1_T2_jT3_P12ihipStream_tbPNSt15iterator_traitsISL_E10value_typeEPNSR_ISM_E10value_typeEPSN_NS1_7vsmem_tEENKUlT_SL_SM_SN_E_clIPS8_SG_SH_SH_EESK_S10_SL_SM_SN_EUlS10_E_NS1_11comp_targetILNS1_3genE0ELNS1_11target_archE4294967295ELNS1_3gpuE0ELNS1_3repE0EEENS1_48merge_mergepath_partition_config_static_selectorELNS0_4arch9wavefront6targetE1EEEvSM_
	.globl	_ZN7rocprim17ROCPRIM_400000_NS6detail17trampoline_kernelINS0_14default_configENS1_38merge_sort_block_merge_config_selectorIN6thrust23THRUST_200600_302600_NS4pairIiiEENS0_10empty_typeEEEZZNS1_27merge_sort_block_merge_implIS3_NS6_6detail15normal_iteratorINS6_10device_ptrIS8_EEEEPS9_mNS6_4lessIS8_EEEE10hipError_tT0_T1_T2_jT3_P12ihipStream_tbPNSt15iterator_traitsISL_E10value_typeEPNSR_ISM_E10value_typeEPSN_NS1_7vsmem_tEENKUlT_SL_SM_SN_E_clIPS8_SG_SH_SH_EESK_S10_SL_SM_SN_EUlS10_E_NS1_11comp_targetILNS1_3genE0ELNS1_11target_archE4294967295ELNS1_3gpuE0ELNS1_3repE0EEENS1_48merge_mergepath_partition_config_static_selectorELNS0_4arch9wavefront6targetE1EEEvSM_
	.p2align	8
	.type	_ZN7rocprim17ROCPRIM_400000_NS6detail17trampoline_kernelINS0_14default_configENS1_38merge_sort_block_merge_config_selectorIN6thrust23THRUST_200600_302600_NS4pairIiiEENS0_10empty_typeEEEZZNS1_27merge_sort_block_merge_implIS3_NS6_6detail15normal_iteratorINS6_10device_ptrIS8_EEEEPS9_mNS6_4lessIS8_EEEE10hipError_tT0_T1_T2_jT3_P12ihipStream_tbPNSt15iterator_traitsISL_E10value_typeEPNSR_ISM_E10value_typeEPSN_NS1_7vsmem_tEENKUlT_SL_SM_SN_E_clIPS8_SG_SH_SH_EESK_S10_SL_SM_SN_EUlS10_E_NS1_11comp_targetILNS1_3genE0ELNS1_11target_archE4294967295ELNS1_3gpuE0ELNS1_3repE0EEENS1_48merge_mergepath_partition_config_static_selectorELNS0_4arch9wavefront6targetE1EEEvSM_,@function
_ZN7rocprim17ROCPRIM_400000_NS6detail17trampoline_kernelINS0_14default_configENS1_38merge_sort_block_merge_config_selectorIN6thrust23THRUST_200600_302600_NS4pairIiiEENS0_10empty_typeEEEZZNS1_27merge_sort_block_merge_implIS3_NS6_6detail15normal_iteratorINS6_10device_ptrIS8_EEEEPS9_mNS6_4lessIS8_EEEE10hipError_tT0_T1_T2_jT3_P12ihipStream_tbPNSt15iterator_traitsISL_E10value_typeEPNSR_ISM_E10value_typeEPSN_NS1_7vsmem_tEENKUlT_SL_SM_SN_E_clIPS8_SG_SH_SH_EESK_S10_SL_SM_SN_EUlS10_E_NS1_11comp_targetILNS1_3genE0ELNS1_11target_archE4294967295ELNS1_3gpuE0ELNS1_3repE0EEENS1_48merge_mergepath_partition_config_static_selectorELNS0_4arch9wavefront6targetE1EEEvSM_: ; @_ZN7rocprim17ROCPRIM_400000_NS6detail17trampoline_kernelINS0_14default_configENS1_38merge_sort_block_merge_config_selectorIN6thrust23THRUST_200600_302600_NS4pairIiiEENS0_10empty_typeEEEZZNS1_27merge_sort_block_merge_implIS3_NS6_6detail15normal_iteratorINS6_10device_ptrIS8_EEEEPS9_mNS6_4lessIS8_EEEE10hipError_tT0_T1_T2_jT3_P12ihipStream_tbPNSt15iterator_traitsISL_E10value_typeEPNSR_ISM_E10value_typeEPSN_NS1_7vsmem_tEENKUlT_SL_SM_SN_E_clIPS8_SG_SH_SH_EESK_S10_SL_SM_SN_EUlS10_E_NS1_11comp_targetILNS1_3genE0ELNS1_11target_archE4294967295ELNS1_3gpuE0ELNS1_3repE0EEENS1_48merge_mergepath_partition_config_static_selectorELNS0_4arch9wavefront6targetE1EEEvSM_
; %bb.0:
	s_load_dword s3, s[0:1], 0x0
	v_lshl_or_b32 v0, s2, 7, v0
	s_waitcnt lgkmcnt(0)
	v_cmp_gt_u32_e32 vcc, s3, v0
	s_and_saveexec_b64 s[2:3], vcc
	s_cbranch_execz .LBB633_6
; %bb.1:
	s_load_dwordx4 s[8:11], s[0:1], 0x8
	s_load_dwordx2 s[4:5], s[0:1], 0x28
	v_mov_b32_e32 v5, 0
	v_mov_b32_e32 v7, v5
	s_waitcnt lgkmcnt(0)
	s_lshr_b64 s[2:3], s[8:9], 9
	s_and_b32 s2, s2, -2
	s_add_i32 s3, s2, -1
	s_sub_i32 s2, 0, s2
	v_and_b32_e32 v4, s2, v0
	v_lshlrev_b64 v[8:9], 10, v[4:5]
	v_mov_b32_e32 v1, s11
	v_cmp_lt_u64_e32 vcc, s[10:11], v[8:9]
	v_mov_b32_e32 v4, s10
	v_and_b32_e32 v6, s3, v0
	v_cndmask_b32_e32 v3, v9, v1, vcc
	v_cndmask_b32_e32 v2, v8, v4, vcc
	v_lshl_add_u64 v[8:9], v[8:9], 0, s[8:9]
	v_cmp_lt_u64_e32 vcc, s[10:11], v[8:9]
	s_nop 1
	v_cndmask_b32_e32 v11, v9, v1, vcc
	v_cndmask_b32_e32 v10, v8, v4, vcc
	v_lshl_add_u64 v[8:9], v[10:11], 0, s[8:9]
	v_cmp_lt_u64_e32 vcc, s[10:11], v[8:9]
	s_nop 1
	v_cndmask_b32_e32 v14, v8, v4, vcc
	v_cndmask_b32_e32 v1, v9, v1, vcc
	v_sub_co_u32_e32 v8, vcc, v14, v2
	v_lshlrev_b64 v[4:5], 10, v[6:7]
	s_nop 0
	v_subb_co_u32_e32 v9, vcc, v1, v3, vcc
	v_cmp_lt_u64_e32 vcc, v[8:9], v[4:5]
	s_nop 1
	v_cndmask_b32_e32 v13, v5, v9, vcc
	v_cndmask_b32_e32 v12, v4, v8, vcc
	v_sub_co_u32_e32 v6, vcc, v10, v2
	s_nop 1
	v_subb_co_u32_e32 v7, vcc, v11, v3, vcc
	v_sub_co_u32_e32 v4, vcc, v10, v14
	s_nop 1
	v_subb_co_u32_e32 v5, vcc, v11, v1, vcc
	v_lshl_add_u64 v[4:5], v[12:13], 0, v[4:5]
	v_cmp_gt_u64_e32 vcc, v[4:5], v[12:13]
	s_nop 1
	v_cndmask_b32_e64 v5, v5, 0, vcc
	v_cndmask_b32_e64 v4, v4, 0, vcc
	v_cmp_lt_u64_e32 vcc, v[12:13], v[6:7]
	s_nop 1
	v_cndmask_b32_e32 v7, v7, v13, vcc
	v_cndmask_b32_e32 v6, v6, v12, vcc
	v_cmp_lt_u64_e32 vcc, v[4:5], v[6:7]
	s_and_saveexec_b64 s[6:7], vcc
	s_cbranch_execz .LBB633_5
; %bb.2:
	s_load_dwordx2 s[0:1], s[0:1], 0x18
	s_mov_b64 s[8:9], 0
	s_waitcnt lgkmcnt(0)
	v_lshl_add_u64 v[10:11], v[10:11], 3, s[0:1]
	v_lshl_add_u64 v[8:9], v[2:3], 3, s[0:1]
	;; [unrolled: 1-line block ×3, first 2 shown]
.LBB633_3:                              ; =>This Inner Loop Header: Depth=1
	v_lshl_add_u64 v[12:13], v[6:7], 0, v[4:5]
	v_lshrrev_b64 v[12:13], 1, v[12:13]
	v_lshlrev_b64 v[14:15], 3, v[12:13]
	v_lshl_add_u64 v[16:17], v[8:9], 0, v[14:15]
	v_xor_b32_e32 v15, -1, v15
	v_xor_b32_e32 v14, -8, v14
	v_lshl_add_u64 v[14:15], v[10:11], 0, v[14:15]
	global_load_dwordx2 v[18:19], v[16:17], off
	global_load_dwordx2 v[20:21], v[14:15], off
	v_lshl_add_u64 v[14:15], v[12:13], 0, 1
	s_waitcnt vmcnt(0)
	v_cmp_ge_i32_e64 s[0:1], v18, v20
	v_cmp_lt_i32_e64 s[2:3], v21, v19
	v_cmp_lt_i32_e32 vcc, v20, v18
	s_and_b64 s[0:1], s[0:1], s[2:3]
	s_or_b64 vcc, vcc, s[0:1]
	v_cndmask_b32_e32 v7, v7, v13, vcc
	v_cndmask_b32_e32 v6, v6, v12, vcc
	;; [unrolled: 1-line block ×4, first 2 shown]
	v_cmp_ge_u64_e32 vcc, v[4:5], v[6:7]
	s_or_b64 s[8:9], vcc, s[8:9]
	s_andn2_b64 exec, exec, s[8:9]
	s_cbranch_execnz .LBB633_3
; %bb.4:
	s_or_b64 exec, exec, s[8:9]
.LBB633_5:
	s_or_b64 exec, exec, s[6:7]
	v_mov_b32_e32 v1, 0
	v_lshl_add_u64 v[2:3], v[4:5], 0, v[2:3]
	v_lshl_add_u64 v[0:1], v[0:1], 3, s[4:5]
	global_store_dwordx2 v[0:1], v[2:3], off
.LBB633_6:
	s_endpgm
	.section	.rodata,"a",@progbits
	.p2align	6, 0x0
	.amdhsa_kernel _ZN7rocprim17ROCPRIM_400000_NS6detail17trampoline_kernelINS0_14default_configENS1_38merge_sort_block_merge_config_selectorIN6thrust23THRUST_200600_302600_NS4pairIiiEENS0_10empty_typeEEEZZNS1_27merge_sort_block_merge_implIS3_NS6_6detail15normal_iteratorINS6_10device_ptrIS8_EEEEPS9_mNS6_4lessIS8_EEEE10hipError_tT0_T1_T2_jT3_P12ihipStream_tbPNSt15iterator_traitsISL_E10value_typeEPNSR_ISM_E10value_typeEPSN_NS1_7vsmem_tEENKUlT_SL_SM_SN_E_clIPS8_SG_SH_SH_EESK_S10_SL_SM_SN_EUlS10_E_NS1_11comp_targetILNS1_3genE0ELNS1_11target_archE4294967295ELNS1_3gpuE0ELNS1_3repE0EEENS1_48merge_mergepath_partition_config_static_selectorELNS0_4arch9wavefront6targetE1EEEvSM_
		.amdhsa_group_segment_fixed_size 0
		.amdhsa_private_segment_fixed_size 0
		.amdhsa_kernarg_size 48
		.amdhsa_user_sgpr_count 2
		.amdhsa_user_sgpr_dispatch_ptr 0
		.amdhsa_user_sgpr_queue_ptr 0
		.amdhsa_user_sgpr_kernarg_segment_ptr 1
		.amdhsa_user_sgpr_dispatch_id 0
		.amdhsa_user_sgpr_kernarg_preload_length 0
		.amdhsa_user_sgpr_kernarg_preload_offset 0
		.amdhsa_user_sgpr_private_segment_size 0
		.amdhsa_uses_dynamic_stack 0
		.amdhsa_enable_private_segment 0
		.amdhsa_system_sgpr_workgroup_id_x 1
		.amdhsa_system_sgpr_workgroup_id_y 0
		.amdhsa_system_sgpr_workgroup_id_z 0
		.amdhsa_system_sgpr_workgroup_info 0
		.amdhsa_system_vgpr_workitem_id 0
		.amdhsa_next_free_vgpr 22
		.amdhsa_next_free_sgpr 12
		.amdhsa_accum_offset 24
		.amdhsa_reserve_vcc 1
		.amdhsa_float_round_mode_32 0
		.amdhsa_float_round_mode_16_64 0
		.amdhsa_float_denorm_mode_32 3
		.amdhsa_float_denorm_mode_16_64 3
		.amdhsa_dx10_clamp 1
		.amdhsa_ieee_mode 1
		.amdhsa_fp16_overflow 0
		.amdhsa_tg_split 0
		.amdhsa_exception_fp_ieee_invalid_op 0
		.amdhsa_exception_fp_denorm_src 0
		.amdhsa_exception_fp_ieee_div_zero 0
		.amdhsa_exception_fp_ieee_overflow 0
		.amdhsa_exception_fp_ieee_underflow 0
		.amdhsa_exception_fp_ieee_inexact 0
		.amdhsa_exception_int_div_zero 0
	.end_amdhsa_kernel
	.section	.text._ZN7rocprim17ROCPRIM_400000_NS6detail17trampoline_kernelINS0_14default_configENS1_38merge_sort_block_merge_config_selectorIN6thrust23THRUST_200600_302600_NS4pairIiiEENS0_10empty_typeEEEZZNS1_27merge_sort_block_merge_implIS3_NS6_6detail15normal_iteratorINS6_10device_ptrIS8_EEEEPS9_mNS6_4lessIS8_EEEE10hipError_tT0_T1_T2_jT3_P12ihipStream_tbPNSt15iterator_traitsISL_E10value_typeEPNSR_ISM_E10value_typeEPSN_NS1_7vsmem_tEENKUlT_SL_SM_SN_E_clIPS8_SG_SH_SH_EESK_S10_SL_SM_SN_EUlS10_E_NS1_11comp_targetILNS1_3genE0ELNS1_11target_archE4294967295ELNS1_3gpuE0ELNS1_3repE0EEENS1_48merge_mergepath_partition_config_static_selectorELNS0_4arch9wavefront6targetE1EEEvSM_,"axG",@progbits,_ZN7rocprim17ROCPRIM_400000_NS6detail17trampoline_kernelINS0_14default_configENS1_38merge_sort_block_merge_config_selectorIN6thrust23THRUST_200600_302600_NS4pairIiiEENS0_10empty_typeEEEZZNS1_27merge_sort_block_merge_implIS3_NS6_6detail15normal_iteratorINS6_10device_ptrIS8_EEEEPS9_mNS6_4lessIS8_EEEE10hipError_tT0_T1_T2_jT3_P12ihipStream_tbPNSt15iterator_traitsISL_E10value_typeEPNSR_ISM_E10value_typeEPSN_NS1_7vsmem_tEENKUlT_SL_SM_SN_E_clIPS8_SG_SH_SH_EESK_S10_SL_SM_SN_EUlS10_E_NS1_11comp_targetILNS1_3genE0ELNS1_11target_archE4294967295ELNS1_3gpuE0ELNS1_3repE0EEENS1_48merge_mergepath_partition_config_static_selectorELNS0_4arch9wavefront6targetE1EEEvSM_,comdat
.Lfunc_end633:
	.size	_ZN7rocprim17ROCPRIM_400000_NS6detail17trampoline_kernelINS0_14default_configENS1_38merge_sort_block_merge_config_selectorIN6thrust23THRUST_200600_302600_NS4pairIiiEENS0_10empty_typeEEEZZNS1_27merge_sort_block_merge_implIS3_NS6_6detail15normal_iteratorINS6_10device_ptrIS8_EEEEPS9_mNS6_4lessIS8_EEEE10hipError_tT0_T1_T2_jT3_P12ihipStream_tbPNSt15iterator_traitsISL_E10value_typeEPNSR_ISM_E10value_typeEPSN_NS1_7vsmem_tEENKUlT_SL_SM_SN_E_clIPS8_SG_SH_SH_EESK_S10_SL_SM_SN_EUlS10_E_NS1_11comp_targetILNS1_3genE0ELNS1_11target_archE4294967295ELNS1_3gpuE0ELNS1_3repE0EEENS1_48merge_mergepath_partition_config_static_selectorELNS0_4arch9wavefront6targetE1EEEvSM_, .Lfunc_end633-_ZN7rocprim17ROCPRIM_400000_NS6detail17trampoline_kernelINS0_14default_configENS1_38merge_sort_block_merge_config_selectorIN6thrust23THRUST_200600_302600_NS4pairIiiEENS0_10empty_typeEEEZZNS1_27merge_sort_block_merge_implIS3_NS6_6detail15normal_iteratorINS6_10device_ptrIS8_EEEEPS9_mNS6_4lessIS8_EEEE10hipError_tT0_T1_T2_jT3_P12ihipStream_tbPNSt15iterator_traitsISL_E10value_typeEPNSR_ISM_E10value_typeEPSN_NS1_7vsmem_tEENKUlT_SL_SM_SN_E_clIPS8_SG_SH_SH_EESK_S10_SL_SM_SN_EUlS10_E_NS1_11comp_targetILNS1_3genE0ELNS1_11target_archE4294967295ELNS1_3gpuE0ELNS1_3repE0EEENS1_48merge_mergepath_partition_config_static_selectorELNS0_4arch9wavefront6targetE1EEEvSM_
                                        ; -- End function
	.set _ZN7rocprim17ROCPRIM_400000_NS6detail17trampoline_kernelINS0_14default_configENS1_38merge_sort_block_merge_config_selectorIN6thrust23THRUST_200600_302600_NS4pairIiiEENS0_10empty_typeEEEZZNS1_27merge_sort_block_merge_implIS3_NS6_6detail15normal_iteratorINS6_10device_ptrIS8_EEEEPS9_mNS6_4lessIS8_EEEE10hipError_tT0_T1_T2_jT3_P12ihipStream_tbPNSt15iterator_traitsISL_E10value_typeEPNSR_ISM_E10value_typeEPSN_NS1_7vsmem_tEENKUlT_SL_SM_SN_E_clIPS8_SG_SH_SH_EESK_S10_SL_SM_SN_EUlS10_E_NS1_11comp_targetILNS1_3genE0ELNS1_11target_archE4294967295ELNS1_3gpuE0ELNS1_3repE0EEENS1_48merge_mergepath_partition_config_static_selectorELNS0_4arch9wavefront6targetE1EEEvSM_.num_vgpr, 22
	.set _ZN7rocprim17ROCPRIM_400000_NS6detail17trampoline_kernelINS0_14default_configENS1_38merge_sort_block_merge_config_selectorIN6thrust23THRUST_200600_302600_NS4pairIiiEENS0_10empty_typeEEEZZNS1_27merge_sort_block_merge_implIS3_NS6_6detail15normal_iteratorINS6_10device_ptrIS8_EEEEPS9_mNS6_4lessIS8_EEEE10hipError_tT0_T1_T2_jT3_P12ihipStream_tbPNSt15iterator_traitsISL_E10value_typeEPNSR_ISM_E10value_typeEPSN_NS1_7vsmem_tEENKUlT_SL_SM_SN_E_clIPS8_SG_SH_SH_EESK_S10_SL_SM_SN_EUlS10_E_NS1_11comp_targetILNS1_3genE0ELNS1_11target_archE4294967295ELNS1_3gpuE0ELNS1_3repE0EEENS1_48merge_mergepath_partition_config_static_selectorELNS0_4arch9wavefront6targetE1EEEvSM_.num_agpr, 0
	.set _ZN7rocprim17ROCPRIM_400000_NS6detail17trampoline_kernelINS0_14default_configENS1_38merge_sort_block_merge_config_selectorIN6thrust23THRUST_200600_302600_NS4pairIiiEENS0_10empty_typeEEEZZNS1_27merge_sort_block_merge_implIS3_NS6_6detail15normal_iteratorINS6_10device_ptrIS8_EEEEPS9_mNS6_4lessIS8_EEEE10hipError_tT0_T1_T2_jT3_P12ihipStream_tbPNSt15iterator_traitsISL_E10value_typeEPNSR_ISM_E10value_typeEPSN_NS1_7vsmem_tEENKUlT_SL_SM_SN_E_clIPS8_SG_SH_SH_EESK_S10_SL_SM_SN_EUlS10_E_NS1_11comp_targetILNS1_3genE0ELNS1_11target_archE4294967295ELNS1_3gpuE0ELNS1_3repE0EEENS1_48merge_mergepath_partition_config_static_selectorELNS0_4arch9wavefront6targetE1EEEvSM_.numbered_sgpr, 12
	.set _ZN7rocprim17ROCPRIM_400000_NS6detail17trampoline_kernelINS0_14default_configENS1_38merge_sort_block_merge_config_selectorIN6thrust23THRUST_200600_302600_NS4pairIiiEENS0_10empty_typeEEEZZNS1_27merge_sort_block_merge_implIS3_NS6_6detail15normal_iteratorINS6_10device_ptrIS8_EEEEPS9_mNS6_4lessIS8_EEEE10hipError_tT0_T1_T2_jT3_P12ihipStream_tbPNSt15iterator_traitsISL_E10value_typeEPNSR_ISM_E10value_typeEPSN_NS1_7vsmem_tEENKUlT_SL_SM_SN_E_clIPS8_SG_SH_SH_EESK_S10_SL_SM_SN_EUlS10_E_NS1_11comp_targetILNS1_3genE0ELNS1_11target_archE4294967295ELNS1_3gpuE0ELNS1_3repE0EEENS1_48merge_mergepath_partition_config_static_selectorELNS0_4arch9wavefront6targetE1EEEvSM_.num_named_barrier, 0
	.set _ZN7rocprim17ROCPRIM_400000_NS6detail17trampoline_kernelINS0_14default_configENS1_38merge_sort_block_merge_config_selectorIN6thrust23THRUST_200600_302600_NS4pairIiiEENS0_10empty_typeEEEZZNS1_27merge_sort_block_merge_implIS3_NS6_6detail15normal_iteratorINS6_10device_ptrIS8_EEEEPS9_mNS6_4lessIS8_EEEE10hipError_tT0_T1_T2_jT3_P12ihipStream_tbPNSt15iterator_traitsISL_E10value_typeEPNSR_ISM_E10value_typeEPSN_NS1_7vsmem_tEENKUlT_SL_SM_SN_E_clIPS8_SG_SH_SH_EESK_S10_SL_SM_SN_EUlS10_E_NS1_11comp_targetILNS1_3genE0ELNS1_11target_archE4294967295ELNS1_3gpuE0ELNS1_3repE0EEENS1_48merge_mergepath_partition_config_static_selectorELNS0_4arch9wavefront6targetE1EEEvSM_.private_seg_size, 0
	.set _ZN7rocprim17ROCPRIM_400000_NS6detail17trampoline_kernelINS0_14default_configENS1_38merge_sort_block_merge_config_selectorIN6thrust23THRUST_200600_302600_NS4pairIiiEENS0_10empty_typeEEEZZNS1_27merge_sort_block_merge_implIS3_NS6_6detail15normal_iteratorINS6_10device_ptrIS8_EEEEPS9_mNS6_4lessIS8_EEEE10hipError_tT0_T1_T2_jT3_P12ihipStream_tbPNSt15iterator_traitsISL_E10value_typeEPNSR_ISM_E10value_typeEPSN_NS1_7vsmem_tEENKUlT_SL_SM_SN_E_clIPS8_SG_SH_SH_EESK_S10_SL_SM_SN_EUlS10_E_NS1_11comp_targetILNS1_3genE0ELNS1_11target_archE4294967295ELNS1_3gpuE0ELNS1_3repE0EEENS1_48merge_mergepath_partition_config_static_selectorELNS0_4arch9wavefront6targetE1EEEvSM_.uses_vcc, 1
	.set _ZN7rocprim17ROCPRIM_400000_NS6detail17trampoline_kernelINS0_14default_configENS1_38merge_sort_block_merge_config_selectorIN6thrust23THRUST_200600_302600_NS4pairIiiEENS0_10empty_typeEEEZZNS1_27merge_sort_block_merge_implIS3_NS6_6detail15normal_iteratorINS6_10device_ptrIS8_EEEEPS9_mNS6_4lessIS8_EEEE10hipError_tT0_T1_T2_jT3_P12ihipStream_tbPNSt15iterator_traitsISL_E10value_typeEPNSR_ISM_E10value_typeEPSN_NS1_7vsmem_tEENKUlT_SL_SM_SN_E_clIPS8_SG_SH_SH_EESK_S10_SL_SM_SN_EUlS10_E_NS1_11comp_targetILNS1_3genE0ELNS1_11target_archE4294967295ELNS1_3gpuE0ELNS1_3repE0EEENS1_48merge_mergepath_partition_config_static_selectorELNS0_4arch9wavefront6targetE1EEEvSM_.uses_flat_scratch, 0
	.set _ZN7rocprim17ROCPRIM_400000_NS6detail17trampoline_kernelINS0_14default_configENS1_38merge_sort_block_merge_config_selectorIN6thrust23THRUST_200600_302600_NS4pairIiiEENS0_10empty_typeEEEZZNS1_27merge_sort_block_merge_implIS3_NS6_6detail15normal_iteratorINS6_10device_ptrIS8_EEEEPS9_mNS6_4lessIS8_EEEE10hipError_tT0_T1_T2_jT3_P12ihipStream_tbPNSt15iterator_traitsISL_E10value_typeEPNSR_ISM_E10value_typeEPSN_NS1_7vsmem_tEENKUlT_SL_SM_SN_E_clIPS8_SG_SH_SH_EESK_S10_SL_SM_SN_EUlS10_E_NS1_11comp_targetILNS1_3genE0ELNS1_11target_archE4294967295ELNS1_3gpuE0ELNS1_3repE0EEENS1_48merge_mergepath_partition_config_static_selectorELNS0_4arch9wavefront6targetE1EEEvSM_.has_dyn_sized_stack, 0
	.set _ZN7rocprim17ROCPRIM_400000_NS6detail17trampoline_kernelINS0_14default_configENS1_38merge_sort_block_merge_config_selectorIN6thrust23THRUST_200600_302600_NS4pairIiiEENS0_10empty_typeEEEZZNS1_27merge_sort_block_merge_implIS3_NS6_6detail15normal_iteratorINS6_10device_ptrIS8_EEEEPS9_mNS6_4lessIS8_EEEE10hipError_tT0_T1_T2_jT3_P12ihipStream_tbPNSt15iterator_traitsISL_E10value_typeEPNSR_ISM_E10value_typeEPSN_NS1_7vsmem_tEENKUlT_SL_SM_SN_E_clIPS8_SG_SH_SH_EESK_S10_SL_SM_SN_EUlS10_E_NS1_11comp_targetILNS1_3genE0ELNS1_11target_archE4294967295ELNS1_3gpuE0ELNS1_3repE0EEENS1_48merge_mergepath_partition_config_static_selectorELNS0_4arch9wavefront6targetE1EEEvSM_.has_recursion, 0
	.set _ZN7rocprim17ROCPRIM_400000_NS6detail17trampoline_kernelINS0_14default_configENS1_38merge_sort_block_merge_config_selectorIN6thrust23THRUST_200600_302600_NS4pairIiiEENS0_10empty_typeEEEZZNS1_27merge_sort_block_merge_implIS3_NS6_6detail15normal_iteratorINS6_10device_ptrIS8_EEEEPS9_mNS6_4lessIS8_EEEE10hipError_tT0_T1_T2_jT3_P12ihipStream_tbPNSt15iterator_traitsISL_E10value_typeEPNSR_ISM_E10value_typeEPSN_NS1_7vsmem_tEENKUlT_SL_SM_SN_E_clIPS8_SG_SH_SH_EESK_S10_SL_SM_SN_EUlS10_E_NS1_11comp_targetILNS1_3genE0ELNS1_11target_archE4294967295ELNS1_3gpuE0ELNS1_3repE0EEENS1_48merge_mergepath_partition_config_static_selectorELNS0_4arch9wavefront6targetE1EEEvSM_.has_indirect_call, 0
	.section	.AMDGPU.csdata,"",@progbits
; Kernel info:
; codeLenInByte = 496
; TotalNumSgprs: 18
; NumVgprs: 22
; NumAgprs: 0
; TotalNumVgprs: 22
; ScratchSize: 0
; MemoryBound: 0
; FloatMode: 240
; IeeeMode: 1
; LDSByteSize: 0 bytes/workgroup (compile time only)
; SGPRBlocks: 2
; VGPRBlocks: 2
; NumSGPRsForWavesPerEU: 18
; NumVGPRsForWavesPerEU: 22
; AccumOffset: 24
; Occupancy: 8
; WaveLimiterHint : 0
; COMPUTE_PGM_RSRC2:SCRATCH_EN: 0
; COMPUTE_PGM_RSRC2:USER_SGPR: 2
; COMPUTE_PGM_RSRC2:TRAP_HANDLER: 0
; COMPUTE_PGM_RSRC2:TGID_X_EN: 1
; COMPUTE_PGM_RSRC2:TGID_Y_EN: 0
; COMPUTE_PGM_RSRC2:TGID_Z_EN: 0
; COMPUTE_PGM_RSRC2:TIDIG_COMP_CNT: 0
; COMPUTE_PGM_RSRC3_GFX90A:ACCUM_OFFSET: 5
; COMPUTE_PGM_RSRC3_GFX90A:TG_SPLIT: 0
	.section	.text._ZN7rocprim17ROCPRIM_400000_NS6detail17trampoline_kernelINS0_14default_configENS1_38merge_sort_block_merge_config_selectorIN6thrust23THRUST_200600_302600_NS4pairIiiEENS0_10empty_typeEEEZZNS1_27merge_sort_block_merge_implIS3_NS6_6detail15normal_iteratorINS6_10device_ptrIS8_EEEEPS9_mNS6_4lessIS8_EEEE10hipError_tT0_T1_T2_jT3_P12ihipStream_tbPNSt15iterator_traitsISL_E10value_typeEPNSR_ISM_E10value_typeEPSN_NS1_7vsmem_tEENKUlT_SL_SM_SN_E_clIPS8_SG_SH_SH_EESK_S10_SL_SM_SN_EUlS10_E_NS1_11comp_targetILNS1_3genE10ELNS1_11target_archE1201ELNS1_3gpuE5ELNS1_3repE0EEENS1_48merge_mergepath_partition_config_static_selectorELNS0_4arch9wavefront6targetE1EEEvSM_,"axG",@progbits,_ZN7rocprim17ROCPRIM_400000_NS6detail17trampoline_kernelINS0_14default_configENS1_38merge_sort_block_merge_config_selectorIN6thrust23THRUST_200600_302600_NS4pairIiiEENS0_10empty_typeEEEZZNS1_27merge_sort_block_merge_implIS3_NS6_6detail15normal_iteratorINS6_10device_ptrIS8_EEEEPS9_mNS6_4lessIS8_EEEE10hipError_tT0_T1_T2_jT3_P12ihipStream_tbPNSt15iterator_traitsISL_E10value_typeEPNSR_ISM_E10value_typeEPSN_NS1_7vsmem_tEENKUlT_SL_SM_SN_E_clIPS8_SG_SH_SH_EESK_S10_SL_SM_SN_EUlS10_E_NS1_11comp_targetILNS1_3genE10ELNS1_11target_archE1201ELNS1_3gpuE5ELNS1_3repE0EEENS1_48merge_mergepath_partition_config_static_selectorELNS0_4arch9wavefront6targetE1EEEvSM_,comdat
	.protected	_ZN7rocprim17ROCPRIM_400000_NS6detail17trampoline_kernelINS0_14default_configENS1_38merge_sort_block_merge_config_selectorIN6thrust23THRUST_200600_302600_NS4pairIiiEENS0_10empty_typeEEEZZNS1_27merge_sort_block_merge_implIS3_NS6_6detail15normal_iteratorINS6_10device_ptrIS8_EEEEPS9_mNS6_4lessIS8_EEEE10hipError_tT0_T1_T2_jT3_P12ihipStream_tbPNSt15iterator_traitsISL_E10value_typeEPNSR_ISM_E10value_typeEPSN_NS1_7vsmem_tEENKUlT_SL_SM_SN_E_clIPS8_SG_SH_SH_EESK_S10_SL_SM_SN_EUlS10_E_NS1_11comp_targetILNS1_3genE10ELNS1_11target_archE1201ELNS1_3gpuE5ELNS1_3repE0EEENS1_48merge_mergepath_partition_config_static_selectorELNS0_4arch9wavefront6targetE1EEEvSM_ ; -- Begin function _ZN7rocprim17ROCPRIM_400000_NS6detail17trampoline_kernelINS0_14default_configENS1_38merge_sort_block_merge_config_selectorIN6thrust23THRUST_200600_302600_NS4pairIiiEENS0_10empty_typeEEEZZNS1_27merge_sort_block_merge_implIS3_NS6_6detail15normal_iteratorINS6_10device_ptrIS8_EEEEPS9_mNS6_4lessIS8_EEEE10hipError_tT0_T1_T2_jT3_P12ihipStream_tbPNSt15iterator_traitsISL_E10value_typeEPNSR_ISM_E10value_typeEPSN_NS1_7vsmem_tEENKUlT_SL_SM_SN_E_clIPS8_SG_SH_SH_EESK_S10_SL_SM_SN_EUlS10_E_NS1_11comp_targetILNS1_3genE10ELNS1_11target_archE1201ELNS1_3gpuE5ELNS1_3repE0EEENS1_48merge_mergepath_partition_config_static_selectorELNS0_4arch9wavefront6targetE1EEEvSM_
	.globl	_ZN7rocprim17ROCPRIM_400000_NS6detail17trampoline_kernelINS0_14default_configENS1_38merge_sort_block_merge_config_selectorIN6thrust23THRUST_200600_302600_NS4pairIiiEENS0_10empty_typeEEEZZNS1_27merge_sort_block_merge_implIS3_NS6_6detail15normal_iteratorINS6_10device_ptrIS8_EEEEPS9_mNS6_4lessIS8_EEEE10hipError_tT0_T1_T2_jT3_P12ihipStream_tbPNSt15iterator_traitsISL_E10value_typeEPNSR_ISM_E10value_typeEPSN_NS1_7vsmem_tEENKUlT_SL_SM_SN_E_clIPS8_SG_SH_SH_EESK_S10_SL_SM_SN_EUlS10_E_NS1_11comp_targetILNS1_3genE10ELNS1_11target_archE1201ELNS1_3gpuE5ELNS1_3repE0EEENS1_48merge_mergepath_partition_config_static_selectorELNS0_4arch9wavefront6targetE1EEEvSM_
	.p2align	8
	.type	_ZN7rocprim17ROCPRIM_400000_NS6detail17trampoline_kernelINS0_14default_configENS1_38merge_sort_block_merge_config_selectorIN6thrust23THRUST_200600_302600_NS4pairIiiEENS0_10empty_typeEEEZZNS1_27merge_sort_block_merge_implIS3_NS6_6detail15normal_iteratorINS6_10device_ptrIS8_EEEEPS9_mNS6_4lessIS8_EEEE10hipError_tT0_T1_T2_jT3_P12ihipStream_tbPNSt15iterator_traitsISL_E10value_typeEPNSR_ISM_E10value_typeEPSN_NS1_7vsmem_tEENKUlT_SL_SM_SN_E_clIPS8_SG_SH_SH_EESK_S10_SL_SM_SN_EUlS10_E_NS1_11comp_targetILNS1_3genE10ELNS1_11target_archE1201ELNS1_3gpuE5ELNS1_3repE0EEENS1_48merge_mergepath_partition_config_static_selectorELNS0_4arch9wavefront6targetE1EEEvSM_,@function
_ZN7rocprim17ROCPRIM_400000_NS6detail17trampoline_kernelINS0_14default_configENS1_38merge_sort_block_merge_config_selectorIN6thrust23THRUST_200600_302600_NS4pairIiiEENS0_10empty_typeEEEZZNS1_27merge_sort_block_merge_implIS3_NS6_6detail15normal_iteratorINS6_10device_ptrIS8_EEEEPS9_mNS6_4lessIS8_EEEE10hipError_tT0_T1_T2_jT3_P12ihipStream_tbPNSt15iterator_traitsISL_E10value_typeEPNSR_ISM_E10value_typeEPSN_NS1_7vsmem_tEENKUlT_SL_SM_SN_E_clIPS8_SG_SH_SH_EESK_S10_SL_SM_SN_EUlS10_E_NS1_11comp_targetILNS1_3genE10ELNS1_11target_archE1201ELNS1_3gpuE5ELNS1_3repE0EEENS1_48merge_mergepath_partition_config_static_selectorELNS0_4arch9wavefront6targetE1EEEvSM_: ; @_ZN7rocprim17ROCPRIM_400000_NS6detail17trampoline_kernelINS0_14default_configENS1_38merge_sort_block_merge_config_selectorIN6thrust23THRUST_200600_302600_NS4pairIiiEENS0_10empty_typeEEEZZNS1_27merge_sort_block_merge_implIS3_NS6_6detail15normal_iteratorINS6_10device_ptrIS8_EEEEPS9_mNS6_4lessIS8_EEEE10hipError_tT0_T1_T2_jT3_P12ihipStream_tbPNSt15iterator_traitsISL_E10value_typeEPNSR_ISM_E10value_typeEPSN_NS1_7vsmem_tEENKUlT_SL_SM_SN_E_clIPS8_SG_SH_SH_EESK_S10_SL_SM_SN_EUlS10_E_NS1_11comp_targetILNS1_3genE10ELNS1_11target_archE1201ELNS1_3gpuE5ELNS1_3repE0EEENS1_48merge_mergepath_partition_config_static_selectorELNS0_4arch9wavefront6targetE1EEEvSM_
; %bb.0:
	.section	.rodata,"a",@progbits
	.p2align	6, 0x0
	.amdhsa_kernel _ZN7rocprim17ROCPRIM_400000_NS6detail17trampoline_kernelINS0_14default_configENS1_38merge_sort_block_merge_config_selectorIN6thrust23THRUST_200600_302600_NS4pairIiiEENS0_10empty_typeEEEZZNS1_27merge_sort_block_merge_implIS3_NS6_6detail15normal_iteratorINS6_10device_ptrIS8_EEEEPS9_mNS6_4lessIS8_EEEE10hipError_tT0_T1_T2_jT3_P12ihipStream_tbPNSt15iterator_traitsISL_E10value_typeEPNSR_ISM_E10value_typeEPSN_NS1_7vsmem_tEENKUlT_SL_SM_SN_E_clIPS8_SG_SH_SH_EESK_S10_SL_SM_SN_EUlS10_E_NS1_11comp_targetILNS1_3genE10ELNS1_11target_archE1201ELNS1_3gpuE5ELNS1_3repE0EEENS1_48merge_mergepath_partition_config_static_selectorELNS0_4arch9wavefront6targetE1EEEvSM_
		.amdhsa_group_segment_fixed_size 0
		.amdhsa_private_segment_fixed_size 0
		.amdhsa_kernarg_size 48
		.amdhsa_user_sgpr_count 2
		.amdhsa_user_sgpr_dispatch_ptr 0
		.amdhsa_user_sgpr_queue_ptr 0
		.amdhsa_user_sgpr_kernarg_segment_ptr 1
		.amdhsa_user_sgpr_dispatch_id 0
		.amdhsa_user_sgpr_kernarg_preload_length 0
		.amdhsa_user_sgpr_kernarg_preload_offset 0
		.amdhsa_user_sgpr_private_segment_size 0
		.amdhsa_uses_dynamic_stack 0
		.amdhsa_enable_private_segment 0
		.amdhsa_system_sgpr_workgroup_id_x 1
		.amdhsa_system_sgpr_workgroup_id_y 0
		.amdhsa_system_sgpr_workgroup_id_z 0
		.amdhsa_system_sgpr_workgroup_info 0
		.amdhsa_system_vgpr_workitem_id 0
		.amdhsa_next_free_vgpr 1
		.amdhsa_next_free_sgpr 0
		.amdhsa_accum_offset 4
		.amdhsa_reserve_vcc 0
		.amdhsa_float_round_mode_32 0
		.amdhsa_float_round_mode_16_64 0
		.amdhsa_float_denorm_mode_32 3
		.amdhsa_float_denorm_mode_16_64 3
		.amdhsa_dx10_clamp 1
		.amdhsa_ieee_mode 1
		.amdhsa_fp16_overflow 0
		.amdhsa_tg_split 0
		.amdhsa_exception_fp_ieee_invalid_op 0
		.amdhsa_exception_fp_denorm_src 0
		.amdhsa_exception_fp_ieee_div_zero 0
		.amdhsa_exception_fp_ieee_overflow 0
		.amdhsa_exception_fp_ieee_underflow 0
		.amdhsa_exception_fp_ieee_inexact 0
		.amdhsa_exception_int_div_zero 0
	.end_amdhsa_kernel
	.section	.text._ZN7rocprim17ROCPRIM_400000_NS6detail17trampoline_kernelINS0_14default_configENS1_38merge_sort_block_merge_config_selectorIN6thrust23THRUST_200600_302600_NS4pairIiiEENS0_10empty_typeEEEZZNS1_27merge_sort_block_merge_implIS3_NS6_6detail15normal_iteratorINS6_10device_ptrIS8_EEEEPS9_mNS6_4lessIS8_EEEE10hipError_tT0_T1_T2_jT3_P12ihipStream_tbPNSt15iterator_traitsISL_E10value_typeEPNSR_ISM_E10value_typeEPSN_NS1_7vsmem_tEENKUlT_SL_SM_SN_E_clIPS8_SG_SH_SH_EESK_S10_SL_SM_SN_EUlS10_E_NS1_11comp_targetILNS1_3genE10ELNS1_11target_archE1201ELNS1_3gpuE5ELNS1_3repE0EEENS1_48merge_mergepath_partition_config_static_selectorELNS0_4arch9wavefront6targetE1EEEvSM_,"axG",@progbits,_ZN7rocprim17ROCPRIM_400000_NS6detail17trampoline_kernelINS0_14default_configENS1_38merge_sort_block_merge_config_selectorIN6thrust23THRUST_200600_302600_NS4pairIiiEENS0_10empty_typeEEEZZNS1_27merge_sort_block_merge_implIS3_NS6_6detail15normal_iteratorINS6_10device_ptrIS8_EEEEPS9_mNS6_4lessIS8_EEEE10hipError_tT0_T1_T2_jT3_P12ihipStream_tbPNSt15iterator_traitsISL_E10value_typeEPNSR_ISM_E10value_typeEPSN_NS1_7vsmem_tEENKUlT_SL_SM_SN_E_clIPS8_SG_SH_SH_EESK_S10_SL_SM_SN_EUlS10_E_NS1_11comp_targetILNS1_3genE10ELNS1_11target_archE1201ELNS1_3gpuE5ELNS1_3repE0EEENS1_48merge_mergepath_partition_config_static_selectorELNS0_4arch9wavefront6targetE1EEEvSM_,comdat
.Lfunc_end634:
	.size	_ZN7rocprim17ROCPRIM_400000_NS6detail17trampoline_kernelINS0_14default_configENS1_38merge_sort_block_merge_config_selectorIN6thrust23THRUST_200600_302600_NS4pairIiiEENS0_10empty_typeEEEZZNS1_27merge_sort_block_merge_implIS3_NS6_6detail15normal_iteratorINS6_10device_ptrIS8_EEEEPS9_mNS6_4lessIS8_EEEE10hipError_tT0_T1_T2_jT3_P12ihipStream_tbPNSt15iterator_traitsISL_E10value_typeEPNSR_ISM_E10value_typeEPSN_NS1_7vsmem_tEENKUlT_SL_SM_SN_E_clIPS8_SG_SH_SH_EESK_S10_SL_SM_SN_EUlS10_E_NS1_11comp_targetILNS1_3genE10ELNS1_11target_archE1201ELNS1_3gpuE5ELNS1_3repE0EEENS1_48merge_mergepath_partition_config_static_selectorELNS0_4arch9wavefront6targetE1EEEvSM_, .Lfunc_end634-_ZN7rocprim17ROCPRIM_400000_NS6detail17trampoline_kernelINS0_14default_configENS1_38merge_sort_block_merge_config_selectorIN6thrust23THRUST_200600_302600_NS4pairIiiEENS0_10empty_typeEEEZZNS1_27merge_sort_block_merge_implIS3_NS6_6detail15normal_iteratorINS6_10device_ptrIS8_EEEEPS9_mNS6_4lessIS8_EEEE10hipError_tT0_T1_T2_jT3_P12ihipStream_tbPNSt15iterator_traitsISL_E10value_typeEPNSR_ISM_E10value_typeEPSN_NS1_7vsmem_tEENKUlT_SL_SM_SN_E_clIPS8_SG_SH_SH_EESK_S10_SL_SM_SN_EUlS10_E_NS1_11comp_targetILNS1_3genE10ELNS1_11target_archE1201ELNS1_3gpuE5ELNS1_3repE0EEENS1_48merge_mergepath_partition_config_static_selectorELNS0_4arch9wavefront6targetE1EEEvSM_
                                        ; -- End function
	.set _ZN7rocprim17ROCPRIM_400000_NS6detail17trampoline_kernelINS0_14default_configENS1_38merge_sort_block_merge_config_selectorIN6thrust23THRUST_200600_302600_NS4pairIiiEENS0_10empty_typeEEEZZNS1_27merge_sort_block_merge_implIS3_NS6_6detail15normal_iteratorINS6_10device_ptrIS8_EEEEPS9_mNS6_4lessIS8_EEEE10hipError_tT0_T1_T2_jT3_P12ihipStream_tbPNSt15iterator_traitsISL_E10value_typeEPNSR_ISM_E10value_typeEPSN_NS1_7vsmem_tEENKUlT_SL_SM_SN_E_clIPS8_SG_SH_SH_EESK_S10_SL_SM_SN_EUlS10_E_NS1_11comp_targetILNS1_3genE10ELNS1_11target_archE1201ELNS1_3gpuE5ELNS1_3repE0EEENS1_48merge_mergepath_partition_config_static_selectorELNS0_4arch9wavefront6targetE1EEEvSM_.num_vgpr, 0
	.set _ZN7rocprim17ROCPRIM_400000_NS6detail17trampoline_kernelINS0_14default_configENS1_38merge_sort_block_merge_config_selectorIN6thrust23THRUST_200600_302600_NS4pairIiiEENS0_10empty_typeEEEZZNS1_27merge_sort_block_merge_implIS3_NS6_6detail15normal_iteratorINS6_10device_ptrIS8_EEEEPS9_mNS6_4lessIS8_EEEE10hipError_tT0_T1_T2_jT3_P12ihipStream_tbPNSt15iterator_traitsISL_E10value_typeEPNSR_ISM_E10value_typeEPSN_NS1_7vsmem_tEENKUlT_SL_SM_SN_E_clIPS8_SG_SH_SH_EESK_S10_SL_SM_SN_EUlS10_E_NS1_11comp_targetILNS1_3genE10ELNS1_11target_archE1201ELNS1_3gpuE5ELNS1_3repE0EEENS1_48merge_mergepath_partition_config_static_selectorELNS0_4arch9wavefront6targetE1EEEvSM_.num_agpr, 0
	.set _ZN7rocprim17ROCPRIM_400000_NS6detail17trampoline_kernelINS0_14default_configENS1_38merge_sort_block_merge_config_selectorIN6thrust23THRUST_200600_302600_NS4pairIiiEENS0_10empty_typeEEEZZNS1_27merge_sort_block_merge_implIS3_NS6_6detail15normal_iteratorINS6_10device_ptrIS8_EEEEPS9_mNS6_4lessIS8_EEEE10hipError_tT0_T1_T2_jT3_P12ihipStream_tbPNSt15iterator_traitsISL_E10value_typeEPNSR_ISM_E10value_typeEPSN_NS1_7vsmem_tEENKUlT_SL_SM_SN_E_clIPS8_SG_SH_SH_EESK_S10_SL_SM_SN_EUlS10_E_NS1_11comp_targetILNS1_3genE10ELNS1_11target_archE1201ELNS1_3gpuE5ELNS1_3repE0EEENS1_48merge_mergepath_partition_config_static_selectorELNS0_4arch9wavefront6targetE1EEEvSM_.numbered_sgpr, 0
	.set _ZN7rocprim17ROCPRIM_400000_NS6detail17trampoline_kernelINS0_14default_configENS1_38merge_sort_block_merge_config_selectorIN6thrust23THRUST_200600_302600_NS4pairIiiEENS0_10empty_typeEEEZZNS1_27merge_sort_block_merge_implIS3_NS6_6detail15normal_iteratorINS6_10device_ptrIS8_EEEEPS9_mNS6_4lessIS8_EEEE10hipError_tT0_T1_T2_jT3_P12ihipStream_tbPNSt15iterator_traitsISL_E10value_typeEPNSR_ISM_E10value_typeEPSN_NS1_7vsmem_tEENKUlT_SL_SM_SN_E_clIPS8_SG_SH_SH_EESK_S10_SL_SM_SN_EUlS10_E_NS1_11comp_targetILNS1_3genE10ELNS1_11target_archE1201ELNS1_3gpuE5ELNS1_3repE0EEENS1_48merge_mergepath_partition_config_static_selectorELNS0_4arch9wavefront6targetE1EEEvSM_.num_named_barrier, 0
	.set _ZN7rocprim17ROCPRIM_400000_NS6detail17trampoline_kernelINS0_14default_configENS1_38merge_sort_block_merge_config_selectorIN6thrust23THRUST_200600_302600_NS4pairIiiEENS0_10empty_typeEEEZZNS1_27merge_sort_block_merge_implIS3_NS6_6detail15normal_iteratorINS6_10device_ptrIS8_EEEEPS9_mNS6_4lessIS8_EEEE10hipError_tT0_T1_T2_jT3_P12ihipStream_tbPNSt15iterator_traitsISL_E10value_typeEPNSR_ISM_E10value_typeEPSN_NS1_7vsmem_tEENKUlT_SL_SM_SN_E_clIPS8_SG_SH_SH_EESK_S10_SL_SM_SN_EUlS10_E_NS1_11comp_targetILNS1_3genE10ELNS1_11target_archE1201ELNS1_3gpuE5ELNS1_3repE0EEENS1_48merge_mergepath_partition_config_static_selectorELNS0_4arch9wavefront6targetE1EEEvSM_.private_seg_size, 0
	.set _ZN7rocprim17ROCPRIM_400000_NS6detail17trampoline_kernelINS0_14default_configENS1_38merge_sort_block_merge_config_selectorIN6thrust23THRUST_200600_302600_NS4pairIiiEENS0_10empty_typeEEEZZNS1_27merge_sort_block_merge_implIS3_NS6_6detail15normal_iteratorINS6_10device_ptrIS8_EEEEPS9_mNS6_4lessIS8_EEEE10hipError_tT0_T1_T2_jT3_P12ihipStream_tbPNSt15iterator_traitsISL_E10value_typeEPNSR_ISM_E10value_typeEPSN_NS1_7vsmem_tEENKUlT_SL_SM_SN_E_clIPS8_SG_SH_SH_EESK_S10_SL_SM_SN_EUlS10_E_NS1_11comp_targetILNS1_3genE10ELNS1_11target_archE1201ELNS1_3gpuE5ELNS1_3repE0EEENS1_48merge_mergepath_partition_config_static_selectorELNS0_4arch9wavefront6targetE1EEEvSM_.uses_vcc, 0
	.set _ZN7rocprim17ROCPRIM_400000_NS6detail17trampoline_kernelINS0_14default_configENS1_38merge_sort_block_merge_config_selectorIN6thrust23THRUST_200600_302600_NS4pairIiiEENS0_10empty_typeEEEZZNS1_27merge_sort_block_merge_implIS3_NS6_6detail15normal_iteratorINS6_10device_ptrIS8_EEEEPS9_mNS6_4lessIS8_EEEE10hipError_tT0_T1_T2_jT3_P12ihipStream_tbPNSt15iterator_traitsISL_E10value_typeEPNSR_ISM_E10value_typeEPSN_NS1_7vsmem_tEENKUlT_SL_SM_SN_E_clIPS8_SG_SH_SH_EESK_S10_SL_SM_SN_EUlS10_E_NS1_11comp_targetILNS1_3genE10ELNS1_11target_archE1201ELNS1_3gpuE5ELNS1_3repE0EEENS1_48merge_mergepath_partition_config_static_selectorELNS0_4arch9wavefront6targetE1EEEvSM_.uses_flat_scratch, 0
	.set _ZN7rocprim17ROCPRIM_400000_NS6detail17trampoline_kernelINS0_14default_configENS1_38merge_sort_block_merge_config_selectorIN6thrust23THRUST_200600_302600_NS4pairIiiEENS0_10empty_typeEEEZZNS1_27merge_sort_block_merge_implIS3_NS6_6detail15normal_iteratorINS6_10device_ptrIS8_EEEEPS9_mNS6_4lessIS8_EEEE10hipError_tT0_T1_T2_jT3_P12ihipStream_tbPNSt15iterator_traitsISL_E10value_typeEPNSR_ISM_E10value_typeEPSN_NS1_7vsmem_tEENKUlT_SL_SM_SN_E_clIPS8_SG_SH_SH_EESK_S10_SL_SM_SN_EUlS10_E_NS1_11comp_targetILNS1_3genE10ELNS1_11target_archE1201ELNS1_3gpuE5ELNS1_3repE0EEENS1_48merge_mergepath_partition_config_static_selectorELNS0_4arch9wavefront6targetE1EEEvSM_.has_dyn_sized_stack, 0
	.set _ZN7rocprim17ROCPRIM_400000_NS6detail17trampoline_kernelINS0_14default_configENS1_38merge_sort_block_merge_config_selectorIN6thrust23THRUST_200600_302600_NS4pairIiiEENS0_10empty_typeEEEZZNS1_27merge_sort_block_merge_implIS3_NS6_6detail15normal_iteratorINS6_10device_ptrIS8_EEEEPS9_mNS6_4lessIS8_EEEE10hipError_tT0_T1_T2_jT3_P12ihipStream_tbPNSt15iterator_traitsISL_E10value_typeEPNSR_ISM_E10value_typeEPSN_NS1_7vsmem_tEENKUlT_SL_SM_SN_E_clIPS8_SG_SH_SH_EESK_S10_SL_SM_SN_EUlS10_E_NS1_11comp_targetILNS1_3genE10ELNS1_11target_archE1201ELNS1_3gpuE5ELNS1_3repE0EEENS1_48merge_mergepath_partition_config_static_selectorELNS0_4arch9wavefront6targetE1EEEvSM_.has_recursion, 0
	.set _ZN7rocprim17ROCPRIM_400000_NS6detail17trampoline_kernelINS0_14default_configENS1_38merge_sort_block_merge_config_selectorIN6thrust23THRUST_200600_302600_NS4pairIiiEENS0_10empty_typeEEEZZNS1_27merge_sort_block_merge_implIS3_NS6_6detail15normal_iteratorINS6_10device_ptrIS8_EEEEPS9_mNS6_4lessIS8_EEEE10hipError_tT0_T1_T2_jT3_P12ihipStream_tbPNSt15iterator_traitsISL_E10value_typeEPNSR_ISM_E10value_typeEPSN_NS1_7vsmem_tEENKUlT_SL_SM_SN_E_clIPS8_SG_SH_SH_EESK_S10_SL_SM_SN_EUlS10_E_NS1_11comp_targetILNS1_3genE10ELNS1_11target_archE1201ELNS1_3gpuE5ELNS1_3repE0EEENS1_48merge_mergepath_partition_config_static_selectorELNS0_4arch9wavefront6targetE1EEEvSM_.has_indirect_call, 0
	.section	.AMDGPU.csdata,"",@progbits
; Kernel info:
; codeLenInByte = 0
; TotalNumSgprs: 6
; NumVgprs: 0
; NumAgprs: 0
; TotalNumVgprs: 0
; ScratchSize: 0
; MemoryBound: 0
; FloatMode: 240
; IeeeMode: 1
; LDSByteSize: 0 bytes/workgroup (compile time only)
; SGPRBlocks: 0
; VGPRBlocks: 0
; NumSGPRsForWavesPerEU: 6
; NumVGPRsForWavesPerEU: 1
; AccumOffset: 4
; Occupancy: 8
; WaveLimiterHint : 0
; COMPUTE_PGM_RSRC2:SCRATCH_EN: 0
; COMPUTE_PGM_RSRC2:USER_SGPR: 2
; COMPUTE_PGM_RSRC2:TRAP_HANDLER: 0
; COMPUTE_PGM_RSRC2:TGID_X_EN: 1
; COMPUTE_PGM_RSRC2:TGID_Y_EN: 0
; COMPUTE_PGM_RSRC2:TGID_Z_EN: 0
; COMPUTE_PGM_RSRC2:TIDIG_COMP_CNT: 0
; COMPUTE_PGM_RSRC3_GFX90A:ACCUM_OFFSET: 0
; COMPUTE_PGM_RSRC3_GFX90A:TG_SPLIT: 0
	.section	.text._ZN7rocprim17ROCPRIM_400000_NS6detail17trampoline_kernelINS0_14default_configENS1_38merge_sort_block_merge_config_selectorIN6thrust23THRUST_200600_302600_NS4pairIiiEENS0_10empty_typeEEEZZNS1_27merge_sort_block_merge_implIS3_NS6_6detail15normal_iteratorINS6_10device_ptrIS8_EEEEPS9_mNS6_4lessIS8_EEEE10hipError_tT0_T1_T2_jT3_P12ihipStream_tbPNSt15iterator_traitsISL_E10value_typeEPNSR_ISM_E10value_typeEPSN_NS1_7vsmem_tEENKUlT_SL_SM_SN_E_clIPS8_SG_SH_SH_EESK_S10_SL_SM_SN_EUlS10_E_NS1_11comp_targetILNS1_3genE5ELNS1_11target_archE942ELNS1_3gpuE9ELNS1_3repE0EEENS1_48merge_mergepath_partition_config_static_selectorELNS0_4arch9wavefront6targetE1EEEvSM_,"axG",@progbits,_ZN7rocprim17ROCPRIM_400000_NS6detail17trampoline_kernelINS0_14default_configENS1_38merge_sort_block_merge_config_selectorIN6thrust23THRUST_200600_302600_NS4pairIiiEENS0_10empty_typeEEEZZNS1_27merge_sort_block_merge_implIS3_NS6_6detail15normal_iteratorINS6_10device_ptrIS8_EEEEPS9_mNS6_4lessIS8_EEEE10hipError_tT0_T1_T2_jT3_P12ihipStream_tbPNSt15iterator_traitsISL_E10value_typeEPNSR_ISM_E10value_typeEPSN_NS1_7vsmem_tEENKUlT_SL_SM_SN_E_clIPS8_SG_SH_SH_EESK_S10_SL_SM_SN_EUlS10_E_NS1_11comp_targetILNS1_3genE5ELNS1_11target_archE942ELNS1_3gpuE9ELNS1_3repE0EEENS1_48merge_mergepath_partition_config_static_selectorELNS0_4arch9wavefront6targetE1EEEvSM_,comdat
	.protected	_ZN7rocprim17ROCPRIM_400000_NS6detail17trampoline_kernelINS0_14default_configENS1_38merge_sort_block_merge_config_selectorIN6thrust23THRUST_200600_302600_NS4pairIiiEENS0_10empty_typeEEEZZNS1_27merge_sort_block_merge_implIS3_NS6_6detail15normal_iteratorINS6_10device_ptrIS8_EEEEPS9_mNS6_4lessIS8_EEEE10hipError_tT0_T1_T2_jT3_P12ihipStream_tbPNSt15iterator_traitsISL_E10value_typeEPNSR_ISM_E10value_typeEPSN_NS1_7vsmem_tEENKUlT_SL_SM_SN_E_clIPS8_SG_SH_SH_EESK_S10_SL_SM_SN_EUlS10_E_NS1_11comp_targetILNS1_3genE5ELNS1_11target_archE942ELNS1_3gpuE9ELNS1_3repE0EEENS1_48merge_mergepath_partition_config_static_selectorELNS0_4arch9wavefront6targetE1EEEvSM_ ; -- Begin function _ZN7rocprim17ROCPRIM_400000_NS6detail17trampoline_kernelINS0_14default_configENS1_38merge_sort_block_merge_config_selectorIN6thrust23THRUST_200600_302600_NS4pairIiiEENS0_10empty_typeEEEZZNS1_27merge_sort_block_merge_implIS3_NS6_6detail15normal_iteratorINS6_10device_ptrIS8_EEEEPS9_mNS6_4lessIS8_EEEE10hipError_tT0_T1_T2_jT3_P12ihipStream_tbPNSt15iterator_traitsISL_E10value_typeEPNSR_ISM_E10value_typeEPSN_NS1_7vsmem_tEENKUlT_SL_SM_SN_E_clIPS8_SG_SH_SH_EESK_S10_SL_SM_SN_EUlS10_E_NS1_11comp_targetILNS1_3genE5ELNS1_11target_archE942ELNS1_3gpuE9ELNS1_3repE0EEENS1_48merge_mergepath_partition_config_static_selectorELNS0_4arch9wavefront6targetE1EEEvSM_
	.globl	_ZN7rocprim17ROCPRIM_400000_NS6detail17trampoline_kernelINS0_14default_configENS1_38merge_sort_block_merge_config_selectorIN6thrust23THRUST_200600_302600_NS4pairIiiEENS0_10empty_typeEEEZZNS1_27merge_sort_block_merge_implIS3_NS6_6detail15normal_iteratorINS6_10device_ptrIS8_EEEEPS9_mNS6_4lessIS8_EEEE10hipError_tT0_T1_T2_jT3_P12ihipStream_tbPNSt15iterator_traitsISL_E10value_typeEPNSR_ISM_E10value_typeEPSN_NS1_7vsmem_tEENKUlT_SL_SM_SN_E_clIPS8_SG_SH_SH_EESK_S10_SL_SM_SN_EUlS10_E_NS1_11comp_targetILNS1_3genE5ELNS1_11target_archE942ELNS1_3gpuE9ELNS1_3repE0EEENS1_48merge_mergepath_partition_config_static_selectorELNS0_4arch9wavefront6targetE1EEEvSM_
	.p2align	8
	.type	_ZN7rocprim17ROCPRIM_400000_NS6detail17trampoline_kernelINS0_14default_configENS1_38merge_sort_block_merge_config_selectorIN6thrust23THRUST_200600_302600_NS4pairIiiEENS0_10empty_typeEEEZZNS1_27merge_sort_block_merge_implIS3_NS6_6detail15normal_iteratorINS6_10device_ptrIS8_EEEEPS9_mNS6_4lessIS8_EEEE10hipError_tT0_T1_T2_jT3_P12ihipStream_tbPNSt15iterator_traitsISL_E10value_typeEPNSR_ISM_E10value_typeEPSN_NS1_7vsmem_tEENKUlT_SL_SM_SN_E_clIPS8_SG_SH_SH_EESK_S10_SL_SM_SN_EUlS10_E_NS1_11comp_targetILNS1_3genE5ELNS1_11target_archE942ELNS1_3gpuE9ELNS1_3repE0EEENS1_48merge_mergepath_partition_config_static_selectorELNS0_4arch9wavefront6targetE1EEEvSM_,@function
_ZN7rocprim17ROCPRIM_400000_NS6detail17trampoline_kernelINS0_14default_configENS1_38merge_sort_block_merge_config_selectorIN6thrust23THRUST_200600_302600_NS4pairIiiEENS0_10empty_typeEEEZZNS1_27merge_sort_block_merge_implIS3_NS6_6detail15normal_iteratorINS6_10device_ptrIS8_EEEEPS9_mNS6_4lessIS8_EEEE10hipError_tT0_T1_T2_jT3_P12ihipStream_tbPNSt15iterator_traitsISL_E10value_typeEPNSR_ISM_E10value_typeEPSN_NS1_7vsmem_tEENKUlT_SL_SM_SN_E_clIPS8_SG_SH_SH_EESK_S10_SL_SM_SN_EUlS10_E_NS1_11comp_targetILNS1_3genE5ELNS1_11target_archE942ELNS1_3gpuE9ELNS1_3repE0EEENS1_48merge_mergepath_partition_config_static_selectorELNS0_4arch9wavefront6targetE1EEEvSM_: ; @_ZN7rocprim17ROCPRIM_400000_NS6detail17trampoline_kernelINS0_14default_configENS1_38merge_sort_block_merge_config_selectorIN6thrust23THRUST_200600_302600_NS4pairIiiEENS0_10empty_typeEEEZZNS1_27merge_sort_block_merge_implIS3_NS6_6detail15normal_iteratorINS6_10device_ptrIS8_EEEEPS9_mNS6_4lessIS8_EEEE10hipError_tT0_T1_T2_jT3_P12ihipStream_tbPNSt15iterator_traitsISL_E10value_typeEPNSR_ISM_E10value_typeEPSN_NS1_7vsmem_tEENKUlT_SL_SM_SN_E_clIPS8_SG_SH_SH_EESK_S10_SL_SM_SN_EUlS10_E_NS1_11comp_targetILNS1_3genE5ELNS1_11target_archE942ELNS1_3gpuE9ELNS1_3repE0EEENS1_48merge_mergepath_partition_config_static_selectorELNS0_4arch9wavefront6targetE1EEEvSM_
; %bb.0:
	.section	.rodata,"a",@progbits
	.p2align	6, 0x0
	.amdhsa_kernel _ZN7rocprim17ROCPRIM_400000_NS6detail17trampoline_kernelINS0_14default_configENS1_38merge_sort_block_merge_config_selectorIN6thrust23THRUST_200600_302600_NS4pairIiiEENS0_10empty_typeEEEZZNS1_27merge_sort_block_merge_implIS3_NS6_6detail15normal_iteratorINS6_10device_ptrIS8_EEEEPS9_mNS6_4lessIS8_EEEE10hipError_tT0_T1_T2_jT3_P12ihipStream_tbPNSt15iterator_traitsISL_E10value_typeEPNSR_ISM_E10value_typeEPSN_NS1_7vsmem_tEENKUlT_SL_SM_SN_E_clIPS8_SG_SH_SH_EESK_S10_SL_SM_SN_EUlS10_E_NS1_11comp_targetILNS1_3genE5ELNS1_11target_archE942ELNS1_3gpuE9ELNS1_3repE0EEENS1_48merge_mergepath_partition_config_static_selectorELNS0_4arch9wavefront6targetE1EEEvSM_
		.amdhsa_group_segment_fixed_size 0
		.amdhsa_private_segment_fixed_size 0
		.amdhsa_kernarg_size 48
		.amdhsa_user_sgpr_count 2
		.amdhsa_user_sgpr_dispatch_ptr 0
		.amdhsa_user_sgpr_queue_ptr 0
		.amdhsa_user_sgpr_kernarg_segment_ptr 1
		.amdhsa_user_sgpr_dispatch_id 0
		.amdhsa_user_sgpr_kernarg_preload_length 0
		.amdhsa_user_sgpr_kernarg_preload_offset 0
		.amdhsa_user_sgpr_private_segment_size 0
		.amdhsa_uses_dynamic_stack 0
		.amdhsa_enable_private_segment 0
		.amdhsa_system_sgpr_workgroup_id_x 1
		.amdhsa_system_sgpr_workgroup_id_y 0
		.amdhsa_system_sgpr_workgroup_id_z 0
		.amdhsa_system_sgpr_workgroup_info 0
		.amdhsa_system_vgpr_workitem_id 0
		.amdhsa_next_free_vgpr 1
		.amdhsa_next_free_sgpr 0
		.amdhsa_accum_offset 4
		.amdhsa_reserve_vcc 0
		.amdhsa_float_round_mode_32 0
		.amdhsa_float_round_mode_16_64 0
		.amdhsa_float_denorm_mode_32 3
		.amdhsa_float_denorm_mode_16_64 3
		.amdhsa_dx10_clamp 1
		.amdhsa_ieee_mode 1
		.amdhsa_fp16_overflow 0
		.amdhsa_tg_split 0
		.amdhsa_exception_fp_ieee_invalid_op 0
		.amdhsa_exception_fp_denorm_src 0
		.amdhsa_exception_fp_ieee_div_zero 0
		.amdhsa_exception_fp_ieee_overflow 0
		.amdhsa_exception_fp_ieee_underflow 0
		.amdhsa_exception_fp_ieee_inexact 0
		.amdhsa_exception_int_div_zero 0
	.end_amdhsa_kernel
	.section	.text._ZN7rocprim17ROCPRIM_400000_NS6detail17trampoline_kernelINS0_14default_configENS1_38merge_sort_block_merge_config_selectorIN6thrust23THRUST_200600_302600_NS4pairIiiEENS0_10empty_typeEEEZZNS1_27merge_sort_block_merge_implIS3_NS6_6detail15normal_iteratorINS6_10device_ptrIS8_EEEEPS9_mNS6_4lessIS8_EEEE10hipError_tT0_T1_T2_jT3_P12ihipStream_tbPNSt15iterator_traitsISL_E10value_typeEPNSR_ISM_E10value_typeEPSN_NS1_7vsmem_tEENKUlT_SL_SM_SN_E_clIPS8_SG_SH_SH_EESK_S10_SL_SM_SN_EUlS10_E_NS1_11comp_targetILNS1_3genE5ELNS1_11target_archE942ELNS1_3gpuE9ELNS1_3repE0EEENS1_48merge_mergepath_partition_config_static_selectorELNS0_4arch9wavefront6targetE1EEEvSM_,"axG",@progbits,_ZN7rocprim17ROCPRIM_400000_NS6detail17trampoline_kernelINS0_14default_configENS1_38merge_sort_block_merge_config_selectorIN6thrust23THRUST_200600_302600_NS4pairIiiEENS0_10empty_typeEEEZZNS1_27merge_sort_block_merge_implIS3_NS6_6detail15normal_iteratorINS6_10device_ptrIS8_EEEEPS9_mNS6_4lessIS8_EEEE10hipError_tT0_T1_T2_jT3_P12ihipStream_tbPNSt15iterator_traitsISL_E10value_typeEPNSR_ISM_E10value_typeEPSN_NS1_7vsmem_tEENKUlT_SL_SM_SN_E_clIPS8_SG_SH_SH_EESK_S10_SL_SM_SN_EUlS10_E_NS1_11comp_targetILNS1_3genE5ELNS1_11target_archE942ELNS1_3gpuE9ELNS1_3repE0EEENS1_48merge_mergepath_partition_config_static_selectorELNS0_4arch9wavefront6targetE1EEEvSM_,comdat
.Lfunc_end635:
	.size	_ZN7rocprim17ROCPRIM_400000_NS6detail17trampoline_kernelINS0_14default_configENS1_38merge_sort_block_merge_config_selectorIN6thrust23THRUST_200600_302600_NS4pairIiiEENS0_10empty_typeEEEZZNS1_27merge_sort_block_merge_implIS3_NS6_6detail15normal_iteratorINS6_10device_ptrIS8_EEEEPS9_mNS6_4lessIS8_EEEE10hipError_tT0_T1_T2_jT3_P12ihipStream_tbPNSt15iterator_traitsISL_E10value_typeEPNSR_ISM_E10value_typeEPSN_NS1_7vsmem_tEENKUlT_SL_SM_SN_E_clIPS8_SG_SH_SH_EESK_S10_SL_SM_SN_EUlS10_E_NS1_11comp_targetILNS1_3genE5ELNS1_11target_archE942ELNS1_3gpuE9ELNS1_3repE0EEENS1_48merge_mergepath_partition_config_static_selectorELNS0_4arch9wavefront6targetE1EEEvSM_, .Lfunc_end635-_ZN7rocprim17ROCPRIM_400000_NS6detail17trampoline_kernelINS0_14default_configENS1_38merge_sort_block_merge_config_selectorIN6thrust23THRUST_200600_302600_NS4pairIiiEENS0_10empty_typeEEEZZNS1_27merge_sort_block_merge_implIS3_NS6_6detail15normal_iteratorINS6_10device_ptrIS8_EEEEPS9_mNS6_4lessIS8_EEEE10hipError_tT0_T1_T2_jT3_P12ihipStream_tbPNSt15iterator_traitsISL_E10value_typeEPNSR_ISM_E10value_typeEPSN_NS1_7vsmem_tEENKUlT_SL_SM_SN_E_clIPS8_SG_SH_SH_EESK_S10_SL_SM_SN_EUlS10_E_NS1_11comp_targetILNS1_3genE5ELNS1_11target_archE942ELNS1_3gpuE9ELNS1_3repE0EEENS1_48merge_mergepath_partition_config_static_selectorELNS0_4arch9wavefront6targetE1EEEvSM_
                                        ; -- End function
	.set _ZN7rocprim17ROCPRIM_400000_NS6detail17trampoline_kernelINS0_14default_configENS1_38merge_sort_block_merge_config_selectorIN6thrust23THRUST_200600_302600_NS4pairIiiEENS0_10empty_typeEEEZZNS1_27merge_sort_block_merge_implIS3_NS6_6detail15normal_iteratorINS6_10device_ptrIS8_EEEEPS9_mNS6_4lessIS8_EEEE10hipError_tT0_T1_T2_jT3_P12ihipStream_tbPNSt15iterator_traitsISL_E10value_typeEPNSR_ISM_E10value_typeEPSN_NS1_7vsmem_tEENKUlT_SL_SM_SN_E_clIPS8_SG_SH_SH_EESK_S10_SL_SM_SN_EUlS10_E_NS1_11comp_targetILNS1_3genE5ELNS1_11target_archE942ELNS1_3gpuE9ELNS1_3repE0EEENS1_48merge_mergepath_partition_config_static_selectorELNS0_4arch9wavefront6targetE1EEEvSM_.num_vgpr, 0
	.set _ZN7rocprim17ROCPRIM_400000_NS6detail17trampoline_kernelINS0_14default_configENS1_38merge_sort_block_merge_config_selectorIN6thrust23THRUST_200600_302600_NS4pairIiiEENS0_10empty_typeEEEZZNS1_27merge_sort_block_merge_implIS3_NS6_6detail15normal_iteratorINS6_10device_ptrIS8_EEEEPS9_mNS6_4lessIS8_EEEE10hipError_tT0_T1_T2_jT3_P12ihipStream_tbPNSt15iterator_traitsISL_E10value_typeEPNSR_ISM_E10value_typeEPSN_NS1_7vsmem_tEENKUlT_SL_SM_SN_E_clIPS8_SG_SH_SH_EESK_S10_SL_SM_SN_EUlS10_E_NS1_11comp_targetILNS1_3genE5ELNS1_11target_archE942ELNS1_3gpuE9ELNS1_3repE0EEENS1_48merge_mergepath_partition_config_static_selectorELNS0_4arch9wavefront6targetE1EEEvSM_.num_agpr, 0
	.set _ZN7rocprim17ROCPRIM_400000_NS6detail17trampoline_kernelINS0_14default_configENS1_38merge_sort_block_merge_config_selectorIN6thrust23THRUST_200600_302600_NS4pairIiiEENS0_10empty_typeEEEZZNS1_27merge_sort_block_merge_implIS3_NS6_6detail15normal_iteratorINS6_10device_ptrIS8_EEEEPS9_mNS6_4lessIS8_EEEE10hipError_tT0_T1_T2_jT3_P12ihipStream_tbPNSt15iterator_traitsISL_E10value_typeEPNSR_ISM_E10value_typeEPSN_NS1_7vsmem_tEENKUlT_SL_SM_SN_E_clIPS8_SG_SH_SH_EESK_S10_SL_SM_SN_EUlS10_E_NS1_11comp_targetILNS1_3genE5ELNS1_11target_archE942ELNS1_3gpuE9ELNS1_3repE0EEENS1_48merge_mergepath_partition_config_static_selectorELNS0_4arch9wavefront6targetE1EEEvSM_.numbered_sgpr, 0
	.set _ZN7rocprim17ROCPRIM_400000_NS6detail17trampoline_kernelINS0_14default_configENS1_38merge_sort_block_merge_config_selectorIN6thrust23THRUST_200600_302600_NS4pairIiiEENS0_10empty_typeEEEZZNS1_27merge_sort_block_merge_implIS3_NS6_6detail15normal_iteratorINS6_10device_ptrIS8_EEEEPS9_mNS6_4lessIS8_EEEE10hipError_tT0_T1_T2_jT3_P12ihipStream_tbPNSt15iterator_traitsISL_E10value_typeEPNSR_ISM_E10value_typeEPSN_NS1_7vsmem_tEENKUlT_SL_SM_SN_E_clIPS8_SG_SH_SH_EESK_S10_SL_SM_SN_EUlS10_E_NS1_11comp_targetILNS1_3genE5ELNS1_11target_archE942ELNS1_3gpuE9ELNS1_3repE0EEENS1_48merge_mergepath_partition_config_static_selectorELNS0_4arch9wavefront6targetE1EEEvSM_.num_named_barrier, 0
	.set _ZN7rocprim17ROCPRIM_400000_NS6detail17trampoline_kernelINS0_14default_configENS1_38merge_sort_block_merge_config_selectorIN6thrust23THRUST_200600_302600_NS4pairIiiEENS0_10empty_typeEEEZZNS1_27merge_sort_block_merge_implIS3_NS6_6detail15normal_iteratorINS6_10device_ptrIS8_EEEEPS9_mNS6_4lessIS8_EEEE10hipError_tT0_T1_T2_jT3_P12ihipStream_tbPNSt15iterator_traitsISL_E10value_typeEPNSR_ISM_E10value_typeEPSN_NS1_7vsmem_tEENKUlT_SL_SM_SN_E_clIPS8_SG_SH_SH_EESK_S10_SL_SM_SN_EUlS10_E_NS1_11comp_targetILNS1_3genE5ELNS1_11target_archE942ELNS1_3gpuE9ELNS1_3repE0EEENS1_48merge_mergepath_partition_config_static_selectorELNS0_4arch9wavefront6targetE1EEEvSM_.private_seg_size, 0
	.set _ZN7rocprim17ROCPRIM_400000_NS6detail17trampoline_kernelINS0_14default_configENS1_38merge_sort_block_merge_config_selectorIN6thrust23THRUST_200600_302600_NS4pairIiiEENS0_10empty_typeEEEZZNS1_27merge_sort_block_merge_implIS3_NS6_6detail15normal_iteratorINS6_10device_ptrIS8_EEEEPS9_mNS6_4lessIS8_EEEE10hipError_tT0_T1_T2_jT3_P12ihipStream_tbPNSt15iterator_traitsISL_E10value_typeEPNSR_ISM_E10value_typeEPSN_NS1_7vsmem_tEENKUlT_SL_SM_SN_E_clIPS8_SG_SH_SH_EESK_S10_SL_SM_SN_EUlS10_E_NS1_11comp_targetILNS1_3genE5ELNS1_11target_archE942ELNS1_3gpuE9ELNS1_3repE0EEENS1_48merge_mergepath_partition_config_static_selectorELNS0_4arch9wavefront6targetE1EEEvSM_.uses_vcc, 0
	.set _ZN7rocprim17ROCPRIM_400000_NS6detail17trampoline_kernelINS0_14default_configENS1_38merge_sort_block_merge_config_selectorIN6thrust23THRUST_200600_302600_NS4pairIiiEENS0_10empty_typeEEEZZNS1_27merge_sort_block_merge_implIS3_NS6_6detail15normal_iteratorINS6_10device_ptrIS8_EEEEPS9_mNS6_4lessIS8_EEEE10hipError_tT0_T1_T2_jT3_P12ihipStream_tbPNSt15iterator_traitsISL_E10value_typeEPNSR_ISM_E10value_typeEPSN_NS1_7vsmem_tEENKUlT_SL_SM_SN_E_clIPS8_SG_SH_SH_EESK_S10_SL_SM_SN_EUlS10_E_NS1_11comp_targetILNS1_3genE5ELNS1_11target_archE942ELNS1_3gpuE9ELNS1_3repE0EEENS1_48merge_mergepath_partition_config_static_selectorELNS0_4arch9wavefront6targetE1EEEvSM_.uses_flat_scratch, 0
	.set _ZN7rocprim17ROCPRIM_400000_NS6detail17trampoline_kernelINS0_14default_configENS1_38merge_sort_block_merge_config_selectorIN6thrust23THRUST_200600_302600_NS4pairIiiEENS0_10empty_typeEEEZZNS1_27merge_sort_block_merge_implIS3_NS6_6detail15normal_iteratorINS6_10device_ptrIS8_EEEEPS9_mNS6_4lessIS8_EEEE10hipError_tT0_T1_T2_jT3_P12ihipStream_tbPNSt15iterator_traitsISL_E10value_typeEPNSR_ISM_E10value_typeEPSN_NS1_7vsmem_tEENKUlT_SL_SM_SN_E_clIPS8_SG_SH_SH_EESK_S10_SL_SM_SN_EUlS10_E_NS1_11comp_targetILNS1_3genE5ELNS1_11target_archE942ELNS1_3gpuE9ELNS1_3repE0EEENS1_48merge_mergepath_partition_config_static_selectorELNS0_4arch9wavefront6targetE1EEEvSM_.has_dyn_sized_stack, 0
	.set _ZN7rocprim17ROCPRIM_400000_NS6detail17trampoline_kernelINS0_14default_configENS1_38merge_sort_block_merge_config_selectorIN6thrust23THRUST_200600_302600_NS4pairIiiEENS0_10empty_typeEEEZZNS1_27merge_sort_block_merge_implIS3_NS6_6detail15normal_iteratorINS6_10device_ptrIS8_EEEEPS9_mNS6_4lessIS8_EEEE10hipError_tT0_T1_T2_jT3_P12ihipStream_tbPNSt15iterator_traitsISL_E10value_typeEPNSR_ISM_E10value_typeEPSN_NS1_7vsmem_tEENKUlT_SL_SM_SN_E_clIPS8_SG_SH_SH_EESK_S10_SL_SM_SN_EUlS10_E_NS1_11comp_targetILNS1_3genE5ELNS1_11target_archE942ELNS1_3gpuE9ELNS1_3repE0EEENS1_48merge_mergepath_partition_config_static_selectorELNS0_4arch9wavefront6targetE1EEEvSM_.has_recursion, 0
	.set _ZN7rocprim17ROCPRIM_400000_NS6detail17trampoline_kernelINS0_14default_configENS1_38merge_sort_block_merge_config_selectorIN6thrust23THRUST_200600_302600_NS4pairIiiEENS0_10empty_typeEEEZZNS1_27merge_sort_block_merge_implIS3_NS6_6detail15normal_iteratorINS6_10device_ptrIS8_EEEEPS9_mNS6_4lessIS8_EEEE10hipError_tT0_T1_T2_jT3_P12ihipStream_tbPNSt15iterator_traitsISL_E10value_typeEPNSR_ISM_E10value_typeEPSN_NS1_7vsmem_tEENKUlT_SL_SM_SN_E_clIPS8_SG_SH_SH_EESK_S10_SL_SM_SN_EUlS10_E_NS1_11comp_targetILNS1_3genE5ELNS1_11target_archE942ELNS1_3gpuE9ELNS1_3repE0EEENS1_48merge_mergepath_partition_config_static_selectorELNS0_4arch9wavefront6targetE1EEEvSM_.has_indirect_call, 0
	.section	.AMDGPU.csdata,"",@progbits
; Kernel info:
; codeLenInByte = 0
; TotalNumSgprs: 6
; NumVgprs: 0
; NumAgprs: 0
; TotalNumVgprs: 0
; ScratchSize: 0
; MemoryBound: 0
; FloatMode: 240
; IeeeMode: 1
; LDSByteSize: 0 bytes/workgroup (compile time only)
; SGPRBlocks: 0
; VGPRBlocks: 0
; NumSGPRsForWavesPerEU: 6
; NumVGPRsForWavesPerEU: 1
; AccumOffset: 4
; Occupancy: 8
; WaveLimiterHint : 0
; COMPUTE_PGM_RSRC2:SCRATCH_EN: 0
; COMPUTE_PGM_RSRC2:USER_SGPR: 2
; COMPUTE_PGM_RSRC2:TRAP_HANDLER: 0
; COMPUTE_PGM_RSRC2:TGID_X_EN: 1
; COMPUTE_PGM_RSRC2:TGID_Y_EN: 0
; COMPUTE_PGM_RSRC2:TGID_Z_EN: 0
; COMPUTE_PGM_RSRC2:TIDIG_COMP_CNT: 0
; COMPUTE_PGM_RSRC3_GFX90A:ACCUM_OFFSET: 0
; COMPUTE_PGM_RSRC3_GFX90A:TG_SPLIT: 0
	.section	.text._ZN7rocprim17ROCPRIM_400000_NS6detail17trampoline_kernelINS0_14default_configENS1_38merge_sort_block_merge_config_selectorIN6thrust23THRUST_200600_302600_NS4pairIiiEENS0_10empty_typeEEEZZNS1_27merge_sort_block_merge_implIS3_NS6_6detail15normal_iteratorINS6_10device_ptrIS8_EEEEPS9_mNS6_4lessIS8_EEEE10hipError_tT0_T1_T2_jT3_P12ihipStream_tbPNSt15iterator_traitsISL_E10value_typeEPNSR_ISM_E10value_typeEPSN_NS1_7vsmem_tEENKUlT_SL_SM_SN_E_clIPS8_SG_SH_SH_EESK_S10_SL_SM_SN_EUlS10_E_NS1_11comp_targetILNS1_3genE4ELNS1_11target_archE910ELNS1_3gpuE8ELNS1_3repE0EEENS1_48merge_mergepath_partition_config_static_selectorELNS0_4arch9wavefront6targetE1EEEvSM_,"axG",@progbits,_ZN7rocprim17ROCPRIM_400000_NS6detail17trampoline_kernelINS0_14default_configENS1_38merge_sort_block_merge_config_selectorIN6thrust23THRUST_200600_302600_NS4pairIiiEENS0_10empty_typeEEEZZNS1_27merge_sort_block_merge_implIS3_NS6_6detail15normal_iteratorINS6_10device_ptrIS8_EEEEPS9_mNS6_4lessIS8_EEEE10hipError_tT0_T1_T2_jT3_P12ihipStream_tbPNSt15iterator_traitsISL_E10value_typeEPNSR_ISM_E10value_typeEPSN_NS1_7vsmem_tEENKUlT_SL_SM_SN_E_clIPS8_SG_SH_SH_EESK_S10_SL_SM_SN_EUlS10_E_NS1_11comp_targetILNS1_3genE4ELNS1_11target_archE910ELNS1_3gpuE8ELNS1_3repE0EEENS1_48merge_mergepath_partition_config_static_selectorELNS0_4arch9wavefront6targetE1EEEvSM_,comdat
	.protected	_ZN7rocprim17ROCPRIM_400000_NS6detail17trampoline_kernelINS0_14default_configENS1_38merge_sort_block_merge_config_selectorIN6thrust23THRUST_200600_302600_NS4pairIiiEENS0_10empty_typeEEEZZNS1_27merge_sort_block_merge_implIS3_NS6_6detail15normal_iteratorINS6_10device_ptrIS8_EEEEPS9_mNS6_4lessIS8_EEEE10hipError_tT0_T1_T2_jT3_P12ihipStream_tbPNSt15iterator_traitsISL_E10value_typeEPNSR_ISM_E10value_typeEPSN_NS1_7vsmem_tEENKUlT_SL_SM_SN_E_clIPS8_SG_SH_SH_EESK_S10_SL_SM_SN_EUlS10_E_NS1_11comp_targetILNS1_3genE4ELNS1_11target_archE910ELNS1_3gpuE8ELNS1_3repE0EEENS1_48merge_mergepath_partition_config_static_selectorELNS0_4arch9wavefront6targetE1EEEvSM_ ; -- Begin function _ZN7rocprim17ROCPRIM_400000_NS6detail17trampoline_kernelINS0_14default_configENS1_38merge_sort_block_merge_config_selectorIN6thrust23THRUST_200600_302600_NS4pairIiiEENS0_10empty_typeEEEZZNS1_27merge_sort_block_merge_implIS3_NS6_6detail15normal_iteratorINS6_10device_ptrIS8_EEEEPS9_mNS6_4lessIS8_EEEE10hipError_tT0_T1_T2_jT3_P12ihipStream_tbPNSt15iterator_traitsISL_E10value_typeEPNSR_ISM_E10value_typeEPSN_NS1_7vsmem_tEENKUlT_SL_SM_SN_E_clIPS8_SG_SH_SH_EESK_S10_SL_SM_SN_EUlS10_E_NS1_11comp_targetILNS1_3genE4ELNS1_11target_archE910ELNS1_3gpuE8ELNS1_3repE0EEENS1_48merge_mergepath_partition_config_static_selectorELNS0_4arch9wavefront6targetE1EEEvSM_
	.globl	_ZN7rocprim17ROCPRIM_400000_NS6detail17trampoline_kernelINS0_14default_configENS1_38merge_sort_block_merge_config_selectorIN6thrust23THRUST_200600_302600_NS4pairIiiEENS0_10empty_typeEEEZZNS1_27merge_sort_block_merge_implIS3_NS6_6detail15normal_iteratorINS6_10device_ptrIS8_EEEEPS9_mNS6_4lessIS8_EEEE10hipError_tT0_T1_T2_jT3_P12ihipStream_tbPNSt15iterator_traitsISL_E10value_typeEPNSR_ISM_E10value_typeEPSN_NS1_7vsmem_tEENKUlT_SL_SM_SN_E_clIPS8_SG_SH_SH_EESK_S10_SL_SM_SN_EUlS10_E_NS1_11comp_targetILNS1_3genE4ELNS1_11target_archE910ELNS1_3gpuE8ELNS1_3repE0EEENS1_48merge_mergepath_partition_config_static_selectorELNS0_4arch9wavefront6targetE1EEEvSM_
	.p2align	8
	.type	_ZN7rocprim17ROCPRIM_400000_NS6detail17trampoline_kernelINS0_14default_configENS1_38merge_sort_block_merge_config_selectorIN6thrust23THRUST_200600_302600_NS4pairIiiEENS0_10empty_typeEEEZZNS1_27merge_sort_block_merge_implIS3_NS6_6detail15normal_iteratorINS6_10device_ptrIS8_EEEEPS9_mNS6_4lessIS8_EEEE10hipError_tT0_T1_T2_jT3_P12ihipStream_tbPNSt15iterator_traitsISL_E10value_typeEPNSR_ISM_E10value_typeEPSN_NS1_7vsmem_tEENKUlT_SL_SM_SN_E_clIPS8_SG_SH_SH_EESK_S10_SL_SM_SN_EUlS10_E_NS1_11comp_targetILNS1_3genE4ELNS1_11target_archE910ELNS1_3gpuE8ELNS1_3repE0EEENS1_48merge_mergepath_partition_config_static_selectorELNS0_4arch9wavefront6targetE1EEEvSM_,@function
_ZN7rocprim17ROCPRIM_400000_NS6detail17trampoline_kernelINS0_14default_configENS1_38merge_sort_block_merge_config_selectorIN6thrust23THRUST_200600_302600_NS4pairIiiEENS0_10empty_typeEEEZZNS1_27merge_sort_block_merge_implIS3_NS6_6detail15normal_iteratorINS6_10device_ptrIS8_EEEEPS9_mNS6_4lessIS8_EEEE10hipError_tT0_T1_T2_jT3_P12ihipStream_tbPNSt15iterator_traitsISL_E10value_typeEPNSR_ISM_E10value_typeEPSN_NS1_7vsmem_tEENKUlT_SL_SM_SN_E_clIPS8_SG_SH_SH_EESK_S10_SL_SM_SN_EUlS10_E_NS1_11comp_targetILNS1_3genE4ELNS1_11target_archE910ELNS1_3gpuE8ELNS1_3repE0EEENS1_48merge_mergepath_partition_config_static_selectorELNS0_4arch9wavefront6targetE1EEEvSM_: ; @_ZN7rocprim17ROCPRIM_400000_NS6detail17trampoline_kernelINS0_14default_configENS1_38merge_sort_block_merge_config_selectorIN6thrust23THRUST_200600_302600_NS4pairIiiEENS0_10empty_typeEEEZZNS1_27merge_sort_block_merge_implIS3_NS6_6detail15normal_iteratorINS6_10device_ptrIS8_EEEEPS9_mNS6_4lessIS8_EEEE10hipError_tT0_T1_T2_jT3_P12ihipStream_tbPNSt15iterator_traitsISL_E10value_typeEPNSR_ISM_E10value_typeEPSN_NS1_7vsmem_tEENKUlT_SL_SM_SN_E_clIPS8_SG_SH_SH_EESK_S10_SL_SM_SN_EUlS10_E_NS1_11comp_targetILNS1_3genE4ELNS1_11target_archE910ELNS1_3gpuE8ELNS1_3repE0EEENS1_48merge_mergepath_partition_config_static_selectorELNS0_4arch9wavefront6targetE1EEEvSM_
; %bb.0:
	.section	.rodata,"a",@progbits
	.p2align	6, 0x0
	.amdhsa_kernel _ZN7rocprim17ROCPRIM_400000_NS6detail17trampoline_kernelINS0_14default_configENS1_38merge_sort_block_merge_config_selectorIN6thrust23THRUST_200600_302600_NS4pairIiiEENS0_10empty_typeEEEZZNS1_27merge_sort_block_merge_implIS3_NS6_6detail15normal_iteratorINS6_10device_ptrIS8_EEEEPS9_mNS6_4lessIS8_EEEE10hipError_tT0_T1_T2_jT3_P12ihipStream_tbPNSt15iterator_traitsISL_E10value_typeEPNSR_ISM_E10value_typeEPSN_NS1_7vsmem_tEENKUlT_SL_SM_SN_E_clIPS8_SG_SH_SH_EESK_S10_SL_SM_SN_EUlS10_E_NS1_11comp_targetILNS1_3genE4ELNS1_11target_archE910ELNS1_3gpuE8ELNS1_3repE0EEENS1_48merge_mergepath_partition_config_static_selectorELNS0_4arch9wavefront6targetE1EEEvSM_
		.amdhsa_group_segment_fixed_size 0
		.amdhsa_private_segment_fixed_size 0
		.amdhsa_kernarg_size 48
		.amdhsa_user_sgpr_count 2
		.amdhsa_user_sgpr_dispatch_ptr 0
		.amdhsa_user_sgpr_queue_ptr 0
		.amdhsa_user_sgpr_kernarg_segment_ptr 1
		.amdhsa_user_sgpr_dispatch_id 0
		.amdhsa_user_sgpr_kernarg_preload_length 0
		.amdhsa_user_sgpr_kernarg_preload_offset 0
		.amdhsa_user_sgpr_private_segment_size 0
		.amdhsa_uses_dynamic_stack 0
		.amdhsa_enable_private_segment 0
		.amdhsa_system_sgpr_workgroup_id_x 1
		.amdhsa_system_sgpr_workgroup_id_y 0
		.amdhsa_system_sgpr_workgroup_id_z 0
		.amdhsa_system_sgpr_workgroup_info 0
		.amdhsa_system_vgpr_workitem_id 0
		.amdhsa_next_free_vgpr 1
		.amdhsa_next_free_sgpr 0
		.amdhsa_accum_offset 4
		.amdhsa_reserve_vcc 0
		.amdhsa_float_round_mode_32 0
		.amdhsa_float_round_mode_16_64 0
		.amdhsa_float_denorm_mode_32 3
		.amdhsa_float_denorm_mode_16_64 3
		.amdhsa_dx10_clamp 1
		.amdhsa_ieee_mode 1
		.amdhsa_fp16_overflow 0
		.amdhsa_tg_split 0
		.amdhsa_exception_fp_ieee_invalid_op 0
		.amdhsa_exception_fp_denorm_src 0
		.amdhsa_exception_fp_ieee_div_zero 0
		.amdhsa_exception_fp_ieee_overflow 0
		.amdhsa_exception_fp_ieee_underflow 0
		.amdhsa_exception_fp_ieee_inexact 0
		.amdhsa_exception_int_div_zero 0
	.end_amdhsa_kernel
	.section	.text._ZN7rocprim17ROCPRIM_400000_NS6detail17trampoline_kernelINS0_14default_configENS1_38merge_sort_block_merge_config_selectorIN6thrust23THRUST_200600_302600_NS4pairIiiEENS0_10empty_typeEEEZZNS1_27merge_sort_block_merge_implIS3_NS6_6detail15normal_iteratorINS6_10device_ptrIS8_EEEEPS9_mNS6_4lessIS8_EEEE10hipError_tT0_T1_T2_jT3_P12ihipStream_tbPNSt15iterator_traitsISL_E10value_typeEPNSR_ISM_E10value_typeEPSN_NS1_7vsmem_tEENKUlT_SL_SM_SN_E_clIPS8_SG_SH_SH_EESK_S10_SL_SM_SN_EUlS10_E_NS1_11comp_targetILNS1_3genE4ELNS1_11target_archE910ELNS1_3gpuE8ELNS1_3repE0EEENS1_48merge_mergepath_partition_config_static_selectorELNS0_4arch9wavefront6targetE1EEEvSM_,"axG",@progbits,_ZN7rocprim17ROCPRIM_400000_NS6detail17trampoline_kernelINS0_14default_configENS1_38merge_sort_block_merge_config_selectorIN6thrust23THRUST_200600_302600_NS4pairIiiEENS0_10empty_typeEEEZZNS1_27merge_sort_block_merge_implIS3_NS6_6detail15normal_iteratorINS6_10device_ptrIS8_EEEEPS9_mNS6_4lessIS8_EEEE10hipError_tT0_T1_T2_jT3_P12ihipStream_tbPNSt15iterator_traitsISL_E10value_typeEPNSR_ISM_E10value_typeEPSN_NS1_7vsmem_tEENKUlT_SL_SM_SN_E_clIPS8_SG_SH_SH_EESK_S10_SL_SM_SN_EUlS10_E_NS1_11comp_targetILNS1_3genE4ELNS1_11target_archE910ELNS1_3gpuE8ELNS1_3repE0EEENS1_48merge_mergepath_partition_config_static_selectorELNS0_4arch9wavefront6targetE1EEEvSM_,comdat
.Lfunc_end636:
	.size	_ZN7rocprim17ROCPRIM_400000_NS6detail17trampoline_kernelINS0_14default_configENS1_38merge_sort_block_merge_config_selectorIN6thrust23THRUST_200600_302600_NS4pairIiiEENS0_10empty_typeEEEZZNS1_27merge_sort_block_merge_implIS3_NS6_6detail15normal_iteratorINS6_10device_ptrIS8_EEEEPS9_mNS6_4lessIS8_EEEE10hipError_tT0_T1_T2_jT3_P12ihipStream_tbPNSt15iterator_traitsISL_E10value_typeEPNSR_ISM_E10value_typeEPSN_NS1_7vsmem_tEENKUlT_SL_SM_SN_E_clIPS8_SG_SH_SH_EESK_S10_SL_SM_SN_EUlS10_E_NS1_11comp_targetILNS1_3genE4ELNS1_11target_archE910ELNS1_3gpuE8ELNS1_3repE0EEENS1_48merge_mergepath_partition_config_static_selectorELNS0_4arch9wavefront6targetE1EEEvSM_, .Lfunc_end636-_ZN7rocprim17ROCPRIM_400000_NS6detail17trampoline_kernelINS0_14default_configENS1_38merge_sort_block_merge_config_selectorIN6thrust23THRUST_200600_302600_NS4pairIiiEENS0_10empty_typeEEEZZNS1_27merge_sort_block_merge_implIS3_NS6_6detail15normal_iteratorINS6_10device_ptrIS8_EEEEPS9_mNS6_4lessIS8_EEEE10hipError_tT0_T1_T2_jT3_P12ihipStream_tbPNSt15iterator_traitsISL_E10value_typeEPNSR_ISM_E10value_typeEPSN_NS1_7vsmem_tEENKUlT_SL_SM_SN_E_clIPS8_SG_SH_SH_EESK_S10_SL_SM_SN_EUlS10_E_NS1_11comp_targetILNS1_3genE4ELNS1_11target_archE910ELNS1_3gpuE8ELNS1_3repE0EEENS1_48merge_mergepath_partition_config_static_selectorELNS0_4arch9wavefront6targetE1EEEvSM_
                                        ; -- End function
	.set _ZN7rocprim17ROCPRIM_400000_NS6detail17trampoline_kernelINS0_14default_configENS1_38merge_sort_block_merge_config_selectorIN6thrust23THRUST_200600_302600_NS4pairIiiEENS0_10empty_typeEEEZZNS1_27merge_sort_block_merge_implIS3_NS6_6detail15normal_iteratorINS6_10device_ptrIS8_EEEEPS9_mNS6_4lessIS8_EEEE10hipError_tT0_T1_T2_jT3_P12ihipStream_tbPNSt15iterator_traitsISL_E10value_typeEPNSR_ISM_E10value_typeEPSN_NS1_7vsmem_tEENKUlT_SL_SM_SN_E_clIPS8_SG_SH_SH_EESK_S10_SL_SM_SN_EUlS10_E_NS1_11comp_targetILNS1_3genE4ELNS1_11target_archE910ELNS1_3gpuE8ELNS1_3repE0EEENS1_48merge_mergepath_partition_config_static_selectorELNS0_4arch9wavefront6targetE1EEEvSM_.num_vgpr, 0
	.set _ZN7rocprim17ROCPRIM_400000_NS6detail17trampoline_kernelINS0_14default_configENS1_38merge_sort_block_merge_config_selectorIN6thrust23THRUST_200600_302600_NS4pairIiiEENS0_10empty_typeEEEZZNS1_27merge_sort_block_merge_implIS3_NS6_6detail15normal_iteratorINS6_10device_ptrIS8_EEEEPS9_mNS6_4lessIS8_EEEE10hipError_tT0_T1_T2_jT3_P12ihipStream_tbPNSt15iterator_traitsISL_E10value_typeEPNSR_ISM_E10value_typeEPSN_NS1_7vsmem_tEENKUlT_SL_SM_SN_E_clIPS8_SG_SH_SH_EESK_S10_SL_SM_SN_EUlS10_E_NS1_11comp_targetILNS1_3genE4ELNS1_11target_archE910ELNS1_3gpuE8ELNS1_3repE0EEENS1_48merge_mergepath_partition_config_static_selectorELNS0_4arch9wavefront6targetE1EEEvSM_.num_agpr, 0
	.set _ZN7rocprim17ROCPRIM_400000_NS6detail17trampoline_kernelINS0_14default_configENS1_38merge_sort_block_merge_config_selectorIN6thrust23THRUST_200600_302600_NS4pairIiiEENS0_10empty_typeEEEZZNS1_27merge_sort_block_merge_implIS3_NS6_6detail15normal_iteratorINS6_10device_ptrIS8_EEEEPS9_mNS6_4lessIS8_EEEE10hipError_tT0_T1_T2_jT3_P12ihipStream_tbPNSt15iterator_traitsISL_E10value_typeEPNSR_ISM_E10value_typeEPSN_NS1_7vsmem_tEENKUlT_SL_SM_SN_E_clIPS8_SG_SH_SH_EESK_S10_SL_SM_SN_EUlS10_E_NS1_11comp_targetILNS1_3genE4ELNS1_11target_archE910ELNS1_3gpuE8ELNS1_3repE0EEENS1_48merge_mergepath_partition_config_static_selectorELNS0_4arch9wavefront6targetE1EEEvSM_.numbered_sgpr, 0
	.set _ZN7rocprim17ROCPRIM_400000_NS6detail17trampoline_kernelINS0_14default_configENS1_38merge_sort_block_merge_config_selectorIN6thrust23THRUST_200600_302600_NS4pairIiiEENS0_10empty_typeEEEZZNS1_27merge_sort_block_merge_implIS3_NS6_6detail15normal_iteratorINS6_10device_ptrIS8_EEEEPS9_mNS6_4lessIS8_EEEE10hipError_tT0_T1_T2_jT3_P12ihipStream_tbPNSt15iterator_traitsISL_E10value_typeEPNSR_ISM_E10value_typeEPSN_NS1_7vsmem_tEENKUlT_SL_SM_SN_E_clIPS8_SG_SH_SH_EESK_S10_SL_SM_SN_EUlS10_E_NS1_11comp_targetILNS1_3genE4ELNS1_11target_archE910ELNS1_3gpuE8ELNS1_3repE0EEENS1_48merge_mergepath_partition_config_static_selectorELNS0_4arch9wavefront6targetE1EEEvSM_.num_named_barrier, 0
	.set _ZN7rocprim17ROCPRIM_400000_NS6detail17trampoline_kernelINS0_14default_configENS1_38merge_sort_block_merge_config_selectorIN6thrust23THRUST_200600_302600_NS4pairIiiEENS0_10empty_typeEEEZZNS1_27merge_sort_block_merge_implIS3_NS6_6detail15normal_iteratorINS6_10device_ptrIS8_EEEEPS9_mNS6_4lessIS8_EEEE10hipError_tT0_T1_T2_jT3_P12ihipStream_tbPNSt15iterator_traitsISL_E10value_typeEPNSR_ISM_E10value_typeEPSN_NS1_7vsmem_tEENKUlT_SL_SM_SN_E_clIPS8_SG_SH_SH_EESK_S10_SL_SM_SN_EUlS10_E_NS1_11comp_targetILNS1_3genE4ELNS1_11target_archE910ELNS1_3gpuE8ELNS1_3repE0EEENS1_48merge_mergepath_partition_config_static_selectorELNS0_4arch9wavefront6targetE1EEEvSM_.private_seg_size, 0
	.set _ZN7rocprim17ROCPRIM_400000_NS6detail17trampoline_kernelINS0_14default_configENS1_38merge_sort_block_merge_config_selectorIN6thrust23THRUST_200600_302600_NS4pairIiiEENS0_10empty_typeEEEZZNS1_27merge_sort_block_merge_implIS3_NS6_6detail15normal_iteratorINS6_10device_ptrIS8_EEEEPS9_mNS6_4lessIS8_EEEE10hipError_tT0_T1_T2_jT3_P12ihipStream_tbPNSt15iterator_traitsISL_E10value_typeEPNSR_ISM_E10value_typeEPSN_NS1_7vsmem_tEENKUlT_SL_SM_SN_E_clIPS8_SG_SH_SH_EESK_S10_SL_SM_SN_EUlS10_E_NS1_11comp_targetILNS1_3genE4ELNS1_11target_archE910ELNS1_3gpuE8ELNS1_3repE0EEENS1_48merge_mergepath_partition_config_static_selectorELNS0_4arch9wavefront6targetE1EEEvSM_.uses_vcc, 0
	.set _ZN7rocprim17ROCPRIM_400000_NS6detail17trampoline_kernelINS0_14default_configENS1_38merge_sort_block_merge_config_selectorIN6thrust23THRUST_200600_302600_NS4pairIiiEENS0_10empty_typeEEEZZNS1_27merge_sort_block_merge_implIS3_NS6_6detail15normal_iteratorINS6_10device_ptrIS8_EEEEPS9_mNS6_4lessIS8_EEEE10hipError_tT0_T1_T2_jT3_P12ihipStream_tbPNSt15iterator_traitsISL_E10value_typeEPNSR_ISM_E10value_typeEPSN_NS1_7vsmem_tEENKUlT_SL_SM_SN_E_clIPS8_SG_SH_SH_EESK_S10_SL_SM_SN_EUlS10_E_NS1_11comp_targetILNS1_3genE4ELNS1_11target_archE910ELNS1_3gpuE8ELNS1_3repE0EEENS1_48merge_mergepath_partition_config_static_selectorELNS0_4arch9wavefront6targetE1EEEvSM_.uses_flat_scratch, 0
	.set _ZN7rocprim17ROCPRIM_400000_NS6detail17trampoline_kernelINS0_14default_configENS1_38merge_sort_block_merge_config_selectorIN6thrust23THRUST_200600_302600_NS4pairIiiEENS0_10empty_typeEEEZZNS1_27merge_sort_block_merge_implIS3_NS6_6detail15normal_iteratorINS6_10device_ptrIS8_EEEEPS9_mNS6_4lessIS8_EEEE10hipError_tT0_T1_T2_jT3_P12ihipStream_tbPNSt15iterator_traitsISL_E10value_typeEPNSR_ISM_E10value_typeEPSN_NS1_7vsmem_tEENKUlT_SL_SM_SN_E_clIPS8_SG_SH_SH_EESK_S10_SL_SM_SN_EUlS10_E_NS1_11comp_targetILNS1_3genE4ELNS1_11target_archE910ELNS1_3gpuE8ELNS1_3repE0EEENS1_48merge_mergepath_partition_config_static_selectorELNS0_4arch9wavefront6targetE1EEEvSM_.has_dyn_sized_stack, 0
	.set _ZN7rocprim17ROCPRIM_400000_NS6detail17trampoline_kernelINS0_14default_configENS1_38merge_sort_block_merge_config_selectorIN6thrust23THRUST_200600_302600_NS4pairIiiEENS0_10empty_typeEEEZZNS1_27merge_sort_block_merge_implIS3_NS6_6detail15normal_iteratorINS6_10device_ptrIS8_EEEEPS9_mNS6_4lessIS8_EEEE10hipError_tT0_T1_T2_jT3_P12ihipStream_tbPNSt15iterator_traitsISL_E10value_typeEPNSR_ISM_E10value_typeEPSN_NS1_7vsmem_tEENKUlT_SL_SM_SN_E_clIPS8_SG_SH_SH_EESK_S10_SL_SM_SN_EUlS10_E_NS1_11comp_targetILNS1_3genE4ELNS1_11target_archE910ELNS1_3gpuE8ELNS1_3repE0EEENS1_48merge_mergepath_partition_config_static_selectorELNS0_4arch9wavefront6targetE1EEEvSM_.has_recursion, 0
	.set _ZN7rocprim17ROCPRIM_400000_NS6detail17trampoline_kernelINS0_14default_configENS1_38merge_sort_block_merge_config_selectorIN6thrust23THRUST_200600_302600_NS4pairIiiEENS0_10empty_typeEEEZZNS1_27merge_sort_block_merge_implIS3_NS6_6detail15normal_iteratorINS6_10device_ptrIS8_EEEEPS9_mNS6_4lessIS8_EEEE10hipError_tT0_T1_T2_jT3_P12ihipStream_tbPNSt15iterator_traitsISL_E10value_typeEPNSR_ISM_E10value_typeEPSN_NS1_7vsmem_tEENKUlT_SL_SM_SN_E_clIPS8_SG_SH_SH_EESK_S10_SL_SM_SN_EUlS10_E_NS1_11comp_targetILNS1_3genE4ELNS1_11target_archE910ELNS1_3gpuE8ELNS1_3repE0EEENS1_48merge_mergepath_partition_config_static_selectorELNS0_4arch9wavefront6targetE1EEEvSM_.has_indirect_call, 0
	.section	.AMDGPU.csdata,"",@progbits
; Kernel info:
; codeLenInByte = 0
; TotalNumSgprs: 6
; NumVgprs: 0
; NumAgprs: 0
; TotalNumVgprs: 0
; ScratchSize: 0
; MemoryBound: 0
; FloatMode: 240
; IeeeMode: 1
; LDSByteSize: 0 bytes/workgroup (compile time only)
; SGPRBlocks: 0
; VGPRBlocks: 0
; NumSGPRsForWavesPerEU: 6
; NumVGPRsForWavesPerEU: 1
; AccumOffset: 4
; Occupancy: 8
; WaveLimiterHint : 0
; COMPUTE_PGM_RSRC2:SCRATCH_EN: 0
; COMPUTE_PGM_RSRC2:USER_SGPR: 2
; COMPUTE_PGM_RSRC2:TRAP_HANDLER: 0
; COMPUTE_PGM_RSRC2:TGID_X_EN: 1
; COMPUTE_PGM_RSRC2:TGID_Y_EN: 0
; COMPUTE_PGM_RSRC2:TGID_Z_EN: 0
; COMPUTE_PGM_RSRC2:TIDIG_COMP_CNT: 0
; COMPUTE_PGM_RSRC3_GFX90A:ACCUM_OFFSET: 0
; COMPUTE_PGM_RSRC3_GFX90A:TG_SPLIT: 0
	.section	.text._ZN7rocprim17ROCPRIM_400000_NS6detail17trampoline_kernelINS0_14default_configENS1_38merge_sort_block_merge_config_selectorIN6thrust23THRUST_200600_302600_NS4pairIiiEENS0_10empty_typeEEEZZNS1_27merge_sort_block_merge_implIS3_NS6_6detail15normal_iteratorINS6_10device_ptrIS8_EEEEPS9_mNS6_4lessIS8_EEEE10hipError_tT0_T1_T2_jT3_P12ihipStream_tbPNSt15iterator_traitsISL_E10value_typeEPNSR_ISM_E10value_typeEPSN_NS1_7vsmem_tEENKUlT_SL_SM_SN_E_clIPS8_SG_SH_SH_EESK_S10_SL_SM_SN_EUlS10_E_NS1_11comp_targetILNS1_3genE3ELNS1_11target_archE908ELNS1_3gpuE7ELNS1_3repE0EEENS1_48merge_mergepath_partition_config_static_selectorELNS0_4arch9wavefront6targetE1EEEvSM_,"axG",@progbits,_ZN7rocprim17ROCPRIM_400000_NS6detail17trampoline_kernelINS0_14default_configENS1_38merge_sort_block_merge_config_selectorIN6thrust23THRUST_200600_302600_NS4pairIiiEENS0_10empty_typeEEEZZNS1_27merge_sort_block_merge_implIS3_NS6_6detail15normal_iteratorINS6_10device_ptrIS8_EEEEPS9_mNS6_4lessIS8_EEEE10hipError_tT0_T1_T2_jT3_P12ihipStream_tbPNSt15iterator_traitsISL_E10value_typeEPNSR_ISM_E10value_typeEPSN_NS1_7vsmem_tEENKUlT_SL_SM_SN_E_clIPS8_SG_SH_SH_EESK_S10_SL_SM_SN_EUlS10_E_NS1_11comp_targetILNS1_3genE3ELNS1_11target_archE908ELNS1_3gpuE7ELNS1_3repE0EEENS1_48merge_mergepath_partition_config_static_selectorELNS0_4arch9wavefront6targetE1EEEvSM_,comdat
	.protected	_ZN7rocprim17ROCPRIM_400000_NS6detail17trampoline_kernelINS0_14default_configENS1_38merge_sort_block_merge_config_selectorIN6thrust23THRUST_200600_302600_NS4pairIiiEENS0_10empty_typeEEEZZNS1_27merge_sort_block_merge_implIS3_NS6_6detail15normal_iteratorINS6_10device_ptrIS8_EEEEPS9_mNS6_4lessIS8_EEEE10hipError_tT0_T1_T2_jT3_P12ihipStream_tbPNSt15iterator_traitsISL_E10value_typeEPNSR_ISM_E10value_typeEPSN_NS1_7vsmem_tEENKUlT_SL_SM_SN_E_clIPS8_SG_SH_SH_EESK_S10_SL_SM_SN_EUlS10_E_NS1_11comp_targetILNS1_3genE3ELNS1_11target_archE908ELNS1_3gpuE7ELNS1_3repE0EEENS1_48merge_mergepath_partition_config_static_selectorELNS0_4arch9wavefront6targetE1EEEvSM_ ; -- Begin function _ZN7rocprim17ROCPRIM_400000_NS6detail17trampoline_kernelINS0_14default_configENS1_38merge_sort_block_merge_config_selectorIN6thrust23THRUST_200600_302600_NS4pairIiiEENS0_10empty_typeEEEZZNS1_27merge_sort_block_merge_implIS3_NS6_6detail15normal_iteratorINS6_10device_ptrIS8_EEEEPS9_mNS6_4lessIS8_EEEE10hipError_tT0_T1_T2_jT3_P12ihipStream_tbPNSt15iterator_traitsISL_E10value_typeEPNSR_ISM_E10value_typeEPSN_NS1_7vsmem_tEENKUlT_SL_SM_SN_E_clIPS8_SG_SH_SH_EESK_S10_SL_SM_SN_EUlS10_E_NS1_11comp_targetILNS1_3genE3ELNS1_11target_archE908ELNS1_3gpuE7ELNS1_3repE0EEENS1_48merge_mergepath_partition_config_static_selectorELNS0_4arch9wavefront6targetE1EEEvSM_
	.globl	_ZN7rocprim17ROCPRIM_400000_NS6detail17trampoline_kernelINS0_14default_configENS1_38merge_sort_block_merge_config_selectorIN6thrust23THRUST_200600_302600_NS4pairIiiEENS0_10empty_typeEEEZZNS1_27merge_sort_block_merge_implIS3_NS6_6detail15normal_iteratorINS6_10device_ptrIS8_EEEEPS9_mNS6_4lessIS8_EEEE10hipError_tT0_T1_T2_jT3_P12ihipStream_tbPNSt15iterator_traitsISL_E10value_typeEPNSR_ISM_E10value_typeEPSN_NS1_7vsmem_tEENKUlT_SL_SM_SN_E_clIPS8_SG_SH_SH_EESK_S10_SL_SM_SN_EUlS10_E_NS1_11comp_targetILNS1_3genE3ELNS1_11target_archE908ELNS1_3gpuE7ELNS1_3repE0EEENS1_48merge_mergepath_partition_config_static_selectorELNS0_4arch9wavefront6targetE1EEEvSM_
	.p2align	8
	.type	_ZN7rocprim17ROCPRIM_400000_NS6detail17trampoline_kernelINS0_14default_configENS1_38merge_sort_block_merge_config_selectorIN6thrust23THRUST_200600_302600_NS4pairIiiEENS0_10empty_typeEEEZZNS1_27merge_sort_block_merge_implIS3_NS6_6detail15normal_iteratorINS6_10device_ptrIS8_EEEEPS9_mNS6_4lessIS8_EEEE10hipError_tT0_T1_T2_jT3_P12ihipStream_tbPNSt15iterator_traitsISL_E10value_typeEPNSR_ISM_E10value_typeEPSN_NS1_7vsmem_tEENKUlT_SL_SM_SN_E_clIPS8_SG_SH_SH_EESK_S10_SL_SM_SN_EUlS10_E_NS1_11comp_targetILNS1_3genE3ELNS1_11target_archE908ELNS1_3gpuE7ELNS1_3repE0EEENS1_48merge_mergepath_partition_config_static_selectorELNS0_4arch9wavefront6targetE1EEEvSM_,@function
_ZN7rocprim17ROCPRIM_400000_NS6detail17trampoline_kernelINS0_14default_configENS1_38merge_sort_block_merge_config_selectorIN6thrust23THRUST_200600_302600_NS4pairIiiEENS0_10empty_typeEEEZZNS1_27merge_sort_block_merge_implIS3_NS6_6detail15normal_iteratorINS6_10device_ptrIS8_EEEEPS9_mNS6_4lessIS8_EEEE10hipError_tT0_T1_T2_jT3_P12ihipStream_tbPNSt15iterator_traitsISL_E10value_typeEPNSR_ISM_E10value_typeEPSN_NS1_7vsmem_tEENKUlT_SL_SM_SN_E_clIPS8_SG_SH_SH_EESK_S10_SL_SM_SN_EUlS10_E_NS1_11comp_targetILNS1_3genE3ELNS1_11target_archE908ELNS1_3gpuE7ELNS1_3repE0EEENS1_48merge_mergepath_partition_config_static_selectorELNS0_4arch9wavefront6targetE1EEEvSM_: ; @_ZN7rocprim17ROCPRIM_400000_NS6detail17trampoline_kernelINS0_14default_configENS1_38merge_sort_block_merge_config_selectorIN6thrust23THRUST_200600_302600_NS4pairIiiEENS0_10empty_typeEEEZZNS1_27merge_sort_block_merge_implIS3_NS6_6detail15normal_iteratorINS6_10device_ptrIS8_EEEEPS9_mNS6_4lessIS8_EEEE10hipError_tT0_T1_T2_jT3_P12ihipStream_tbPNSt15iterator_traitsISL_E10value_typeEPNSR_ISM_E10value_typeEPSN_NS1_7vsmem_tEENKUlT_SL_SM_SN_E_clIPS8_SG_SH_SH_EESK_S10_SL_SM_SN_EUlS10_E_NS1_11comp_targetILNS1_3genE3ELNS1_11target_archE908ELNS1_3gpuE7ELNS1_3repE0EEENS1_48merge_mergepath_partition_config_static_selectorELNS0_4arch9wavefront6targetE1EEEvSM_
; %bb.0:
	.section	.rodata,"a",@progbits
	.p2align	6, 0x0
	.amdhsa_kernel _ZN7rocprim17ROCPRIM_400000_NS6detail17trampoline_kernelINS0_14default_configENS1_38merge_sort_block_merge_config_selectorIN6thrust23THRUST_200600_302600_NS4pairIiiEENS0_10empty_typeEEEZZNS1_27merge_sort_block_merge_implIS3_NS6_6detail15normal_iteratorINS6_10device_ptrIS8_EEEEPS9_mNS6_4lessIS8_EEEE10hipError_tT0_T1_T2_jT3_P12ihipStream_tbPNSt15iterator_traitsISL_E10value_typeEPNSR_ISM_E10value_typeEPSN_NS1_7vsmem_tEENKUlT_SL_SM_SN_E_clIPS8_SG_SH_SH_EESK_S10_SL_SM_SN_EUlS10_E_NS1_11comp_targetILNS1_3genE3ELNS1_11target_archE908ELNS1_3gpuE7ELNS1_3repE0EEENS1_48merge_mergepath_partition_config_static_selectorELNS0_4arch9wavefront6targetE1EEEvSM_
		.amdhsa_group_segment_fixed_size 0
		.amdhsa_private_segment_fixed_size 0
		.amdhsa_kernarg_size 48
		.amdhsa_user_sgpr_count 2
		.amdhsa_user_sgpr_dispatch_ptr 0
		.amdhsa_user_sgpr_queue_ptr 0
		.amdhsa_user_sgpr_kernarg_segment_ptr 1
		.amdhsa_user_sgpr_dispatch_id 0
		.amdhsa_user_sgpr_kernarg_preload_length 0
		.amdhsa_user_sgpr_kernarg_preload_offset 0
		.amdhsa_user_sgpr_private_segment_size 0
		.amdhsa_uses_dynamic_stack 0
		.amdhsa_enable_private_segment 0
		.amdhsa_system_sgpr_workgroup_id_x 1
		.amdhsa_system_sgpr_workgroup_id_y 0
		.amdhsa_system_sgpr_workgroup_id_z 0
		.amdhsa_system_sgpr_workgroup_info 0
		.amdhsa_system_vgpr_workitem_id 0
		.amdhsa_next_free_vgpr 1
		.amdhsa_next_free_sgpr 0
		.amdhsa_accum_offset 4
		.amdhsa_reserve_vcc 0
		.amdhsa_float_round_mode_32 0
		.amdhsa_float_round_mode_16_64 0
		.amdhsa_float_denorm_mode_32 3
		.amdhsa_float_denorm_mode_16_64 3
		.amdhsa_dx10_clamp 1
		.amdhsa_ieee_mode 1
		.amdhsa_fp16_overflow 0
		.amdhsa_tg_split 0
		.amdhsa_exception_fp_ieee_invalid_op 0
		.amdhsa_exception_fp_denorm_src 0
		.amdhsa_exception_fp_ieee_div_zero 0
		.amdhsa_exception_fp_ieee_overflow 0
		.amdhsa_exception_fp_ieee_underflow 0
		.amdhsa_exception_fp_ieee_inexact 0
		.amdhsa_exception_int_div_zero 0
	.end_amdhsa_kernel
	.section	.text._ZN7rocprim17ROCPRIM_400000_NS6detail17trampoline_kernelINS0_14default_configENS1_38merge_sort_block_merge_config_selectorIN6thrust23THRUST_200600_302600_NS4pairIiiEENS0_10empty_typeEEEZZNS1_27merge_sort_block_merge_implIS3_NS6_6detail15normal_iteratorINS6_10device_ptrIS8_EEEEPS9_mNS6_4lessIS8_EEEE10hipError_tT0_T1_T2_jT3_P12ihipStream_tbPNSt15iterator_traitsISL_E10value_typeEPNSR_ISM_E10value_typeEPSN_NS1_7vsmem_tEENKUlT_SL_SM_SN_E_clIPS8_SG_SH_SH_EESK_S10_SL_SM_SN_EUlS10_E_NS1_11comp_targetILNS1_3genE3ELNS1_11target_archE908ELNS1_3gpuE7ELNS1_3repE0EEENS1_48merge_mergepath_partition_config_static_selectorELNS0_4arch9wavefront6targetE1EEEvSM_,"axG",@progbits,_ZN7rocprim17ROCPRIM_400000_NS6detail17trampoline_kernelINS0_14default_configENS1_38merge_sort_block_merge_config_selectorIN6thrust23THRUST_200600_302600_NS4pairIiiEENS0_10empty_typeEEEZZNS1_27merge_sort_block_merge_implIS3_NS6_6detail15normal_iteratorINS6_10device_ptrIS8_EEEEPS9_mNS6_4lessIS8_EEEE10hipError_tT0_T1_T2_jT3_P12ihipStream_tbPNSt15iterator_traitsISL_E10value_typeEPNSR_ISM_E10value_typeEPSN_NS1_7vsmem_tEENKUlT_SL_SM_SN_E_clIPS8_SG_SH_SH_EESK_S10_SL_SM_SN_EUlS10_E_NS1_11comp_targetILNS1_3genE3ELNS1_11target_archE908ELNS1_3gpuE7ELNS1_3repE0EEENS1_48merge_mergepath_partition_config_static_selectorELNS0_4arch9wavefront6targetE1EEEvSM_,comdat
.Lfunc_end637:
	.size	_ZN7rocprim17ROCPRIM_400000_NS6detail17trampoline_kernelINS0_14default_configENS1_38merge_sort_block_merge_config_selectorIN6thrust23THRUST_200600_302600_NS4pairIiiEENS0_10empty_typeEEEZZNS1_27merge_sort_block_merge_implIS3_NS6_6detail15normal_iteratorINS6_10device_ptrIS8_EEEEPS9_mNS6_4lessIS8_EEEE10hipError_tT0_T1_T2_jT3_P12ihipStream_tbPNSt15iterator_traitsISL_E10value_typeEPNSR_ISM_E10value_typeEPSN_NS1_7vsmem_tEENKUlT_SL_SM_SN_E_clIPS8_SG_SH_SH_EESK_S10_SL_SM_SN_EUlS10_E_NS1_11comp_targetILNS1_3genE3ELNS1_11target_archE908ELNS1_3gpuE7ELNS1_3repE0EEENS1_48merge_mergepath_partition_config_static_selectorELNS0_4arch9wavefront6targetE1EEEvSM_, .Lfunc_end637-_ZN7rocprim17ROCPRIM_400000_NS6detail17trampoline_kernelINS0_14default_configENS1_38merge_sort_block_merge_config_selectorIN6thrust23THRUST_200600_302600_NS4pairIiiEENS0_10empty_typeEEEZZNS1_27merge_sort_block_merge_implIS3_NS6_6detail15normal_iteratorINS6_10device_ptrIS8_EEEEPS9_mNS6_4lessIS8_EEEE10hipError_tT0_T1_T2_jT3_P12ihipStream_tbPNSt15iterator_traitsISL_E10value_typeEPNSR_ISM_E10value_typeEPSN_NS1_7vsmem_tEENKUlT_SL_SM_SN_E_clIPS8_SG_SH_SH_EESK_S10_SL_SM_SN_EUlS10_E_NS1_11comp_targetILNS1_3genE3ELNS1_11target_archE908ELNS1_3gpuE7ELNS1_3repE0EEENS1_48merge_mergepath_partition_config_static_selectorELNS0_4arch9wavefront6targetE1EEEvSM_
                                        ; -- End function
	.set _ZN7rocprim17ROCPRIM_400000_NS6detail17trampoline_kernelINS0_14default_configENS1_38merge_sort_block_merge_config_selectorIN6thrust23THRUST_200600_302600_NS4pairIiiEENS0_10empty_typeEEEZZNS1_27merge_sort_block_merge_implIS3_NS6_6detail15normal_iteratorINS6_10device_ptrIS8_EEEEPS9_mNS6_4lessIS8_EEEE10hipError_tT0_T1_T2_jT3_P12ihipStream_tbPNSt15iterator_traitsISL_E10value_typeEPNSR_ISM_E10value_typeEPSN_NS1_7vsmem_tEENKUlT_SL_SM_SN_E_clIPS8_SG_SH_SH_EESK_S10_SL_SM_SN_EUlS10_E_NS1_11comp_targetILNS1_3genE3ELNS1_11target_archE908ELNS1_3gpuE7ELNS1_3repE0EEENS1_48merge_mergepath_partition_config_static_selectorELNS0_4arch9wavefront6targetE1EEEvSM_.num_vgpr, 0
	.set _ZN7rocprim17ROCPRIM_400000_NS6detail17trampoline_kernelINS0_14default_configENS1_38merge_sort_block_merge_config_selectorIN6thrust23THRUST_200600_302600_NS4pairIiiEENS0_10empty_typeEEEZZNS1_27merge_sort_block_merge_implIS3_NS6_6detail15normal_iteratorINS6_10device_ptrIS8_EEEEPS9_mNS6_4lessIS8_EEEE10hipError_tT0_T1_T2_jT3_P12ihipStream_tbPNSt15iterator_traitsISL_E10value_typeEPNSR_ISM_E10value_typeEPSN_NS1_7vsmem_tEENKUlT_SL_SM_SN_E_clIPS8_SG_SH_SH_EESK_S10_SL_SM_SN_EUlS10_E_NS1_11comp_targetILNS1_3genE3ELNS1_11target_archE908ELNS1_3gpuE7ELNS1_3repE0EEENS1_48merge_mergepath_partition_config_static_selectorELNS0_4arch9wavefront6targetE1EEEvSM_.num_agpr, 0
	.set _ZN7rocprim17ROCPRIM_400000_NS6detail17trampoline_kernelINS0_14default_configENS1_38merge_sort_block_merge_config_selectorIN6thrust23THRUST_200600_302600_NS4pairIiiEENS0_10empty_typeEEEZZNS1_27merge_sort_block_merge_implIS3_NS6_6detail15normal_iteratorINS6_10device_ptrIS8_EEEEPS9_mNS6_4lessIS8_EEEE10hipError_tT0_T1_T2_jT3_P12ihipStream_tbPNSt15iterator_traitsISL_E10value_typeEPNSR_ISM_E10value_typeEPSN_NS1_7vsmem_tEENKUlT_SL_SM_SN_E_clIPS8_SG_SH_SH_EESK_S10_SL_SM_SN_EUlS10_E_NS1_11comp_targetILNS1_3genE3ELNS1_11target_archE908ELNS1_3gpuE7ELNS1_3repE0EEENS1_48merge_mergepath_partition_config_static_selectorELNS0_4arch9wavefront6targetE1EEEvSM_.numbered_sgpr, 0
	.set _ZN7rocprim17ROCPRIM_400000_NS6detail17trampoline_kernelINS0_14default_configENS1_38merge_sort_block_merge_config_selectorIN6thrust23THRUST_200600_302600_NS4pairIiiEENS0_10empty_typeEEEZZNS1_27merge_sort_block_merge_implIS3_NS6_6detail15normal_iteratorINS6_10device_ptrIS8_EEEEPS9_mNS6_4lessIS8_EEEE10hipError_tT0_T1_T2_jT3_P12ihipStream_tbPNSt15iterator_traitsISL_E10value_typeEPNSR_ISM_E10value_typeEPSN_NS1_7vsmem_tEENKUlT_SL_SM_SN_E_clIPS8_SG_SH_SH_EESK_S10_SL_SM_SN_EUlS10_E_NS1_11comp_targetILNS1_3genE3ELNS1_11target_archE908ELNS1_3gpuE7ELNS1_3repE0EEENS1_48merge_mergepath_partition_config_static_selectorELNS0_4arch9wavefront6targetE1EEEvSM_.num_named_barrier, 0
	.set _ZN7rocprim17ROCPRIM_400000_NS6detail17trampoline_kernelINS0_14default_configENS1_38merge_sort_block_merge_config_selectorIN6thrust23THRUST_200600_302600_NS4pairIiiEENS0_10empty_typeEEEZZNS1_27merge_sort_block_merge_implIS3_NS6_6detail15normal_iteratorINS6_10device_ptrIS8_EEEEPS9_mNS6_4lessIS8_EEEE10hipError_tT0_T1_T2_jT3_P12ihipStream_tbPNSt15iterator_traitsISL_E10value_typeEPNSR_ISM_E10value_typeEPSN_NS1_7vsmem_tEENKUlT_SL_SM_SN_E_clIPS8_SG_SH_SH_EESK_S10_SL_SM_SN_EUlS10_E_NS1_11comp_targetILNS1_3genE3ELNS1_11target_archE908ELNS1_3gpuE7ELNS1_3repE0EEENS1_48merge_mergepath_partition_config_static_selectorELNS0_4arch9wavefront6targetE1EEEvSM_.private_seg_size, 0
	.set _ZN7rocprim17ROCPRIM_400000_NS6detail17trampoline_kernelINS0_14default_configENS1_38merge_sort_block_merge_config_selectorIN6thrust23THRUST_200600_302600_NS4pairIiiEENS0_10empty_typeEEEZZNS1_27merge_sort_block_merge_implIS3_NS6_6detail15normal_iteratorINS6_10device_ptrIS8_EEEEPS9_mNS6_4lessIS8_EEEE10hipError_tT0_T1_T2_jT3_P12ihipStream_tbPNSt15iterator_traitsISL_E10value_typeEPNSR_ISM_E10value_typeEPSN_NS1_7vsmem_tEENKUlT_SL_SM_SN_E_clIPS8_SG_SH_SH_EESK_S10_SL_SM_SN_EUlS10_E_NS1_11comp_targetILNS1_3genE3ELNS1_11target_archE908ELNS1_3gpuE7ELNS1_3repE0EEENS1_48merge_mergepath_partition_config_static_selectorELNS0_4arch9wavefront6targetE1EEEvSM_.uses_vcc, 0
	.set _ZN7rocprim17ROCPRIM_400000_NS6detail17trampoline_kernelINS0_14default_configENS1_38merge_sort_block_merge_config_selectorIN6thrust23THRUST_200600_302600_NS4pairIiiEENS0_10empty_typeEEEZZNS1_27merge_sort_block_merge_implIS3_NS6_6detail15normal_iteratorINS6_10device_ptrIS8_EEEEPS9_mNS6_4lessIS8_EEEE10hipError_tT0_T1_T2_jT3_P12ihipStream_tbPNSt15iterator_traitsISL_E10value_typeEPNSR_ISM_E10value_typeEPSN_NS1_7vsmem_tEENKUlT_SL_SM_SN_E_clIPS8_SG_SH_SH_EESK_S10_SL_SM_SN_EUlS10_E_NS1_11comp_targetILNS1_3genE3ELNS1_11target_archE908ELNS1_3gpuE7ELNS1_3repE0EEENS1_48merge_mergepath_partition_config_static_selectorELNS0_4arch9wavefront6targetE1EEEvSM_.uses_flat_scratch, 0
	.set _ZN7rocprim17ROCPRIM_400000_NS6detail17trampoline_kernelINS0_14default_configENS1_38merge_sort_block_merge_config_selectorIN6thrust23THRUST_200600_302600_NS4pairIiiEENS0_10empty_typeEEEZZNS1_27merge_sort_block_merge_implIS3_NS6_6detail15normal_iteratorINS6_10device_ptrIS8_EEEEPS9_mNS6_4lessIS8_EEEE10hipError_tT0_T1_T2_jT3_P12ihipStream_tbPNSt15iterator_traitsISL_E10value_typeEPNSR_ISM_E10value_typeEPSN_NS1_7vsmem_tEENKUlT_SL_SM_SN_E_clIPS8_SG_SH_SH_EESK_S10_SL_SM_SN_EUlS10_E_NS1_11comp_targetILNS1_3genE3ELNS1_11target_archE908ELNS1_3gpuE7ELNS1_3repE0EEENS1_48merge_mergepath_partition_config_static_selectorELNS0_4arch9wavefront6targetE1EEEvSM_.has_dyn_sized_stack, 0
	.set _ZN7rocprim17ROCPRIM_400000_NS6detail17trampoline_kernelINS0_14default_configENS1_38merge_sort_block_merge_config_selectorIN6thrust23THRUST_200600_302600_NS4pairIiiEENS0_10empty_typeEEEZZNS1_27merge_sort_block_merge_implIS3_NS6_6detail15normal_iteratorINS6_10device_ptrIS8_EEEEPS9_mNS6_4lessIS8_EEEE10hipError_tT0_T1_T2_jT3_P12ihipStream_tbPNSt15iterator_traitsISL_E10value_typeEPNSR_ISM_E10value_typeEPSN_NS1_7vsmem_tEENKUlT_SL_SM_SN_E_clIPS8_SG_SH_SH_EESK_S10_SL_SM_SN_EUlS10_E_NS1_11comp_targetILNS1_3genE3ELNS1_11target_archE908ELNS1_3gpuE7ELNS1_3repE0EEENS1_48merge_mergepath_partition_config_static_selectorELNS0_4arch9wavefront6targetE1EEEvSM_.has_recursion, 0
	.set _ZN7rocprim17ROCPRIM_400000_NS6detail17trampoline_kernelINS0_14default_configENS1_38merge_sort_block_merge_config_selectorIN6thrust23THRUST_200600_302600_NS4pairIiiEENS0_10empty_typeEEEZZNS1_27merge_sort_block_merge_implIS3_NS6_6detail15normal_iteratorINS6_10device_ptrIS8_EEEEPS9_mNS6_4lessIS8_EEEE10hipError_tT0_T1_T2_jT3_P12ihipStream_tbPNSt15iterator_traitsISL_E10value_typeEPNSR_ISM_E10value_typeEPSN_NS1_7vsmem_tEENKUlT_SL_SM_SN_E_clIPS8_SG_SH_SH_EESK_S10_SL_SM_SN_EUlS10_E_NS1_11comp_targetILNS1_3genE3ELNS1_11target_archE908ELNS1_3gpuE7ELNS1_3repE0EEENS1_48merge_mergepath_partition_config_static_selectorELNS0_4arch9wavefront6targetE1EEEvSM_.has_indirect_call, 0
	.section	.AMDGPU.csdata,"",@progbits
; Kernel info:
; codeLenInByte = 0
; TotalNumSgprs: 6
; NumVgprs: 0
; NumAgprs: 0
; TotalNumVgprs: 0
; ScratchSize: 0
; MemoryBound: 0
; FloatMode: 240
; IeeeMode: 1
; LDSByteSize: 0 bytes/workgroup (compile time only)
; SGPRBlocks: 0
; VGPRBlocks: 0
; NumSGPRsForWavesPerEU: 6
; NumVGPRsForWavesPerEU: 1
; AccumOffset: 4
; Occupancy: 8
; WaveLimiterHint : 0
; COMPUTE_PGM_RSRC2:SCRATCH_EN: 0
; COMPUTE_PGM_RSRC2:USER_SGPR: 2
; COMPUTE_PGM_RSRC2:TRAP_HANDLER: 0
; COMPUTE_PGM_RSRC2:TGID_X_EN: 1
; COMPUTE_PGM_RSRC2:TGID_Y_EN: 0
; COMPUTE_PGM_RSRC2:TGID_Z_EN: 0
; COMPUTE_PGM_RSRC2:TIDIG_COMP_CNT: 0
; COMPUTE_PGM_RSRC3_GFX90A:ACCUM_OFFSET: 0
; COMPUTE_PGM_RSRC3_GFX90A:TG_SPLIT: 0
	.section	.text._ZN7rocprim17ROCPRIM_400000_NS6detail17trampoline_kernelINS0_14default_configENS1_38merge_sort_block_merge_config_selectorIN6thrust23THRUST_200600_302600_NS4pairIiiEENS0_10empty_typeEEEZZNS1_27merge_sort_block_merge_implIS3_NS6_6detail15normal_iteratorINS6_10device_ptrIS8_EEEEPS9_mNS6_4lessIS8_EEEE10hipError_tT0_T1_T2_jT3_P12ihipStream_tbPNSt15iterator_traitsISL_E10value_typeEPNSR_ISM_E10value_typeEPSN_NS1_7vsmem_tEENKUlT_SL_SM_SN_E_clIPS8_SG_SH_SH_EESK_S10_SL_SM_SN_EUlS10_E_NS1_11comp_targetILNS1_3genE2ELNS1_11target_archE906ELNS1_3gpuE6ELNS1_3repE0EEENS1_48merge_mergepath_partition_config_static_selectorELNS0_4arch9wavefront6targetE1EEEvSM_,"axG",@progbits,_ZN7rocprim17ROCPRIM_400000_NS6detail17trampoline_kernelINS0_14default_configENS1_38merge_sort_block_merge_config_selectorIN6thrust23THRUST_200600_302600_NS4pairIiiEENS0_10empty_typeEEEZZNS1_27merge_sort_block_merge_implIS3_NS6_6detail15normal_iteratorINS6_10device_ptrIS8_EEEEPS9_mNS6_4lessIS8_EEEE10hipError_tT0_T1_T2_jT3_P12ihipStream_tbPNSt15iterator_traitsISL_E10value_typeEPNSR_ISM_E10value_typeEPSN_NS1_7vsmem_tEENKUlT_SL_SM_SN_E_clIPS8_SG_SH_SH_EESK_S10_SL_SM_SN_EUlS10_E_NS1_11comp_targetILNS1_3genE2ELNS1_11target_archE906ELNS1_3gpuE6ELNS1_3repE0EEENS1_48merge_mergepath_partition_config_static_selectorELNS0_4arch9wavefront6targetE1EEEvSM_,comdat
	.protected	_ZN7rocprim17ROCPRIM_400000_NS6detail17trampoline_kernelINS0_14default_configENS1_38merge_sort_block_merge_config_selectorIN6thrust23THRUST_200600_302600_NS4pairIiiEENS0_10empty_typeEEEZZNS1_27merge_sort_block_merge_implIS3_NS6_6detail15normal_iteratorINS6_10device_ptrIS8_EEEEPS9_mNS6_4lessIS8_EEEE10hipError_tT0_T1_T2_jT3_P12ihipStream_tbPNSt15iterator_traitsISL_E10value_typeEPNSR_ISM_E10value_typeEPSN_NS1_7vsmem_tEENKUlT_SL_SM_SN_E_clIPS8_SG_SH_SH_EESK_S10_SL_SM_SN_EUlS10_E_NS1_11comp_targetILNS1_3genE2ELNS1_11target_archE906ELNS1_3gpuE6ELNS1_3repE0EEENS1_48merge_mergepath_partition_config_static_selectorELNS0_4arch9wavefront6targetE1EEEvSM_ ; -- Begin function _ZN7rocprim17ROCPRIM_400000_NS6detail17trampoline_kernelINS0_14default_configENS1_38merge_sort_block_merge_config_selectorIN6thrust23THRUST_200600_302600_NS4pairIiiEENS0_10empty_typeEEEZZNS1_27merge_sort_block_merge_implIS3_NS6_6detail15normal_iteratorINS6_10device_ptrIS8_EEEEPS9_mNS6_4lessIS8_EEEE10hipError_tT0_T1_T2_jT3_P12ihipStream_tbPNSt15iterator_traitsISL_E10value_typeEPNSR_ISM_E10value_typeEPSN_NS1_7vsmem_tEENKUlT_SL_SM_SN_E_clIPS8_SG_SH_SH_EESK_S10_SL_SM_SN_EUlS10_E_NS1_11comp_targetILNS1_3genE2ELNS1_11target_archE906ELNS1_3gpuE6ELNS1_3repE0EEENS1_48merge_mergepath_partition_config_static_selectorELNS0_4arch9wavefront6targetE1EEEvSM_
	.globl	_ZN7rocprim17ROCPRIM_400000_NS6detail17trampoline_kernelINS0_14default_configENS1_38merge_sort_block_merge_config_selectorIN6thrust23THRUST_200600_302600_NS4pairIiiEENS0_10empty_typeEEEZZNS1_27merge_sort_block_merge_implIS3_NS6_6detail15normal_iteratorINS6_10device_ptrIS8_EEEEPS9_mNS6_4lessIS8_EEEE10hipError_tT0_T1_T2_jT3_P12ihipStream_tbPNSt15iterator_traitsISL_E10value_typeEPNSR_ISM_E10value_typeEPSN_NS1_7vsmem_tEENKUlT_SL_SM_SN_E_clIPS8_SG_SH_SH_EESK_S10_SL_SM_SN_EUlS10_E_NS1_11comp_targetILNS1_3genE2ELNS1_11target_archE906ELNS1_3gpuE6ELNS1_3repE0EEENS1_48merge_mergepath_partition_config_static_selectorELNS0_4arch9wavefront6targetE1EEEvSM_
	.p2align	8
	.type	_ZN7rocprim17ROCPRIM_400000_NS6detail17trampoline_kernelINS0_14default_configENS1_38merge_sort_block_merge_config_selectorIN6thrust23THRUST_200600_302600_NS4pairIiiEENS0_10empty_typeEEEZZNS1_27merge_sort_block_merge_implIS3_NS6_6detail15normal_iteratorINS6_10device_ptrIS8_EEEEPS9_mNS6_4lessIS8_EEEE10hipError_tT0_T1_T2_jT3_P12ihipStream_tbPNSt15iterator_traitsISL_E10value_typeEPNSR_ISM_E10value_typeEPSN_NS1_7vsmem_tEENKUlT_SL_SM_SN_E_clIPS8_SG_SH_SH_EESK_S10_SL_SM_SN_EUlS10_E_NS1_11comp_targetILNS1_3genE2ELNS1_11target_archE906ELNS1_3gpuE6ELNS1_3repE0EEENS1_48merge_mergepath_partition_config_static_selectorELNS0_4arch9wavefront6targetE1EEEvSM_,@function
_ZN7rocprim17ROCPRIM_400000_NS6detail17trampoline_kernelINS0_14default_configENS1_38merge_sort_block_merge_config_selectorIN6thrust23THRUST_200600_302600_NS4pairIiiEENS0_10empty_typeEEEZZNS1_27merge_sort_block_merge_implIS3_NS6_6detail15normal_iteratorINS6_10device_ptrIS8_EEEEPS9_mNS6_4lessIS8_EEEE10hipError_tT0_T1_T2_jT3_P12ihipStream_tbPNSt15iterator_traitsISL_E10value_typeEPNSR_ISM_E10value_typeEPSN_NS1_7vsmem_tEENKUlT_SL_SM_SN_E_clIPS8_SG_SH_SH_EESK_S10_SL_SM_SN_EUlS10_E_NS1_11comp_targetILNS1_3genE2ELNS1_11target_archE906ELNS1_3gpuE6ELNS1_3repE0EEENS1_48merge_mergepath_partition_config_static_selectorELNS0_4arch9wavefront6targetE1EEEvSM_: ; @_ZN7rocprim17ROCPRIM_400000_NS6detail17trampoline_kernelINS0_14default_configENS1_38merge_sort_block_merge_config_selectorIN6thrust23THRUST_200600_302600_NS4pairIiiEENS0_10empty_typeEEEZZNS1_27merge_sort_block_merge_implIS3_NS6_6detail15normal_iteratorINS6_10device_ptrIS8_EEEEPS9_mNS6_4lessIS8_EEEE10hipError_tT0_T1_T2_jT3_P12ihipStream_tbPNSt15iterator_traitsISL_E10value_typeEPNSR_ISM_E10value_typeEPSN_NS1_7vsmem_tEENKUlT_SL_SM_SN_E_clIPS8_SG_SH_SH_EESK_S10_SL_SM_SN_EUlS10_E_NS1_11comp_targetILNS1_3genE2ELNS1_11target_archE906ELNS1_3gpuE6ELNS1_3repE0EEENS1_48merge_mergepath_partition_config_static_selectorELNS0_4arch9wavefront6targetE1EEEvSM_
; %bb.0:
	.section	.rodata,"a",@progbits
	.p2align	6, 0x0
	.amdhsa_kernel _ZN7rocprim17ROCPRIM_400000_NS6detail17trampoline_kernelINS0_14default_configENS1_38merge_sort_block_merge_config_selectorIN6thrust23THRUST_200600_302600_NS4pairIiiEENS0_10empty_typeEEEZZNS1_27merge_sort_block_merge_implIS3_NS6_6detail15normal_iteratorINS6_10device_ptrIS8_EEEEPS9_mNS6_4lessIS8_EEEE10hipError_tT0_T1_T2_jT3_P12ihipStream_tbPNSt15iterator_traitsISL_E10value_typeEPNSR_ISM_E10value_typeEPSN_NS1_7vsmem_tEENKUlT_SL_SM_SN_E_clIPS8_SG_SH_SH_EESK_S10_SL_SM_SN_EUlS10_E_NS1_11comp_targetILNS1_3genE2ELNS1_11target_archE906ELNS1_3gpuE6ELNS1_3repE0EEENS1_48merge_mergepath_partition_config_static_selectorELNS0_4arch9wavefront6targetE1EEEvSM_
		.amdhsa_group_segment_fixed_size 0
		.amdhsa_private_segment_fixed_size 0
		.amdhsa_kernarg_size 48
		.amdhsa_user_sgpr_count 2
		.amdhsa_user_sgpr_dispatch_ptr 0
		.amdhsa_user_sgpr_queue_ptr 0
		.amdhsa_user_sgpr_kernarg_segment_ptr 1
		.amdhsa_user_sgpr_dispatch_id 0
		.amdhsa_user_sgpr_kernarg_preload_length 0
		.amdhsa_user_sgpr_kernarg_preload_offset 0
		.amdhsa_user_sgpr_private_segment_size 0
		.amdhsa_uses_dynamic_stack 0
		.amdhsa_enable_private_segment 0
		.amdhsa_system_sgpr_workgroup_id_x 1
		.amdhsa_system_sgpr_workgroup_id_y 0
		.amdhsa_system_sgpr_workgroup_id_z 0
		.amdhsa_system_sgpr_workgroup_info 0
		.amdhsa_system_vgpr_workitem_id 0
		.amdhsa_next_free_vgpr 1
		.amdhsa_next_free_sgpr 0
		.amdhsa_accum_offset 4
		.amdhsa_reserve_vcc 0
		.amdhsa_float_round_mode_32 0
		.amdhsa_float_round_mode_16_64 0
		.amdhsa_float_denorm_mode_32 3
		.amdhsa_float_denorm_mode_16_64 3
		.amdhsa_dx10_clamp 1
		.amdhsa_ieee_mode 1
		.amdhsa_fp16_overflow 0
		.amdhsa_tg_split 0
		.amdhsa_exception_fp_ieee_invalid_op 0
		.amdhsa_exception_fp_denorm_src 0
		.amdhsa_exception_fp_ieee_div_zero 0
		.amdhsa_exception_fp_ieee_overflow 0
		.amdhsa_exception_fp_ieee_underflow 0
		.amdhsa_exception_fp_ieee_inexact 0
		.amdhsa_exception_int_div_zero 0
	.end_amdhsa_kernel
	.section	.text._ZN7rocprim17ROCPRIM_400000_NS6detail17trampoline_kernelINS0_14default_configENS1_38merge_sort_block_merge_config_selectorIN6thrust23THRUST_200600_302600_NS4pairIiiEENS0_10empty_typeEEEZZNS1_27merge_sort_block_merge_implIS3_NS6_6detail15normal_iteratorINS6_10device_ptrIS8_EEEEPS9_mNS6_4lessIS8_EEEE10hipError_tT0_T1_T2_jT3_P12ihipStream_tbPNSt15iterator_traitsISL_E10value_typeEPNSR_ISM_E10value_typeEPSN_NS1_7vsmem_tEENKUlT_SL_SM_SN_E_clIPS8_SG_SH_SH_EESK_S10_SL_SM_SN_EUlS10_E_NS1_11comp_targetILNS1_3genE2ELNS1_11target_archE906ELNS1_3gpuE6ELNS1_3repE0EEENS1_48merge_mergepath_partition_config_static_selectorELNS0_4arch9wavefront6targetE1EEEvSM_,"axG",@progbits,_ZN7rocprim17ROCPRIM_400000_NS6detail17trampoline_kernelINS0_14default_configENS1_38merge_sort_block_merge_config_selectorIN6thrust23THRUST_200600_302600_NS4pairIiiEENS0_10empty_typeEEEZZNS1_27merge_sort_block_merge_implIS3_NS6_6detail15normal_iteratorINS6_10device_ptrIS8_EEEEPS9_mNS6_4lessIS8_EEEE10hipError_tT0_T1_T2_jT3_P12ihipStream_tbPNSt15iterator_traitsISL_E10value_typeEPNSR_ISM_E10value_typeEPSN_NS1_7vsmem_tEENKUlT_SL_SM_SN_E_clIPS8_SG_SH_SH_EESK_S10_SL_SM_SN_EUlS10_E_NS1_11comp_targetILNS1_3genE2ELNS1_11target_archE906ELNS1_3gpuE6ELNS1_3repE0EEENS1_48merge_mergepath_partition_config_static_selectorELNS0_4arch9wavefront6targetE1EEEvSM_,comdat
.Lfunc_end638:
	.size	_ZN7rocprim17ROCPRIM_400000_NS6detail17trampoline_kernelINS0_14default_configENS1_38merge_sort_block_merge_config_selectorIN6thrust23THRUST_200600_302600_NS4pairIiiEENS0_10empty_typeEEEZZNS1_27merge_sort_block_merge_implIS3_NS6_6detail15normal_iteratorINS6_10device_ptrIS8_EEEEPS9_mNS6_4lessIS8_EEEE10hipError_tT0_T1_T2_jT3_P12ihipStream_tbPNSt15iterator_traitsISL_E10value_typeEPNSR_ISM_E10value_typeEPSN_NS1_7vsmem_tEENKUlT_SL_SM_SN_E_clIPS8_SG_SH_SH_EESK_S10_SL_SM_SN_EUlS10_E_NS1_11comp_targetILNS1_3genE2ELNS1_11target_archE906ELNS1_3gpuE6ELNS1_3repE0EEENS1_48merge_mergepath_partition_config_static_selectorELNS0_4arch9wavefront6targetE1EEEvSM_, .Lfunc_end638-_ZN7rocprim17ROCPRIM_400000_NS6detail17trampoline_kernelINS0_14default_configENS1_38merge_sort_block_merge_config_selectorIN6thrust23THRUST_200600_302600_NS4pairIiiEENS0_10empty_typeEEEZZNS1_27merge_sort_block_merge_implIS3_NS6_6detail15normal_iteratorINS6_10device_ptrIS8_EEEEPS9_mNS6_4lessIS8_EEEE10hipError_tT0_T1_T2_jT3_P12ihipStream_tbPNSt15iterator_traitsISL_E10value_typeEPNSR_ISM_E10value_typeEPSN_NS1_7vsmem_tEENKUlT_SL_SM_SN_E_clIPS8_SG_SH_SH_EESK_S10_SL_SM_SN_EUlS10_E_NS1_11comp_targetILNS1_3genE2ELNS1_11target_archE906ELNS1_3gpuE6ELNS1_3repE0EEENS1_48merge_mergepath_partition_config_static_selectorELNS0_4arch9wavefront6targetE1EEEvSM_
                                        ; -- End function
	.set _ZN7rocprim17ROCPRIM_400000_NS6detail17trampoline_kernelINS0_14default_configENS1_38merge_sort_block_merge_config_selectorIN6thrust23THRUST_200600_302600_NS4pairIiiEENS0_10empty_typeEEEZZNS1_27merge_sort_block_merge_implIS3_NS6_6detail15normal_iteratorINS6_10device_ptrIS8_EEEEPS9_mNS6_4lessIS8_EEEE10hipError_tT0_T1_T2_jT3_P12ihipStream_tbPNSt15iterator_traitsISL_E10value_typeEPNSR_ISM_E10value_typeEPSN_NS1_7vsmem_tEENKUlT_SL_SM_SN_E_clIPS8_SG_SH_SH_EESK_S10_SL_SM_SN_EUlS10_E_NS1_11comp_targetILNS1_3genE2ELNS1_11target_archE906ELNS1_3gpuE6ELNS1_3repE0EEENS1_48merge_mergepath_partition_config_static_selectorELNS0_4arch9wavefront6targetE1EEEvSM_.num_vgpr, 0
	.set _ZN7rocprim17ROCPRIM_400000_NS6detail17trampoline_kernelINS0_14default_configENS1_38merge_sort_block_merge_config_selectorIN6thrust23THRUST_200600_302600_NS4pairIiiEENS0_10empty_typeEEEZZNS1_27merge_sort_block_merge_implIS3_NS6_6detail15normal_iteratorINS6_10device_ptrIS8_EEEEPS9_mNS6_4lessIS8_EEEE10hipError_tT0_T1_T2_jT3_P12ihipStream_tbPNSt15iterator_traitsISL_E10value_typeEPNSR_ISM_E10value_typeEPSN_NS1_7vsmem_tEENKUlT_SL_SM_SN_E_clIPS8_SG_SH_SH_EESK_S10_SL_SM_SN_EUlS10_E_NS1_11comp_targetILNS1_3genE2ELNS1_11target_archE906ELNS1_3gpuE6ELNS1_3repE0EEENS1_48merge_mergepath_partition_config_static_selectorELNS0_4arch9wavefront6targetE1EEEvSM_.num_agpr, 0
	.set _ZN7rocprim17ROCPRIM_400000_NS6detail17trampoline_kernelINS0_14default_configENS1_38merge_sort_block_merge_config_selectorIN6thrust23THRUST_200600_302600_NS4pairIiiEENS0_10empty_typeEEEZZNS1_27merge_sort_block_merge_implIS3_NS6_6detail15normal_iteratorINS6_10device_ptrIS8_EEEEPS9_mNS6_4lessIS8_EEEE10hipError_tT0_T1_T2_jT3_P12ihipStream_tbPNSt15iterator_traitsISL_E10value_typeEPNSR_ISM_E10value_typeEPSN_NS1_7vsmem_tEENKUlT_SL_SM_SN_E_clIPS8_SG_SH_SH_EESK_S10_SL_SM_SN_EUlS10_E_NS1_11comp_targetILNS1_3genE2ELNS1_11target_archE906ELNS1_3gpuE6ELNS1_3repE0EEENS1_48merge_mergepath_partition_config_static_selectorELNS0_4arch9wavefront6targetE1EEEvSM_.numbered_sgpr, 0
	.set _ZN7rocprim17ROCPRIM_400000_NS6detail17trampoline_kernelINS0_14default_configENS1_38merge_sort_block_merge_config_selectorIN6thrust23THRUST_200600_302600_NS4pairIiiEENS0_10empty_typeEEEZZNS1_27merge_sort_block_merge_implIS3_NS6_6detail15normal_iteratorINS6_10device_ptrIS8_EEEEPS9_mNS6_4lessIS8_EEEE10hipError_tT0_T1_T2_jT3_P12ihipStream_tbPNSt15iterator_traitsISL_E10value_typeEPNSR_ISM_E10value_typeEPSN_NS1_7vsmem_tEENKUlT_SL_SM_SN_E_clIPS8_SG_SH_SH_EESK_S10_SL_SM_SN_EUlS10_E_NS1_11comp_targetILNS1_3genE2ELNS1_11target_archE906ELNS1_3gpuE6ELNS1_3repE0EEENS1_48merge_mergepath_partition_config_static_selectorELNS0_4arch9wavefront6targetE1EEEvSM_.num_named_barrier, 0
	.set _ZN7rocprim17ROCPRIM_400000_NS6detail17trampoline_kernelINS0_14default_configENS1_38merge_sort_block_merge_config_selectorIN6thrust23THRUST_200600_302600_NS4pairIiiEENS0_10empty_typeEEEZZNS1_27merge_sort_block_merge_implIS3_NS6_6detail15normal_iteratorINS6_10device_ptrIS8_EEEEPS9_mNS6_4lessIS8_EEEE10hipError_tT0_T1_T2_jT3_P12ihipStream_tbPNSt15iterator_traitsISL_E10value_typeEPNSR_ISM_E10value_typeEPSN_NS1_7vsmem_tEENKUlT_SL_SM_SN_E_clIPS8_SG_SH_SH_EESK_S10_SL_SM_SN_EUlS10_E_NS1_11comp_targetILNS1_3genE2ELNS1_11target_archE906ELNS1_3gpuE6ELNS1_3repE0EEENS1_48merge_mergepath_partition_config_static_selectorELNS0_4arch9wavefront6targetE1EEEvSM_.private_seg_size, 0
	.set _ZN7rocprim17ROCPRIM_400000_NS6detail17trampoline_kernelINS0_14default_configENS1_38merge_sort_block_merge_config_selectorIN6thrust23THRUST_200600_302600_NS4pairIiiEENS0_10empty_typeEEEZZNS1_27merge_sort_block_merge_implIS3_NS6_6detail15normal_iteratorINS6_10device_ptrIS8_EEEEPS9_mNS6_4lessIS8_EEEE10hipError_tT0_T1_T2_jT3_P12ihipStream_tbPNSt15iterator_traitsISL_E10value_typeEPNSR_ISM_E10value_typeEPSN_NS1_7vsmem_tEENKUlT_SL_SM_SN_E_clIPS8_SG_SH_SH_EESK_S10_SL_SM_SN_EUlS10_E_NS1_11comp_targetILNS1_3genE2ELNS1_11target_archE906ELNS1_3gpuE6ELNS1_3repE0EEENS1_48merge_mergepath_partition_config_static_selectorELNS0_4arch9wavefront6targetE1EEEvSM_.uses_vcc, 0
	.set _ZN7rocprim17ROCPRIM_400000_NS6detail17trampoline_kernelINS0_14default_configENS1_38merge_sort_block_merge_config_selectorIN6thrust23THRUST_200600_302600_NS4pairIiiEENS0_10empty_typeEEEZZNS1_27merge_sort_block_merge_implIS3_NS6_6detail15normal_iteratorINS6_10device_ptrIS8_EEEEPS9_mNS6_4lessIS8_EEEE10hipError_tT0_T1_T2_jT3_P12ihipStream_tbPNSt15iterator_traitsISL_E10value_typeEPNSR_ISM_E10value_typeEPSN_NS1_7vsmem_tEENKUlT_SL_SM_SN_E_clIPS8_SG_SH_SH_EESK_S10_SL_SM_SN_EUlS10_E_NS1_11comp_targetILNS1_3genE2ELNS1_11target_archE906ELNS1_3gpuE6ELNS1_3repE0EEENS1_48merge_mergepath_partition_config_static_selectorELNS0_4arch9wavefront6targetE1EEEvSM_.uses_flat_scratch, 0
	.set _ZN7rocprim17ROCPRIM_400000_NS6detail17trampoline_kernelINS0_14default_configENS1_38merge_sort_block_merge_config_selectorIN6thrust23THRUST_200600_302600_NS4pairIiiEENS0_10empty_typeEEEZZNS1_27merge_sort_block_merge_implIS3_NS6_6detail15normal_iteratorINS6_10device_ptrIS8_EEEEPS9_mNS6_4lessIS8_EEEE10hipError_tT0_T1_T2_jT3_P12ihipStream_tbPNSt15iterator_traitsISL_E10value_typeEPNSR_ISM_E10value_typeEPSN_NS1_7vsmem_tEENKUlT_SL_SM_SN_E_clIPS8_SG_SH_SH_EESK_S10_SL_SM_SN_EUlS10_E_NS1_11comp_targetILNS1_3genE2ELNS1_11target_archE906ELNS1_3gpuE6ELNS1_3repE0EEENS1_48merge_mergepath_partition_config_static_selectorELNS0_4arch9wavefront6targetE1EEEvSM_.has_dyn_sized_stack, 0
	.set _ZN7rocprim17ROCPRIM_400000_NS6detail17trampoline_kernelINS0_14default_configENS1_38merge_sort_block_merge_config_selectorIN6thrust23THRUST_200600_302600_NS4pairIiiEENS0_10empty_typeEEEZZNS1_27merge_sort_block_merge_implIS3_NS6_6detail15normal_iteratorINS6_10device_ptrIS8_EEEEPS9_mNS6_4lessIS8_EEEE10hipError_tT0_T1_T2_jT3_P12ihipStream_tbPNSt15iterator_traitsISL_E10value_typeEPNSR_ISM_E10value_typeEPSN_NS1_7vsmem_tEENKUlT_SL_SM_SN_E_clIPS8_SG_SH_SH_EESK_S10_SL_SM_SN_EUlS10_E_NS1_11comp_targetILNS1_3genE2ELNS1_11target_archE906ELNS1_3gpuE6ELNS1_3repE0EEENS1_48merge_mergepath_partition_config_static_selectorELNS0_4arch9wavefront6targetE1EEEvSM_.has_recursion, 0
	.set _ZN7rocprim17ROCPRIM_400000_NS6detail17trampoline_kernelINS0_14default_configENS1_38merge_sort_block_merge_config_selectorIN6thrust23THRUST_200600_302600_NS4pairIiiEENS0_10empty_typeEEEZZNS1_27merge_sort_block_merge_implIS3_NS6_6detail15normal_iteratorINS6_10device_ptrIS8_EEEEPS9_mNS6_4lessIS8_EEEE10hipError_tT0_T1_T2_jT3_P12ihipStream_tbPNSt15iterator_traitsISL_E10value_typeEPNSR_ISM_E10value_typeEPSN_NS1_7vsmem_tEENKUlT_SL_SM_SN_E_clIPS8_SG_SH_SH_EESK_S10_SL_SM_SN_EUlS10_E_NS1_11comp_targetILNS1_3genE2ELNS1_11target_archE906ELNS1_3gpuE6ELNS1_3repE0EEENS1_48merge_mergepath_partition_config_static_selectorELNS0_4arch9wavefront6targetE1EEEvSM_.has_indirect_call, 0
	.section	.AMDGPU.csdata,"",@progbits
; Kernel info:
; codeLenInByte = 0
; TotalNumSgprs: 6
; NumVgprs: 0
; NumAgprs: 0
; TotalNumVgprs: 0
; ScratchSize: 0
; MemoryBound: 0
; FloatMode: 240
; IeeeMode: 1
; LDSByteSize: 0 bytes/workgroup (compile time only)
; SGPRBlocks: 0
; VGPRBlocks: 0
; NumSGPRsForWavesPerEU: 6
; NumVGPRsForWavesPerEU: 1
; AccumOffset: 4
; Occupancy: 8
; WaveLimiterHint : 0
; COMPUTE_PGM_RSRC2:SCRATCH_EN: 0
; COMPUTE_PGM_RSRC2:USER_SGPR: 2
; COMPUTE_PGM_RSRC2:TRAP_HANDLER: 0
; COMPUTE_PGM_RSRC2:TGID_X_EN: 1
; COMPUTE_PGM_RSRC2:TGID_Y_EN: 0
; COMPUTE_PGM_RSRC2:TGID_Z_EN: 0
; COMPUTE_PGM_RSRC2:TIDIG_COMP_CNT: 0
; COMPUTE_PGM_RSRC3_GFX90A:ACCUM_OFFSET: 0
; COMPUTE_PGM_RSRC3_GFX90A:TG_SPLIT: 0
	.section	.text._ZN7rocprim17ROCPRIM_400000_NS6detail17trampoline_kernelINS0_14default_configENS1_38merge_sort_block_merge_config_selectorIN6thrust23THRUST_200600_302600_NS4pairIiiEENS0_10empty_typeEEEZZNS1_27merge_sort_block_merge_implIS3_NS6_6detail15normal_iteratorINS6_10device_ptrIS8_EEEEPS9_mNS6_4lessIS8_EEEE10hipError_tT0_T1_T2_jT3_P12ihipStream_tbPNSt15iterator_traitsISL_E10value_typeEPNSR_ISM_E10value_typeEPSN_NS1_7vsmem_tEENKUlT_SL_SM_SN_E_clIPS8_SG_SH_SH_EESK_S10_SL_SM_SN_EUlS10_E_NS1_11comp_targetILNS1_3genE9ELNS1_11target_archE1100ELNS1_3gpuE3ELNS1_3repE0EEENS1_48merge_mergepath_partition_config_static_selectorELNS0_4arch9wavefront6targetE1EEEvSM_,"axG",@progbits,_ZN7rocprim17ROCPRIM_400000_NS6detail17trampoline_kernelINS0_14default_configENS1_38merge_sort_block_merge_config_selectorIN6thrust23THRUST_200600_302600_NS4pairIiiEENS0_10empty_typeEEEZZNS1_27merge_sort_block_merge_implIS3_NS6_6detail15normal_iteratorINS6_10device_ptrIS8_EEEEPS9_mNS6_4lessIS8_EEEE10hipError_tT0_T1_T2_jT3_P12ihipStream_tbPNSt15iterator_traitsISL_E10value_typeEPNSR_ISM_E10value_typeEPSN_NS1_7vsmem_tEENKUlT_SL_SM_SN_E_clIPS8_SG_SH_SH_EESK_S10_SL_SM_SN_EUlS10_E_NS1_11comp_targetILNS1_3genE9ELNS1_11target_archE1100ELNS1_3gpuE3ELNS1_3repE0EEENS1_48merge_mergepath_partition_config_static_selectorELNS0_4arch9wavefront6targetE1EEEvSM_,comdat
	.protected	_ZN7rocprim17ROCPRIM_400000_NS6detail17trampoline_kernelINS0_14default_configENS1_38merge_sort_block_merge_config_selectorIN6thrust23THRUST_200600_302600_NS4pairIiiEENS0_10empty_typeEEEZZNS1_27merge_sort_block_merge_implIS3_NS6_6detail15normal_iteratorINS6_10device_ptrIS8_EEEEPS9_mNS6_4lessIS8_EEEE10hipError_tT0_T1_T2_jT3_P12ihipStream_tbPNSt15iterator_traitsISL_E10value_typeEPNSR_ISM_E10value_typeEPSN_NS1_7vsmem_tEENKUlT_SL_SM_SN_E_clIPS8_SG_SH_SH_EESK_S10_SL_SM_SN_EUlS10_E_NS1_11comp_targetILNS1_3genE9ELNS1_11target_archE1100ELNS1_3gpuE3ELNS1_3repE0EEENS1_48merge_mergepath_partition_config_static_selectorELNS0_4arch9wavefront6targetE1EEEvSM_ ; -- Begin function _ZN7rocprim17ROCPRIM_400000_NS6detail17trampoline_kernelINS0_14default_configENS1_38merge_sort_block_merge_config_selectorIN6thrust23THRUST_200600_302600_NS4pairIiiEENS0_10empty_typeEEEZZNS1_27merge_sort_block_merge_implIS3_NS6_6detail15normal_iteratorINS6_10device_ptrIS8_EEEEPS9_mNS6_4lessIS8_EEEE10hipError_tT0_T1_T2_jT3_P12ihipStream_tbPNSt15iterator_traitsISL_E10value_typeEPNSR_ISM_E10value_typeEPSN_NS1_7vsmem_tEENKUlT_SL_SM_SN_E_clIPS8_SG_SH_SH_EESK_S10_SL_SM_SN_EUlS10_E_NS1_11comp_targetILNS1_3genE9ELNS1_11target_archE1100ELNS1_3gpuE3ELNS1_3repE0EEENS1_48merge_mergepath_partition_config_static_selectorELNS0_4arch9wavefront6targetE1EEEvSM_
	.globl	_ZN7rocprim17ROCPRIM_400000_NS6detail17trampoline_kernelINS0_14default_configENS1_38merge_sort_block_merge_config_selectorIN6thrust23THRUST_200600_302600_NS4pairIiiEENS0_10empty_typeEEEZZNS1_27merge_sort_block_merge_implIS3_NS6_6detail15normal_iteratorINS6_10device_ptrIS8_EEEEPS9_mNS6_4lessIS8_EEEE10hipError_tT0_T1_T2_jT3_P12ihipStream_tbPNSt15iterator_traitsISL_E10value_typeEPNSR_ISM_E10value_typeEPSN_NS1_7vsmem_tEENKUlT_SL_SM_SN_E_clIPS8_SG_SH_SH_EESK_S10_SL_SM_SN_EUlS10_E_NS1_11comp_targetILNS1_3genE9ELNS1_11target_archE1100ELNS1_3gpuE3ELNS1_3repE0EEENS1_48merge_mergepath_partition_config_static_selectorELNS0_4arch9wavefront6targetE1EEEvSM_
	.p2align	8
	.type	_ZN7rocprim17ROCPRIM_400000_NS6detail17trampoline_kernelINS0_14default_configENS1_38merge_sort_block_merge_config_selectorIN6thrust23THRUST_200600_302600_NS4pairIiiEENS0_10empty_typeEEEZZNS1_27merge_sort_block_merge_implIS3_NS6_6detail15normal_iteratorINS6_10device_ptrIS8_EEEEPS9_mNS6_4lessIS8_EEEE10hipError_tT0_T1_T2_jT3_P12ihipStream_tbPNSt15iterator_traitsISL_E10value_typeEPNSR_ISM_E10value_typeEPSN_NS1_7vsmem_tEENKUlT_SL_SM_SN_E_clIPS8_SG_SH_SH_EESK_S10_SL_SM_SN_EUlS10_E_NS1_11comp_targetILNS1_3genE9ELNS1_11target_archE1100ELNS1_3gpuE3ELNS1_3repE0EEENS1_48merge_mergepath_partition_config_static_selectorELNS0_4arch9wavefront6targetE1EEEvSM_,@function
_ZN7rocprim17ROCPRIM_400000_NS6detail17trampoline_kernelINS0_14default_configENS1_38merge_sort_block_merge_config_selectorIN6thrust23THRUST_200600_302600_NS4pairIiiEENS0_10empty_typeEEEZZNS1_27merge_sort_block_merge_implIS3_NS6_6detail15normal_iteratorINS6_10device_ptrIS8_EEEEPS9_mNS6_4lessIS8_EEEE10hipError_tT0_T1_T2_jT3_P12ihipStream_tbPNSt15iterator_traitsISL_E10value_typeEPNSR_ISM_E10value_typeEPSN_NS1_7vsmem_tEENKUlT_SL_SM_SN_E_clIPS8_SG_SH_SH_EESK_S10_SL_SM_SN_EUlS10_E_NS1_11comp_targetILNS1_3genE9ELNS1_11target_archE1100ELNS1_3gpuE3ELNS1_3repE0EEENS1_48merge_mergepath_partition_config_static_selectorELNS0_4arch9wavefront6targetE1EEEvSM_: ; @_ZN7rocprim17ROCPRIM_400000_NS6detail17trampoline_kernelINS0_14default_configENS1_38merge_sort_block_merge_config_selectorIN6thrust23THRUST_200600_302600_NS4pairIiiEENS0_10empty_typeEEEZZNS1_27merge_sort_block_merge_implIS3_NS6_6detail15normal_iteratorINS6_10device_ptrIS8_EEEEPS9_mNS6_4lessIS8_EEEE10hipError_tT0_T1_T2_jT3_P12ihipStream_tbPNSt15iterator_traitsISL_E10value_typeEPNSR_ISM_E10value_typeEPSN_NS1_7vsmem_tEENKUlT_SL_SM_SN_E_clIPS8_SG_SH_SH_EESK_S10_SL_SM_SN_EUlS10_E_NS1_11comp_targetILNS1_3genE9ELNS1_11target_archE1100ELNS1_3gpuE3ELNS1_3repE0EEENS1_48merge_mergepath_partition_config_static_selectorELNS0_4arch9wavefront6targetE1EEEvSM_
; %bb.0:
	.section	.rodata,"a",@progbits
	.p2align	6, 0x0
	.amdhsa_kernel _ZN7rocprim17ROCPRIM_400000_NS6detail17trampoline_kernelINS0_14default_configENS1_38merge_sort_block_merge_config_selectorIN6thrust23THRUST_200600_302600_NS4pairIiiEENS0_10empty_typeEEEZZNS1_27merge_sort_block_merge_implIS3_NS6_6detail15normal_iteratorINS6_10device_ptrIS8_EEEEPS9_mNS6_4lessIS8_EEEE10hipError_tT0_T1_T2_jT3_P12ihipStream_tbPNSt15iterator_traitsISL_E10value_typeEPNSR_ISM_E10value_typeEPSN_NS1_7vsmem_tEENKUlT_SL_SM_SN_E_clIPS8_SG_SH_SH_EESK_S10_SL_SM_SN_EUlS10_E_NS1_11comp_targetILNS1_3genE9ELNS1_11target_archE1100ELNS1_3gpuE3ELNS1_3repE0EEENS1_48merge_mergepath_partition_config_static_selectorELNS0_4arch9wavefront6targetE1EEEvSM_
		.amdhsa_group_segment_fixed_size 0
		.amdhsa_private_segment_fixed_size 0
		.amdhsa_kernarg_size 48
		.amdhsa_user_sgpr_count 2
		.amdhsa_user_sgpr_dispatch_ptr 0
		.amdhsa_user_sgpr_queue_ptr 0
		.amdhsa_user_sgpr_kernarg_segment_ptr 1
		.amdhsa_user_sgpr_dispatch_id 0
		.amdhsa_user_sgpr_kernarg_preload_length 0
		.amdhsa_user_sgpr_kernarg_preload_offset 0
		.amdhsa_user_sgpr_private_segment_size 0
		.amdhsa_uses_dynamic_stack 0
		.amdhsa_enable_private_segment 0
		.amdhsa_system_sgpr_workgroup_id_x 1
		.amdhsa_system_sgpr_workgroup_id_y 0
		.amdhsa_system_sgpr_workgroup_id_z 0
		.amdhsa_system_sgpr_workgroup_info 0
		.amdhsa_system_vgpr_workitem_id 0
		.amdhsa_next_free_vgpr 1
		.amdhsa_next_free_sgpr 0
		.amdhsa_accum_offset 4
		.amdhsa_reserve_vcc 0
		.amdhsa_float_round_mode_32 0
		.amdhsa_float_round_mode_16_64 0
		.amdhsa_float_denorm_mode_32 3
		.amdhsa_float_denorm_mode_16_64 3
		.amdhsa_dx10_clamp 1
		.amdhsa_ieee_mode 1
		.amdhsa_fp16_overflow 0
		.amdhsa_tg_split 0
		.amdhsa_exception_fp_ieee_invalid_op 0
		.amdhsa_exception_fp_denorm_src 0
		.amdhsa_exception_fp_ieee_div_zero 0
		.amdhsa_exception_fp_ieee_overflow 0
		.amdhsa_exception_fp_ieee_underflow 0
		.amdhsa_exception_fp_ieee_inexact 0
		.amdhsa_exception_int_div_zero 0
	.end_amdhsa_kernel
	.section	.text._ZN7rocprim17ROCPRIM_400000_NS6detail17trampoline_kernelINS0_14default_configENS1_38merge_sort_block_merge_config_selectorIN6thrust23THRUST_200600_302600_NS4pairIiiEENS0_10empty_typeEEEZZNS1_27merge_sort_block_merge_implIS3_NS6_6detail15normal_iteratorINS6_10device_ptrIS8_EEEEPS9_mNS6_4lessIS8_EEEE10hipError_tT0_T1_T2_jT3_P12ihipStream_tbPNSt15iterator_traitsISL_E10value_typeEPNSR_ISM_E10value_typeEPSN_NS1_7vsmem_tEENKUlT_SL_SM_SN_E_clIPS8_SG_SH_SH_EESK_S10_SL_SM_SN_EUlS10_E_NS1_11comp_targetILNS1_3genE9ELNS1_11target_archE1100ELNS1_3gpuE3ELNS1_3repE0EEENS1_48merge_mergepath_partition_config_static_selectorELNS0_4arch9wavefront6targetE1EEEvSM_,"axG",@progbits,_ZN7rocprim17ROCPRIM_400000_NS6detail17trampoline_kernelINS0_14default_configENS1_38merge_sort_block_merge_config_selectorIN6thrust23THRUST_200600_302600_NS4pairIiiEENS0_10empty_typeEEEZZNS1_27merge_sort_block_merge_implIS3_NS6_6detail15normal_iteratorINS6_10device_ptrIS8_EEEEPS9_mNS6_4lessIS8_EEEE10hipError_tT0_T1_T2_jT3_P12ihipStream_tbPNSt15iterator_traitsISL_E10value_typeEPNSR_ISM_E10value_typeEPSN_NS1_7vsmem_tEENKUlT_SL_SM_SN_E_clIPS8_SG_SH_SH_EESK_S10_SL_SM_SN_EUlS10_E_NS1_11comp_targetILNS1_3genE9ELNS1_11target_archE1100ELNS1_3gpuE3ELNS1_3repE0EEENS1_48merge_mergepath_partition_config_static_selectorELNS0_4arch9wavefront6targetE1EEEvSM_,comdat
.Lfunc_end639:
	.size	_ZN7rocprim17ROCPRIM_400000_NS6detail17trampoline_kernelINS0_14default_configENS1_38merge_sort_block_merge_config_selectorIN6thrust23THRUST_200600_302600_NS4pairIiiEENS0_10empty_typeEEEZZNS1_27merge_sort_block_merge_implIS3_NS6_6detail15normal_iteratorINS6_10device_ptrIS8_EEEEPS9_mNS6_4lessIS8_EEEE10hipError_tT0_T1_T2_jT3_P12ihipStream_tbPNSt15iterator_traitsISL_E10value_typeEPNSR_ISM_E10value_typeEPSN_NS1_7vsmem_tEENKUlT_SL_SM_SN_E_clIPS8_SG_SH_SH_EESK_S10_SL_SM_SN_EUlS10_E_NS1_11comp_targetILNS1_3genE9ELNS1_11target_archE1100ELNS1_3gpuE3ELNS1_3repE0EEENS1_48merge_mergepath_partition_config_static_selectorELNS0_4arch9wavefront6targetE1EEEvSM_, .Lfunc_end639-_ZN7rocprim17ROCPRIM_400000_NS6detail17trampoline_kernelINS0_14default_configENS1_38merge_sort_block_merge_config_selectorIN6thrust23THRUST_200600_302600_NS4pairIiiEENS0_10empty_typeEEEZZNS1_27merge_sort_block_merge_implIS3_NS6_6detail15normal_iteratorINS6_10device_ptrIS8_EEEEPS9_mNS6_4lessIS8_EEEE10hipError_tT0_T1_T2_jT3_P12ihipStream_tbPNSt15iterator_traitsISL_E10value_typeEPNSR_ISM_E10value_typeEPSN_NS1_7vsmem_tEENKUlT_SL_SM_SN_E_clIPS8_SG_SH_SH_EESK_S10_SL_SM_SN_EUlS10_E_NS1_11comp_targetILNS1_3genE9ELNS1_11target_archE1100ELNS1_3gpuE3ELNS1_3repE0EEENS1_48merge_mergepath_partition_config_static_selectorELNS0_4arch9wavefront6targetE1EEEvSM_
                                        ; -- End function
	.set _ZN7rocprim17ROCPRIM_400000_NS6detail17trampoline_kernelINS0_14default_configENS1_38merge_sort_block_merge_config_selectorIN6thrust23THRUST_200600_302600_NS4pairIiiEENS0_10empty_typeEEEZZNS1_27merge_sort_block_merge_implIS3_NS6_6detail15normal_iteratorINS6_10device_ptrIS8_EEEEPS9_mNS6_4lessIS8_EEEE10hipError_tT0_T1_T2_jT3_P12ihipStream_tbPNSt15iterator_traitsISL_E10value_typeEPNSR_ISM_E10value_typeEPSN_NS1_7vsmem_tEENKUlT_SL_SM_SN_E_clIPS8_SG_SH_SH_EESK_S10_SL_SM_SN_EUlS10_E_NS1_11comp_targetILNS1_3genE9ELNS1_11target_archE1100ELNS1_3gpuE3ELNS1_3repE0EEENS1_48merge_mergepath_partition_config_static_selectorELNS0_4arch9wavefront6targetE1EEEvSM_.num_vgpr, 0
	.set _ZN7rocprim17ROCPRIM_400000_NS6detail17trampoline_kernelINS0_14default_configENS1_38merge_sort_block_merge_config_selectorIN6thrust23THRUST_200600_302600_NS4pairIiiEENS0_10empty_typeEEEZZNS1_27merge_sort_block_merge_implIS3_NS6_6detail15normal_iteratorINS6_10device_ptrIS8_EEEEPS9_mNS6_4lessIS8_EEEE10hipError_tT0_T1_T2_jT3_P12ihipStream_tbPNSt15iterator_traitsISL_E10value_typeEPNSR_ISM_E10value_typeEPSN_NS1_7vsmem_tEENKUlT_SL_SM_SN_E_clIPS8_SG_SH_SH_EESK_S10_SL_SM_SN_EUlS10_E_NS1_11comp_targetILNS1_3genE9ELNS1_11target_archE1100ELNS1_3gpuE3ELNS1_3repE0EEENS1_48merge_mergepath_partition_config_static_selectorELNS0_4arch9wavefront6targetE1EEEvSM_.num_agpr, 0
	.set _ZN7rocprim17ROCPRIM_400000_NS6detail17trampoline_kernelINS0_14default_configENS1_38merge_sort_block_merge_config_selectorIN6thrust23THRUST_200600_302600_NS4pairIiiEENS0_10empty_typeEEEZZNS1_27merge_sort_block_merge_implIS3_NS6_6detail15normal_iteratorINS6_10device_ptrIS8_EEEEPS9_mNS6_4lessIS8_EEEE10hipError_tT0_T1_T2_jT3_P12ihipStream_tbPNSt15iterator_traitsISL_E10value_typeEPNSR_ISM_E10value_typeEPSN_NS1_7vsmem_tEENKUlT_SL_SM_SN_E_clIPS8_SG_SH_SH_EESK_S10_SL_SM_SN_EUlS10_E_NS1_11comp_targetILNS1_3genE9ELNS1_11target_archE1100ELNS1_3gpuE3ELNS1_3repE0EEENS1_48merge_mergepath_partition_config_static_selectorELNS0_4arch9wavefront6targetE1EEEvSM_.numbered_sgpr, 0
	.set _ZN7rocprim17ROCPRIM_400000_NS6detail17trampoline_kernelINS0_14default_configENS1_38merge_sort_block_merge_config_selectorIN6thrust23THRUST_200600_302600_NS4pairIiiEENS0_10empty_typeEEEZZNS1_27merge_sort_block_merge_implIS3_NS6_6detail15normal_iteratorINS6_10device_ptrIS8_EEEEPS9_mNS6_4lessIS8_EEEE10hipError_tT0_T1_T2_jT3_P12ihipStream_tbPNSt15iterator_traitsISL_E10value_typeEPNSR_ISM_E10value_typeEPSN_NS1_7vsmem_tEENKUlT_SL_SM_SN_E_clIPS8_SG_SH_SH_EESK_S10_SL_SM_SN_EUlS10_E_NS1_11comp_targetILNS1_3genE9ELNS1_11target_archE1100ELNS1_3gpuE3ELNS1_3repE0EEENS1_48merge_mergepath_partition_config_static_selectorELNS0_4arch9wavefront6targetE1EEEvSM_.num_named_barrier, 0
	.set _ZN7rocprim17ROCPRIM_400000_NS6detail17trampoline_kernelINS0_14default_configENS1_38merge_sort_block_merge_config_selectorIN6thrust23THRUST_200600_302600_NS4pairIiiEENS0_10empty_typeEEEZZNS1_27merge_sort_block_merge_implIS3_NS6_6detail15normal_iteratorINS6_10device_ptrIS8_EEEEPS9_mNS6_4lessIS8_EEEE10hipError_tT0_T1_T2_jT3_P12ihipStream_tbPNSt15iterator_traitsISL_E10value_typeEPNSR_ISM_E10value_typeEPSN_NS1_7vsmem_tEENKUlT_SL_SM_SN_E_clIPS8_SG_SH_SH_EESK_S10_SL_SM_SN_EUlS10_E_NS1_11comp_targetILNS1_3genE9ELNS1_11target_archE1100ELNS1_3gpuE3ELNS1_3repE0EEENS1_48merge_mergepath_partition_config_static_selectorELNS0_4arch9wavefront6targetE1EEEvSM_.private_seg_size, 0
	.set _ZN7rocprim17ROCPRIM_400000_NS6detail17trampoline_kernelINS0_14default_configENS1_38merge_sort_block_merge_config_selectorIN6thrust23THRUST_200600_302600_NS4pairIiiEENS0_10empty_typeEEEZZNS1_27merge_sort_block_merge_implIS3_NS6_6detail15normal_iteratorINS6_10device_ptrIS8_EEEEPS9_mNS6_4lessIS8_EEEE10hipError_tT0_T1_T2_jT3_P12ihipStream_tbPNSt15iterator_traitsISL_E10value_typeEPNSR_ISM_E10value_typeEPSN_NS1_7vsmem_tEENKUlT_SL_SM_SN_E_clIPS8_SG_SH_SH_EESK_S10_SL_SM_SN_EUlS10_E_NS1_11comp_targetILNS1_3genE9ELNS1_11target_archE1100ELNS1_3gpuE3ELNS1_3repE0EEENS1_48merge_mergepath_partition_config_static_selectorELNS0_4arch9wavefront6targetE1EEEvSM_.uses_vcc, 0
	.set _ZN7rocprim17ROCPRIM_400000_NS6detail17trampoline_kernelINS0_14default_configENS1_38merge_sort_block_merge_config_selectorIN6thrust23THRUST_200600_302600_NS4pairIiiEENS0_10empty_typeEEEZZNS1_27merge_sort_block_merge_implIS3_NS6_6detail15normal_iteratorINS6_10device_ptrIS8_EEEEPS9_mNS6_4lessIS8_EEEE10hipError_tT0_T1_T2_jT3_P12ihipStream_tbPNSt15iterator_traitsISL_E10value_typeEPNSR_ISM_E10value_typeEPSN_NS1_7vsmem_tEENKUlT_SL_SM_SN_E_clIPS8_SG_SH_SH_EESK_S10_SL_SM_SN_EUlS10_E_NS1_11comp_targetILNS1_3genE9ELNS1_11target_archE1100ELNS1_3gpuE3ELNS1_3repE0EEENS1_48merge_mergepath_partition_config_static_selectorELNS0_4arch9wavefront6targetE1EEEvSM_.uses_flat_scratch, 0
	.set _ZN7rocprim17ROCPRIM_400000_NS6detail17trampoline_kernelINS0_14default_configENS1_38merge_sort_block_merge_config_selectorIN6thrust23THRUST_200600_302600_NS4pairIiiEENS0_10empty_typeEEEZZNS1_27merge_sort_block_merge_implIS3_NS6_6detail15normal_iteratorINS6_10device_ptrIS8_EEEEPS9_mNS6_4lessIS8_EEEE10hipError_tT0_T1_T2_jT3_P12ihipStream_tbPNSt15iterator_traitsISL_E10value_typeEPNSR_ISM_E10value_typeEPSN_NS1_7vsmem_tEENKUlT_SL_SM_SN_E_clIPS8_SG_SH_SH_EESK_S10_SL_SM_SN_EUlS10_E_NS1_11comp_targetILNS1_3genE9ELNS1_11target_archE1100ELNS1_3gpuE3ELNS1_3repE0EEENS1_48merge_mergepath_partition_config_static_selectorELNS0_4arch9wavefront6targetE1EEEvSM_.has_dyn_sized_stack, 0
	.set _ZN7rocprim17ROCPRIM_400000_NS6detail17trampoline_kernelINS0_14default_configENS1_38merge_sort_block_merge_config_selectorIN6thrust23THRUST_200600_302600_NS4pairIiiEENS0_10empty_typeEEEZZNS1_27merge_sort_block_merge_implIS3_NS6_6detail15normal_iteratorINS6_10device_ptrIS8_EEEEPS9_mNS6_4lessIS8_EEEE10hipError_tT0_T1_T2_jT3_P12ihipStream_tbPNSt15iterator_traitsISL_E10value_typeEPNSR_ISM_E10value_typeEPSN_NS1_7vsmem_tEENKUlT_SL_SM_SN_E_clIPS8_SG_SH_SH_EESK_S10_SL_SM_SN_EUlS10_E_NS1_11comp_targetILNS1_3genE9ELNS1_11target_archE1100ELNS1_3gpuE3ELNS1_3repE0EEENS1_48merge_mergepath_partition_config_static_selectorELNS0_4arch9wavefront6targetE1EEEvSM_.has_recursion, 0
	.set _ZN7rocprim17ROCPRIM_400000_NS6detail17trampoline_kernelINS0_14default_configENS1_38merge_sort_block_merge_config_selectorIN6thrust23THRUST_200600_302600_NS4pairIiiEENS0_10empty_typeEEEZZNS1_27merge_sort_block_merge_implIS3_NS6_6detail15normal_iteratorINS6_10device_ptrIS8_EEEEPS9_mNS6_4lessIS8_EEEE10hipError_tT0_T1_T2_jT3_P12ihipStream_tbPNSt15iterator_traitsISL_E10value_typeEPNSR_ISM_E10value_typeEPSN_NS1_7vsmem_tEENKUlT_SL_SM_SN_E_clIPS8_SG_SH_SH_EESK_S10_SL_SM_SN_EUlS10_E_NS1_11comp_targetILNS1_3genE9ELNS1_11target_archE1100ELNS1_3gpuE3ELNS1_3repE0EEENS1_48merge_mergepath_partition_config_static_selectorELNS0_4arch9wavefront6targetE1EEEvSM_.has_indirect_call, 0
	.section	.AMDGPU.csdata,"",@progbits
; Kernel info:
; codeLenInByte = 0
; TotalNumSgprs: 6
; NumVgprs: 0
; NumAgprs: 0
; TotalNumVgprs: 0
; ScratchSize: 0
; MemoryBound: 0
; FloatMode: 240
; IeeeMode: 1
; LDSByteSize: 0 bytes/workgroup (compile time only)
; SGPRBlocks: 0
; VGPRBlocks: 0
; NumSGPRsForWavesPerEU: 6
; NumVGPRsForWavesPerEU: 1
; AccumOffset: 4
; Occupancy: 8
; WaveLimiterHint : 0
; COMPUTE_PGM_RSRC2:SCRATCH_EN: 0
; COMPUTE_PGM_RSRC2:USER_SGPR: 2
; COMPUTE_PGM_RSRC2:TRAP_HANDLER: 0
; COMPUTE_PGM_RSRC2:TGID_X_EN: 1
; COMPUTE_PGM_RSRC2:TGID_Y_EN: 0
; COMPUTE_PGM_RSRC2:TGID_Z_EN: 0
; COMPUTE_PGM_RSRC2:TIDIG_COMP_CNT: 0
; COMPUTE_PGM_RSRC3_GFX90A:ACCUM_OFFSET: 0
; COMPUTE_PGM_RSRC3_GFX90A:TG_SPLIT: 0
	.section	.text._ZN7rocprim17ROCPRIM_400000_NS6detail17trampoline_kernelINS0_14default_configENS1_38merge_sort_block_merge_config_selectorIN6thrust23THRUST_200600_302600_NS4pairIiiEENS0_10empty_typeEEEZZNS1_27merge_sort_block_merge_implIS3_NS6_6detail15normal_iteratorINS6_10device_ptrIS8_EEEEPS9_mNS6_4lessIS8_EEEE10hipError_tT0_T1_T2_jT3_P12ihipStream_tbPNSt15iterator_traitsISL_E10value_typeEPNSR_ISM_E10value_typeEPSN_NS1_7vsmem_tEENKUlT_SL_SM_SN_E_clIPS8_SG_SH_SH_EESK_S10_SL_SM_SN_EUlS10_E_NS1_11comp_targetILNS1_3genE8ELNS1_11target_archE1030ELNS1_3gpuE2ELNS1_3repE0EEENS1_48merge_mergepath_partition_config_static_selectorELNS0_4arch9wavefront6targetE1EEEvSM_,"axG",@progbits,_ZN7rocprim17ROCPRIM_400000_NS6detail17trampoline_kernelINS0_14default_configENS1_38merge_sort_block_merge_config_selectorIN6thrust23THRUST_200600_302600_NS4pairIiiEENS0_10empty_typeEEEZZNS1_27merge_sort_block_merge_implIS3_NS6_6detail15normal_iteratorINS6_10device_ptrIS8_EEEEPS9_mNS6_4lessIS8_EEEE10hipError_tT0_T1_T2_jT3_P12ihipStream_tbPNSt15iterator_traitsISL_E10value_typeEPNSR_ISM_E10value_typeEPSN_NS1_7vsmem_tEENKUlT_SL_SM_SN_E_clIPS8_SG_SH_SH_EESK_S10_SL_SM_SN_EUlS10_E_NS1_11comp_targetILNS1_3genE8ELNS1_11target_archE1030ELNS1_3gpuE2ELNS1_3repE0EEENS1_48merge_mergepath_partition_config_static_selectorELNS0_4arch9wavefront6targetE1EEEvSM_,comdat
	.protected	_ZN7rocprim17ROCPRIM_400000_NS6detail17trampoline_kernelINS0_14default_configENS1_38merge_sort_block_merge_config_selectorIN6thrust23THRUST_200600_302600_NS4pairIiiEENS0_10empty_typeEEEZZNS1_27merge_sort_block_merge_implIS3_NS6_6detail15normal_iteratorINS6_10device_ptrIS8_EEEEPS9_mNS6_4lessIS8_EEEE10hipError_tT0_T1_T2_jT3_P12ihipStream_tbPNSt15iterator_traitsISL_E10value_typeEPNSR_ISM_E10value_typeEPSN_NS1_7vsmem_tEENKUlT_SL_SM_SN_E_clIPS8_SG_SH_SH_EESK_S10_SL_SM_SN_EUlS10_E_NS1_11comp_targetILNS1_3genE8ELNS1_11target_archE1030ELNS1_3gpuE2ELNS1_3repE0EEENS1_48merge_mergepath_partition_config_static_selectorELNS0_4arch9wavefront6targetE1EEEvSM_ ; -- Begin function _ZN7rocprim17ROCPRIM_400000_NS6detail17trampoline_kernelINS0_14default_configENS1_38merge_sort_block_merge_config_selectorIN6thrust23THRUST_200600_302600_NS4pairIiiEENS0_10empty_typeEEEZZNS1_27merge_sort_block_merge_implIS3_NS6_6detail15normal_iteratorINS6_10device_ptrIS8_EEEEPS9_mNS6_4lessIS8_EEEE10hipError_tT0_T1_T2_jT3_P12ihipStream_tbPNSt15iterator_traitsISL_E10value_typeEPNSR_ISM_E10value_typeEPSN_NS1_7vsmem_tEENKUlT_SL_SM_SN_E_clIPS8_SG_SH_SH_EESK_S10_SL_SM_SN_EUlS10_E_NS1_11comp_targetILNS1_3genE8ELNS1_11target_archE1030ELNS1_3gpuE2ELNS1_3repE0EEENS1_48merge_mergepath_partition_config_static_selectorELNS0_4arch9wavefront6targetE1EEEvSM_
	.globl	_ZN7rocprim17ROCPRIM_400000_NS6detail17trampoline_kernelINS0_14default_configENS1_38merge_sort_block_merge_config_selectorIN6thrust23THRUST_200600_302600_NS4pairIiiEENS0_10empty_typeEEEZZNS1_27merge_sort_block_merge_implIS3_NS6_6detail15normal_iteratorINS6_10device_ptrIS8_EEEEPS9_mNS6_4lessIS8_EEEE10hipError_tT0_T1_T2_jT3_P12ihipStream_tbPNSt15iterator_traitsISL_E10value_typeEPNSR_ISM_E10value_typeEPSN_NS1_7vsmem_tEENKUlT_SL_SM_SN_E_clIPS8_SG_SH_SH_EESK_S10_SL_SM_SN_EUlS10_E_NS1_11comp_targetILNS1_3genE8ELNS1_11target_archE1030ELNS1_3gpuE2ELNS1_3repE0EEENS1_48merge_mergepath_partition_config_static_selectorELNS0_4arch9wavefront6targetE1EEEvSM_
	.p2align	8
	.type	_ZN7rocprim17ROCPRIM_400000_NS6detail17trampoline_kernelINS0_14default_configENS1_38merge_sort_block_merge_config_selectorIN6thrust23THRUST_200600_302600_NS4pairIiiEENS0_10empty_typeEEEZZNS1_27merge_sort_block_merge_implIS3_NS6_6detail15normal_iteratorINS6_10device_ptrIS8_EEEEPS9_mNS6_4lessIS8_EEEE10hipError_tT0_T1_T2_jT3_P12ihipStream_tbPNSt15iterator_traitsISL_E10value_typeEPNSR_ISM_E10value_typeEPSN_NS1_7vsmem_tEENKUlT_SL_SM_SN_E_clIPS8_SG_SH_SH_EESK_S10_SL_SM_SN_EUlS10_E_NS1_11comp_targetILNS1_3genE8ELNS1_11target_archE1030ELNS1_3gpuE2ELNS1_3repE0EEENS1_48merge_mergepath_partition_config_static_selectorELNS0_4arch9wavefront6targetE1EEEvSM_,@function
_ZN7rocprim17ROCPRIM_400000_NS6detail17trampoline_kernelINS0_14default_configENS1_38merge_sort_block_merge_config_selectorIN6thrust23THRUST_200600_302600_NS4pairIiiEENS0_10empty_typeEEEZZNS1_27merge_sort_block_merge_implIS3_NS6_6detail15normal_iteratorINS6_10device_ptrIS8_EEEEPS9_mNS6_4lessIS8_EEEE10hipError_tT0_T1_T2_jT3_P12ihipStream_tbPNSt15iterator_traitsISL_E10value_typeEPNSR_ISM_E10value_typeEPSN_NS1_7vsmem_tEENKUlT_SL_SM_SN_E_clIPS8_SG_SH_SH_EESK_S10_SL_SM_SN_EUlS10_E_NS1_11comp_targetILNS1_3genE8ELNS1_11target_archE1030ELNS1_3gpuE2ELNS1_3repE0EEENS1_48merge_mergepath_partition_config_static_selectorELNS0_4arch9wavefront6targetE1EEEvSM_: ; @_ZN7rocprim17ROCPRIM_400000_NS6detail17trampoline_kernelINS0_14default_configENS1_38merge_sort_block_merge_config_selectorIN6thrust23THRUST_200600_302600_NS4pairIiiEENS0_10empty_typeEEEZZNS1_27merge_sort_block_merge_implIS3_NS6_6detail15normal_iteratorINS6_10device_ptrIS8_EEEEPS9_mNS6_4lessIS8_EEEE10hipError_tT0_T1_T2_jT3_P12ihipStream_tbPNSt15iterator_traitsISL_E10value_typeEPNSR_ISM_E10value_typeEPSN_NS1_7vsmem_tEENKUlT_SL_SM_SN_E_clIPS8_SG_SH_SH_EESK_S10_SL_SM_SN_EUlS10_E_NS1_11comp_targetILNS1_3genE8ELNS1_11target_archE1030ELNS1_3gpuE2ELNS1_3repE0EEENS1_48merge_mergepath_partition_config_static_selectorELNS0_4arch9wavefront6targetE1EEEvSM_
; %bb.0:
	.section	.rodata,"a",@progbits
	.p2align	6, 0x0
	.amdhsa_kernel _ZN7rocprim17ROCPRIM_400000_NS6detail17trampoline_kernelINS0_14default_configENS1_38merge_sort_block_merge_config_selectorIN6thrust23THRUST_200600_302600_NS4pairIiiEENS0_10empty_typeEEEZZNS1_27merge_sort_block_merge_implIS3_NS6_6detail15normal_iteratorINS6_10device_ptrIS8_EEEEPS9_mNS6_4lessIS8_EEEE10hipError_tT0_T1_T2_jT3_P12ihipStream_tbPNSt15iterator_traitsISL_E10value_typeEPNSR_ISM_E10value_typeEPSN_NS1_7vsmem_tEENKUlT_SL_SM_SN_E_clIPS8_SG_SH_SH_EESK_S10_SL_SM_SN_EUlS10_E_NS1_11comp_targetILNS1_3genE8ELNS1_11target_archE1030ELNS1_3gpuE2ELNS1_3repE0EEENS1_48merge_mergepath_partition_config_static_selectorELNS0_4arch9wavefront6targetE1EEEvSM_
		.amdhsa_group_segment_fixed_size 0
		.amdhsa_private_segment_fixed_size 0
		.amdhsa_kernarg_size 48
		.amdhsa_user_sgpr_count 2
		.amdhsa_user_sgpr_dispatch_ptr 0
		.amdhsa_user_sgpr_queue_ptr 0
		.amdhsa_user_sgpr_kernarg_segment_ptr 1
		.amdhsa_user_sgpr_dispatch_id 0
		.amdhsa_user_sgpr_kernarg_preload_length 0
		.amdhsa_user_sgpr_kernarg_preload_offset 0
		.amdhsa_user_sgpr_private_segment_size 0
		.amdhsa_uses_dynamic_stack 0
		.amdhsa_enable_private_segment 0
		.amdhsa_system_sgpr_workgroup_id_x 1
		.amdhsa_system_sgpr_workgroup_id_y 0
		.amdhsa_system_sgpr_workgroup_id_z 0
		.amdhsa_system_sgpr_workgroup_info 0
		.amdhsa_system_vgpr_workitem_id 0
		.amdhsa_next_free_vgpr 1
		.amdhsa_next_free_sgpr 0
		.amdhsa_accum_offset 4
		.amdhsa_reserve_vcc 0
		.amdhsa_float_round_mode_32 0
		.amdhsa_float_round_mode_16_64 0
		.amdhsa_float_denorm_mode_32 3
		.amdhsa_float_denorm_mode_16_64 3
		.amdhsa_dx10_clamp 1
		.amdhsa_ieee_mode 1
		.amdhsa_fp16_overflow 0
		.amdhsa_tg_split 0
		.amdhsa_exception_fp_ieee_invalid_op 0
		.amdhsa_exception_fp_denorm_src 0
		.amdhsa_exception_fp_ieee_div_zero 0
		.amdhsa_exception_fp_ieee_overflow 0
		.amdhsa_exception_fp_ieee_underflow 0
		.amdhsa_exception_fp_ieee_inexact 0
		.amdhsa_exception_int_div_zero 0
	.end_amdhsa_kernel
	.section	.text._ZN7rocprim17ROCPRIM_400000_NS6detail17trampoline_kernelINS0_14default_configENS1_38merge_sort_block_merge_config_selectorIN6thrust23THRUST_200600_302600_NS4pairIiiEENS0_10empty_typeEEEZZNS1_27merge_sort_block_merge_implIS3_NS6_6detail15normal_iteratorINS6_10device_ptrIS8_EEEEPS9_mNS6_4lessIS8_EEEE10hipError_tT0_T1_T2_jT3_P12ihipStream_tbPNSt15iterator_traitsISL_E10value_typeEPNSR_ISM_E10value_typeEPSN_NS1_7vsmem_tEENKUlT_SL_SM_SN_E_clIPS8_SG_SH_SH_EESK_S10_SL_SM_SN_EUlS10_E_NS1_11comp_targetILNS1_3genE8ELNS1_11target_archE1030ELNS1_3gpuE2ELNS1_3repE0EEENS1_48merge_mergepath_partition_config_static_selectorELNS0_4arch9wavefront6targetE1EEEvSM_,"axG",@progbits,_ZN7rocprim17ROCPRIM_400000_NS6detail17trampoline_kernelINS0_14default_configENS1_38merge_sort_block_merge_config_selectorIN6thrust23THRUST_200600_302600_NS4pairIiiEENS0_10empty_typeEEEZZNS1_27merge_sort_block_merge_implIS3_NS6_6detail15normal_iteratorINS6_10device_ptrIS8_EEEEPS9_mNS6_4lessIS8_EEEE10hipError_tT0_T1_T2_jT3_P12ihipStream_tbPNSt15iterator_traitsISL_E10value_typeEPNSR_ISM_E10value_typeEPSN_NS1_7vsmem_tEENKUlT_SL_SM_SN_E_clIPS8_SG_SH_SH_EESK_S10_SL_SM_SN_EUlS10_E_NS1_11comp_targetILNS1_3genE8ELNS1_11target_archE1030ELNS1_3gpuE2ELNS1_3repE0EEENS1_48merge_mergepath_partition_config_static_selectorELNS0_4arch9wavefront6targetE1EEEvSM_,comdat
.Lfunc_end640:
	.size	_ZN7rocprim17ROCPRIM_400000_NS6detail17trampoline_kernelINS0_14default_configENS1_38merge_sort_block_merge_config_selectorIN6thrust23THRUST_200600_302600_NS4pairIiiEENS0_10empty_typeEEEZZNS1_27merge_sort_block_merge_implIS3_NS6_6detail15normal_iteratorINS6_10device_ptrIS8_EEEEPS9_mNS6_4lessIS8_EEEE10hipError_tT0_T1_T2_jT3_P12ihipStream_tbPNSt15iterator_traitsISL_E10value_typeEPNSR_ISM_E10value_typeEPSN_NS1_7vsmem_tEENKUlT_SL_SM_SN_E_clIPS8_SG_SH_SH_EESK_S10_SL_SM_SN_EUlS10_E_NS1_11comp_targetILNS1_3genE8ELNS1_11target_archE1030ELNS1_3gpuE2ELNS1_3repE0EEENS1_48merge_mergepath_partition_config_static_selectorELNS0_4arch9wavefront6targetE1EEEvSM_, .Lfunc_end640-_ZN7rocprim17ROCPRIM_400000_NS6detail17trampoline_kernelINS0_14default_configENS1_38merge_sort_block_merge_config_selectorIN6thrust23THRUST_200600_302600_NS4pairIiiEENS0_10empty_typeEEEZZNS1_27merge_sort_block_merge_implIS3_NS6_6detail15normal_iteratorINS6_10device_ptrIS8_EEEEPS9_mNS6_4lessIS8_EEEE10hipError_tT0_T1_T2_jT3_P12ihipStream_tbPNSt15iterator_traitsISL_E10value_typeEPNSR_ISM_E10value_typeEPSN_NS1_7vsmem_tEENKUlT_SL_SM_SN_E_clIPS8_SG_SH_SH_EESK_S10_SL_SM_SN_EUlS10_E_NS1_11comp_targetILNS1_3genE8ELNS1_11target_archE1030ELNS1_3gpuE2ELNS1_3repE0EEENS1_48merge_mergepath_partition_config_static_selectorELNS0_4arch9wavefront6targetE1EEEvSM_
                                        ; -- End function
	.set _ZN7rocprim17ROCPRIM_400000_NS6detail17trampoline_kernelINS0_14default_configENS1_38merge_sort_block_merge_config_selectorIN6thrust23THRUST_200600_302600_NS4pairIiiEENS0_10empty_typeEEEZZNS1_27merge_sort_block_merge_implIS3_NS6_6detail15normal_iteratorINS6_10device_ptrIS8_EEEEPS9_mNS6_4lessIS8_EEEE10hipError_tT0_T1_T2_jT3_P12ihipStream_tbPNSt15iterator_traitsISL_E10value_typeEPNSR_ISM_E10value_typeEPSN_NS1_7vsmem_tEENKUlT_SL_SM_SN_E_clIPS8_SG_SH_SH_EESK_S10_SL_SM_SN_EUlS10_E_NS1_11comp_targetILNS1_3genE8ELNS1_11target_archE1030ELNS1_3gpuE2ELNS1_3repE0EEENS1_48merge_mergepath_partition_config_static_selectorELNS0_4arch9wavefront6targetE1EEEvSM_.num_vgpr, 0
	.set _ZN7rocprim17ROCPRIM_400000_NS6detail17trampoline_kernelINS0_14default_configENS1_38merge_sort_block_merge_config_selectorIN6thrust23THRUST_200600_302600_NS4pairIiiEENS0_10empty_typeEEEZZNS1_27merge_sort_block_merge_implIS3_NS6_6detail15normal_iteratorINS6_10device_ptrIS8_EEEEPS9_mNS6_4lessIS8_EEEE10hipError_tT0_T1_T2_jT3_P12ihipStream_tbPNSt15iterator_traitsISL_E10value_typeEPNSR_ISM_E10value_typeEPSN_NS1_7vsmem_tEENKUlT_SL_SM_SN_E_clIPS8_SG_SH_SH_EESK_S10_SL_SM_SN_EUlS10_E_NS1_11comp_targetILNS1_3genE8ELNS1_11target_archE1030ELNS1_3gpuE2ELNS1_3repE0EEENS1_48merge_mergepath_partition_config_static_selectorELNS0_4arch9wavefront6targetE1EEEvSM_.num_agpr, 0
	.set _ZN7rocprim17ROCPRIM_400000_NS6detail17trampoline_kernelINS0_14default_configENS1_38merge_sort_block_merge_config_selectorIN6thrust23THRUST_200600_302600_NS4pairIiiEENS0_10empty_typeEEEZZNS1_27merge_sort_block_merge_implIS3_NS6_6detail15normal_iteratorINS6_10device_ptrIS8_EEEEPS9_mNS6_4lessIS8_EEEE10hipError_tT0_T1_T2_jT3_P12ihipStream_tbPNSt15iterator_traitsISL_E10value_typeEPNSR_ISM_E10value_typeEPSN_NS1_7vsmem_tEENKUlT_SL_SM_SN_E_clIPS8_SG_SH_SH_EESK_S10_SL_SM_SN_EUlS10_E_NS1_11comp_targetILNS1_3genE8ELNS1_11target_archE1030ELNS1_3gpuE2ELNS1_3repE0EEENS1_48merge_mergepath_partition_config_static_selectorELNS0_4arch9wavefront6targetE1EEEvSM_.numbered_sgpr, 0
	.set _ZN7rocprim17ROCPRIM_400000_NS6detail17trampoline_kernelINS0_14default_configENS1_38merge_sort_block_merge_config_selectorIN6thrust23THRUST_200600_302600_NS4pairIiiEENS0_10empty_typeEEEZZNS1_27merge_sort_block_merge_implIS3_NS6_6detail15normal_iteratorINS6_10device_ptrIS8_EEEEPS9_mNS6_4lessIS8_EEEE10hipError_tT0_T1_T2_jT3_P12ihipStream_tbPNSt15iterator_traitsISL_E10value_typeEPNSR_ISM_E10value_typeEPSN_NS1_7vsmem_tEENKUlT_SL_SM_SN_E_clIPS8_SG_SH_SH_EESK_S10_SL_SM_SN_EUlS10_E_NS1_11comp_targetILNS1_3genE8ELNS1_11target_archE1030ELNS1_3gpuE2ELNS1_3repE0EEENS1_48merge_mergepath_partition_config_static_selectorELNS0_4arch9wavefront6targetE1EEEvSM_.num_named_barrier, 0
	.set _ZN7rocprim17ROCPRIM_400000_NS6detail17trampoline_kernelINS0_14default_configENS1_38merge_sort_block_merge_config_selectorIN6thrust23THRUST_200600_302600_NS4pairIiiEENS0_10empty_typeEEEZZNS1_27merge_sort_block_merge_implIS3_NS6_6detail15normal_iteratorINS6_10device_ptrIS8_EEEEPS9_mNS6_4lessIS8_EEEE10hipError_tT0_T1_T2_jT3_P12ihipStream_tbPNSt15iterator_traitsISL_E10value_typeEPNSR_ISM_E10value_typeEPSN_NS1_7vsmem_tEENKUlT_SL_SM_SN_E_clIPS8_SG_SH_SH_EESK_S10_SL_SM_SN_EUlS10_E_NS1_11comp_targetILNS1_3genE8ELNS1_11target_archE1030ELNS1_3gpuE2ELNS1_3repE0EEENS1_48merge_mergepath_partition_config_static_selectorELNS0_4arch9wavefront6targetE1EEEvSM_.private_seg_size, 0
	.set _ZN7rocprim17ROCPRIM_400000_NS6detail17trampoline_kernelINS0_14default_configENS1_38merge_sort_block_merge_config_selectorIN6thrust23THRUST_200600_302600_NS4pairIiiEENS0_10empty_typeEEEZZNS1_27merge_sort_block_merge_implIS3_NS6_6detail15normal_iteratorINS6_10device_ptrIS8_EEEEPS9_mNS6_4lessIS8_EEEE10hipError_tT0_T1_T2_jT3_P12ihipStream_tbPNSt15iterator_traitsISL_E10value_typeEPNSR_ISM_E10value_typeEPSN_NS1_7vsmem_tEENKUlT_SL_SM_SN_E_clIPS8_SG_SH_SH_EESK_S10_SL_SM_SN_EUlS10_E_NS1_11comp_targetILNS1_3genE8ELNS1_11target_archE1030ELNS1_3gpuE2ELNS1_3repE0EEENS1_48merge_mergepath_partition_config_static_selectorELNS0_4arch9wavefront6targetE1EEEvSM_.uses_vcc, 0
	.set _ZN7rocprim17ROCPRIM_400000_NS6detail17trampoline_kernelINS0_14default_configENS1_38merge_sort_block_merge_config_selectorIN6thrust23THRUST_200600_302600_NS4pairIiiEENS0_10empty_typeEEEZZNS1_27merge_sort_block_merge_implIS3_NS6_6detail15normal_iteratorINS6_10device_ptrIS8_EEEEPS9_mNS6_4lessIS8_EEEE10hipError_tT0_T1_T2_jT3_P12ihipStream_tbPNSt15iterator_traitsISL_E10value_typeEPNSR_ISM_E10value_typeEPSN_NS1_7vsmem_tEENKUlT_SL_SM_SN_E_clIPS8_SG_SH_SH_EESK_S10_SL_SM_SN_EUlS10_E_NS1_11comp_targetILNS1_3genE8ELNS1_11target_archE1030ELNS1_3gpuE2ELNS1_3repE0EEENS1_48merge_mergepath_partition_config_static_selectorELNS0_4arch9wavefront6targetE1EEEvSM_.uses_flat_scratch, 0
	.set _ZN7rocprim17ROCPRIM_400000_NS6detail17trampoline_kernelINS0_14default_configENS1_38merge_sort_block_merge_config_selectorIN6thrust23THRUST_200600_302600_NS4pairIiiEENS0_10empty_typeEEEZZNS1_27merge_sort_block_merge_implIS3_NS6_6detail15normal_iteratorINS6_10device_ptrIS8_EEEEPS9_mNS6_4lessIS8_EEEE10hipError_tT0_T1_T2_jT3_P12ihipStream_tbPNSt15iterator_traitsISL_E10value_typeEPNSR_ISM_E10value_typeEPSN_NS1_7vsmem_tEENKUlT_SL_SM_SN_E_clIPS8_SG_SH_SH_EESK_S10_SL_SM_SN_EUlS10_E_NS1_11comp_targetILNS1_3genE8ELNS1_11target_archE1030ELNS1_3gpuE2ELNS1_3repE0EEENS1_48merge_mergepath_partition_config_static_selectorELNS0_4arch9wavefront6targetE1EEEvSM_.has_dyn_sized_stack, 0
	.set _ZN7rocprim17ROCPRIM_400000_NS6detail17trampoline_kernelINS0_14default_configENS1_38merge_sort_block_merge_config_selectorIN6thrust23THRUST_200600_302600_NS4pairIiiEENS0_10empty_typeEEEZZNS1_27merge_sort_block_merge_implIS3_NS6_6detail15normal_iteratorINS6_10device_ptrIS8_EEEEPS9_mNS6_4lessIS8_EEEE10hipError_tT0_T1_T2_jT3_P12ihipStream_tbPNSt15iterator_traitsISL_E10value_typeEPNSR_ISM_E10value_typeEPSN_NS1_7vsmem_tEENKUlT_SL_SM_SN_E_clIPS8_SG_SH_SH_EESK_S10_SL_SM_SN_EUlS10_E_NS1_11comp_targetILNS1_3genE8ELNS1_11target_archE1030ELNS1_3gpuE2ELNS1_3repE0EEENS1_48merge_mergepath_partition_config_static_selectorELNS0_4arch9wavefront6targetE1EEEvSM_.has_recursion, 0
	.set _ZN7rocprim17ROCPRIM_400000_NS6detail17trampoline_kernelINS0_14default_configENS1_38merge_sort_block_merge_config_selectorIN6thrust23THRUST_200600_302600_NS4pairIiiEENS0_10empty_typeEEEZZNS1_27merge_sort_block_merge_implIS3_NS6_6detail15normal_iteratorINS6_10device_ptrIS8_EEEEPS9_mNS6_4lessIS8_EEEE10hipError_tT0_T1_T2_jT3_P12ihipStream_tbPNSt15iterator_traitsISL_E10value_typeEPNSR_ISM_E10value_typeEPSN_NS1_7vsmem_tEENKUlT_SL_SM_SN_E_clIPS8_SG_SH_SH_EESK_S10_SL_SM_SN_EUlS10_E_NS1_11comp_targetILNS1_3genE8ELNS1_11target_archE1030ELNS1_3gpuE2ELNS1_3repE0EEENS1_48merge_mergepath_partition_config_static_selectorELNS0_4arch9wavefront6targetE1EEEvSM_.has_indirect_call, 0
	.section	.AMDGPU.csdata,"",@progbits
; Kernel info:
; codeLenInByte = 0
; TotalNumSgprs: 6
; NumVgprs: 0
; NumAgprs: 0
; TotalNumVgprs: 0
; ScratchSize: 0
; MemoryBound: 0
; FloatMode: 240
; IeeeMode: 1
; LDSByteSize: 0 bytes/workgroup (compile time only)
; SGPRBlocks: 0
; VGPRBlocks: 0
; NumSGPRsForWavesPerEU: 6
; NumVGPRsForWavesPerEU: 1
; AccumOffset: 4
; Occupancy: 8
; WaveLimiterHint : 0
; COMPUTE_PGM_RSRC2:SCRATCH_EN: 0
; COMPUTE_PGM_RSRC2:USER_SGPR: 2
; COMPUTE_PGM_RSRC2:TRAP_HANDLER: 0
; COMPUTE_PGM_RSRC2:TGID_X_EN: 1
; COMPUTE_PGM_RSRC2:TGID_Y_EN: 0
; COMPUTE_PGM_RSRC2:TGID_Z_EN: 0
; COMPUTE_PGM_RSRC2:TIDIG_COMP_CNT: 0
; COMPUTE_PGM_RSRC3_GFX90A:ACCUM_OFFSET: 0
; COMPUTE_PGM_RSRC3_GFX90A:TG_SPLIT: 0
	.section	.text._ZN7rocprim17ROCPRIM_400000_NS6detail17trampoline_kernelINS0_14default_configENS1_38merge_sort_block_merge_config_selectorIN6thrust23THRUST_200600_302600_NS4pairIiiEENS0_10empty_typeEEEZZNS1_27merge_sort_block_merge_implIS3_NS6_6detail15normal_iteratorINS6_10device_ptrIS8_EEEEPS9_mNS6_4lessIS8_EEEE10hipError_tT0_T1_T2_jT3_P12ihipStream_tbPNSt15iterator_traitsISL_E10value_typeEPNSR_ISM_E10value_typeEPSN_NS1_7vsmem_tEENKUlT_SL_SM_SN_E_clIPS8_SG_SH_SH_EESK_S10_SL_SM_SN_EUlS10_E0_NS1_11comp_targetILNS1_3genE0ELNS1_11target_archE4294967295ELNS1_3gpuE0ELNS1_3repE0EEENS1_38merge_mergepath_config_static_selectorELNS0_4arch9wavefront6targetE1EEEvSM_,"axG",@progbits,_ZN7rocprim17ROCPRIM_400000_NS6detail17trampoline_kernelINS0_14default_configENS1_38merge_sort_block_merge_config_selectorIN6thrust23THRUST_200600_302600_NS4pairIiiEENS0_10empty_typeEEEZZNS1_27merge_sort_block_merge_implIS3_NS6_6detail15normal_iteratorINS6_10device_ptrIS8_EEEEPS9_mNS6_4lessIS8_EEEE10hipError_tT0_T1_T2_jT3_P12ihipStream_tbPNSt15iterator_traitsISL_E10value_typeEPNSR_ISM_E10value_typeEPSN_NS1_7vsmem_tEENKUlT_SL_SM_SN_E_clIPS8_SG_SH_SH_EESK_S10_SL_SM_SN_EUlS10_E0_NS1_11comp_targetILNS1_3genE0ELNS1_11target_archE4294967295ELNS1_3gpuE0ELNS1_3repE0EEENS1_38merge_mergepath_config_static_selectorELNS0_4arch9wavefront6targetE1EEEvSM_,comdat
	.protected	_ZN7rocprim17ROCPRIM_400000_NS6detail17trampoline_kernelINS0_14default_configENS1_38merge_sort_block_merge_config_selectorIN6thrust23THRUST_200600_302600_NS4pairIiiEENS0_10empty_typeEEEZZNS1_27merge_sort_block_merge_implIS3_NS6_6detail15normal_iteratorINS6_10device_ptrIS8_EEEEPS9_mNS6_4lessIS8_EEEE10hipError_tT0_T1_T2_jT3_P12ihipStream_tbPNSt15iterator_traitsISL_E10value_typeEPNSR_ISM_E10value_typeEPSN_NS1_7vsmem_tEENKUlT_SL_SM_SN_E_clIPS8_SG_SH_SH_EESK_S10_SL_SM_SN_EUlS10_E0_NS1_11comp_targetILNS1_3genE0ELNS1_11target_archE4294967295ELNS1_3gpuE0ELNS1_3repE0EEENS1_38merge_mergepath_config_static_selectorELNS0_4arch9wavefront6targetE1EEEvSM_ ; -- Begin function _ZN7rocprim17ROCPRIM_400000_NS6detail17trampoline_kernelINS0_14default_configENS1_38merge_sort_block_merge_config_selectorIN6thrust23THRUST_200600_302600_NS4pairIiiEENS0_10empty_typeEEEZZNS1_27merge_sort_block_merge_implIS3_NS6_6detail15normal_iteratorINS6_10device_ptrIS8_EEEEPS9_mNS6_4lessIS8_EEEE10hipError_tT0_T1_T2_jT3_P12ihipStream_tbPNSt15iterator_traitsISL_E10value_typeEPNSR_ISM_E10value_typeEPSN_NS1_7vsmem_tEENKUlT_SL_SM_SN_E_clIPS8_SG_SH_SH_EESK_S10_SL_SM_SN_EUlS10_E0_NS1_11comp_targetILNS1_3genE0ELNS1_11target_archE4294967295ELNS1_3gpuE0ELNS1_3repE0EEENS1_38merge_mergepath_config_static_selectorELNS0_4arch9wavefront6targetE1EEEvSM_
	.globl	_ZN7rocprim17ROCPRIM_400000_NS6detail17trampoline_kernelINS0_14default_configENS1_38merge_sort_block_merge_config_selectorIN6thrust23THRUST_200600_302600_NS4pairIiiEENS0_10empty_typeEEEZZNS1_27merge_sort_block_merge_implIS3_NS6_6detail15normal_iteratorINS6_10device_ptrIS8_EEEEPS9_mNS6_4lessIS8_EEEE10hipError_tT0_T1_T2_jT3_P12ihipStream_tbPNSt15iterator_traitsISL_E10value_typeEPNSR_ISM_E10value_typeEPSN_NS1_7vsmem_tEENKUlT_SL_SM_SN_E_clIPS8_SG_SH_SH_EESK_S10_SL_SM_SN_EUlS10_E0_NS1_11comp_targetILNS1_3genE0ELNS1_11target_archE4294967295ELNS1_3gpuE0ELNS1_3repE0EEENS1_38merge_mergepath_config_static_selectorELNS0_4arch9wavefront6targetE1EEEvSM_
	.p2align	8
	.type	_ZN7rocprim17ROCPRIM_400000_NS6detail17trampoline_kernelINS0_14default_configENS1_38merge_sort_block_merge_config_selectorIN6thrust23THRUST_200600_302600_NS4pairIiiEENS0_10empty_typeEEEZZNS1_27merge_sort_block_merge_implIS3_NS6_6detail15normal_iteratorINS6_10device_ptrIS8_EEEEPS9_mNS6_4lessIS8_EEEE10hipError_tT0_T1_T2_jT3_P12ihipStream_tbPNSt15iterator_traitsISL_E10value_typeEPNSR_ISM_E10value_typeEPSN_NS1_7vsmem_tEENKUlT_SL_SM_SN_E_clIPS8_SG_SH_SH_EESK_S10_SL_SM_SN_EUlS10_E0_NS1_11comp_targetILNS1_3genE0ELNS1_11target_archE4294967295ELNS1_3gpuE0ELNS1_3repE0EEENS1_38merge_mergepath_config_static_selectorELNS0_4arch9wavefront6targetE1EEEvSM_,@function
_ZN7rocprim17ROCPRIM_400000_NS6detail17trampoline_kernelINS0_14default_configENS1_38merge_sort_block_merge_config_selectorIN6thrust23THRUST_200600_302600_NS4pairIiiEENS0_10empty_typeEEEZZNS1_27merge_sort_block_merge_implIS3_NS6_6detail15normal_iteratorINS6_10device_ptrIS8_EEEEPS9_mNS6_4lessIS8_EEEE10hipError_tT0_T1_T2_jT3_P12ihipStream_tbPNSt15iterator_traitsISL_E10value_typeEPNSR_ISM_E10value_typeEPSN_NS1_7vsmem_tEENKUlT_SL_SM_SN_E_clIPS8_SG_SH_SH_EESK_S10_SL_SM_SN_EUlS10_E0_NS1_11comp_targetILNS1_3genE0ELNS1_11target_archE4294967295ELNS1_3gpuE0ELNS1_3repE0EEENS1_38merge_mergepath_config_static_selectorELNS0_4arch9wavefront6targetE1EEEvSM_: ; @_ZN7rocprim17ROCPRIM_400000_NS6detail17trampoline_kernelINS0_14default_configENS1_38merge_sort_block_merge_config_selectorIN6thrust23THRUST_200600_302600_NS4pairIiiEENS0_10empty_typeEEEZZNS1_27merge_sort_block_merge_implIS3_NS6_6detail15normal_iteratorINS6_10device_ptrIS8_EEEEPS9_mNS6_4lessIS8_EEEE10hipError_tT0_T1_T2_jT3_P12ihipStream_tbPNSt15iterator_traitsISL_E10value_typeEPNSR_ISM_E10value_typeEPSN_NS1_7vsmem_tEENKUlT_SL_SM_SN_E_clIPS8_SG_SH_SH_EESK_S10_SL_SM_SN_EUlS10_E0_NS1_11comp_targetILNS1_3genE0ELNS1_11target_archE4294967295ELNS1_3gpuE0ELNS1_3repE0EEENS1_38merge_mergepath_config_static_selectorELNS0_4arch9wavefront6targetE1EEEvSM_
; %bb.0:
	s_load_dwordx2 s[22:23], s[0:1], 0x48
	s_load_dword s5, s[0:1], 0x38
	s_add_u32 s8, s0, 0x48
	s_addc_u32 s9, s1, 0
	s_waitcnt lgkmcnt(0)
	s_mul_i32 s4, s23, s4
	s_add_i32 s3, s4, s3
	s_mul_i32 s3, s3, s22
	s_add_i32 s10, s3, s2
	s_cmp_ge_u32 s10, s5
	s_cbranch_scc1 .LBB641_47
; %bb.1:
	s_load_dwordx2 s[4:5], s[0:1], 0x40
	s_load_dwordx4 s[12:15], s[0:1], 0x8
	s_load_dwordx4 s[16:19], s[0:1], 0x28
	s_mov_b32 s11, 0
	s_lshl_b64 s[0:1], s[10:11], 3
	s_waitcnt lgkmcnt(0)
	s_add_u32 s0, s4, s0
	s_addc_u32 s1, s5, s1
	s_load_dwordx4 s[4:7], s[0:1], 0x0
	s_lshr_b64 s[0:1], s[18:19], 9
	s_and_b32 s0, s0, -2
	s_sub_i32 s30, 0, s0
	s_and_b32 s24, s10, s30
	s_mov_b32 s25, s11
	s_lshl_b64 s[0:1], s[24:25], 10
	s_lshl_b64 s[20:21], s[10:11], 10
	s_sub_u32 s3, s20, s0
	s_subb_u32 s23, s21, s1
	s_lshl_b64 s[24:25], s[24:25], 11
	s_add_u32 s24, s24, s18
	s_addc_u32 s25, s25, s19
	s_add_u32 s3, s24, s3
	s_addc_u32 s23, s25, s23
	s_waitcnt lgkmcnt(0)
	s_sub_u32 s26, s3, s6
	s_subb_u32 s7, s23, s7
	s_add_u32 s26, s26, 0x400
	s_addc_u32 s27, s7, 0
	v_mov_b64_e32 v[2:3], s[26:27]
	v_cmp_lt_u64_e32 vcc, s[16:17], v[2:3]
	s_and_b64 s[28:29], vcc, exec
	s_cselect_b32 s7, s16, s26
	s_or_b32 s26, s10, s30
	s_cmp_lg_u32 s26, -1
	s_cbranch_scc1 .LBB641_3
; %bb.2:
	s_sub_u32 s0, s24, s0
	s_subb_u32 s1, s25, s1
	v_mov_b64_e32 v[2:3], s[0:1]
	v_cmp_lt_u64_e32 vcc, s[16:17], v[2:3]
	s_and_b64 s[6:7], vcc, exec
	s_cselect_b32 s6, s16, s0
	s_add_u32 s0, s0, s18
	s_addc_u32 s1, s1, s19
	v_mov_b64_e32 v[2:3], s[0:1]
	v_cmp_lt_u64_e32 vcc, s[16:17], v[2:3]
	s_and_b64 s[18:19], vcc, exec
	s_cselect_b32 s7, s16, s0
.LBB641_3:
	s_lshr_b64 s[24:25], s[16:17], 10
	s_cmp_lg_u64 s[24:25], s[10:11]
	s_cselect_b64 s[18:19], -1, 0
	s_sub_u32 s0, s3, s4
	s_subb_u32 s1, s23, s5
	v_mov_b64_e32 v[2:3], s[0:1]
	v_cmp_lt_u64_e32 vcc, s[16:17], v[2:3]
	s_and_b64 s[26:27], vcc, exec
	s_cselect_b32 s26, s16, s0
	s_cselect_b32 s27, s17, s1
	s_sub_i32 s17, s6, s4
	s_sub_i32 s6, s7, s26
	s_lshl_b64 s[0:1], s[4:5], 3
	s_add_u32 s0, s12, s0
	s_addc_u32 s1, s13, s1
	s_lshl_b64 s[4:5], s[26:27], 3
	s_add_u32 s4, s12, s4
	s_addc_u32 s5, s13, s5
	s_cmp_lt_u32 s2, s22
	v_mov_b32_e32 v3, 0
	s_cselect_b32 s2, 12, 18
	global_load_dword v1, v3, s[8:9] offset:14
	s_add_u32 s2, s8, s2
	s_addc_u32 s3, s9, 0
	global_load_ushort v2, v3, s[2:3]
	s_cmp_eq_u64 s[24:25], s[10:11]
	s_waitcnt vmcnt(1)
	v_lshrrev_b32_e32 v4, 16, v1
	v_and_b32_e32 v1, 0xffff, v1
	v_mul_lo_u32 v1, v1, v4
	s_waitcnt vmcnt(0)
	v_mul_lo_u32 v1, v1, v2
	v_add_u32_e32 v22, v1, v0
	v_lshlrev_b32_e32 v2, 3, v0
	v_add_u32_e32 v18, v22, v1
	s_cbranch_scc1 .LBB641_5
; %bb.4:
	v_subrev_co_u32_e32 v6, vcc, s17, v0
	v_mov_b32_e32 v7, v3
	v_lshl_add_u64 v[4:5], s[0:1], 0, v[2:3]
	v_lshl_add_u64 v[6:7], v[6:7], 3, s[4:5]
	v_cndmask_b32_e32 v5, v7, v5, vcc
	v_cndmask_b32_e32 v4, v6, v4, vcc
	v_mov_b32_e32 v23, v3
	v_subrev_co_u32_e32 v8, vcc, s17, v22
	v_mov_b32_e32 v9, v3
	v_lshl_add_u64 v[6:7], v[22:23], 3, s[0:1]
	v_lshl_add_u64 v[8:9], v[8:9], 3, s[4:5]
	v_cndmask_b32_e32 v7, v9, v7, vcc
	v_cndmask_b32_e32 v6, v8, v6, vcc
	v_mov_b32_e32 v19, v3
	v_subrev_co_u32_e32 v10, vcc, s17, v18
	v_mov_b32_e32 v11, v3
	v_lshl_add_u64 v[8:9], v[18:19], 3, s[0:1]
	v_lshl_add_u64 v[10:11], v[10:11], 3, s[4:5]
	v_add_u32_e32 v12, v18, v1
	v_cndmask_b32_e32 v9, v11, v9, vcc
	v_cndmask_b32_e32 v8, v10, v8, vcc
	v_mov_b32_e32 v13, v3
	v_subrev_co_u32_e32 v14, vcc, s17, v12
	v_mov_b32_e32 v15, v3
	v_lshl_add_u64 v[10:11], v[12:13], 3, s[0:1]
	v_lshl_add_u64 v[14:15], v[14:15], 3, s[4:5]
	v_cndmask_b32_e32 v10, v14, v10, vcc
	v_add_u32_e32 v14, v12, v1
	v_cndmask_b32_e32 v11, v15, v11, vcc
	v_mov_b32_e32 v15, v3
	v_subrev_co_u32_e32 v16, vcc, s17, v14
	v_mov_b32_e32 v17, v3
	v_lshl_add_u64 v[12:13], v[14:15], 3, s[0:1]
	v_lshl_add_u64 v[16:17], v[16:17], 3, s[4:5]
	v_cndmask_b32_e32 v12, v16, v12, vcc
	v_add_u32_e32 v16, v14, v1
	;; [unrolled: 8-line block ×3, first 2 shown]
	v_cndmask_b32_e32 v15, v21, v15, vcc
	v_mov_b32_e32 v21, v3
	v_subrev_co_u32_e32 v24, vcc, s17, v20
	v_mov_b32_e32 v25, v3
	v_lshl_add_u64 v[16:17], v[20:21], 3, s[0:1]
	v_lshl_add_u64 v[24:25], v[24:25], 3, s[4:5]
	v_add_u32_e32 v20, v20, v1
	v_cndmask_b32_e32 v17, v25, v17, vcc
	v_cndmask_b32_e32 v16, v24, v16, vcc
	v_lshl_add_u64 v[24:25], v[20:21], 3, s[0:1]
	v_subrev_co_u32_e32 v20, vcc, s17, v20
	v_lshl_add_u64 v[20:21], v[20:21], 3, s[4:5]
	s_nop 0
	v_cndmask_b32_e32 v21, v21, v25, vcc
	v_cndmask_b32_e32 v20, v20, v24, vcc
	global_load_dwordx2 v[4:5], v[4:5], off
	s_add_i32 s24, s17, s6
	global_load_dwordx2 v[6:7], v[6:7], off
	s_nop 0
	global_load_dwordx2 v[8:9], v[8:9], off
	s_nop 0
	;; [unrolled: 2-line block ×6, first 2 shown]
	global_load_dwordx2 v[20:21], v[20:21], off
	s_cbranch_execz .LBB641_6
	s_branch .LBB641_23
.LBB641_5:
                                        ; implicit-def: $vgpr4_vgpr5
                                        ; implicit-def: $vgpr8_vgpr9
                                        ; implicit-def: $vgpr12_vgpr13
                                        ; implicit-def: $vgpr16_vgpr17
                                        ; implicit-def: $sgpr24
                                        ; implicit-def: $vgpr20_vgpr21
                                        ; implicit-def: $vgpr14_vgpr15
                                        ; implicit-def: $vgpr10_vgpr11
                                        ; implicit-def: $vgpr6_vgpr7
.LBB641_6:
	s_add_i32 s24, s17, s6
	v_cmp_gt_u32_e32 vcc, s24, v0
	s_waitcnt vmcnt(6)
	v_mov_b64_e32 v[6:7], 0
	v_mov_b64_e32 v[4:5], 0
	s_and_saveexec_b64 s[2:3], vcc
	s_cbranch_execz .LBB641_8
; %bb.7:
	v_mov_b32_e32 v3, 0
	s_waitcnt vmcnt(5)
	v_subrev_co_u32_e32 v8, vcc, s17, v0
	v_mov_b32_e32 v9, v3
	v_lshl_add_u64 v[4:5], s[0:1], 0, v[2:3]
	v_lshl_add_u64 v[8:9], v[8:9], 3, s[4:5]
	v_cndmask_b32_e32 v5, v9, v5, vcc
	v_cndmask_b32_e32 v4, v8, v4, vcc
	global_load_dwordx2 v[4:5], v[4:5], off
.LBB641_8:
	s_or_b64 exec, exec, s[2:3]
	v_cmp_gt_u32_e32 vcc, s24, v22
	s_and_saveexec_b64 s[2:3], vcc
	s_cbranch_execz .LBB641_10
; %bb.9:
	v_mov_b32_e32 v23, 0
	v_lshl_add_u64 v[6:7], v[22:23], 3, s[0:1]
	v_subrev_co_u32_e32 v22, vcc, s17, v22
	s_waitcnt vmcnt(5)
	v_lshl_add_u64 v[8:9], v[22:23], 3, s[4:5]
	v_cndmask_b32_e32 v7, v9, v7, vcc
	v_cndmask_b32_e32 v6, v8, v6, vcc
	global_load_dwordx2 v[6:7], v[6:7], off
.LBB641_10:
	s_or_b64 exec, exec, s[2:3]
	v_cmp_gt_u32_e32 vcc, s24, v18
	s_waitcnt vmcnt(4)
	v_mov_b64_e32 v[10:11], 0
	v_mov_b64_e32 v[8:9], 0
	s_and_saveexec_b64 s[2:3], vcc
	s_cbranch_execz .LBB641_12
; %bb.11:
	v_mov_b32_e32 v19, 0
	s_waitcnt vmcnt(3)
	v_subrev_co_u32_e32 v12, vcc, s17, v18
	v_mov_b32_e32 v13, v19
	v_lshl_add_u64 v[8:9], v[18:19], 3, s[0:1]
	v_lshl_add_u64 v[12:13], v[12:13], 3, s[4:5]
	v_cndmask_b32_e32 v9, v13, v9, vcc
	v_cndmask_b32_e32 v8, v12, v8, vcc
	global_load_dwordx2 v[8:9], v[8:9], off
.LBB641_12:
	s_or_b64 exec, exec, s[2:3]
	s_waitcnt vmcnt(3)
	v_add_u32_e32 v12, v18, v1
	v_cmp_gt_u32_e32 vcc, s24, v12
	s_and_saveexec_b64 s[2:3], vcc
	s_cbranch_execz .LBB641_14
; %bb.13:
	v_mov_b32_e32 v13, 0
	s_waitcnt vmcnt(2)
	v_subrev_co_u32_e32 v14, vcc, s17, v12
	v_mov_b32_e32 v15, v13
	v_lshl_add_u64 v[10:11], v[12:13], 3, s[0:1]
	v_lshl_add_u64 v[14:15], v[14:15], 3, s[4:5]
	v_cndmask_b32_e32 v11, v15, v11, vcc
	v_cndmask_b32_e32 v10, v14, v10, vcc
	global_load_dwordx2 v[10:11], v[10:11], off
.LBB641_14:
	s_or_b64 exec, exec, s[2:3]
	s_waitcnt vmcnt(1)
	v_add_u32_e32 v16, v12, v1
	v_cmp_gt_u32_e32 vcc, s24, v16
	v_mov_b64_e32 v[14:15], 0
	v_mov_b64_e32 v[12:13], 0
	s_and_saveexec_b64 s[2:3], vcc
	s_cbranch_execz .LBB641_16
; %bb.15:
	v_mov_b32_e32 v17, 0
	v_subrev_co_u32_e32 v18, vcc, s17, v16
	v_mov_b32_e32 v19, v17
	v_lshl_add_u64 v[12:13], v[16:17], 3, s[0:1]
	v_lshl_add_u64 v[18:19], v[18:19], 3, s[4:5]
	v_cndmask_b32_e32 v13, v19, v13, vcc
	v_cndmask_b32_e32 v12, v18, v12, vcc
	global_load_dwordx2 v[12:13], v[12:13], off
.LBB641_16:
	s_or_b64 exec, exec, s[2:3]
	v_add_u32_e32 v16, v16, v1
	v_cmp_gt_u32_e32 vcc, s24, v16
	s_and_saveexec_b64 s[2:3], vcc
	s_cbranch_execz .LBB641_18
; %bb.17:
	v_mov_b32_e32 v17, 0
	v_subrev_co_u32_e32 v18, vcc, s17, v16
	v_mov_b32_e32 v19, v17
	v_lshl_add_u64 v[14:15], v[16:17], 3, s[0:1]
	v_lshl_add_u64 v[18:19], v[18:19], 3, s[4:5]
	v_cndmask_b32_e32 v15, v19, v15, vcc
	v_cndmask_b32_e32 v14, v18, v14, vcc
	global_load_dwordx2 v[14:15], v[14:15], off
.LBB641_18:
	s_or_b64 exec, exec, s[2:3]
	v_add_u32_e32 v18, v16, v1
	v_cmp_gt_u32_e32 vcc, s24, v18
	s_waitcnt vmcnt(0)
	v_mov_b64_e32 v[20:21], 0
	v_mov_b64_e32 v[16:17], 0
	s_and_saveexec_b64 s[2:3], vcc
	s_cbranch_execz .LBB641_20
; %bb.19:
	v_mov_b32_e32 v19, 0
	v_subrev_co_u32_e32 v22, vcc, s17, v18
	v_mov_b32_e32 v23, v19
	v_lshl_add_u64 v[16:17], v[18:19], 3, s[0:1]
	v_lshl_add_u64 v[22:23], v[22:23], 3, s[4:5]
	v_cndmask_b32_e32 v17, v23, v17, vcc
	v_cndmask_b32_e32 v16, v22, v16, vcc
	global_load_dwordx2 v[16:17], v[16:17], off
.LBB641_20:
	s_or_b64 exec, exec, s[2:3]
	v_add_u32_e32 v18, v18, v1
	v_cmp_gt_u32_e32 vcc, s24, v18
	s_and_saveexec_b64 s[2:3], vcc
	s_cbranch_execz .LBB641_22
; %bb.21:
	v_mov_b32_e32 v19, 0
	v_lshl_add_u64 v[20:21], v[18:19], 3, s[0:1]
	v_subrev_co_u32_e32 v18, vcc, s17, v18
	v_lshl_add_u64 v[18:19], v[18:19], 3, s[4:5]
	s_nop 0
	v_cndmask_b32_e32 v19, v19, v21, vcc
	v_cndmask_b32_e32 v18, v18, v20, vcc
	global_load_dwordx2 v[20:21], v[18:19], off
.LBB641_22:
	s_or_b64 exec, exec, s[2:3]
.LBB641_23:
	v_min_u32_e32 v3, s24, v2
	v_sub_u32_e64 v1, v3, s6 clamp
	v_min_u32_e32 v18, s17, v3
	v_cmp_lt_u32_e32 vcc, v1, v18
	s_waitcnt vmcnt(6)
	ds_write2st64_b64 v2, v[4:5], v[6:7] offset1:2
	s_waitcnt vmcnt(4)
	ds_write2st64_b64 v2, v[8:9], v[10:11] offset0:4 offset1:6
	s_waitcnt vmcnt(2)
	ds_write2st64_b64 v2, v[12:13], v[14:15] offset0:8 offset1:10
	;; [unrolled: 2-line block ×3, first 2 shown]
	s_waitcnt lgkmcnt(0)
	s_barrier
	s_and_saveexec_b64 s[4:5], vcc
	s_cbranch_execz .LBB641_27
; %bb.24:
	v_lshlrev_b32_e32 v19, 3, v3
	v_lshl_add_u32 v19, s17, 3, v19
	s_mov_b64 s[6:7], 0
.LBB641_25:                             ; =>This Inner Loop Header: Depth=1
	v_add_u32_e32 v22, v18, v1
	v_lshrrev_b32_e32 v26, 1, v22
	v_not_b32_e32 v22, v26
	v_lshlrev_b32_e32 v23, 3, v26
	v_lshl_add_u32 v24, v22, 3, v19
	ds_read_b64 v[22:23], v23
	ds_read_b64 v[24:25], v24
	v_add_u32_e32 v27, 1, v26
	s_waitcnt lgkmcnt(0)
	v_cmp_ge_i32_e64 s[0:1], v22, v24
	v_cmp_lt_i32_e64 s[2:3], v25, v23
	v_cmp_lt_i32_e32 vcc, v24, v22
	s_and_b64 s[0:1], s[0:1], s[2:3]
	s_or_b64 vcc, vcc, s[0:1]
	v_cndmask_b32_e32 v18, v18, v26, vcc
	v_cndmask_b32_e32 v1, v27, v1, vcc
	v_cmp_ge_u32_e32 vcc, v1, v18
	s_or_b64 s[6:7], vcc, s[6:7]
	s_andn2_b64 exec, exec, s[6:7]
	s_cbranch_execnz .LBB641_25
; %bb.26:
	s_or_b64 exec, exec, s[6:7]
.LBB641_27:
	s_or_b64 exec, exec, s[4:5]
	v_sub_u32_e32 v3, v3, v1
	v_add_u32_e32 v3, s17, v3
	v_cmp_ge_u32_e32 vcc, s17, v1
	v_cmp_ge_u32_e64 s[0:1], s24, v3
	s_or_b64 s[0:1], vcc, s[0:1]
	s_and_saveexec_b64 s[22:23], s[0:1]
	s_cbranch_execz .LBB641_33
; %bb.28:
	v_cmp_gt_u32_e32 vcc, s17, v1
	v_mov_b32_e32 v4, 0
	v_mov_b32_e32 v6, 0
	;; [unrolled: 1-line block ×3, first 2 shown]
	s_and_saveexec_b64 s[0:1], vcc
; %bb.29:
	v_lshlrev_b32_e32 v5, 3, v1
	ds_read_b64 v[6:7], v5
; %bb.30:
	s_or_b64 exec, exec, s[0:1]
	v_cmp_le_u32_e64 s[0:1], s24, v3
	v_cmp_gt_u32_e64 s[2:3], s24, v3
	v_mov_b32_e32 v5, 0
	s_and_saveexec_b64 s[4:5], s[2:3]
; %bb.31:
	v_lshlrev_b32_e32 v4, 3, v3
	ds_read_b64 v[4:5], v4
; %bb.32:
	s_or_b64 exec, exec, s[4:5]
	s_waitcnt lgkmcnt(0)
	v_cmp_ge_i32_e64 s[2:3], v4, v6
	v_cmp_lt_i32_e64 s[4:5], v6, v4
	v_cmp_ge_i32_e64 s[6:7], v5, v7
	s_or_b64 s[4:5], s[4:5], s[6:7]
	s_and_b64 s[2:3], vcc, s[2:3]
	s_and_b64 s[2:3], s[2:3], s[4:5]
	s_or_b64 vcc, s[0:1], s[2:3]
	v_mov_b32_e32 v16, s24
	v_mov_b32_e32 v17, s17
	v_cndmask_b32_e32 v8, v3, v1, vcc
	v_cndmask_b32_e32 v9, v16, v17, vcc
	v_add_u32_e32 v10, 1, v8
	v_add_u32_e32 v8, -1, v9
	v_min_u32_e32 v8, v10, v8
	v_lshlrev_b32_e32 v8, 3, v8
	ds_read_b64 v[8:9], v8
	v_cndmask_b32_e32 v1, v1, v10, vcc
	v_cmp_gt_u32_e64 s[2:3], s17, v1
	v_cndmask_b32_e32 v3, v10, v3, vcc
	v_cmp_le_u32_e64 s[0:1], s24, v3
	s_waitcnt lgkmcnt(0)
	v_cndmask_b32_e32 v12, v8, v4, vcc
	v_cndmask_b32_e32 v13, v9, v5, vcc
	;; [unrolled: 1-line block ×4, first 2 shown]
	v_cmp_ge_i32_e64 s[4:5], v12, v14
	v_cmp_lt_i32_e64 s[6:7], v14, v12
	v_cmp_ge_i32_e64 s[8:9], v13, v15
	s_or_b64 s[6:7], s[6:7], s[8:9]
	s_and_b64 s[2:3], s[2:3], s[4:5]
	s_and_b64 s[2:3], s[2:3], s[6:7]
	s_or_b64 s[0:1], s[0:1], s[2:3]
	v_cndmask_b32_e64 v8, v3, v1, s[0:1]
	v_cndmask_b32_e64 v9, v16, v17, s[0:1]
	v_add_u32_e32 v10, 1, v8
	v_add_u32_e32 v8, -1, v9
	v_min_u32_e32 v8, v10, v8
	v_lshlrev_b32_e32 v8, 3, v8
	ds_read_b64 v[8:9], v8
	v_cndmask_b32_e64 v1, v1, v10, s[0:1]
	v_cmp_gt_u32_e64 s[4:5], s17, v1
	v_cndmask_b32_e64 v3, v10, v3, s[0:1]
	v_cmp_le_u32_e64 s[2:3], s24, v3
	s_waitcnt lgkmcnt(0)
	v_cndmask_b32_e64 v18, v8, v12, s[0:1]
	v_cndmask_b32_e64 v19, v9, v13, s[0:1]
	;; [unrolled: 1-line block ×4, first 2 shown]
	v_cmp_ge_i32_e64 s[6:7], v18, v20
	v_cmp_lt_i32_e64 s[8:9], v20, v18
	v_cmp_ge_i32_e64 s[10:11], v19, v21
	s_or_b64 s[8:9], s[8:9], s[10:11]
	s_and_b64 s[4:5], s[4:5], s[6:7]
	s_and_b64 s[4:5], s[4:5], s[8:9]
	s_or_b64 s[2:3], s[2:3], s[4:5]
	v_cndmask_b32_e64 v8, v3, v1, s[2:3]
	v_cndmask_b32_e64 v9, v16, v17, s[2:3]
	v_add_u32_e32 v10, 1, v8
	v_add_u32_e32 v8, -1, v9
	v_min_u32_e32 v8, v10, v8
	v_lshlrev_b32_e32 v8, 3, v8
	ds_read_b64 v[8:9], v8
	v_cndmask_b32_e64 v1, v1, v10, s[2:3]
	v_cmp_gt_u32_e64 s[6:7], s17, v1
	v_cndmask_b32_e64 v3, v10, v3, s[2:3]
	v_cmp_le_u32_e64 s[4:5], s24, v3
	s_waitcnt lgkmcnt(0)
	v_cndmask_b32_e64 v22, v8, v18, s[2:3]
	v_cndmask_b32_e64 v23, v9, v19, s[2:3]
	;; [unrolled: 1-line block ×4, first 2 shown]
	v_cmp_ge_i32_e64 s[8:9], v22, v24
	v_cmp_lt_i32_e64 s[10:11], v24, v22
	v_cmp_ge_i32_e64 s[12:13], v23, v25
	s_or_b64 s[10:11], s[10:11], s[12:13]
	s_and_b64 s[6:7], s[6:7], s[8:9]
	s_and_b64 s[6:7], s[6:7], s[10:11]
	s_or_b64 s[4:5], s[4:5], s[6:7]
	v_cndmask_b32_e64 v8, v3, v1, s[4:5]
	v_cndmask_b32_e64 v9, v16, v17, s[4:5]
	v_add_u32_e32 v10, 1, v8
	v_add_u32_e32 v8, -1, v9
	v_min_u32_e32 v8, v10, v8
	v_lshlrev_b32_e32 v8, 3, v8
	ds_read_b64 v[8:9], v8
	v_cndmask_b32_e64 v1, v1, v10, s[4:5]
	v_cmp_gt_u32_e64 s[6:7], s17, v1
	v_cndmask_b32_e64 v3, v10, v3, s[4:5]
	v_cndmask_b32_e32 v5, v5, v7, vcc
	s_waitcnt lgkmcnt(0)
	v_cndmask_b32_e64 v26, v8, v22, s[4:5]
	v_cndmask_b32_e64 v27, v9, v23, s[4:5]
	;; [unrolled: 1-line block ×4, first 2 shown]
	v_cmp_ge_i32_e64 s[8:9], v26, v28
	v_cmp_lt_i32_e64 s[10:11], v28, v26
	v_cmp_ge_i32_e64 s[12:13], v27, v29
	s_or_b64 s[10:11], s[10:11], s[12:13]
	s_and_b64 s[6:7], s[6:7], s[8:9]
	v_cndmask_b32_e32 v4, v4, v6, vcc
	v_cmp_le_u32_e32 vcc, s24, v3
	s_and_b64 s[6:7], s[6:7], s[10:11]
	s_or_b64 vcc, vcc, s[6:7]
	v_cndmask_b32_e32 v6, v3, v1, vcc
	v_cndmask_b32_e32 v7, v16, v17, vcc
	v_add_u32_e32 v30, 1, v6
	v_add_u32_e32 v6, -1, v7
	v_min_u32_e32 v6, v30, v6
	v_lshlrev_b32_e32 v6, 3, v6
	ds_read_b64 v[10:11], v6
	v_cndmask_b32_e64 v9, v19, v21, s[2:3]
	v_cndmask_b32_e64 v8, v18, v20, s[2:3]
	v_cndmask_b32_e32 v1, v1, v30, vcc
	v_cmp_gt_u32_e64 s[2:3], s17, v1
	s_waitcnt lgkmcnt(0)
	v_cndmask_b32_e32 v20, v10, v26, vcc
	v_cndmask_b32_e32 v21, v11, v27, vcc
	;; [unrolled: 1-line block ×4, first 2 shown]
	v_cmp_ge_i32_e64 s[6:7], v20, v31
	v_cmp_lt_i32_e64 s[8:9], v31, v20
	v_cmp_ge_i32_e64 s[10:11], v21, v32
	v_cndmask_b32_e32 v3, v30, v3, vcc
	s_or_b64 s[8:9], s[8:9], s[10:11]
	s_and_b64 s[2:3], s[2:3], s[6:7]
	v_cndmask_b32_e64 v7, v13, v15, s[0:1]
	v_cndmask_b32_e64 v6, v12, v14, s[0:1]
	v_cmp_le_u32_e64 s[0:1], s24, v3
	s_and_b64 s[2:3], s[2:3], s[8:9]
	s_or_b64 s[0:1], s[0:1], s[2:3]
	v_cndmask_b32_e64 v10, v3, v1, s[0:1]
	v_cndmask_b32_e64 v11, v16, v17, s[0:1]
	v_add_u32_e32 v18, 1, v10
	v_add_u32_e32 v10, -1, v11
	v_min_u32_e32 v10, v18, v10
	v_lshlrev_b32_e32 v10, 3, v10
	ds_read_b64 v[14:15], v10
	v_cndmask_b32_e64 v11, v23, v25, s[4:5]
	v_cndmask_b32_e64 v10, v22, v24, s[4:5]
	v_cndmask_b32_e64 v1, v1, v18, s[0:1]
	v_cmp_gt_u32_e64 s[2:3], s17, v1
	s_waitcnt lgkmcnt(0)
	v_cndmask_b32_e64 v22, v14, v20, s[0:1]
	v_cndmask_b32_e64 v23, v15, v21, s[0:1]
	;; [unrolled: 1-line block ×4, first 2 shown]
	v_cmp_ge_i32_e64 s[4:5], v22, v24
	v_cmp_lt_i32_e64 s[6:7], v24, v22
	v_cmp_ge_i32_e64 s[8:9], v23, v25
	v_cndmask_b32_e64 v3, v18, v3, s[0:1]
	s_or_b64 s[6:7], s[6:7], s[8:9]
	s_and_b64 s[2:3], s[2:3], s[4:5]
	v_cndmask_b32_e32 v13, v27, v29, vcc
	v_cndmask_b32_e32 v12, v26, v28, vcc
	v_cmp_le_u32_e32 vcc, s24, v3
	s_and_b64 s[2:3], s[2:3], s[6:7]
	s_or_b64 vcc, vcc, s[2:3]
	v_cndmask_b32_e32 v14, v3, v1, vcc
	v_cndmask_b32_e32 v15, v16, v17, vcc
	v_add_u32_e32 v26, 1, v14
	v_add_u32_e32 v14, -1, v15
	v_min_u32_e32 v14, v26, v14
	v_lshlrev_b32_e32 v14, 3, v14
	ds_read_b64 v[18:19], v14
	v_cndmask_b32_e64 v15, v21, v32, s[0:1]
	v_cndmask_b32_e64 v14, v20, v31, s[0:1]
	v_cndmask_b32_e32 v1, v1, v26, vcc
	v_cmp_gt_u32_e64 s[0:1], s17, v1
	s_waitcnt lgkmcnt(0)
	v_cndmask_b32_e32 v20, v18, v22, vcc
	v_cndmask_b32_e32 v21, v19, v23, vcc
	;; [unrolled: 1-line block ×4, first 2 shown]
	v_cmp_ge_i32_e64 s[2:3], v20, v18
	v_cmp_lt_i32_e64 s[4:5], v18, v20
	v_cmp_ge_i32_e64 s[6:7], v21, v19
	v_cndmask_b32_e32 v3, v26, v3, vcc
	s_or_b64 s[4:5], s[4:5], s[6:7]
	s_and_b64 s[0:1], s[0:1], s[2:3]
	v_cndmask_b32_e32 v17, v23, v25, vcc
	v_cndmask_b32_e32 v16, v22, v24, vcc
	v_cmp_le_u32_e32 vcc, s24, v3
	s_and_b64 s[0:1], s[0:1], s[4:5]
	s_or_b64 vcc, vcc, s[0:1]
	v_cndmask_b32_e32 v21, v21, v19, vcc
	v_cndmask_b32_e32 v20, v20, v18, vcc
.LBB641_33:
	s_or_b64 exec, exec, s[22:23]
	v_lshrrev_b32_e32 v1, 2, v0
	v_lshlrev_b32_e32 v3, 3, v2
	v_lshl_add_u32 v3, v1, 3, v3
	s_barrier
	s_barrier
	ds_write2_b64 v3, v[4:5], v[6:7] offset1:1
	ds_write2_b64 v3, v[8:9], v[10:11] offset0:2 offset1:3
	ds_write2_b64 v3, v[12:13], v[14:15] offset0:4 offset1:5
	;; [unrolled: 1-line block ×3, first 2 shown]
	v_and_b32_e32 v1, 24, v1
	v_or_b32_e32 v21, 0x80, v0
	v_add_u32_e32 v22, v1, v2
	v_lshrrev_b32_e32 v1, 2, v21
	v_and_b32_e32 v1, 56, v1
	v_or_b32_e32 v20, 0x100, v0
	v_add_u32_e32 v4, v1, v2
	v_lshrrev_b32_e32 v1, 2, v20
	;; [unrolled: 4-line block ×6, first 2 shown]
	v_and_b32_e32 v1, 0xd8, v1
	v_add_u32_e32 v24, v1, v2
	v_or_b32_e32 v1, 0x380, v0
	s_lshl_b64 s[0:1], s[20:21], 3
	v_lshrrev_b32_e32 v3, 2, v1
	s_add_u32 s0, s14, s0
	v_and_b32_e32 v3, 0xf8, v3
	s_addc_u32 s1, s15, s1
	v_add_u32_e32 v25, v3, v2
	v_mov_b32_e32 v3, 0
	v_lshl_add_u64 v[2:3], s[0:1], 0, v[2:3]
	s_and_b64 vcc, exec, s[18:19]
	s_waitcnt lgkmcnt(0)
	s_cbranch_vccz .LBB641_35
; %bb.34:
	s_barrier
	ds_read_b64 v[8:9], v22
	ds_read_b64 v[10:11], v4 offset:1024
	ds_read_b64 v[12:13], v5 offset:2048
	;; [unrolled: 1-line block ×7, first 2 shown]
	s_waitcnt lgkmcnt(7)
	global_store_dwordx2 v[2:3], v[8:9], off
	s_waitcnt lgkmcnt(6)
	global_store_dwordx2 v[2:3], v[10:11], off offset:1024
	s_waitcnt lgkmcnt(5)
	global_store_dwordx2 v[2:3], v[12:13], off offset:2048
	;; [unrolled: 2-line block ×3, first 2 shown]
	v_add_co_u32_e32 v8, vcc, 0x1000, v2
	s_nop 1
	v_addc_co_u32_e32 v9, vcc, 0, v3, vcc
	s_waitcnt lgkmcnt(3)
	global_store_dwordx2 v[8:9], v[28:29], off
	s_waitcnt lgkmcnt(2)
	global_store_dwordx2 v[8:9], v[30:31], off offset:1024
	s_waitcnt lgkmcnt(1)
	global_store_dwordx2 v[8:9], v[32:33], off offset:2048
	s_mov_b64 s[0:1], -1
	s_cbranch_execz .LBB641_36
	s_branch .LBB641_45
.LBB641_35:
	s_mov_b64 s[0:1], 0
                                        ; implicit-def: $vgpr26_vgpr27
.LBB641_36:
	s_barrier
	s_waitcnt lgkmcnt(0)
	ds_read_b64 v[14:15], v4 offset:1024
	ds_read_b64 v[12:13], v5 offset:2048
	;; [unrolled: 1-line block ×7, first 2 shown]
	s_sub_i32 s2, s16, s20
	v_cmp_gt_u32_e32 vcc, s2, v0
	s_and_saveexec_b64 s[0:1], vcc
	s_cbranch_execnz .LBB641_48
; %bb.37:
	s_or_b64 exec, exec, s[0:1]
	v_cmp_gt_u32_e32 vcc, s2, v21
	s_and_saveexec_b64 s[0:1], vcc
	s_cbranch_execnz .LBB641_49
.LBB641_38:
	s_or_b64 exec, exec, s[0:1]
	v_cmp_gt_u32_e32 vcc, s2, v20
	s_and_saveexec_b64 s[0:1], vcc
	s_cbranch_execnz .LBB641_50
.LBB641_39:
	s_or_b64 exec, exec, s[0:1]
	v_cmp_gt_u32_e32 vcc, s2, v19
	s_and_saveexec_b64 s[0:1], vcc
	s_cbranch_execnz .LBB641_51
.LBB641_40:
	s_or_b64 exec, exec, s[0:1]
	v_cmp_gt_u32_e32 vcc, s2, v18
	s_and_saveexec_b64 s[0:1], vcc
	s_cbranch_execnz .LBB641_52
.LBB641_41:
	s_or_b64 exec, exec, s[0:1]
	v_cmp_gt_u32_e32 vcc, s2, v17
	s_and_saveexec_b64 s[0:1], vcc
	s_cbranch_execnz .LBB641_53
.LBB641_42:
	s_or_b64 exec, exec, s[0:1]
	v_cmp_gt_u32_e32 vcc, s2, v16
	s_and_saveexec_b64 s[0:1], vcc
	s_cbranch_execz .LBB641_44
.LBB641_43:
	s_waitcnt lgkmcnt(2)
	v_add_co_u32_e32 v6, vcc, 0x1000, v2
	s_nop 1
	v_addc_co_u32_e32 v7, vcc, 0, v3, vcc
	s_waitcnt lgkmcnt(1)
	global_store_dwordx2 v[6:7], v[4:5], off offset:2048
.LBB641_44:
	s_or_b64 exec, exec, s[0:1]
	v_cmp_gt_u32_e64 s[0:1], s2, v1
.LBB641_45:
	s_and_saveexec_b64 s[2:3], s[0:1]
	s_cbranch_execz .LBB641_47
; %bb.46:
	v_add_co_u32_e32 v0, vcc, 0x1000, v2
	s_nop 1
	v_addc_co_u32_e32 v1, vcc, 0, v3, vcc
	s_waitcnt lgkmcnt(0)
	global_store_dwordx2 v[0:1], v[26:27], off offset:3072
.LBB641_47:
	s_endpgm
.LBB641_48:
	ds_read_b64 v[22:23], v22
	s_waitcnt lgkmcnt(0)
	global_store_dwordx2 v[2:3], v[22:23], off
	s_or_b64 exec, exec, s[0:1]
	v_cmp_gt_u32_e32 vcc, s2, v21
	s_and_saveexec_b64 s[0:1], vcc
	s_cbranch_execz .LBB641_38
.LBB641_49:
	s_waitcnt lgkmcnt(6)
	global_store_dwordx2 v[2:3], v[14:15], off offset:1024
	s_or_b64 exec, exec, s[0:1]
	v_cmp_gt_u32_e32 vcc, s2, v20
	s_and_saveexec_b64 s[0:1], vcc
	s_cbranch_execz .LBB641_39
.LBB641_50:
	s_waitcnt lgkmcnt(5)
	global_store_dwordx2 v[2:3], v[12:13], off offset:2048
	s_or_b64 exec, exec, s[0:1]
	v_cmp_gt_u32_e32 vcc, s2, v19
	s_and_saveexec_b64 s[0:1], vcc
	s_cbranch_execz .LBB641_40
.LBB641_51:
	s_waitcnt lgkmcnt(4)
	global_store_dwordx2 v[2:3], v[10:11], off offset:3072
	s_or_b64 exec, exec, s[0:1]
	v_cmp_gt_u32_e32 vcc, s2, v18
	s_and_saveexec_b64 s[0:1], vcc
	s_cbranch_execz .LBB641_41
.LBB641_52:
	s_waitcnt lgkmcnt(4)
	v_add_co_u32_e32 v10, vcc, 0x1000, v2
	s_nop 1
	v_addc_co_u32_e32 v11, vcc, 0, v3, vcc
	s_waitcnt lgkmcnt(3)
	global_store_dwordx2 v[10:11], v[8:9], off
	s_or_b64 exec, exec, s[0:1]
	v_cmp_gt_u32_e32 vcc, s2, v17
	s_and_saveexec_b64 s[0:1], vcc
	s_cbranch_execz .LBB641_42
.LBB641_53:
	s_waitcnt lgkmcnt(3)
	v_add_co_u32_e32 v8, vcc, 0x1000, v2
	s_nop 1
	v_addc_co_u32_e32 v9, vcc, 0, v3, vcc
	s_waitcnt lgkmcnt(2)
	global_store_dwordx2 v[8:9], v[6:7], off offset:1024
	s_or_b64 exec, exec, s[0:1]
	v_cmp_gt_u32_e32 vcc, s2, v16
	s_and_saveexec_b64 s[0:1], vcc
	s_cbranch_execnz .LBB641_43
	s_branch .LBB641_44
	.section	.rodata,"a",@progbits
	.p2align	6, 0x0
	.amdhsa_kernel _ZN7rocprim17ROCPRIM_400000_NS6detail17trampoline_kernelINS0_14default_configENS1_38merge_sort_block_merge_config_selectorIN6thrust23THRUST_200600_302600_NS4pairIiiEENS0_10empty_typeEEEZZNS1_27merge_sort_block_merge_implIS3_NS6_6detail15normal_iteratorINS6_10device_ptrIS8_EEEEPS9_mNS6_4lessIS8_EEEE10hipError_tT0_T1_T2_jT3_P12ihipStream_tbPNSt15iterator_traitsISL_E10value_typeEPNSR_ISM_E10value_typeEPSN_NS1_7vsmem_tEENKUlT_SL_SM_SN_E_clIPS8_SG_SH_SH_EESK_S10_SL_SM_SN_EUlS10_E0_NS1_11comp_targetILNS1_3genE0ELNS1_11target_archE4294967295ELNS1_3gpuE0ELNS1_3repE0EEENS1_38merge_mergepath_config_static_selectorELNS0_4arch9wavefront6targetE1EEEvSM_
		.amdhsa_group_segment_fixed_size 8448
		.amdhsa_private_segment_fixed_size 0
		.amdhsa_kernarg_size 328
		.amdhsa_user_sgpr_count 2
		.amdhsa_user_sgpr_dispatch_ptr 0
		.amdhsa_user_sgpr_queue_ptr 0
		.amdhsa_user_sgpr_kernarg_segment_ptr 1
		.amdhsa_user_sgpr_dispatch_id 0
		.amdhsa_user_sgpr_kernarg_preload_length 0
		.amdhsa_user_sgpr_kernarg_preload_offset 0
		.amdhsa_user_sgpr_private_segment_size 0
		.amdhsa_uses_dynamic_stack 0
		.amdhsa_enable_private_segment 0
		.amdhsa_system_sgpr_workgroup_id_x 1
		.amdhsa_system_sgpr_workgroup_id_y 1
		.amdhsa_system_sgpr_workgroup_id_z 1
		.amdhsa_system_sgpr_workgroup_info 0
		.amdhsa_system_vgpr_workitem_id 0
		.amdhsa_next_free_vgpr 34
		.amdhsa_next_free_sgpr 31
		.amdhsa_accum_offset 36
		.amdhsa_reserve_vcc 1
		.amdhsa_float_round_mode_32 0
		.amdhsa_float_round_mode_16_64 0
		.amdhsa_float_denorm_mode_32 3
		.amdhsa_float_denorm_mode_16_64 3
		.amdhsa_dx10_clamp 1
		.amdhsa_ieee_mode 1
		.amdhsa_fp16_overflow 0
		.amdhsa_tg_split 0
		.amdhsa_exception_fp_ieee_invalid_op 0
		.amdhsa_exception_fp_denorm_src 0
		.amdhsa_exception_fp_ieee_div_zero 0
		.amdhsa_exception_fp_ieee_overflow 0
		.amdhsa_exception_fp_ieee_underflow 0
		.amdhsa_exception_fp_ieee_inexact 0
		.amdhsa_exception_int_div_zero 0
	.end_amdhsa_kernel
	.section	.text._ZN7rocprim17ROCPRIM_400000_NS6detail17trampoline_kernelINS0_14default_configENS1_38merge_sort_block_merge_config_selectorIN6thrust23THRUST_200600_302600_NS4pairIiiEENS0_10empty_typeEEEZZNS1_27merge_sort_block_merge_implIS3_NS6_6detail15normal_iteratorINS6_10device_ptrIS8_EEEEPS9_mNS6_4lessIS8_EEEE10hipError_tT0_T1_T2_jT3_P12ihipStream_tbPNSt15iterator_traitsISL_E10value_typeEPNSR_ISM_E10value_typeEPSN_NS1_7vsmem_tEENKUlT_SL_SM_SN_E_clIPS8_SG_SH_SH_EESK_S10_SL_SM_SN_EUlS10_E0_NS1_11comp_targetILNS1_3genE0ELNS1_11target_archE4294967295ELNS1_3gpuE0ELNS1_3repE0EEENS1_38merge_mergepath_config_static_selectorELNS0_4arch9wavefront6targetE1EEEvSM_,"axG",@progbits,_ZN7rocprim17ROCPRIM_400000_NS6detail17trampoline_kernelINS0_14default_configENS1_38merge_sort_block_merge_config_selectorIN6thrust23THRUST_200600_302600_NS4pairIiiEENS0_10empty_typeEEEZZNS1_27merge_sort_block_merge_implIS3_NS6_6detail15normal_iteratorINS6_10device_ptrIS8_EEEEPS9_mNS6_4lessIS8_EEEE10hipError_tT0_T1_T2_jT3_P12ihipStream_tbPNSt15iterator_traitsISL_E10value_typeEPNSR_ISM_E10value_typeEPSN_NS1_7vsmem_tEENKUlT_SL_SM_SN_E_clIPS8_SG_SH_SH_EESK_S10_SL_SM_SN_EUlS10_E0_NS1_11comp_targetILNS1_3genE0ELNS1_11target_archE4294967295ELNS1_3gpuE0ELNS1_3repE0EEENS1_38merge_mergepath_config_static_selectorELNS0_4arch9wavefront6targetE1EEEvSM_,comdat
.Lfunc_end641:
	.size	_ZN7rocprim17ROCPRIM_400000_NS6detail17trampoline_kernelINS0_14default_configENS1_38merge_sort_block_merge_config_selectorIN6thrust23THRUST_200600_302600_NS4pairIiiEENS0_10empty_typeEEEZZNS1_27merge_sort_block_merge_implIS3_NS6_6detail15normal_iteratorINS6_10device_ptrIS8_EEEEPS9_mNS6_4lessIS8_EEEE10hipError_tT0_T1_T2_jT3_P12ihipStream_tbPNSt15iterator_traitsISL_E10value_typeEPNSR_ISM_E10value_typeEPSN_NS1_7vsmem_tEENKUlT_SL_SM_SN_E_clIPS8_SG_SH_SH_EESK_S10_SL_SM_SN_EUlS10_E0_NS1_11comp_targetILNS1_3genE0ELNS1_11target_archE4294967295ELNS1_3gpuE0ELNS1_3repE0EEENS1_38merge_mergepath_config_static_selectorELNS0_4arch9wavefront6targetE1EEEvSM_, .Lfunc_end641-_ZN7rocprim17ROCPRIM_400000_NS6detail17trampoline_kernelINS0_14default_configENS1_38merge_sort_block_merge_config_selectorIN6thrust23THRUST_200600_302600_NS4pairIiiEENS0_10empty_typeEEEZZNS1_27merge_sort_block_merge_implIS3_NS6_6detail15normal_iteratorINS6_10device_ptrIS8_EEEEPS9_mNS6_4lessIS8_EEEE10hipError_tT0_T1_T2_jT3_P12ihipStream_tbPNSt15iterator_traitsISL_E10value_typeEPNSR_ISM_E10value_typeEPSN_NS1_7vsmem_tEENKUlT_SL_SM_SN_E_clIPS8_SG_SH_SH_EESK_S10_SL_SM_SN_EUlS10_E0_NS1_11comp_targetILNS1_3genE0ELNS1_11target_archE4294967295ELNS1_3gpuE0ELNS1_3repE0EEENS1_38merge_mergepath_config_static_selectorELNS0_4arch9wavefront6targetE1EEEvSM_
                                        ; -- End function
	.set _ZN7rocprim17ROCPRIM_400000_NS6detail17trampoline_kernelINS0_14default_configENS1_38merge_sort_block_merge_config_selectorIN6thrust23THRUST_200600_302600_NS4pairIiiEENS0_10empty_typeEEEZZNS1_27merge_sort_block_merge_implIS3_NS6_6detail15normal_iteratorINS6_10device_ptrIS8_EEEEPS9_mNS6_4lessIS8_EEEE10hipError_tT0_T1_T2_jT3_P12ihipStream_tbPNSt15iterator_traitsISL_E10value_typeEPNSR_ISM_E10value_typeEPSN_NS1_7vsmem_tEENKUlT_SL_SM_SN_E_clIPS8_SG_SH_SH_EESK_S10_SL_SM_SN_EUlS10_E0_NS1_11comp_targetILNS1_3genE0ELNS1_11target_archE4294967295ELNS1_3gpuE0ELNS1_3repE0EEENS1_38merge_mergepath_config_static_selectorELNS0_4arch9wavefront6targetE1EEEvSM_.num_vgpr, 34
	.set _ZN7rocprim17ROCPRIM_400000_NS6detail17trampoline_kernelINS0_14default_configENS1_38merge_sort_block_merge_config_selectorIN6thrust23THRUST_200600_302600_NS4pairIiiEENS0_10empty_typeEEEZZNS1_27merge_sort_block_merge_implIS3_NS6_6detail15normal_iteratorINS6_10device_ptrIS8_EEEEPS9_mNS6_4lessIS8_EEEE10hipError_tT0_T1_T2_jT3_P12ihipStream_tbPNSt15iterator_traitsISL_E10value_typeEPNSR_ISM_E10value_typeEPSN_NS1_7vsmem_tEENKUlT_SL_SM_SN_E_clIPS8_SG_SH_SH_EESK_S10_SL_SM_SN_EUlS10_E0_NS1_11comp_targetILNS1_3genE0ELNS1_11target_archE4294967295ELNS1_3gpuE0ELNS1_3repE0EEENS1_38merge_mergepath_config_static_selectorELNS0_4arch9wavefront6targetE1EEEvSM_.num_agpr, 0
	.set _ZN7rocprim17ROCPRIM_400000_NS6detail17trampoline_kernelINS0_14default_configENS1_38merge_sort_block_merge_config_selectorIN6thrust23THRUST_200600_302600_NS4pairIiiEENS0_10empty_typeEEEZZNS1_27merge_sort_block_merge_implIS3_NS6_6detail15normal_iteratorINS6_10device_ptrIS8_EEEEPS9_mNS6_4lessIS8_EEEE10hipError_tT0_T1_T2_jT3_P12ihipStream_tbPNSt15iterator_traitsISL_E10value_typeEPNSR_ISM_E10value_typeEPSN_NS1_7vsmem_tEENKUlT_SL_SM_SN_E_clIPS8_SG_SH_SH_EESK_S10_SL_SM_SN_EUlS10_E0_NS1_11comp_targetILNS1_3genE0ELNS1_11target_archE4294967295ELNS1_3gpuE0ELNS1_3repE0EEENS1_38merge_mergepath_config_static_selectorELNS0_4arch9wavefront6targetE1EEEvSM_.numbered_sgpr, 31
	.set _ZN7rocprim17ROCPRIM_400000_NS6detail17trampoline_kernelINS0_14default_configENS1_38merge_sort_block_merge_config_selectorIN6thrust23THRUST_200600_302600_NS4pairIiiEENS0_10empty_typeEEEZZNS1_27merge_sort_block_merge_implIS3_NS6_6detail15normal_iteratorINS6_10device_ptrIS8_EEEEPS9_mNS6_4lessIS8_EEEE10hipError_tT0_T1_T2_jT3_P12ihipStream_tbPNSt15iterator_traitsISL_E10value_typeEPNSR_ISM_E10value_typeEPSN_NS1_7vsmem_tEENKUlT_SL_SM_SN_E_clIPS8_SG_SH_SH_EESK_S10_SL_SM_SN_EUlS10_E0_NS1_11comp_targetILNS1_3genE0ELNS1_11target_archE4294967295ELNS1_3gpuE0ELNS1_3repE0EEENS1_38merge_mergepath_config_static_selectorELNS0_4arch9wavefront6targetE1EEEvSM_.num_named_barrier, 0
	.set _ZN7rocprim17ROCPRIM_400000_NS6detail17trampoline_kernelINS0_14default_configENS1_38merge_sort_block_merge_config_selectorIN6thrust23THRUST_200600_302600_NS4pairIiiEENS0_10empty_typeEEEZZNS1_27merge_sort_block_merge_implIS3_NS6_6detail15normal_iteratorINS6_10device_ptrIS8_EEEEPS9_mNS6_4lessIS8_EEEE10hipError_tT0_T1_T2_jT3_P12ihipStream_tbPNSt15iterator_traitsISL_E10value_typeEPNSR_ISM_E10value_typeEPSN_NS1_7vsmem_tEENKUlT_SL_SM_SN_E_clIPS8_SG_SH_SH_EESK_S10_SL_SM_SN_EUlS10_E0_NS1_11comp_targetILNS1_3genE0ELNS1_11target_archE4294967295ELNS1_3gpuE0ELNS1_3repE0EEENS1_38merge_mergepath_config_static_selectorELNS0_4arch9wavefront6targetE1EEEvSM_.private_seg_size, 0
	.set _ZN7rocprim17ROCPRIM_400000_NS6detail17trampoline_kernelINS0_14default_configENS1_38merge_sort_block_merge_config_selectorIN6thrust23THRUST_200600_302600_NS4pairIiiEENS0_10empty_typeEEEZZNS1_27merge_sort_block_merge_implIS3_NS6_6detail15normal_iteratorINS6_10device_ptrIS8_EEEEPS9_mNS6_4lessIS8_EEEE10hipError_tT0_T1_T2_jT3_P12ihipStream_tbPNSt15iterator_traitsISL_E10value_typeEPNSR_ISM_E10value_typeEPSN_NS1_7vsmem_tEENKUlT_SL_SM_SN_E_clIPS8_SG_SH_SH_EESK_S10_SL_SM_SN_EUlS10_E0_NS1_11comp_targetILNS1_3genE0ELNS1_11target_archE4294967295ELNS1_3gpuE0ELNS1_3repE0EEENS1_38merge_mergepath_config_static_selectorELNS0_4arch9wavefront6targetE1EEEvSM_.uses_vcc, 1
	.set _ZN7rocprim17ROCPRIM_400000_NS6detail17trampoline_kernelINS0_14default_configENS1_38merge_sort_block_merge_config_selectorIN6thrust23THRUST_200600_302600_NS4pairIiiEENS0_10empty_typeEEEZZNS1_27merge_sort_block_merge_implIS3_NS6_6detail15normal_iteratorINS6_10device_ptrIS8_EEEEPS9_mNS6_4lessIS8_EEEE10hipError_tT0_T1_T2_jT3_P12ihipStream_tbPNSt15iterator_traitsISL_E10value_typeEPNSR_ISM_E10value_typeEPSN_NS1_7vsmem_tEENKUlT_SL_SM_SN_E_clIPS8_SG_SH_SH_EESK_S10_SL_SM_SN_EUlS10_E0_NS1_11comp_targetILNS1_3genE0ELNS1_11target_archE4294967295ELNS1_3gpuE0ELNS1_3repE0EEENS1_38merge_mergepath_config_static_selectorELNS0_4arch9wavefront6targetE1EEEvSM_.uses_flat_scratch, 0
	.set _ZN7rocprim17ROCPRIM_400000_NS6detail17trampoline_kernelINS0_14default_configENS1_38merge_sort_block_merge_config_selectorIN6thrust23THRUST_200600_302600_NS4pairIiiEENS0_10empty_typeEEEZZNS1_27merge_sort_block_merge_implIS3_NS6_6detail15normal_iteratorINS6_10device_ptrIS8_EEEEPS9_mNS6_4lessIS8_EEEE10hipError_tT0_T1_T2_jT3_P12ihipStream_tbPNSt15iterator_traitsISL_E10value_typeEPNSR_ISM_E10value_typeEPSN_NS1_7vsmem_tEENKUlT_SL_SM_SN_E_clIPS8_SG_SH_SH_EESK_S10_SL_SM_SN_EUlS10_E0_NS1_11comp_targetILNS1_3genE0ELNS1_11target_archE4294967295ELNS1_3gpuE0ELNS1_3repE0EEENS1_38merge_mergepath_config_static_selectorELNS0_4arch9wavefront6targetE1EEEvSM_.has_dyn_sized_stack, 0
	.set _ZN7rocprim17ROCPRIM_400000_NS6detail17trampoline_kernelINS0_14default_configENS1_38merge_sort_block_merge_config_selectorIN6thrust23THRUST_200600_302600_NS4pairIiiEENS0_10empty_typeEEEZZNS1_27merge_sort_block_merge_implIS3_NS6_6detail15normal_iteratorINS6_10device_ptrIS8_EEEEPS9_mNS6_4lessIS8_EEEE10hipError_tT0_T1_T2_jT3_P12ihipStream_tbPNSt15iterator_traitsISL_E10value_typeEPNSR_ISM_E10value_typeEPSN_NS1_7vsmem_tEENKUlT_SL_SM_SN_E_clIPS8_SG_SH_SH_EESK_S10_SL_SM_SN_EUlS10_E0_NS1_11comp_targetILNS1_3genE0ELNS1_11target_archE4294967295ELNS1_3gpuE0ELNS1_3repE0EEENS1_38merge_mergepath_config_static_selectorELNS0_4arch9wavefront6targetE1EEEvSM_.has_recursion, 0
	.set _ZN7rocprim17ROCPRIM_400000_NS6detail17trampoline_kernelINS0_14default_configENS1_38merge_sort_block_merge_config_selectorIN6thrust23THRUST_200600_302600_NS4pairIiiEENS0_10empty_typeEEEZZNS1_27merge_sort_block_merge_implIS3_NS6_6detail15normal_iteratorINS6_10device_ptrIS8_EEEEPS9_mNS6_4lessIS8_EEEE10hipError_tT0_T1_T2_jT3_P12ihipStream_tbPNSt15iterator_traitsISL_E10value_typeEPNSR_ISM_E10value_typeEPSN_NS1_7vsmem_tEENKUlT_SL_SM_SN_E_clIPS8_SG_SH_SH_EESK_S10_SL_SM_SN_EUlS10_E0_NS1_11comp_targetILNS1_3genE0ELNS1_11target_archE4294967295ELNS1_3gpuE0ELNS1_3repE0EEENS1_38merge_mergepath_config_static_selectorELNS0_4arch9wavefront6targetE1EEEvSM_.has_indirect_call, 0
	.section	.AMDGPU.csdata,"",@progbits
; Kernel info:
; codeLenInByte = 3720
; TotalNumSgprs: 37
; NumVgprs: 34
; NumAgprs: 0
; TotalNumVgprs: 34
; ScratchSize: 0
; MemoryBound: 0
; FloatMode: 240
; IeeeMode: 1
; LDSByteSize: 8448 bytes/workgroup (compile time only)
; SGPRBlocks: 4
; VGPRBlocks: 4
; NumSGPRsForWavesPerEU: 37
; NumVGPRsForWavesPerEU: 34
; AccumOffset: 36
; Occupancy: 8
; WaveLimiterHint : 1
; COMPUTE_PGM_RSRC2:SCRATCH_EN: 0
; COMPUTE_PGM_RSRC2:USER_SGPR: 2
; COMPUTE_PGM_RSRC2:TRAP_HANDLER: 0
; COMPUTE_PGM_RSRC2:TGID_X_EN: 1
; COMPUTE_PGM_RSRC2:TGID_Y_EN: 1
; COMPUTE_PGM_RSRC2:TGID_Z_EN: 1
; COMPUTE_PGM_RSRC2:TIDIG_COMP_CNT: 0
; COMPUTE_PGM_RSRC3_GFX90A:ACCUM_OFFSET: 8
; COMPUTE_PGM_RSRC3_GFX90A:TG_SPLIT: 0
	.section	.text._ZN7rocprim17ROCPRIM_400000_NS6detail17trampoline_kernelINS0_14default_configENS1_38merge_sort_block_merge_config_selectorIN6thrust23THRUST_200600_302600_NS4pairIiiEENS0_10empty_typeEEEZZNS1_27merge_sort_block_merge_implIS3_NS6_6detail15normal_iteratorINS6_10device_ptrIS8_EEEEPS9_mNS6_4lessIS8_EEEE10hipError_tT0_T1_T2_jT3_P12ihipStream_tbPNSt15iterator_traitsISL_E10value_typeEPNSR_ISM_E10value_typeEPSN_NS1_7vsmem_tEENKUlT_SL_SM_SN_E_clIPS8_SG_SH_SH_EESK_S10_SL_SM_SN_EUlS10_E0_NS1_11comp_targetILNS1_3genE10ELNS1_11target_archE1201ELNS1_3gpuE5ELNS1_3repE0EEENS1_38merge_mergepath_config_static_selectorELNS0_4arch9wavefront6targetE1EEEvSM_,"axG",@progbits,_ZN7rocprim17ROCPRIM_400000_NS6detail17trampoline_kernelINS0_14default_configENS1_38merge_sort_block_merge_config_selectorIN6thrust23THRUST_200600_302600_NS4pairIiiEENS0_10empty_typeEEEZZNS1_27merge_sort_block_merge_implIS3_NS6_6detail15normal_iteratorINS6_10device_ptrIS8_EEEEPS9_mNS6_4lessIS8_EEEE10hipError_tT0_T1_T2_jT3_P12ihipStream_tbPNSt15iterator_traitsISL_E10value_typeEPNSR_ISM_E10value_typeEPSN_NS1_7vsmem_tEENKUlT_SL_SM_SN_E_clIPS8_SG_SH_SH_EESK_S10_SL_SM_SN_EUlS10_E0_NS1_11comp_targetILNS1_3genE10ELNS1_11target_archE1201ELNS1_3gpuE5ELNS1_3repE0EEENS1_38merge_mergepath_config_static_selectorELNS0_4arch9wavefront6targetE1EEEvSM_,comdat
	.protected	_ZN7rocprim17ROCPRIM_400000_NS6detail17trampoline_kernelINS0_14default_configENS1_38merge_sort_block_merge_config_selectorIN6thrust23THRUST_200600_302600_NS4pairIiiEENS0_10empty_typeEEEZZNS1_27merge_sort_block_merge_implIS3_NS6_6detail15normal_iteratorINS6_10device_ptrIS8_EEEEPS9_mNS6_4lessIS8_EEEE10hipError_tT0_T1_T2_jT3_P12ihipStream_tbPNSt15iterator_traitsISL_E10value_typeEPNSR_ISM_E10value_typeEPSN_NS1_7vsmem_tEENKUlT_SL_SM_SN_E_clIPS8_SG_SH_SH_EESK_S10_SL_SM_SN_EUlS10_E0_NS1_11comp_targetILNS1_3genE10ELNS1_11target_archE1201ELNS1_3gpuE5ELNS1_3repE0EEENS1_38merge_mergepath_config_static_selectorELNS0_4arch9wavefront6targetE1EEEvSM_ ; -- Begin function _ZN7rocprim17ROCPRIM_400000_NS6detail17trampoline_kernelINS0_14default_configENS1_38merge_sort_block_merge_config_selectorIN6thrust23THRUST_200600_302600_NS4pairIiiEENS0_10empty_typeEEEZZNS1_27merge_sort_block_merge_implIS3_NS6_6detail15normal_iteratorINS6_10device_ptrIS8_EEEEPS9_mNS6_4lessIS8_EEEE10hipError_tT0_T1_T2_jT3_P12ihipStream_tbPNSt15iterator_traitsISL_E10value_typeEPNSR_ISM_E10value_typeEPSN_NS1_7vsmem_tEENKUlT_SL_SM_SN_E_clIPS8_SG_SH_SH_EESK_S10_SL_SM_SN_EUlS10_E0_NS1_11comp_targetILNS1_3genE10ELNS1_11target_archE1201ELNS1_3gpuE5ELNS1_3repE0EEENS1_38merge_mergepath_config_static_selectorELNS0_4arch9wavefront6targetE1EEEvSM_
	.globl	_ZN7rocprim17ROCPRIM_400000_NS6detail17trampoline_kernelINS0_14default_configENS1_38merge_sort_block_merge_config_selectorIN6thrust23THRUST_200600_302600_NS4pairIiiEENS0_10empty_typeEEEZZNS1_27merge_sort_block_merge_implIS3_NS6_6detail15normal_iteratorINS6_10device_ptrIS8_EEEEPS9_mNS6_4lessIS8_EEEE10hipError_tT0_T1_T2_jT3_P12ihipStream_tbPNSt15iterator_traitsISL_E10value_typeEPNSR_ISM_E10value_typeEPSN_NS1_7vsmem_tEENKUlT_SL_SM_SN_E_clIPS8_SG_SH_SH_EESK_S10_SL_SM_SN_EUlS10_E0_NS1_11comp_targetILNS1_3genE10ELNS1_11target_archE1201ELNS1_3gpuE5ELNS1_3repE0EEENS1_38merge_mergepath_config_static_selectorELNS0_4arch9wavefront6targetE1EEEvSM_
	.p2align	8
	.type	_ZN7rocprim17ROCPRIM_400000_NS6detail17trampoline_kernelINS0_14default_configENS1_38merge_sort_block_merge_config_selectorIN6thrust23THRUST_200600_302600_NS4pairIiiEENS0_10empty_typeEEEZZNS1_27merge_sort_block_merge_implIS3_NS6_6detail15normal_iteratorINS6_10device_ptrIS8_EEEEPS9_mNS6_4lessIS8_EEEE10hipError_tT0_T1_T2_jT3_P12ihipStream_tbPNSt15iterator_traitsISL_E10value_typeEPNSR_ISM_E10value_typeEPSN_NS1_7vsmem_tEENKUlT_SL_SM_SN_E_clIPS8_SG_SH_SH_EESK_S10_SL_SM_SN_EUlS10_E0_NS1_11comp_targetILNS1_3genE10ELNS1_11target_archE1201ELNS1_3gpuE5ELNS1_3repE0EEENS1_38merge_mergepath_config_static_selectorELNS0_4arch9wavefront6targetE1EEEvSM_,@function
_ZN7rocprim17ROCPRIM_400000_NS6detail17trampoline_kernelINS0_14default_configENS1_38merge_sort_block_merge_config_selectorIN6thrust23THRUST_200600_302600_NS4pairIiiEENS0_10empty_typeEEEZZNS1_27merge_sort_block_merge_implIS3_NS6_6detail15normal_iteratorINS6_10device_ptrIS8_EEEEPS9_mNS6_4lessIS8_EEEE10hipError_tT0_T1_T2_jT3_P12ihipStream_tbPNSt15iterator_traitsISL_E10value_typeEPNSR_ISM_E10value_typeEPSN_NS1_7vsmem_tEENKUlT_SL_SM_SN_E_clIPS8_SG_SH_SH_EESK_S10_SL_SM_SN_EUlS10_E0_NS1_11comp_targetILNS1_3genE10ELNS1_11target_archE1201ELNS1_3gpuE5ELNS1_3repE0EEENS1_38merge_mergepath_config_static_selectorELNS0_4arch9wavefront6targetE1EEEvSM_: ; @_ZN7rocprim17ROCPRIM_400000_NS6detail17trampoline_kernelINS0_14default_configENS1_38merge_sort_block_merge_config_selectorIN6thrust23THRUST_200600_302600_NS4pairIiiEENS0_10empty_typeEEEZZNS1_27merge_sort_block_merge_implIS3_NS6_6detail15normal_iteratorINS6_10device_ptrIS8_EEEEPS9_mNS6_4lessIS8_EEEE10hipError_tT0_T1_T2_jT3_P12ihipStream_tbPNSt15iterator_traitsISL_E10value_typeEPNSR_ISM_E10value_typeEPSN_NS1_7vsmem_tEENKUlT_SL_SM_SN_E_clIPS8_SG_SH_SH_EESK_S10_SL_SM_SN_EUlS10_E0_NS1_11comp_targetILNS1_3genE10ELNS1_11target_archE1201ELNS1_3gpuE5ELNS1_3repE0EEENS1_38merge_mergepath_config_static_selectorELNS0_4arch9wavefront6targetE1EEEvSM_
; %bb.0:
	.section	.rodata,"a",@progbits
	.p2align	6, 0x0
	.amdhsa_kernel _ZN7rocprim17ROCPRIM_400000_NS6detail17trampoline_kernelINS0_14default_configENS1_38merge_sort_block_merge_config_selectorIN6thrust23THRUST_200600_302600_NS4pairIiiEENS0_10empty_typeEEEZZNS1_27merge_sort_block_merge_implIS3_NS6_6detail15normal_iteratorINS6_10device_ptrIS8_EEEEPS9_mNS6_4lessIS8_EEEE10hipError_tT0_T1_T2_jT3_P12ihipStream_tbPNSt15iterator_traitsISL_E10value_typeEPNSR_ISM_E10value_typeEPSN_NS1_7vsmem_tEENKUlT_SL_SM_SN_E_clIPS8_SG_SH_SH_EESK_S10_SL_SM_SN_EUlS10_E0_NS1_11comp_targetILNS1_3genE10ELNS1_11target_archE1201ELNS1_3gpuE5ELNS1_3repE0EEENS1_38merge_mergepath_config_static_selectorELNS0_4arch9wavefront6targetE1EEEvSM_
		.amdhsa_group_segment_fixed_size 0
		.amdhsa_private_segment_fixed_size 0
		.amdhsa_kernarg_size 72
		.amdhsa_user_sgpr_count 2
		.amdhsa_user_sgpr_dispatch_ptr 0
		.amdhsa_user_sgpr_queue_ptr 0
		.amdhsa_user_sgpr_kernarg_segment_ptr 1
		.amdhsa_user_sgpr_dispatch_id 0
		.amdhsa_user_sgpr_kernarg_preload_length 0
		.amdhsa_user_sgpr_kernarg_preload_offset 0
		.amdhsa_user_sgpr_private_segment_size 0
		.amdhsa_uses_dynamic_stack 0
		.amdhsa_enable_private_segment 0
		.amdhsa_system_sgpr_workgroup_id_x 1
		.amdhsa_system_sgpr_workgroup_id_y 0
		.amdhsa_system_sgpr_workgroup_id_z 0
		.amdhsa_system_sgpr_workgroup_info 0
		.amdhsa_system_vgpr_workitem_id 0
		.amdhsa_next_free_vgpr 1
		.amdhsa_next_free_sgpr 0
		.amdhsa_accum_offset 4
		.amdhsa_reserve_vcc 0
		.amdhsa_float_round_mode_32 0
		.amdhsa_float_round_mode_16_64 0
		.amdhsa_float_denorm_mode_32 3
		.amdhsa_float_denorm_mode_16_64 3
		.amdhsa_dx10_clamp 1
		.amdhsa_ieee_mode 1
		.amdhsa_fp16_overflow 0
		.amdhsa_tg_split 0
		.amdhsa_exception_fp_ieee_invalid_op 0
		.amdhsa_exception_fp_denorm_src 0
		.amdhsa_exception_fp_ieee_div_zero 0
		.amdhsa_exception_fp_ieee_overflow 0
		.amdhsa_exception_fp_ieee_underflow 0
		.amdhsa_exception_fp_ieee_inexact 0
		.amdhsa_exception_int_div_zero 0
	.end_amdhsa_kernel
	.section	.text._ZN7rocprim17ROCPRIM_400000_NS6detail17trampoline_kernelINS0_14default_configENS1_38merge_sort_block_merge_config_selectorIN6thrust23THRUST_200600_302600_NS4pairIiiEENS0_10empty_typeEEEZZNS1_27merge_sort_block_merge_implIS3_NS6_6detail15normal_iteratorINS6_10device_ptrIS8_EEEEPS9_mNS6_4lessIS8_EEEE10hipError_tT0_T1_T2_jT3_P12ihipStream_tbPNSt15iterator_traitsISL_E10value_typeEPNSR_ISM_E10value_typeEPSN_NS1_7vsmem_tEENKUlT_SL_SM_SN_E_clIPS8_SG_SH_SH_EESK_S10_SL_SM_SN_EUlS10_E0_NS1_11comp_targetILNS1_3genE10ELNS1_11target_archE1201ELNS1_3gpuE5ELNS1_3repE0EEENS1_38merge_mergepath_config_static_selectorELNS0_4arch9wavefront6targetE1EEEvSM_,"axG",@progbits,_ZN7rocprim17ROCPRIM_400000_NS6detail17trampoline_kernelINS0_14default_configENS1_38merge_sort_block_merge_config_selectorIN6thrust23THRUST_200600_302600_NS4pairIiiEENS0_10empty_typeEEEZZNS1_27merge_sort_block_merge_implIS3_NS6_6detail15normal_iteratorINS6_10device_ptrIS8_EEEEPS9_mNS6_4lessIS8_EEEE10hipError_tT0_T1_T2_jT3_P12ihipStream_tbPNSt15iterator_traitsISL_E10value_typeEPNSR_ISM_E10value_typeEPSN_NS1_7vsmem_tEENKUlT_SL_SM_SN_E_clIPS8_SG_SH_SH_EESK_S10_SL_SM_SN_EUlS10_E0_NS1_11comp_targetILNS1_3genE10ELNS1_11target_archE1201ELNS1_3gpuE5ELNS1_3repE0EEENS1_38merge_mergepath_config_static_selectorELNS0_4arch9wavefront6targetE1EEEvSM_,comdat
.Lfunc_end642:
	.size	_ZN7rocprim17ROCPRIM_400000_NS6detail17trampoline_kernelINS0_14default_configENS1_38merge_sort_block_merge_config_selectorIN6thrust23THRUST_200600_302600_NS4pairIiiEENS0_10empty_typeEEEZZNS1_27merge_sort_block_merge_implIS3_NS6_6detail15normal_iteratorINS6_10device_ptrIS8_EEEEPS9_mNS6_4lessIS8_EEEE10hipError_tT0_T1_T2_jT3_P12ihipStream_tbPNSt15iterator_traitsISL_E10value_typeEPNSR_ISM_E10value_typeEPSN_NS1_7vsmem_tEENKUlT_SL_SM_SN_E_clIPS8_SG_SH_SH_EESK_S10_SL_SM_SN_EUlS10_E0_NS1_11comp_targetILNS1_3genE10ELNS1_11target_archE1201ELNS1_3gpuE5ELNS1_3repE0EEENS1_38merge_mergepath_config_static_selectorELNS0_4arch9wavefront6targetE1EEEvSM_, .Lfunc_end642-_ZN7rocprim17ROCPRIM_400000_NS6detail17trampoline_kernelINS0_14default_configENS1_38merge_sort_block_merge_config_selectorIN6thrust23THRUST_200600_302600_NS4pairIiiEENS0_10empty_typeEEEZZNS1_27merge_sort_block_merge_implIS3_NS6_6detail15normal_iteratorINS6_10device_ptrIS8_EEEEPS9_mNS6_4lessIS8_EEEE10hipError_tT0_T1_T2_jT3_P12ihipStream_tbPNSt15iterator_traitsISL_E10value_typeEPNSR_ISM_E10value_typeEPSN_NS1_7vsmem_tEENKUlT_SL_SM_SN_E_clIPS8_SG_SH_SH_EESK_S10_SL_SM_SN_EUlS10_E0_NS1_11comp_targetILNS1_3genE10ELNS1_11target_archE1201ELNS1_3gpuE5ELNS1_3repE0EEENS1_38merge_mergepath_config_static_selectorELNS0_4arch9wavefront6targetE1EEEvSM_
                                        ; -- End function
	.set _ZN7rocprim17ROCPRIM_400000_NS6detail17trampoline_kernelINS0_14default_configENS1_38merge_sort_block_merge_config_selectorIN6thrust23THRUST_200600_302600_NS4pairIiiEENS0_10empty_typeEEEZZNS1_27merge_sort_block_merge_implIS3_NS6_6detail15normal_iteratorINS6_10device_ptrIS8_EEEEPS9_mNS6_4lessIS8_EEEE10hipError_tT0_T1_T2_jT3_P12ihipStream_tbPNSt15iterator_traitsISL_E10value_typeEPNSR_ISM_E10value_typeEPSN_NS1_7vsmem_tEENKUlT_SL_SM_SN_E_clIPS8_SG_SH_SH_EESK_S10_SL_SM_SN_EUlS10_E0_NS1_11comp_targetILNS1_3genE10ELNS1_11target_archE1201ELNS1_3gpuE5ELNS1_3repE0EEENS1_38merge_mergepath_config_static_selectorELNS0_4arch9wavefront6targetE1EEEvSM_.num_vgpr, 0
	.set _ZN7rocprim17ROCPRIM_400000_NS6detail17trampoline_kernelINS0_14default_configENS1_38merge_sort_block_merge_config_selectorIN6thrust23THRUST_200600_302600_NS4pairIiiEENS0_10empty_typeEEEZZNS1_27merge_sort_block_merge_implIS3_NS6_6detail15normal_iteratorINS6_10device_ptrIS8_EEEEPS9_mNS6_4lessIS8_EEEE10hipError_tT0_T1_T2_jT3_P12ihipStream_tbPNSt15iterator_traitsISL_E10value_typeEPNSR_ISM_E10value_typeEPSN_NS1_7vsmem_tEENKUlT_SL_SM_SN_E_clIPS8_SG_SH_SH_EESK_S10_SL_SM_SN_EUlS10_E0_NS1_11comp_targetILNS1_3genE10ELNS1_11target_archE1201ELNS1_3gpuE5ELNS1_3repE0EEENS1_38merge_mergepath_config_static_selectorELNS0_4arch9wavefront6targetE1EEEvSM_.num_agpr, 0
	.set _ZN7rocprim17ROCPRIM_400000_NS6detail17trampoline_kernelINS0_14default_configENS1_38merge_sort_block_merge_config_selectorIN6thrust23THRUST_200600_302600_NS4pairIiiEENS0_10empty_typeEEEZZNS1_27merge_sort_block_merge_implIS3_NS6_6detail15normal_iteratorINS6_10device_ptrIS8_EEEEPS9_mNS6_4lessIS8_EEEE10hipError_tT0_T1_T2_jT3_P12ihipStream_tbPNSt15iterator_traitsISL_E10value_typeEPNSR_ISM_E10value_typeEPSN_NS1_7vsmem_tEENKUlT_SL_SM_SN_E_clIPS8_SG_SH_SH_EESK_S10_SL_SM_SN_EUlS10_E0_NS1_11comp_targetILNS1_3genE10ELNS1_11target_archE1201ELNS1_3gpuE5ELNS1_3repE0EEENS1_38merge_mergepath_config_static_selectorELNS0_4arch9wavefront6targetE1EEEvSM_.numbered_sgpr, 0
	.set _ZN7rocprim17ROCPRIM_400000_NS6detail17trampoline_kernelINS0_14default_configENS1_38merge_sort_block_merge_config_selectorIN6thrust23THRUST_200600_302600_NS4pairIiiEENS0_10empty_typeEEEZZNS1_27merge_sort_block_merge_implIS3_NS6_6detail15normal_iteratorINS6_10device_ptrIS8_EEEEPS9_mNS6_4lessIS8_EEEE10hipError_tT0_T1_T2_jT3_P12ihipStream_tbPNSt15iterator_traitsISL_E10value_typeEPNSR_ISM_E10value_typeEPSN_NS1_7vsmem_tEENKUlT_SL_SM_SN_E_clIPS8_SG_SH_SH_EESK_S10_SL_SM_SN_EUlS10_E0_NS1_11comp_targetILNS1_3genE10ELNS1_11target_archE1201ELNS1_3gpuE5ELNS1_3repE0EEENS1_38merge_mergepath_config_static_selectorELNS0_4arch9wavefront6targetE1EEEvSM_.num_named_barrier, 0
	.set _ZN7rocprim17ROCPRIM_400000_NS6detail17trampoline_kernelINS0_14default_configENS1_38merge_sort_block_merge_config_selectorIN6thrust23THRUST_200600_302600_NS4pairIiiEENS0_10empty_typeEEEZZNS1_27merge_sort_block_merge_implIS3_NS6_6detail15normal_iteratorINS6_10device_ptrIS8_EEEEPS9_mNS6_4lessIS8_EEEE10hipError_tT0_T1_T2_jT3_P12ihipStream_tbPNSt15iterator_traitsISL_E10value_typeEPNSR_ISM_E10value_typeEPSN_NS1_7vsmem_tEENKUlT_SL_SM_SN_E_clIPS8_SG_SH_SH_EESK_S10_SL_SM_SN_EUlS10_E0_NS1_11comp_targetILNS1_3genE10ELNS1_11target_archE1201ELNS1_3gpuE5ELNS1_3repE0EEENS1_38merge_mergepath_config_static_selectorELNS0_4arch9wavefront6targetE1EEEvSM_.private_seg_size, 0
	.set _ZN7rocprim17ROCPRIM_400000_NS6detail17trampoline_kernelINS0_14default_configENS1_38merge_sort_block_merge_config_selectorIN6thrust23THRUST_200600_302600_NS4pairIiiEENS0_10empty_typeEEEZZNS1_27merge_sort_block_merge_implIS3_NS6_6detail15normal_iteratorINS6_10device_ptrIS8_EEEEPS9_mNS6_4lessIS8_EEEE10hipError_tT0_T1_T2_jT3_P12ihipStream_tbPNSt15iterator_traitsISL_E10value_typeEPNSR_ISM_E10value_typeEPSN_NS1_7vsmem_tEENKUlT_SL_SM_SN_E_clIPS8_SG_SH_SH_EESK_S10_SL_SM_SN_EUlS10_E0_NS1_11comp_targetILNS1_3genE10ELNS1_11target_archE1201ELNS1_3gpuE5ELNS1_3repE0EEENS1_38merge_mergepath_config_static_selectorELNS0_4arch9wavefront6targetE1EEEvSM_.uses_vcc, 0
	.set _ZN7rocprim17ROCPRIM_400000_NS6detail17trampoline_kernelINS0_14default_configENS1_38merge_sort_block_merge_config_selectorIN6thrust23THRUST_200600_302600_NS4pairIiiEENS0_10empty_typeEEEZZNS1_27merge_sort_block_merge_implIS3_NS6_6detail15normal_iteratorINS6_10device_ptrIS8_EEEEPS9_mNS6_4lessIS8_EEEE10hipError_tT0_T1_T2_jT3_P12ihipStream_tbPNSt15iterator_traitsISL_E10value_typeEPNSR_ISM_E10value_typeEPSN_NS1_7vsmem_tEENKUlT_SL_SM_SN_E_clIPS8_SG_SH_SH_EESK_S10_SL_SM_SN_EUlS10_E0_NS1_11comp_targetILNS1_3genE10ELNS1_11target_archE1201ELNS1_3gpuE5ELNS1_3repE0EEENS1_38merge_mergepath_config_static_selectorELNS0_4arch9wavefront6targetE1EEEvSM_.uses_flat_scratch, 0
	.set _ZN7rocprim17ROCPRIM_400000_NS6detail17trampoline_kernelINS0_14default_configENS1_38merge_sort_block_merge_config_selectorIN6thrust23THRUST_200600_302600_NS4pairIiiEENS0_10empty_typeEEEZZNS1_27merge_sort_block_merge_implIS3_NS6_6detail15normal_iteratorINS6_10device_ptrIS8_EEEEPS9_mNS6_4lessIS8_EEEE10hipError_tT0_T1_T2_jT3_P12ihipStream_tbPNSt15iterator_traitsISL_E10value_typeEPNSR_ISM_E10value_typeEPSN_NS1_7vsmem_tEENKUlT_SL_SM_SN_E_clIPS8_SG_SH_SH_EESK_S10_SL_SM_SN_EUlS10_E0_NS1_11comp_targetILNS1_3genE10ELNS1_11target_archE1201ELNS1_3gpuE5ELNS1_3repE0EEENS1_38merge_mergepath_config_static_selectorELNS0_4arch9wavefront6targetE1EEEvSM_.has_dyn_sized_stack, 0
	.set _ZN7rocprim17ROCPRIM_400000_NS6detail17trampoline_kernelINS0_14default_configENS1_38merge_sort_block_merge_config_selectorIN6thrust23THRUST_200600_302600_NS4pairIiiEENS0_10empty_typeEEEZZNS1_27merge_sort_block_merge_implIS3_NS6_6detail15normal_iteratorINS6_10device_ptrIS8_EEEEPS9_mNS6_4lessIS8_EEEE10hipError_tT0_T1_T2_jT3_P12ihipStream_tbPNSt15iterator_traitsISL_E10value_typeEPNSR_ISM_E10value_typeEPSN_NS1_7vsmem_tEENKUlT_SL_SM_SN_E_clIPS8_SG_SH_SH_EESK_S10_SL_SM_SN_EUlS10_E0_NS1_11comp_targetILNS1_3genE10ELNS1_11target_archE1201ELNS1_3gpuE5ELNS1_3repE0EEENS1_38merge_mergepath_config_static_selectorELNS0_4arch9wavefront6targetE1EEEvSM_.has_recursion, 0
	.set _ZN7rocprim17ROCPRIM_400000_NS6detail17trampoline_kernelINS0_14default_configENS1_38merge_sort_block_merge_config_selectorIN6thrust23THRUST_200600_302600_NS4pairIiiEENS0_10empty_typeEEEZZNS1_27merge_sort_block_merge_implIS3_NS6_6detail15normal_iteratorINS6_10device_ptrIS8_EEEEPS9_mNS6_4lessIS8_EEEE10hipError_tT0_T1_T2_jT3_P12ihipStream_tbPNSt15iterator_traitsISL_E10value_typeEPNSR_ISM_E10value_typeEPSN_NS1_7vsmem_tEENKUlT_SL_SM_SN_E_clIPS8_SG_SH_SH_EESK_S10_SL_SM_SN_EUlS10_E0_NS1_11comp_targetILNS1_3genE10ELNS1_11target_archE1201ELNS1_3gpuE5ELNS1_3repE0EEENS1_38merge_mergepath_config_static_selectorELNS0_4arch9wavefront6targetE1EEEvSM_.has_indirect_call, 0
	.section	.AMDGPU.csdata,"",@progbits
; Kernel info:
; codeLenInByte = 0
; TotalNumSgprs: 6
; NumVgprs: 0
; NumAgprs: 0
; TotalNumVgprs: 0
; ScratchSize: 0
; MemoryBound: 0
; FloatMode: 240
; IeeeMode: 1
; LDSByteSize: 0 bytes/workgroup (compile time only)
; SGPRBlocks: 0
; VGPRBlocks: 0
; NumSGPRsForWavesPerEU: 6
; NumVGPRsForWavesPerEU: 1
; AccumOffset: 4
; Occupancy: 8
; WaveLimiterHint : 0
; COMPUTE_PGM_RSRC2:SCRATCH_EN: 0
; COMPUTE_PGM_RSRC2:USER_SGPR: 2
; COMPUTE_PGM_RSRC2:TRAP_HANDLER: 0
; COMPUTE_PGM_RSRC2:TGID_X_EN: 1
; COMPUTE_PGM_RSRC2:TGID_Y_EN: 0
; COMPUTE_PGM_RSRC2:TGID_Z_EN: 0
; COMPUTE_PGM_RSRC2:TIDIG_COMP_CNT: 0
; COMPUTE_PGM_RSRC3_GFX90A:ACCUM_OFFSET: 0
; COMPUTE_PGM_RSRC3_GFX90A:TG_SPLIT: 0
	.section	.text._ZN7rocprim17ROCPRIM_400000_NS6detail17trampoline_kernelINS0_14default_configENS1_38merge_sort_block_merge_config_selectorIN6thrust23THRUST_200600_302600_NS4pairIiiEENS0_10empty_typeEEEZZNS1_27merge_sort_block_merge_implIS3_NS6_6detail15normal_iteratorINS6_10device_ptrIS8_EEEEPS9_mNS6_4lessIS8_EEEE10hipError_tT0_T1_T2_jT3_P12ihipStream_tbPNSt15iterator_traitsISL_E10value_typeEPNSR_ISM_E10value_typeEPSN_NS1_7vsmem_tEENKUlT_SL_SM_SN_E_clIPS8_SG_SH_SH_EESK_S10_SL_SM_SN_EUlS10_E0_NS1_11comp_targetILNS1_3genE5ELNS1_11target_archE942ELNS1_3gpuE9ELNS1_3repE0EEENS1_38merge_mergepath_config_static_selectorELNS0_4arch9wavefront6targetE1EEEvSM_,"axG",@progbits,_ZN7rocprim17ROCPRIM_400000_NS6detail17trampoline_kernelINS0_14default_configENS1_38merge_sort_block_merge_config_selectorIN6thrust23THRUST_200600_302600_NS4pairIiiEENS0_10empty_typeEEEZZNS1_27merge_sort_block_merge_implIS3_NS6_6detail15normal_iteratorINS6_10device_ptrIS8_EEEEPS9_mNS6_4lessIS8_EEEE10hipError_tT0_T1_T2_jT3_P12ihipStream_tbPNSt15iterator_traitsISL_E10value_typeEPNSR_ISM_E10value_typeEPSN_NS1_7vsmem_tEENKUlT_SL_SM_SN_E_clIPS8_SG_SH_SH_EESK_S10_SL_SM_SN_EUlS10_E0_NS1_11comp_targetILNS1_3genE5ELNS1_11target_archE942ELNS1_3gpuE9ELNS1_3repE0EEENS1_38merge_mergepath_config_static_selectorELNS0_4arch9wavefront6targetE1EEEvSM_,comdat
	.protected	_ZN7rocprim17ROCPRIM_400000_NS6detail17trampoline_kernelINS0_14default_configENS1_38merge_sort_block_merge_config_selectorIN6thrust23THRUST_200600_302600_NS4pairIiiEENS0_10empty_typeEEEZZNS1_27merge_sort_block_merge_implIS3_NS6_6detail15normal_iteratorINS6_10device_ptrIS8_EEEEPS9_mNS6_4lessIS8_EEEE10hipError_tT0_T1_T2_jT3_P12ihipStream_tbPNSt15iterator_traitsISL_E10value_typeEPNSR_ISM_E10value_typeEPSN_NS1_7vsmem_tEENKUlT_SL_SM_SN_E_clIPS8_SG_SH_SH_EESK_S10_SL_SM_SN_EUlS10_E0_NS1_11comp_targetILNS1_3genE5ELNS1_11target_archE942ELNS1_3gpuE9ELNS1_3repE0EEENS1_38merge_mergepath_config_static_selectorELNS0_4arch9wavefront6targetE1EEEvSM_ ; -- Begin function _ZN7rocprim17ROCPRIM_400000_NS6detail17trampoline_kernelINS0_14default_configENS1_38merge_sort_block_merge_config_selectorIN6thrust23THRUST_200600_302600_NS4pairIiiEENS0_10empty_typeEEEZZNS1_27merge_sort_block_merge_implIS3_NS6_6detail15normal_iteratorINS6_10device_ptrIS8_EEEEPS9_mNS6_4lessIS8_EEEE10hipError_tT0_T1_T2_jT3_P12ihipStream_tbPNSt15iterator_traitsISL_E10value_typeEPNSR_ISM_E10value_typeEPSN_NS1_7vsmem_tEENKUlT_SL_SM_SN_E_clIPS8_SG_SH_SH_EESK_S10_SL_SM_SN_EUlS10_E0_NS1_11comp_targetILNS1_3genE5ELNS1_11target_archE942ELNS1_3gpuE9ELNS1_3repE0EEENS1_38merge_mergepath_config_static_selectorELNS0_4arch9wavefront6targetE1EEEvSM_
	.globl	_ZN7rocprim17ROCPRIM_400000_NS6detail17trampoline_kernelINS0_14default_configENS1_38merge_sort_block_merge_config_selectorIN6thrust23THRUST_200600_302600_NS4pairIiiEENS0_10empty_typeEEEZZNS1_27merge_sort_block_merge_implIS3_NS6_6detail15normal_iteratorINS6_10device_ptrIS8_EEEEPS9_mNS6_4lessIS8_EEEE10hipError_tT0_T1_T2_jT3_P12ihipStream_tbPNSt15iterator_traitsISL_E10value_typeEPNSR_ISM_E10value_typeEPSN_NS1_7vsmem_tEENKUlT_SL_SM_SN_E_clIPS8_SG_SH_SH_EESK_S10_SL_SM_SN_EUlS10_E0_NS1_11comp_targetILNS1_3genE5ELNS1_11target_archE942ELNS1_3gpuE9ELNS1_3repE0EEENS1_38merge_mergepath_config_static_selectorELNS0_4arch9wavefront6targetE1EEEvSM_
	.p2align	8
	.type	_ZN7rocprim17ROCPRIM_400000_NS6detail17trampoline_kernelINS0_14default_configENS1_38merge_sort_block_merge_config_selectorIN6thrust23THRUST_200600_302600_NS4pairIiiEENS0_10empty_typeEEEZZNS1_27merge_sort_block_merge_implIS3_NS6_6detail15normal_iteratorINS6_10device_ptrIS8_EEEEPS9_mNS6_4lessIS8_EEEE10hipError_tT0_T1_T2_jT3_P12ihipStream_tbPNSt15iterator_traitsISL_E10value_typeEPNSR_ISM_E10value_typeEPSN_NS1_7vsmem_tEENKUlT_SL_SM_SN_E_clIPS8_SG_SH_SH_EESK_S10_SL_SM_SN_EUlS10_E0_NS1_11comp_targetILNS1_3genE5ELNS1_11target_archE942ELNS1_3gpuE9ELNS1_3repE0EEENS1_38merge_mergepath_config_static_selectorELNS0_4arch9wavefront6targetE1EEEvSM_,@function
_ZN7rocprim17ROCPRIM_400000_NS6detail17trampoline_kernelINS0_14default_configENS1_38merge_sort_block_merge_config_selectorIN6thrust23THRUST_200600_302600_NS4pairIiiEENS0_10empty_typeEEEZZNS1_27merge_sort_block_merge_implIS3_NS6_6detail15normal_iteratorINS6_10device_ptrIS8_EEEEPS9_mNS6_4lessIS8_EEEE10hipError_tT0_T1_T2_jT3_P12ihipStream_tbPNSt15iterator_traitsISL_E10value_typeEPNSR_ISM_E10value_typeEPSN_NS1_7vsmem_tEENKUlT_SL_SM_SN_E_clIPS8_SG_SH_SH_EESK_S10_SL_SM_SN_EUlS10_E0_NS1_11comp_targetILNS1_3genE5ELNS1_11target_archE942ELNS1_3gpuE9ELNS1_3repE0EEENS1_38merge_mergepath_config_static_selectorELNS0_4arch9wavefront6targetE1EEEvSM_: ; @_ZN7rocprim17ROCPRIM_400000_NS6detail17trampoline_kernelINS0_14default_configENS1_38merge_sort_block_merge_config_selectorIN6thrust23THRUST_200600_302600_NS4pairIiiEENS0_10empty_typeEEEZZNS1_27merge_sort_block_merge_implIS3_NS6_6detail15normal_iteratorINS6_10device_ptrIS8_EEEEPS9_mNS6_4lessIS8_EEEE10hipError_tT0_T1_T2_jT3_P12ihipStream_tbPNSt15iterator_traitsISL_E10value_typeEPNSR_ISM_E10value_typeEPSN_NS1_7vsmem_tEENKUlT_SL_SM_SN_E_clIPS8_SG_SH_SH_EESK_S10_SL_SM_SN_EUlS10_E0_NS1_11comp_targetILNS1_3genE5ELNS1_11target_archE942ELNS1_3gpuE9ELNS1_3repE0EEENS1_38merge_mergepath_config_static_selectorELNS0_4arch9wavefront6targetE1EEEvSM_
; %bb.0:
	.section	.rodata,"a",@progbits
	.p2align	6, 0x0
	.amdhsa_kernel _ZN7rocprim17ROCPRIM_400000_NS6detail17trampoline_kernelINS0_14default_configENS1_38merge_sort_block_merge_config_selectorIN6thrust23THRUST_200600_302600_NS4pairIiiEENS0_10empty_typeEEEZZNS1_27merge_sort_block_merge_implIS3_NS6_6detail15normal_iteratorINS6_10device_ptrIS8_EEEEPS9_mNS6_4lessIS8_EEEE10hipError_tT0_T1_T2_jT3_P12ihipStream_tbPNSt15iterator_traitsISL_E10value_typeEPNSR_ISM_E10value_typeEPSN_NS1_7vsmem_tEENKUlT_SL_SM_SN_E_clIPS8_SG_SH_SH_EESK_S10_SL_SM_SN_EUlS10_E0_NS1_11comp_targetILNS1_3genE5ELNS1_11target_archE942ELNS1_3gpuE9ELNS1_3repE0EEENS1_38merge_mergepath_config_static_selectorELNS0_4arch9wavefront6targetE1EEEvSM_
		.amdhsa_group_segment_fixed_size 0
		.amdhsa_private_segment_fixed_size 0
		.amdhsa_kernarg_size 72
		.amdhsa_user_sgpr_count 2
		.amdhsa_user_sgpr_dispatch_ptr 0
		.amdhsa_user_sgpr_queue_ptr 0
		.amdhsa_user_sgpr_kernarg_segment_ptr 1
		.amdhsa_user_sgpr_dispatch_id 0
		.amdhsa_user_sgpr_kernarg_preload_length 0
		.amdhsa_user_sgpr_kernarg_preload_offset 0
		.amdhsa_user_sgpr_private_segment_size 0
		.amdhsa_uses_dynamic_stack 0
		.amdhsa_enable_private_segment 0
		.amdhsa_system_sgpr_workgroup_id_x 1
		.amdhsa_system_sgpr_workgroup_id_y 0
		.amdhsa_system_sgpr_workgroup_id_z 0
		.amdhsa_system_sgpr_workgroup_info 0
		.amdhsa_system_vgpr_workitem_id 0
		.amdhsa_next_free_vgpr 1
		.amdhsa_next_free_sgpr 0
		.amdhsa_accum_offset 4
		.amdhsa_reserve_vcc 0
		.amdhsa_float_round_mode_32 0
		.amdhsa_float_round_mode_16_64 0
		.amdhsa_float_denorm_mode_32 3
		.amdhsa_float_denorm_mode_16_64 3
		.amdhsa_dx10_clamp 1
		.amdhsa_ieee_mode 1
		.amdhsa_fp16_overflow 0
		.amdhsa_tg_split 0
		.amdhsa_exception_fp_ieee_invalid_op 0
		.amdhsa_exception_fp_denorm_src 0
		.amdhsa_exception_fp_ieee_div_zero 0
		.amdhsa_exception_fp_ieee_overflow 0
		.amdhsa_exception_fp_ieee_underflow 0
		.amdhsa_exception_fp_ieee_inexact 0
		.amdhsa_exception_int_div_zero 0
	.end_amdhsa_kernel
	.section	.text._ZN7rocprim17ROCPRIM_400000_NS6detail17trampoline_kernelINS0_14default_configENS1_38merge_sort_block_merge_config_selectorIN6thrust23THRUST_200600_302600_NS4pairIiiEENS0_10empty_typeEEEZZNS1_27merge_sort_block_merge_implIS3_NS6_6detail15normal_iteratorINS6_10device_ptrIS8_EEEEPS9_mNS6_4lessIS8_EEEE10hipError_tT0_T1_T2_jT3_P12ihipStream_tbPNSt15iterator_traitsISL_E10value_typeEPNSR_ISM_E10value_typeEPSN_NS1_7vsmem_tEENKUlT_SL_SM_SN_E_clIPS8_SG_SH_SH_EESK_S10_SL_SM_SN_EUlS10_E0_NS1_11comp_targetILNS1_3genE5ELNS1_11target_archE942ELNS1_3gpuE9ELNS1_3repE0EEENS1_38merge_mergepath_config_static_selectorELNS0_4arch9wavefront6targetE1EEEvSM_,"axG",@progbits,_ZN7rocprim17ROCPRIM_400000_NS6detail17trampoline_kernelINS0_14default_configENS1_38merge_sort_block_merge_config_selectorIN6thrust23THRUST_200600_302600_NS4pairIiiEENS0_10empty_typeEEEZZNS1_27merge_sort_block_merge_implIS3_NS6_6detail15normal_iteratorINS6_10device_ptrIS8_EEEEPS9_mNS6_4lessIS8_EEEE10hipError_tT0_T1_T2_jT3_P12ihipStream_tbPNSt15iterator_traitsISL_E10value_typeEPNSR_ISM_E10value_typeEPSN_NS1_7vsmem_tEENKUlT_SL_SM_SN_E_clIPS8_SG_SH_SH_EESK_S10_SL_SM_SN_EUlS10_E0_NS1_11comp_targetILNS1_3genE5ELNS1_11target_archE942ELNS1_3gpuE9ELNS1_3repE0EEENS1_38merge_mergepath_config_static_selectorELNS0_4arch9wavefront6targetE1EEEvSM_,comdat
.Lfunc_end643:
	.size	_ZN7rocprim17ROCPRIM_400000_NS6detail17trampoline_kernelINS0_14default_configENS1_38merge_sort_block_merge_config_selectorIN6thrust23THRUST_200600_302600_NS4pairIiiEENS0_10empty_typeEEEZZNS1_27merge_sort_block_merge_implIS3_NS6_6detail15normal_iteratorINS6_10device_ptrIS8_EEEEPS9_mNS6_4lessIS8_EEEE10hipError_tT0_T1_T2_jT3_P12ihipStream_tbPNSt15iterator_traitsISL_E10value_typeEPNSR_ISM_E10value_typeEPSN_NS1_7vsmem_tEENKUlT_SL_SM_SN_E_clIPS8_SG_SH_SH_EESK_S10_SL_SM_SN_EUlS10_E0_NS1_11comp_targetILNS1_3genE5ELNS1_11target_archE942ELNS1_3gpuE9ELNS1_3repE0EEENS1_38merge_mergepath_config_static_selectorELNS0_4arch9wavefront6targetE1EEEvSM_, .Lfunc_end643-_ZN7rocprim17ROCPRIM_400000_NS6detail17trampoline_kernelINS0_14default_configENS1_38merge_sort_block_merge_config_selectorIN6thrust23THRUST_200600_302600_NS4pairIiiEENS0_10empty_typeEEEZZNS1_27merge_sort_block_merge_implIS3_NS6_6detail15normal_iteratorINS6_10device_ptrIS8_EEEEPS9_mNS6_4lessIS8_EEEE10hipError_tT0_T1_T2_jT3_P12ihipStream_tbPNSt15iterator_traitsISL_E10value_typeEPNSR_ISM_E10value_typeEPSN_NS1_7vsmem_tEENKUlT_SL_SM_SN_E_clIPS8_SG_SH_SH_EESK_S10_SL_SM_SN_EUlS10_E0_NS1_11comp_targetILNS1_3genE5ELNS1_11target_archE942ELNS1_3gpuE9ELNS1_3repE0EEENS1_38merge_mergepath_config_static_selectorELNS0_4arch9wavefront6targetE1EEEvSM_
                                        ; -- End function
	.set _ZN7rocprim17ROCPRIM_400000_NS6detail17trampoline_kernelINS0_14default_configENS1_38merge_sort_block_merge_config_selectorIN6thrust23THRUST_200600_302600_NS4pairIiiEENS0_10empty_typeEEEZZNS1_27merge_sort_block_merge_implIS3_NS6_6detail15normal_iteratorINS6_10device_ptrIS8_EEEEPS9_mNS6_4lessIS8_EEEE10hipError_tT0_T1_T2_jT3_P12ihipStream_tbPNSt15iterator_traitsISL_E10value_typeEPNSR_ISM_E10value_typeEPSN_NS1_7vsmem_tEENKUlT_SL_SM_SN_E_clIPS8_SG_SH_SH_EESK_S10_SL_SM_SN_EUlS10_E0_NS1_11comp_targetILNS1_3genE5ELNS1_11target_archE942ELNS1_3gpuE9ELNS1_3repE0EEENS1_38merge_mergepath_config_static_selectorELNS0_4arch9wavefront6targetE1EEEvSM_.num_vgpr, 0
	.set _ZN7rocprim17ROCPRIM_400000_NS6detail17trampoline_kernelINS0_14default_configENS1_38merge_sort_block_merge_config_selectorIN6thrust23THRUST_200600_302600_NS4pairIiiEENS0_10empty_typeEEEZZNS1_27merge_sort_block_merge_implIS3_NS6_6detail15normal_iteratorINS6_10device_ptrIS8_EEEEPS9_mNS6_4lessIS8_EEEE10hipError_tT0_T1_T2_jT3_P12ihipStream_tbPNSt15iterator_traitsISL_E10value_typeEPNSR_ISM_E10value_typeEPSN_NS1_7vsmem_tEENKUlT_SL_SM_SN_E_clIPS8_SG_SH_SH_EESK_S10_SL_SM_SN_EUlS10_E0_NS1_11comp_targetILNS1_3genE5ELNS1_11target_archE942ELNS1_3gpuE9ELNS1_3repE0EEENS1_38merge_mergepath_config_static_selectorELNS0_4arch9wavefront6targetE1EEEvSM_.num_agpr, 0
	.set _ZN7rocprim17ROCPRIM_400000_NS6detail17trampoline_kernelINS0_14default_configENS1_38merge_sort_block_merge_config_selectorIN6thrust23THRUST_200600_302600_NS4pairIiiEENS0_10empty_typeEEEZZNS1_27merge_sort_block_merge_implIS3_NS6_6detail15normal_iteratorINS6_10device_ptrIS8_EEEEPS9_mNS6_4lessIS8_EEEE10hipError_tT0_T1_T2_jT3_P12ihipStream_tbPNSt15iterator_traitsISL_E10value_typeEPNSR_ISM_E10value_typeEPSN_NS1_7vsmem_tEENKUlT_SL_SM_SN_E_clIPS8_SG_SH_SH_EESK_S10_SL_SM_SN_EUlS10_E0_NS1_11comp_targetILNS1_3genE5ELNS1_11target_archE942ELNS1_3gpuE9ELNS1_3repE0EEENS1_38merge_mergepath_config_static_selectorELNS0_4arch9wavefront6targetE1EEEvSM_.numbered_sgpr, 0
	.set _ZN7rocprim17ROCPRIM_400000_NS6detail17trampoline_kernelINS0_14default_configENS1_38merge_sort_block_merge_config_selectorIN6thrust23THRUST_200600_302600_NS4pairIiiEENS0_10empty_typeEEEZZNS1_27merge_sort_block_merge_implIS3_NS6_6detail15normal_iteratorINS6_10device_ptrIS8_EEEEPS9_mNS6_4lessIS8_EEEE10hipError_tT0_T1_T2_jT3_P12ihipStream_tbPNSt15iterator_traitsISL_E10value_typeEPNSR_ISM_E10value_typeEPSN_NS1_7vsmem_tEENKUlT_SL_SM_SN_E_clIPS8_SG_SH_SH_EESK_S10_SL_SM_SN_EUlS10_E0_NS1_11comp_targetILNS1_3genE5ELNS1_11target_archE942ELNS1_3gpuE9ELNS1_3repE0EEENS1_38merge_mergepath_config_static_selectorELNS0_4arch9wavefront6targetE1EEEvSM_.num_named_barrier, 0
	.set _ZN7rocprim17ROCPRIM_400000_NS6detail17trampoline_kernelINS0_14default_configENS1_38merge_sort_block_merge_config_selectorIN6thrust23THRUST_200600_302600_NS4pairIiiEENS0_10empty_typeEEEZZNS1_27merge_sort_block_merge_implIS3_NS6_6detail15normal_iteratorINS6_10device_ptrIS8_EEEEPS9_mNS6_4lessIS8_EEEE10hipError_tT0_T1_T2_jT3_P12ihipStream_tbPNSt15iterator_traitsISL_E10value_typeEPNSR_ISM_E10value_typeEPSN_NS1_7vsmem_tEENKUlT_SL_SM_SN_E_clIPS8_SG_SH_SH_EESK_S10_SL_SM_SN_EUlS10_E0_NS1_11comp_targetILNS1_3genE5ELNS1_11target_archE942ELNS1_3gpuE9ELNS1_3repE0EEENS1_38merge_mergepath_config_static_selectorELNS0_4arch9wavefront6targetE1EEEvSM_.private_seg_size, 0
	.set _ZN7rocprim17ROCPRIM_400000_NS6detail17trampoline_kernelINS0_14default_configENS1_38merge_sort_block_merge_config_selectorIN6thrust23THRUST_200600_302600_NS4pairIiiEENS0_10empty_typeEEEZZNS1_27merge_sort_block_merge_implIS3_NS6_6detail15normal_iteratorINS6_10device_ptrIS8_EEEEPS9_mNS6_4lessIS8_EEEE10hipError_tT0_T1_T2_jT3_P12ihipStream_tbPNSt15iterator_traitsISL_E10value_typeEPNSR_ISM_E10value_typeEPSN_NS1_7vsmem_tEENKUlT_SL_SM_SN_E_clIPS8_SG_SH_SH_EESK_S10_SL_SM_SN_EUlS10_E0_NS1_11comp_targetILNS1_3genE5ELNS1_11target_archE942ELNS1_3gpuE9ELNS1_3repE0EEENS1_38merge_mergepath_config_static_selectorELNS0_4arch9wavefront6targetE1EEEvSM_.uses_vcc, 0
	.set _ZN7rocprim17ROCPRIM_400000_NS6detail17trampoline_kernelINS0_14default_configENS1_38merge_sort_block_merge_config_selectorIN6thrust23THRUST_200600_302600_NS4pairIiiEENS0_10empty_typeEEEZZNS1_27merge_sort_block_merge_implIS3_NS6_6detail15normal_iteratorINS6_10device_ptrIS8_EEEEPS9_mNS6_4lessIS8_EEEE10hipError_tT0_T1_T2_jT3_P12ihipStream_tbPNSt15iterator_traitsISL_E10value_typeEPNSR_ISM_E10value_typeEPSN_NS1_7vsmem_tEENKUlT_SL_SM_SN_E_clIPS8_SG_SH_SH_EESK_S10_SL_SM_SN_EUlS10_E0_NS1_11comp_targetILNS1_3genE5ELNS1_11target_archE942ELNS1_3gpuE9ELNS1_3repE0EEENS1_38merge_mergepath_config_static_selectorELNS0_4arch9wavefront6targetE1EEEvSM_.uses_flat_scratch, 0
	.set _ZN7rocprim17ROCPRIM_400000_NS6detail17trampoline_kernelINS0_14default_configENS1_38merge_sort_block_merge_config_selectorIN6thrust23THRUST_200600_302600_NS4pairIiiEENS0_10empty_typeEEEZZNS1_27merge_sort_block_merge_implIS3_NS6_6detail15normal_iteratorINS6_10device_ptrIS8_EEEEPS9_mNS6_4lessIS8_EEEE10hipError_tT0_T1_T2_jT3_P12ihipStream_tbPNSt15iterator_traitsISL_E10value_typeEPNSR_ISM_E10value_typeEPSN_NS1_7vsmem_tEENKUlT_SL_SM_SN_E_clIPS8_SG_SH_SH_EESK_S10_SL_SM_SN_EUlS10_E0_NS1_11comp_targetILNS1_3genE5ELNS1_11target_archE942ELNS1_3gpuE9ELNS1_3repE0EEENS1_38merge_mergepath_config_static_selectorELNS0_4arch9wavefront6targetE1EEEvSM_.has_dyn_sized_stack, 0
	.set _ZN7rocprim17ROCPRIM_400000_NS6detail17trampoline_kernelINS0_14default_configENS1_38merge_sort_block_merge_config_selectorIN6thrust23THRUST_200600_302600_NS4pairIiiEENS0_10empty_typeEEEZZNS1_27merge_sort_block_merge_implIS3_NS6_6detail15normal_iteratorINS6_10device_ptrIS8_EEEEPS9_mNS6_4lessIS8_EEEE10hipError_tT0_T1_T2_jT3_P12ihipStream_tbPNSt15iterator_traitsISL_E10value_typeEPNSR_ISM_E10value_typeEPSN_NS1_7vsmem_tEENKUlT_SL_SM_SN_E_clIPS8_SG_SH_SH_EESK_S10_SL_SM_SN_EUlS10_E0_NS1_11comp_targetILNS1_3genE5ELNS1_11target_archE942ELNS1_3gpuE9ELNS1_3repE0EEENS1_38merge_mergepath_config_static_selectorELNS0_4arch9wavefront6targetE1EEEvSM_.has_recursion, 0
	.set _ZN7rocprim17ROCPRIM_400000_NS6detail17trampoline_kernelINS0_14default_configENS1_38merge_sort_block_merge_config_selectorIN6thrust23THRUST_200600_302600_NS4pairIiiEENS0_10empty_typeEEEZZNS1_27merge_sort_block_merge_implIS3_NS6_6detail15normal_iteratorINS6_10device_ptrIS8_EEEEPS9_mNS6_4lessIS8_EEEE10hipError_tT0_T1_T2_jT3_P12ihipStream_tbPNSt15iterator_traitsISL_E10value_typeEPNSR_ISM_E10value_typeEPSN_NS1_7vsmem_tEENKUlT_SL_SM_SN_E_clIPS8_SG_SH_SH_EESK_S10_SL_SM_SN_EUlS10_E0_NS1_11comp_targetILNS1_3genE5ELNS1_11target_archE942ELNS1_3gpuE9ELNS1_3repE0EEENS1_38merge_mergepath_config_static_selectorELNS0_4arch9wavefront6targetE1EEEvSM_.has_indirect_call, 0
	.section	.AMDGPU.csdata,"",@progbits
; Kernel info:
; codeLenInByte = 0
; TotalNumSgprs: 6
; NumVgprs: 0
; NumAgprs: 0
; TotalNumVgprs: 0
; ScratchSize: 0
; MemoryBound: 0
; FloatMode: 240
; IeeeMode: 1
; LDSByteSize: 0 bytes/workgroup (compile time only)
; SGPRBlocks: 0
; VGPRBlocks: 0
; NumSGPRsForWavesPerEU: 6
; NumVGPRsForWavesPerEU: 1
; AccumOffset: 4
; Occupancy: 8
; WaveLimiterHint : 0
; COMPUTE_PGM_RSRC2:SCRATCH_EN: 0
; COMPUTE_PGM_RSRC2:USER_SGPR: 2
; COMPUTE_PGM_RSRC2:TRAP_HANDLER: 0
; COMPUTE_PGM_RSRC2:TGID_X_EN: 1
; COMPUTE_PGM_RSRC2:TGID_Y_EN: 0
; COMPUTE_PGM_RSRC2:TGID_Z_EN: 0
; COMPUTE_PGM_RSRC2:TIDIG_COMP_CNT: 0
; COMPUTE_PGM_RSRC3_GFX90A:ACCUM_OFFSET: 0
; COMPUTE_PGM_RSRC3_GFX90A:TG_SPLIT: 0
	.section	.text._ZN7rocprim17ROCPRIM_400000_NS6detail17trampoline_kernelINS0_14default_configENS1_38merge_sort_block_merge_config_selectorIN6thrust23THRUST_200600_302600_NS4pairIiiEENS0_10empty_typeEEEZZNS1_27merge_sort_block_merge_implIS3_NS6_6detail15normal_iteratorINS6_10device_ptrIS8_EEEEPS9_mNS6_4lessIS8_EEEE10hipError_tT0_T1_T2_jT3_P12ihipStream_tbPNSt15iterator_traitsISL_E10value_typeEPNSR_ISM_E10value_typeEPSN_NS1_7vsmem_tEENKUlT_SL_SM_SN_E_clIPS8_SG_SH_SH_EESK_S10_SL_SM_SN_EUlS10_E0_NS1_11comp_targetILNS1_3genE4ELNS1_11target_archE910ELNS1_3gpuE8ELNS1_3repE0EEENS1_38merge_mergepath_config_static_selectorELNS0_4arch9wavefront6targetE1EEEvSM_,"axG",@progbits,_ZN7rocprim17ROCPRIM_400000_NS6detail17trampoline_kernelINS0_14default_configENS1_38merge_sort_block_merge_config_selectorIN6thrust23THRUST_200600_302600_NS4pairIiiEENS0_10empty_typeEEEZZNS1_27merge_sort_block_merge_implIS3_NS6_6detail15normal_iteratorINS6_10device_ptrIS8_EEEEPS9_mNS6_4lessIS8_EEEE10hipError_tT0_T1_T2_jT3_P12ihipStream_tbPNSt15iterator_traitsISL_E10value_typeEPNSR_ISM_E10value_typeEPSN_NS1_7vsmem_tEENKUlT_SL_SM_SN_E_clIPS8_SG_SH_SH_EESK_S10_SL_SM_SN_EUlS10_E0_NS1_11comp_targetILNS1_3genE4ELNS1_11target_archE910ELNS1_3gpuE8ELNS1_3repE0EEENS1_38merge_mergepath_config_static_selectorELNS0_4arch9wavefront6targetE1EEEvSM_,comdat
	.protected	_ZN7rocprim17ROCPRIM_400000_NS6detail17trampoline_kernelINS0_14default_configENS1_38merge_sort_block_merge_config_selectorIN6thrust23THRUST_200600_302600_NS4pairIiiEENS0_10empty_typeEEEZZNS1_27merge_sort_block_merge_implIS3_NS6_6detail15normal_iteratorINS6_10device_ptrIS8_EEEEPS9_mNS6_4lessIS8_EEEE10hipError_tT0_T1_T2_jT3_P12ihipStream_tbPNSt15iterator_traitsISL_E10value_typeEPNSR_ISM_E10value_typeEPSN_NS1_7vsmem_tEENKUlT_SL_SM_SN_E_clIPS8_SG_SH_SH_EESK_S10_SL_SM_SN_EUlS10_E0_NS1_11comp_targetILNS1_3genE4ELNS1_11target_archE910ELNS1_3gpuE8ELNS1_3repE0EEENS1_38merge_mergepath_config_static_selectorELNS0_4arch9wavefront6targetE1EEEvSM_ ; -- Begin function _ZN7rocprim17ROCPRIM_400000_NS6detail17trampoline_kernelINS0_14default_configENS1_38merge_sort_block_merge_config_selectorIN6thrust23THRUST_200600_302600_NS4pairIiiEENS0_10empty_typeEEEZZNS1_27merge_sort_block_merge_implIS3_NS6_6detail15normal_iteratorINS6_10device_ptrIS8_EEEEPS9_mNS6_4lessIS8_EEEE10hipError_tT0_T1_T2_jT3_P12ihipStream_tbPNSt15iterator_traitsISL_E10value_typeEPNSR_ISM_E10value_typeEPSN_NS1_7vsmem_tEENKUlT_SL_SM_SN_E_clIPS8_SG_SH_SH_EESK_S10_SL_SM_SN_EUlS10_E0_NS1_11comp_targetILNS1_3genE4ELNS1_11target_archE910ELNS1_3gpuE8ELNS1_3repE0EEENS1_38merge_mergepath_config_static_selectorELNS0_4arch9wavefront6targetE1EEEvSM_
	.globl	_ZN7rocprim17ROCPRIM_400000_NS6detail17trampoline_kernelINS0_14default_configENS1_38merge_sort_block_merge_config_selectorIN6thrust23THRUST_200600_302600_NS4pairIiiEENS0_10empty_typeEEEZZNS1_27merge_sort_block_merge_implIS3_NS6_6detail15normal_iteratorINS6_10device_ptrIS8_EEEEPS9_mNS6_4lessIS8_EEEE10hipError_tT0_T1_T2_jT3_P12ihipStream_tbPNSt15iterator_traitsISL_E10value_typeEPNSR_ISM_E10value_typeEPSN_NS1_7vsmem_tEENKUlT_SL_SM_SN_E_clIPS8_SG_SH_SH_EESK_S10_SL_SM_SN_EUlS10_E0_NS1_11comp_targetILNS1_3genE4ELNS1_11target_archE910ELNS1_3gpuE8ELNS1_3repE0EEENS1_38merge_mergepath_config_static_selectorELNS0_4arch9wavefront6targetE1EEEvSM_
	.p2align	8
	.type	_ZN7rocprim17ROCPRIM_400000_NS6detail17trampoline_kernelINS0_14default_configENS1_38merge_sort_block_merge_config_selectorIN6thrust23THRUST_200600_302600_NS4pairIiiEENS0_10empty_typeEEEZZNS1_27merge_sort_block_merge_implIS3_NS6_6detail15normal_iteratorINS6_10device_ptrIS8_EEEEPS9_mNS6_4lessIS8_EEEE10hipError_tT0_T1_T2_jT3_P12ihipStream_tbPNSt15iterator_traitsISL_E10value_typeEPNSR_ISM_E10value_typeEPSN_NS1_7vsmem_tEENKUlT_SL_SM_SN_E_clIPS8_SG_SH_SH_EESK_S10_SL_SM_SN_EUlS10_E0_NS1_11comp_targetILNS1_3genE4ELNS1_11target_archE910ELNS1_3gpuE8ELNS1_3repE0EEENS1_38merge_mergepath_config_static_selectorELNS0_4arch9wavefront6targetE1EEEvSM_,@function
_ZN7rocprim17ROCPRIM_400000_NS6detail17trampoline_kernelINS0_14default_configENS1_38merge_sort_block_merge_config_selectorIN6thrust23THRUST_200600_302600_NS4pairIiiEENS0_10empty_typeEEEZZNS1_27merge_sort_block_merge_implIS3_NS6_6detail15normal_iteratorINS6_10device_ptrIS8_EEEEPS9_mNS6_4lessIS8_EEEE10hipError_tT0_T1_T2_jT3_P12ihipStream_tbPNSt15iterator_traitsISL_E10value_typeEPNSR_ISM_E10value_typeEPSN_NS1_7vsmem_tEENKUlT_SL_SM_SN_E_clIPS8_SG_SH_SH_EESK_S10_SL_SM_SN_EUlS10_E0_NS1_11comp_targetILNS1_3genE4ELNS1_11target_archE910ELNS1_3gpuE8ELNS1_3repE0EEENS1_38merge_mergepath_config_static_selectorELNS0_4arch9wavefront6targetE1EEEvSM_: ; @_ZN7rocprim17ROCPRIM_400000_NS6detail17trampoline_kernelINS0_14default_configENS1_38merge_sort_block_merge_config_selectorIN6thrust23THRUST_200600_302600_NS4pairIiiEENS0_10empty_typeEEEZZNS1_27merge_sort_block_merge_implIS3_NS6_6detail15normal_iteratorINS6_10device_ptrIS8_EEEEPS9_mNS6_4lessIS8_EEEE10hipError_tT0_T1_T2_jT3_P12ihipStream_tbPNSt15iterator_traitsISL_E10value_typeEPNSR_ISM_E10value_typeEPSN_NS1_7vsmem_tEENKUlT_SL_SM_SN_E_clIPS8_SG_SH_SH_EESK_S10_SL_SM_SN_EUlS10_E0_NS1_11comp_targetILNS1_3genE4ELNS1_11target_archE910ELNS1_3gpuE8ELNS1_3repE0EEENS1_38merge_mergepath_config_static_selectorELNS0_4arch9wavefront6targetE1EEEvSM_
; %bb.0:
	.section	.rodata,"a",@progbits
	.p2align	6, 0x0
	.amdhsa_kernel _ZN7rocprim17ROCPRIM_400000_NS6detail17trampoline_kernelINS0_14default_configENS1_38merge_sort_block_merge_config_selectorIN6thrust23THRUST_200600_302600_NS4pairIiiEENS0_10empty_typeEEEZZNS1_27merge_sort_block_merge_implIS3_NS6_6detail15normal_iteratorINS6_10device_ptrIS8_EEEEPS9_mNS6_4lessIS8_EEEE10hipError_tT0_T1_T2_jT3_P12ihipStream_tbPNSt15iterator_traitsISL_E10value_typeEPNSR_ISM_E10value_typeEPSN_NS1_7vsmem_tEENKUlT_SL_SM_SN_E_clIPS8_SG_SH_SH_EESK_S10_SL_SM_SN_EUlS10_E0_NS1_11comp_targetILNS1_3genE4ELNS1_11target_archE910ELNS1_3gpuE8ELNS1_3repE0EEENS1_38merge_mergepath_config_static_selectorELNS0_4arch9wavefront6targetE1EEEvSM_
		.amdhsa_group_segment_fixed_size 0
		.amdhsa_private_segment_fixed_size 0
		.amdhsa_kernarg_size 72
		.amdhsa_user_sgpr_count 2
		.amdhsa_user_sgpr_dispatch_ptr 0
		.amdhsa_user_sgpr_queue_ptr 0
		.amdhsa_user_sgpr_kernarg_segment_ptr 1
		.amdhsa_user_sgpr_dispatch_id 0
		.amdhsa_user_sgpr_kernarg_preload_length 0
		.amdhsa_user_sgpr_kernarg_preload_offset 0
		.amdhsa_user_sgpr_private_segment_size 0
		.amdhsa_uses_dynamic_stack 0
		.amdhsa_enable_private_segment 0
		.amdhsa_system_sgpr_workgroup_id_x 1
		.amdhsa_system_sgpr_workgroup_id_y 0
		.amdhsa_system_sgpr_workgroup_id_z 0
		.amdhsa_system_sgpr_workgroup_info 0
		.amdhsa_system_vgpr_workitem_id 0
		.amdhsa_next_free_vgpr 1
		.amdhsa_next_free_sgpr 0
		.amdhsa_accum_offset 4
		.amdhsa_reserve_vcc 0
		.amdhsa_float_round_mode_32 0
		.amdhsa_float_round_mode_16_64 0
		.amdhsa_float_denorm_mode_32 3
		.amdhsa_float_denorm_mode_16_64 3
		.amdhsa_dx10_clamp 1
		.amdhsa_ieee_mode 1
		.amdhsa_fp16_overflow 0
		.amdhsa_tg_split 0
		.amdhsa_exception_fp_ieee_invalid_op 0
		.amdhsa_exception_fp_denorm_src 0
		.amdhsa_exception_fp_ieee_div_zero 0
		.amdhsa_exception_fp_ieee_overflow 0
		.amdhsa_exception_fp_ieee_underflow 0
		.amdhsa_exception_fp_ieee_inexact 0
		.amdhsa_exception_int_div_zero 0
	.end_amdhsa_kernel
	.section	.text._ZN7rocprim17ROCPRIM_400000_NS6detail17trampoline_kernelINS0_14default_configENS1_38merge_sort_block_merge_config_selectorIN6thrust23THRUST_200600_302600_NS4pairIiiEENS0_10empty_typeEEEZZNS1_27merge_sort_block_merge_implIS3_NS6_6detail15normal_iteratorINS6_10device_ptrIS8_EEEEPS9_mNS6_4lessIS8_EEEE10hipError_tT0_T1_T2_jT3_P12ihipStream_tbPNSt15iterator_traitsISL_E10value_typeEPNSR_ISM_E10value_typeEPSN_NS1_7vsmem_tEENKUlT_SL_SM_SN_E_clIPS8_SG_SH_SH_EESK_S10_SL_SM_SN_EUlS10_E0_NS1_11comp_targetILNS1_3genE4ELNS1_11target_archE910ELNS1_3gpuE8ELNS1_3repE0EEENS1_38merge_mergepath_config_static_selectorELNS0_4arch9wavefront6targetE1EEEvSM_,"axG",@progbits,_ZN7rocprim17ROCPRIM_400000_NS6detail17trampoline_kernelINS0_14default_configENS1_38merge_sort_block_merge_config_selectorIN6thrust23THRUST_200600_302600_NS4pairIiiEENS0_10empty_typeEEEZZNS1_27merge_sort_block_merge_implIS3_NS6_6detail15normal_iteratorINS6_10device_ptrIS8_EEEEPS9_mNS6_4lessIS8_EEEE10hipError_tT0_T1_T2_jT3_P12ihipStream_tbPNSt15iterator_traitsISL_E10value_typeEPNSR_ISM_E10value_typeEPSN_NS1_7vsmem_tEENKUlT_SL_SM_SN_E_clIPS8_SG_SH_SH_EESK_S10_SL_SM_SN_EUlS10_E0_NS1_11comp_targetILNS1_3genE4ELNS1_11target_archE910ELNS1_3gpuE8ELNS1_3repE0EEENS1_38merge_mergepath_config_static_selectorELNS0_4arch9wavefront6targetE1EEEvSM_,comdat
.Lfunc_end644:
	.size	_ZN7rocprim17ROCPRIM_400000_NS6detail17trampoline_kernelINS0_14default_configENS1_38merge_sort_block_merge_config_selectorIN6thrust23THRUST_200600_302600_NS4pairIiiEENS0_10empty_typeEEEZZNS1_27merge_sort_block_merge_implIS3_NS6_6detail15normal_iteratorINS6_10device_ptrIS8_EEEEPS9_mNS6_4lessIS8_EEEE10hipError_tT0_T1_T2_jT3_P12ihipStream_tbPNSt15iterator_traitsISL_E10value_typeEPNSR_ISM_E10value_typeEPSN_NS1_7vsmem_tEENKUlT_SL_SM_SN_E_clIPS8_SG_SH_SH_EESK_S10_SL_SM_SN_EUlS10_E0_NS1_11comp_targetILNS1_3genE4ELNS1_11target_archE910ELNS1_3gpuE8ELNS1_3repE0EEENS1_38merge_mergepath_config_static_selectorELNS0_4arch9wavefront6targetE1EEEvSM_, .Lfunc_end644-_ZN7rocprim17ROCPRIM_400000_NS6detail17trampoline_kernelINS0_14default_configENS1_38merge_sort_block_merge_config_selectorIN6thrust23THRUST_200600_302600_NS4pairIiiEENS0_10empty_typeEEEZZNS1_27merge_sort_block_merge_implIS3_NS6_6detail15normal_iteratorINS6_10device_ptrIS8_EEEEPS9_mNS6_4lessIS8_EEEE10hipError_tT0_T1_T2_jT3_P12ihipStream_tbPNSt15iterator_traitsISL_E10value_typeEPNSR_ISM_E10value_typeEPSN_NS1_7vsmem_tEENKUlT_SL_SM_SN_E_clIPS8_SG_SH_SH_EESK_S10_SL_SM_SN_EUlS10_E0_NS1_11comp_targetILNS1_3genE4ELNS1_11target_archE910ELNS1_3gpuE8ELNS1_3repE0EEENS1_38merge_mergepath_config_static_selectorELNS0_4arch9wavefront6targetE1EEEvSM_
                                        ; -- End function
	.set _ZN7rocprim17ROCPRIM_400000_NS6detail17trampoline_kernelINS0_14default_configENS1_38merge_sort_block_merge_config_selectorIN6thrust23THRUST_200600_302600_NS4pairIiiEENS0_10empty_typeEEEZZNS1_27merge_sort_block_merge_implIS3_NS6_6detail15normal_iteratorINS6_10device_ptrIS8_EEEEPS9_mNS6_4lessIS8_EEEE10hipError_tT0_T1_T2_jT3_P12ihipStream_tbPNSt15iterator_traitsISL_E10value_typeEPNSR_ISM_E10value_typeEPSN_NS1_7vsmem_tEENKUlT_SL_SM_SN_E_clIPS8_SG_SH_SH_EESK_S10_SL_SM_SN_EUlS10_E0_NS1_11comp_targetILNS1_3genE4ELNS1_11target_archE910ELNS1_3gpuE8ELNS1_3repE0EEENS1_38merge_mergepath_config_static_selectorELNS0_4arch9wavefront6targetE1EEEvSM_.num_vgpr, 0
	.set _ZN7rocprim17ROCPRIM_400000_NS6detail17trampoline_kernelINS0_14default_configENS1_38merge_sort_block_merge_config_selectorIN6thrust23THRUST_200600_302600_NS4pairIiiEENS0_10empty_typeEEEZZNS1_27merge_sort_block_merge_implIS3_NS6_6detail15normal_iteratorINS6_10device_ptrIS8_EEEEPS9_mNS6_4lessIS8_EEEE10hipError_tT0_T1_T2_jT3_P12ihipStream_tbPNSt15iterator_traitsISL_E10value_typeEPNSR_ISM_E10value_typeEPSN_NS1_7vsmem_tEENKUlT_SL_SM_SN_E_clIPS8_SG_SH_SH_EESK_S10_SL_SM_SN_EUlS10_E0_NS1_11comp_targetILNS1_3genE4ELNS1_11target_archE910ELNS1_3gpuE8ELNS1_3repE0EEENS1_38merge_mergepath_config_static_selectorELNS0_4arch9wavefront6targetE1EEEvSM_.num_agpr, 0
	.set _ZN7rocprim17ROCPRIM_400000_NS6detail17trampoline_kernelINS0_14default_configENS1_38merge_sort_block_merge_config_selectorIN6thrust23THRUST_200600_302600_NS4pairIiiEENS0_10empty_typeEEEZZNS1_27merge_sort_block_merge_implIS3_NS6_6detail15normal_iteratorINS6_10device_ptrIS8_EEEEPS9_mNS6_4lessIS8_EEEE10hipError_tT0_T1_T2_jT3_P12ihipStream_tbPNSt15iterator_traitsISL_E10value_typeEPNSR_ISM_E10value_typeEPSN_NS1_7vsmem_tEENKUlT_SL_SM_SN_E_clIPS8_SG_SH_SH_EESK_S10_SL_SM_SN_EUlS10_E0_NS1_11comp_targetILNS1_3genE4ELNS1_11target_archE910ELNS1_3gpuE8ELNS1_3repE0EEENS1_38merge_mergepath_config_static_selectorELNS0_4arch9wavefront6targetE1EEEvSM_.numbered_sgpr, 0
	.set _ZN7rocprim17ROCPRIM_400000_NS6detail17trampoline_kernelINS0_14default_configENS1_38merge_sort_block_merge_config_selectorIN6thrust23THRUST_200600_302600_NS4pairIiiEENS0_10empty_typeEEEZZNS1_27merge_sort_block_merge_implIS3_NS6_6detail15normal_iteratorINS6_10device_ptrIS8_EEEEPS9_mNS6_4lessIS8_EEEE10hipError_tT0_T1_T2_jT3_P12ihipStream_tbPNSt15iterator_traitsISL_E10value_typeEPNSR_ISM_E10value_typeEPSN_NS1_7vsmem_tEENKUlT_SL_SM_SN_E_clIPS8_SG_SH_SH_EESK_S10_SL_SM_SN_EUlS10_E0_NS1_11comp_targetILNS1_3genE4ELNS1_11target_archE910ELNS1_3gpuE8ELNS1_3repE0EEENS1_38merge_mergepath_config_static_selectorELNS0_4arch9wavefront6targetE1EEEvSM_.num_named_barrier, 0
	.set _ZN7rocprim17ROCPRIM_400000_NS6detail17trampoline_kernelINS0_14default_configENS1_38merge_sort_block_merge_config_selectorIN6thrust23THRUST_200600_302600_NS4pairIiiEENS0_10empty_typeEEEZZNS1_27merge_sort_block_merge_implIS3_NS6_6detail15normal_iteratorINS6_10device_ptrIS8_EEEEPS9_mNS6_4lessIS8_EEEE10hipError_tT0_T1_T2_jT3_P12ihipStream_tbPNSt15iterator_traitsISL_E10value_typeEPNSR_ISM_E10value_typeEPSN_NS1_7vsmem_tEENKUlT_SL_SM_SN_E_clIPS8_SG_SH_SH_EESK_S10_SL_SM_SN_EUlS10_E0_NS1_11comp_targetILNS1_3genE4ELNS1_11target_archE910ELNS1_3gpuE8ELNS1_3repE0EEENS1_38merge_mergepath_config_static_selectorELNS0_4arch9wavefront6targetE1EEEvSM_.private_seg_size, 0
	.set _ZN7rocprim17ROCPRIM_400000_NS6detail17trampoline_kernelINS0_14default_configENS1_38merge_sort_block_merge_config_selectorIN6thrust23THRUST_200600_302600_NS4pairIiiEENS0_10empty_typeEEEZZNS1_27merge_sort_block_merge_implIS3_NS6_6detail15normal_iteratorINS6_10device_ptrIS8_EEEEPS9_mNS6_4lessIS8_EEEE10hipError_tT0_T1_T2_jT3_P12ihipStream_tbPNSt15iterator_traitsISL_E10value_typeEPNSR_ISM_E10value_typeEPSN_NS1_7vsmem_tEENKUlT_SL_SM_SN_E_clIPS8_SG_SH_SH_EESK_S10_SL_SM_SN_EUlS10_E0_NS1_11comp_targetILNS1_3genE4ELNS1_11target_archE910ELNS1_3gpuE8ELNS1_3repE0EEENS1_38merge_mergepath_config_static_selectorELNS0_4arch9wavefront6targetE1EEEvSM_.uses_vcc, 0
	.set _ZN7rocprim17ROCPRIM_400000_NS6detail17trampoline_kernelINS0_14default_configENS1_38merge_sort_block_merge_config_selectorIN6thrust23THRUST_200600_302600_NS4pairIiiEENS0_10empty_typeEEEZZNS1_27merge_sort_block_merge_implIS3_NS6_6detail15normal_iteratorINS6_10device_ptrIS8_EEEEPS9_mNS6_4lessIS8_EEEE10hipError_tT0_T1_T2_jT3_P12ihipStream_tbPNSt15iterator_traitsISL_E10value_typeEPNSR_ISM_E10value_typeEPSN_NS1_7vsmem_tEENKUlT_SL_SM_SN_E_clIPS8_SG_SH_SH_EESK_S10_SL_SM_SN_EUlS10_E0_NS1_11comp_targetILNS1_3genE4ELNS1_11target_archE910ELNS1_3gpuE8ELNS1_3repE0EEENS1_38merge_mergepath_config_static_selectorELNS0_4arch9wavefront6targetE1EEEvSM_.uses_flat_scratch, 0
	.set _ZN7rocprim17ROCPRIM_400000_NS6detail17trampoline_kernelINS0_14default_configENS1_38merge_sort_block_merge_config_selectorIN6thrust23THRUST_200600_302600_NS4pairIiiEENS0_10empty_typeEEEZZNS1_27merge_sort_block_merge_implIS3_NS6_6detail15normal_iteratorINS6_10device_ptrIS8_EEEEPS9_mNS6_4lessIS8_EEEE10hipError_tT0_T1_T2_jT3_P12ihipStream_tbPNSt15iterator_traitsISL_E10value_typeEPNSR_ISM_E10value_typeEPSN_NS1_7vsmem_tEENKUlT_SL_SM_SN_E_clIPS8_SG_SH_SH_EESK_S10_SL_SM_SN_EUlS10_E0_NS1_11comp_targetILNS1_3genE4ELNS1_11target_archE910ELNS1_3gpuE8ELNS1_3repE0EEENS1_38merge_mergepath_config_static_selectorELNS0_4arch9wavefront6targetE1EEEvSM_.has_dyn_sized_stack, 0
	.set _ZN7rocprim17ROCPRIM_400000_NS6detail17trampoline_kernelINS0_14default_configENS1_38merge_sort_block_merge_config_selectorIN6thrust23THRUST_200600_302600_NS4pairIiiEENS0_10empty_typeEEEZZNS1_27merge_sort_block_merge_implIS3_NS6_6detail15normal_iteratorINS6_10device_ptrIS8_EEEEPS9_mNS6_4lessIS8_EEEE10hipError_tT0_T1_T2_jT3_P12ihipStream_tbPNSt15iterator_traitsISL_E10value_typeEPNSR_ISM_E10value_typeEPSN_NS1_7vsmem_tEENKUlT_SL_SM_SN_E_clIPS8_SG_SH_SH_EESK_S10_SL_SM_SN_EUlS10_E0_NS1_11comp_targetILNS1_3genE4ELNS1_11target_archE910ELNS1_3gpuE8ELNS1_3repE0EEENS1_38merge_mergepath_config_static_selectorELNS0_4arch9wavefront6targetE1EEEvSM_.has_recursion, 0
	.set _ZN7rocprim17ROCPRIM_400000_NS6detail17trampoline_kernelINS0_14default_configENS1_38merge_sort_block_merge_config_selectorIN6thrust23THRUST_200600_302600_NS4pairIiiEENS0_10empty_typeEEEZZNS1_27merge_sort_block_merge_implIS3_NS6_6detail15normal_iteratorINS6_10device_ptrIS8_EEEEPS9_mNS6_4lessIS8_EEEE10hipError_tT0_T1_T2_jT3_P12ihipStream_tbPNSt15iterator_traitsISL_E10value_typeEPNSR_ISM_E10value_typeEPSN_NS1_7vsmem_tEENKUlT_SL_SM_SN_E_clIPS8_SG_SH_SH_EESK_S10_SL_SM_SN_EUlS10_E0_NS1_11comp_targetILNS1_3genE4ELNS1_11target_archE910ELNS1_3gpuE8ELNS1_3repE0EEENS1_38merge_mergepath_config_static_selectorELNS0_4arch9wavefront6targetE1EEEvSM_.has_indirect_call, 0
	.section	.AMDGPU.csdata,"",@progbits
; Kernel info:
; codeLenInByte = 0
; TotalNumSgprs: 6
; NumVgprs: 0
; NumAgprs: 0
; TotalNumVgprs: 0
; ScratchSize: 0
; MemoryBound: 0
; FloatMode: 240
; IeeeMode: 1
; LDSByteSize: 0 bytes/workgroup (compile time only)
; SGPRBlocks: 0
; VGPRBlocks: 0
; NumSGPRsForWavesPerEU: 6
; NumVGPRsForWavesPerEU: 1
; AccumOffset: 4
; Occupancy: 8
; WaveLimiterHint : 0
; COMPUTE_PGM_RSRC2:SCRATCH_EN: 0
; COMPUTE_PGM_RSRC2:USER_SGPR: 2
; COMPUTE_PGM_RSRC2:TRAP_HANDLER: 0
; COMPUTE_PGM_RSRC2:TGID_X_EN: 1
; COMPUTE_PGM_RSRC2:TGID_Y_EN: 0
; COMPUTE_PGM_RSRC2:TGID_Z_EN: 0
; COMPUTE_PGM_RSRC2:TIDIG_COMP_CNT: 0
; COMPUTE_PGM_RSRC3_GFX90A:ACCUM_OFFSET: 0
; COMPUTE_PGM_RSRC3_GFX90A:TG_SPLIT: 0
	.section	.text._ZN7rocprim17ROCPRIM_400000_NS6detail17trampoline_kernelINS0_14default_configENS1_38merge_sort_block_merge_config_selectorIN6thrust23THRUST_200600_302600_NS4pairIiiEENS0_10empty_typeEEEZZNS1_27merge_sort_block_merge_implIS3_NS6_6detail15normal_iteratorINS6_10device_ptrIS8_EEEEPS9_mNS6_4lessIS8_EEEE10hipError_tT0_T1_T2_jT3_P12ihipStream_tbPNSt15iterator_traitsISL_E10value_typeEPNSR_ISM_E10value_typeEPSN_NS1_7vsmem_tEENKUlT_SL_SM_SN_E_clIPS8_SG_SH_SH_EESK_S10_SL_SM_SN_EUlS10_E0_NS1_11comp_targetILNS1_3genE3ELNS1_11target_archE908ELNS1_3gpuE7ELNS1_3repE0EEENS1_38merge_mergepath_config_static_selectorELNS0_4arch9wavefront6targetE1EEEvSM_,"axG",@progbits,_ZN7rocprim17ROCPRIM_400000_NS6detail17trampoline_kernelINS0_14default_configENS1_38merge_sort_block_merge_config_selectorIN6thrust23THRUST_200600_302600_NS4pairIiiEENS0_10empty_typeEEEZZNS1_27merge_sort_block_merge_implIS3_NS6_6detail15normal_iteratorINS6_10device_ptrIS8_EEEEPS9_mNS6_4lessIS8_EEEE10hipError_tT0_T1_T2_jT3_P12ihipStream_tbPNSt15iterator_traitsISL_E10value_typeEPNSR_ISM_E10value_typeEPSN_NS1_7vsmem_tEENKUlT_SL_SM_SN_E_clIPS8_SG_SH_SH_EESK_S10_SL_SM_SN_EUlS10_E0_NS1_11comp_targetILNS1_3genE3ELNS1_11target_archE908ELNS1_3gpuE7ELNS1_3repE0EEENS1_38merge_mergepath_config_static_selectorELNS0_4arch9wavefront6targetE1EEEvSM_,comdat
	.protected	_ZN7rocprim17ROCPRIM_400000_NS6detail17trampoline_kernelINS0_14default_configENS1_38merge_sort_block_merge_config_selectorIN6thrust23THRUST_200600_302600_NS4pairIiiEENS0_10empty_typeEEEZZNS1_27merge_sort_block_merge_implIS3_NS6_6detail15normal_iteratorINS6_10device_ptrIS8_EEEEPS9_mNS6_4lessIS8_EEEE10hipError_tT0_T1_T2_jT3_P12ihipStream_tbPNSt15iterator_traitsISL_E10value_typeEPNSR_ISM_E10value_typeEPSN_NS1_7vsmem_tEENKUlT_SL_SM_SN_E_clIPS8_SG_SH_SH_EESK_S10_SL_SM_SN_EUlS10_E0_NS1_11comp_targetILNS1_3genE3ELNS1_11target_archE908ELNS1_3gpuE7ELNS1_3repE0EEENS1_38merge_mergepath_config_static_selectorELNS0_4arch9wavefront6targetE1EEEvSM_ ; -- Begin function _ZN7rocprim17ROCPRIM_400000_NS6detail17trampoline_kernelINS0_14default_configENS1_38merge_sort_block_merge_config_selectorIN6thrust23THRUST_200600_302600_NS4pairIiiEENS0_10empty_typeEEEZZNS1_27merge_sort_block_merge_implIS3_NS6_6detail15normal_iteratorINS6_10device_ptrIS8_EEEEPS9_mNS6_4lessIS8_EEEE10hipError_tT0_T1_T2_jT3_P12ihipStream_tbPNSt15iterator_traitsISL_E10value_typeEPNSR_ISM_E10value_typeEPSN_NS1_7vsmem_tEENKUlT_SL_SM_SN_E_clIPS8_SG_SH_SH_EESK_S10_SL_SM_SN_EUlS10_E0_NS1_11comp_targetILNS1_3genE3ELNS1_11target_archE908ELNS1_3gpuE7ELNS1_3repE0EEENS1_38merge_mergepath_config_static_selectorELNS0_4arch9wavefront6targetE1EEEvSM_
	.globl	_ZN7rocprim17ROCPRIM_400000_NS6detail17trampoline_kernelINS0_14default_configENS1_38merge_sort_block_merge_config_selectorIN6thrust23THRUST_200600_302600_NS4pairIiiEENS0_10empty_typeEEEZZNS1_27merge_sort_block_merge_implIS3_NS6_6detail15normal_iteratorINS6_10device_ptrIS8_EEEEPS9_mNS6_4lessIS8_EEEE10hipError_tT0_T1_T2_jT3_P12ihipStream_tbPNSt15iterator_traitsISL_E10value_typeEPNSR_ISM_E10value_typeEPSN_NS1_7vsmem_tEENKUlT_SL_SM_SN_E_clIPS8_SG_SH_SH_EESK_S10_SL_SM_SN_EUlS10_E0_NS1_11comp_targetILNS1_3genE3ELNS1_11target_archE908ELNS1_3gpuE7ELNS1_3repE0EEENS1_38merge_mergepath_config_static_selectorELNS0_4arch9wavefront6targetE1EEEvSM_
	.p2align	8
	.type	_ZN7rocprim17ROCPRIM_400000_NS6detail17trampoline_kernelINS0_14default_configENS1_38merge_sort_block_merge_config_selectorIN6thrust23THRUST_200600_302600_NS4pairIiiEENS0_10empty_typeEEEZZNS1_27merge_sort_block_merge_implIS3_NS6_6detail15normal_iteratorINS6_10device_ptrIS8_EEEEPS9_mNS6_4lessIS8_EEEE10hipError_tT0_T1_T2_jT3_P12ihipStream_tbPNSt15iterator_traitsISL_E10value_typeEPNSR_ISM_E10value_typeEPSN_NS1_7vsmem_tEENKUlT_SL_SM_SN_E_clIPS8_SG_SH_SH_EESK_S10_SL_SM_SN_EUlS10_E0_NS1_11comp_targetILNS1_3genE3ELNS1_11target_archE908ELNS1_3gpuE7ELNS1_3repE0EEENS1_38merge_mergepath_config_static_selectorELNS0_4arch9wavefront6targetE1EEEvSM_,@function
_ZN7rocprim17ROCPRIM_400000_NS6detail17trampoline_kernelINS0_14default_configENS1_38merge_sort_block_merge_config_selectorIN6thrust23THRUST_200600_302600_NS4pairIiiEENS0_10empty_typeEEEZZNS1_27merge_sort_block_merge_implIS3_NS6_6detail15normal_iteratorINS6_10device_ptrIS8_EEEEPS9_mNS6_4lessIS8_EEEE10hipError_tT0_T1_T2_jT3_P12ihipStream_tbPNSt15iterator_traitsISL_E10value_typeEPNSR_ISM_E10value_typeEPSN_NS1_7vsmem_tEENKUlT_SL_SM_SN_E_clIPS8_SG_SH_SH_EESK_S10_SL_SM_SN_EUlS10_E0_NS1_11comp_targetILNS1_3genE3ELNS1_11target_archE908ELNS1_3gpuE7ELNS1_3repE0EEENS1_38merge_mergepath_config_static_selectorELNS0_4arch9wavefront6targetE1EEEvSM_: ; @_ZN7rocprim17ROCPRIM_400000_NS6detail17trampoline_kernelINS0_14default_configENS1_38merge_sort_block_merge_config_selectorIN6thrust23THRUST_200600_302600_NS4pairIiiEENS0_10empty_typeEEEZZNS1_27merge_sort_block_merge_implIS3_NS6_6detail15normal_iteratorINS6_10device_ptrIS8_EEEEPS9_mNS6_4lessIS8_EEEE10hipError_tT0_T1_T2_jT3_P12ihipStream_tbPNSt15iterator_traitsISL_E10value_typeEPNSR_ISM_E10value_typeEPSN_NS1_7vsmem_tEENKUlT_SL_SM_SN_E_clIPS8_SG_SH_SH_EESK_S10_SL_SM_SN_EUlS10_E0_NS1_11comp_targetILNS1_3genE3ELNS1_11target_archE908ELNS1_3gpuE7ELNS1_3repE0EEENS1_38merge_mergepath_config_static_selectorELNS0_4arch9wavefront6targetE1EEEvSM_
; %bb.0:
	.section	.rodata,"a",@progbits
	.p2align	6, 0x0
	.amdhsa_kernel _ZN7rocprim17ROCPRIM_400000_NS6detail17trampoline_kernelINS0_14default_configENS1_38merge_sort_block_merge_config_selectorIN6thrust23THRUST_200600_302600_NS4pairIiiEENS0_10empty_typeEEEZZNS1_27merge_sort_block_merge_implIS3_NS6_6detail15normal_iteratorINS6_10device_ptrIS8_EEEEPS9_mNS6_4lessIS8_EEEE10hipError_tT0_T1_T2_jT3_P12ihipStream_tbPNSt15iterator_traitsISL_E10value_typeEPNSR_ISM_E10value_typeEPSN_NS1_7vsmem_tEENKUlT_SL_SM_SN_E_clIPS8_SG_SH_SH_EESK_S10_SL_SM_SN_EUlS10_E0_NS1_11comp_targetILNS1_3genE3ELNS1_11target_archE908ELNS1_3gpuE7ELNS1_3repE0EEENS1_38merge_mergepath_config_static_selectorELNS0_4arch9wavefront6targetE1EEEvSM_
		.amdhsa_group_segment_fixed_size 0
		.amdhsa_private_segment_fixed_size 0
		.amdhsa_kernarg_size 72
		.amdhsa_user_sgpr_count 2
		.amdhsa_user_sgpr_dispatch_ptr 0
		.amdhsa_user_sgpr_queue_ptr 0
		.amdhsa_user_sgpr_kernarg_segment_ptr 1
		.amdhsa_user_sgpr_dispatch_id 0
		.amdhsa_user_sgpr_kernarg_preload_length 0
		.amdhsa_user_sgpr_kernarg_preload_offset 0
		.amdhsa_user_sgpr_private_segment_size 0
		.amdhsa_uses_dynamic_stack 0
		.amdhsa_enable_private_segment 0
		.amdhsa_system_sgpr_workgroup_id_x 1
		.amdhsa_system_sgpr_workgroup_id_y 0
		.amdhsa_system_sgpr_workgroup_id_z 0
		.amdhsa_system_sgpr_workgroup_info 0
		.amdhsa_system_vgpr_workitem_id 0
		.amdhsa_next_free_vgpr 1
		.amdhsa_next_free_sgpr 0
		.amdhsa_accum_offset 4
		.amdhsa_reserve_vcc 0
		.amdhsa_float_round_mode_32 0
		.amdhsa_float_round_mode_16_64 0
		.amdhsa_float_denorm_mode_32 3
		.amdhsa_float_denorm_mode_16_64 3
		.amdhsa_dx10_clamp 1
		.amdhsa_ieee_mode 1
		.amdhsa_fp16_overflow 0
		.amdhsa_tg_split 0
		.amdhsa_exception_fp_ieee_invalid_op 0
		.amdhsa_exception_fp_denorm_src 0
		.amdhsa_exception_fp_ieee_div_zero 0
		.amdhsa_exception_fp_ieee_overflow 0
		.amdhsa_exception_fp_ieee_underflow 0
		.amdhsa_exception_fp_ieee_inexact 0
		.amdhsa_exception_int_div_zero 0
	.end_amdhsa_kernel
	.section	.text._ZN7rocprim17ROCPRIM_400000_NS6detail17trampoline_kernelINS0_14default_configENS1_38merge_sort_block_merge_config_selectorIN6thrust23THRUST_200600_302600_NS4pairIiiEENS0_10empty_typeEEEZZNS1_27merge_sort_block_merge_implIS3_NS6_6detail15normal_iteratorINS6_10device_ptrIS8_EEEEPS9_mNS6_4lessIS8_EEEE10hipError_tT0_T1_T2_jT3_P12ihipStream_tbPNSt15iterator_traitsISL_E10value_typeEPNSR_ISM_E10value_typeEPSN_NS1_7vsmem_tEENKUlT_SL_SM_SN_E_clIPS8_SG_SH_SH_EESK_S10_SL_SM_SN_EUlS10_E0_NS1_11comp_targetILNS1_3genE3ELNS1_11target_archE908ELNS1_3gpuE7ELNS1_3repE0EEENS1_38merge_mergepath_config_static_selectorELNS0_4arch9wavefront6targetE1EEEvSM_,"axG",@progbits,_ZN7rocprim17ROCPRIM_400000_NS6detail17trampoline_kernelINS0_14default_configENS1_38merge_sort_block_merge_config_selectorIN6thrust23THRUST_200600_302600_NS4pairIiiEENS0_10empty_typeEEEZZNS1_27merge_sort_block_merge_implIS3_NS6_6detail15normal_iteratorINS6_10device_ptrIS8_EEEEPS9_mNS6_4lessIS8_EEEE10hipError_tT0_T1_T2_jT3_P12ihipStream_tbPNSt15iterator_traitsISL_E10value_typeEPNSR_ISM_E10value_typeEPSN_NS1_7vsmem_tEENKUlT_SL_SM_SN_E_clIPS8_SG_SH_SH_EESK_S10_SL_SM_SN_EUlS10_E0_NS1_11comp_targetILNS1_3genE3ELNS1_11target_archE908ELNS1_3gpuE7ELNS1_3repE0EEENS1_38merge_mergepath_config_static_selectorELNS0_4arch9wavefront6targetE1EEEvSM_,comdat
.Lfunc_end645:
	.size	_ZN7rocprim17ROCPRIM_400000_NS6detail17trampoline_kernelINS0_14default_configENS1_38merge_sort_block_merge_config_selectorIN6thrust23THRUST_200600_302600_NS4pairIiiEENS0_10empty_typeEEEZZNS1_27merge_sort_block_merge_implIS3_NS6_6detail15normal_iteratorINS6_10device_ptrIS8_EEEEPS9_mNS6_4lessIS8_EEEE10hipError_tT0_T1_T2_jT3_P12ihipStream_tbPNSt15iterator_traitsISL_E10value_typeEPNSR_ISM_E10value_typeEPSN_NS1_7vsmem_tEENKUlT_SL_SM_SN_E_clIPS8_SG_SH_SH_EESK_S10_SL_SM_SN_EUlS10_E0_NS1_11comp_targetILNS1_3genE3ELNS1_11target_archE908ELNS1_3gpuE7ELNS1_3repE0EEENS1_38merge_mergepath_config_static_selectorELNS0_4arch9wavefront6targetE1EEEvSM_, .Lfunc_end645-_ZN7rocprim17ROCPRIM_400000_NS6detail17trampoline_kernelINS0_14default_configENS1_38merge_sort_block_merge_config_selectorIN6thrust23THRUST_200600_302600_NS4pairIiiEENS0_10empty_typeEEEZZNS1_27merge_sort_block_merge_implIS3_NS6_6detail15normal_iteratorINS6_10device_ptrIS8_EEEEPS9_mNS6_4lessIS8_EEEE10hipError_tT0_T1_T2_jT3_P12ihipStream_tbPNSt15iterator_traitsISL_E10value_typeEPNSR_ISM_E10value_typeEPSN_NS1_7vsmem_tEENKUlT_SL_SM_SN_E_clIPS8_SG_SH_SH_EESK_S10_SL_SM_SN_EUlS10_E0_NS1_11comp_targetILNS1_3genE3ELNS1_11target_archE908ELNS1_3gpuE7ELNS1_3repE0EEENS1_38merge_mergepath_config_static_selectorELNS0_4arch9wavefront6targetE1EEEvSM_
                                        ; -- End function
	.set _ZN7rocprim17ROCPRIM_400000_NS6detail17trampoline_kernelINS0_14default_configENS1_38merge_sort_block_merge_config_selectorIN6thrust23THRUST_200600_302600_NS4pairIiiEENS0_10empty_typeEEEZZNS1_27merge_sort_block_merge_implIS3_NS6_6detail15normal_iteratorINS6_10device_ptrIS8_EEEEPS9_mNS6_4lessIS8_EEEE10hipError_tT0_T1_T2_jT3_P12ihipStream_tbPNSt15iterator_traitsISL_E10value_typeEPNSR_ISM_E10value_typeEPSN_NS1_7vsmem_tEENKUlT_SL_SM_SN_E_clIPS8_SG_SH_SH_EESK_S10_SL_SM_SN_EUlS10_E0_NS1_11comp_targetILNS1_3genE3ELNS1_11target_archE908ELNS1_3gpuE7ELNS1_3repE0EEENS1_38merge_mergepath_config_static_selectorELNS0_4arch9wavefront6targetE1EEEvSM_.num_vgpr, 0
	.set _ZN7rocprim17ROCPRIM_400000_NS6detail17trampoline_kernelINS0_14default_configENS1_38merge_sort_block_merge_config_selectorIN6thrust23THRUST_200600_302600_NS4pairIiiEENS0_10empty_typeEEEZZNS1_27merge_sort_block_merge_implIS3_NS6_6detail15normal_iteratorINS6_10device_ptrIS8_EEEEPS9_mNS6_4lessIS8_EEEE10hipError_tT0_T1_T2_jT3_P12ihipStream_tbPNSt15iterator_traitsISL_E10value_typeEPNSR_ISM_E10value_typeEPSN_NS1_7vsmem_tEENKUlT_SL_SM_SN_E_clIPS8_SG_SH_SH_EESK_S10_SL_SM_SN_EUlS10_E0_NS1_11comp_targetILNS1_3genE3ELNS1_11target_archE908ELNS1_3gpuE7ELNS1_3repE0EEENS1_38merge_mergepath_config_static_selectorELNS0_4arch9wavefront6targetE1EEEvSM_.num_agpr, 0
	.set _ZN7rocprim17ROCPRIM_400000_NS6detail17trampoline_kernelINS0_14default_configENS1_38merge_sort_block_merge_config_selectorIN6thrust23THRUST_200600_302600_NS4pairIiiEENS0_10empty_typeEEEZZNS1_27merge_sort_block_merge_implIS3_NS6_6detail15normal_iteratorINS6_10device_ptrIS8_EEEEPS9_mNS6_4lessIS8_EEEE10hipError_tT0_T1_T2_jT3_P12ihipStream_tbPNSt15iterator_traitsISL_E10value_typeEPNSR_ISM_E10value_typeEPSN_NS1_7vsmem_tEENKUlT_SL_SM_SN_E_clIPS8_SG_SH_SH_EESK_S10_SL_SM_SN_EUlS10_E0_NS1_11comp_targetILNS1_3genE3ELNS1_11target_archE908ELNS1_3gpuE7ELNS1_3repE0EEENS1_38merge_mergepath_config_static_selectorELNS0_4arch9wavefront6targetE1EEEvSM_.numbered_sgpr, 0
	.set _ZN7rocprim17ROCPRIM_400000_NS6detail17trampoline_kernelINS0_14default_configENS1_38merge_sort_block_merge_config_selectorIN6thrust23THRUST_200600_302600_NS4pairIiiEENS0_10empty_typeEEEZZNS1_27merge_sort_block_merge_implIS3_NS6_6detail15normal_iteratorINS6_10device_ptrIS8_EEEEPS9_mNS6_4lessIS8_EEEE10hipError_tT0_T1_T2_jT3_P12ihipStream_tbPNSt15iterator_traitsISL_E10value_typeEPNSR_ISM_E10value_typeEPSN_NS1_7vsmem_tEENKUlT_SL_SM_SN_E_clIPS8_SG_SH_SH_EESK_S10_SL_SM_SN_EUlS10_E0_NS1_11comp_targetILNS1_3genE3ELNS1_11target_archE908ELNS1_3gpuE7ELNS1_3repE0EEENS1_38merge_mergepath_config_static_selectorELNS0_4arch9wavefront6targetE1EEEvSM_.num_named_barrier, 0
	.set _ZN7rocprim17ROCPRIM_400000_NS6detail17trampoline_kernelINS0_14default_configENS1_38merge_sort_block_merge_config_selectorIN6thrust23THRUST_200600_302600_NS4pairIiiEENS0_10empty_typeEEEZZNS1_27merge_sort_block_merge_implIS3_NS6_6detail15normal_iteratorINS6_10device_ptrIS8_EEEEPS9_mNS6_4lessIS8_EEEE10hipError_tT0_T1_T2_jT3_P12ihipStream_tbPNSt15iterator_traitsISL_E10value_typeEPNSR_ISM_E10value_typeEPSN_NS1_7vsmem_tEENKUlT_SL_SM_SN_E_clIPS8_SG_SH_SH_EESK_S10_SL_SM_SN_EUlS10_E0_NS1_11comp_targetILNS1_3genE3ELNS1_11target_archE908ELNS1_3gpuE7ELNS1_3repE0EEENS1_38merge_mergepath_config_static_selectorELNS0_4arch9wavefront6targetE1EEEvSM_.private_seg_size, 0
	.set _ZN7rocprim17ROCPRIM_400000_NS6detail17trampoline_kernelINS0_14default_configENS1_38merge_sort_block_merge_config_selectorIN6thrust23THRUST_200600_302600_NS4pairIiiEENS0_10empty_typeEEEZZNS1_27merge_sort_block_merge_implIS3_NS6_6detail15normal_iteratorINS6_10device_ptrIS8_EEEEPS9_mNS6_4lessIS8_EEEE10hipError_tT0_T1_T2_jT3_P12ihipStream_tbPNSt15iterator_traitsISL_E10value_typeEPNSR_ISM_E10value_typeEPSN_NS1_7vsmem_tEENKUlT_SL_SM_SN_E_clIPS8_SG_SH_SH_EESK_S10_SL_SM_SN_EUlS10_E0_NS1_11comp_targetILNS1_3genE3ELNS1_11target_archE908ELNS1_3gpuE7ELNS1_3repE0EEENS1_38merge_mergepath_config_static_selectorELNS0_4arch9wavefront6targetE1EEEvSM_.uses_vcc, 0
	.set _ZN7rocprim17ROCPRIM_400000_NS6detail17trampoline_kernelINS0_14default_configENS1_38merge_sort_block_merge_config_selectorIN6thrust23THRUST_200600_302600_NS4pairIiiEENS0_10empty_typeEEEZZNS1_27merge_sort_block_merge_implIS3_NS6_6detail15normal_iteratorINS6_10device_ptrIS8_EEEEPS9_mNS6_4lessIS8_EEEE10hipError_tT0_T1_T2_jT3_P12ihipStream_tbPNSt15iterator_traitsISL_E10value_typeEPNSR_ISM_E10value_typeEPSN_NS1_7vsmem_tEENKUlT_SL_SM_SN_E_clIPS8_SG_SH_SH_EESK_S10_SL_SM_SN_EUlS10_E0_NS1_11comp_targetILNS1_3genE3ELNS1_11target_archE908ELNS1_3gpuE7ELNS1_3repE0EEENS1_38merge_mergepath_config_static_selectorELNS0_4arch9wavefront6targetE1EEEvSM_.uses_flat_scratch, 0
	.set _ZN7rocprim17ROCPRIM_400000_NS6detail17trampoline_kernelINS0_14default_configENS1_38merge_sort_block_merge_config_selectorIN6thrust23THRUST_200600_302600_NS4pairIiiEENS0_10empty_typeEEEZZNS1_27merge_sort_block_merge_implIS3_NS6_6detail15normal_iteratorINS6_10device_ptrIS8_EEEEPS9_mNS6_4lessIS8_EEEE10hipError_tT0_T1_T2_jT3_P12ihipStream_tbPNSt15iterator_traitsISL_E10value_typeEPNSR_ISM_E10value_typeEPSN_NS1_7vsmem_tEENKUlT_SL_SM_SN_E_clIPS8_SG_SH_SH_EESK_S10_SL_SM_SN_EUlS10_E0_NS1_11comp_targetILNS1_3genE3ELNS1_11target_archE908ELNS1_3gpuE7ELNS1_3repE0EEENS1_38merge_mergepath_config_static_selectorELNS0_4arch9wavefront6targetE1EEEvSM_.has_dyn_sized_stack, 0
	.set _ZN7rocprim17ROCPRIM_400000_NS6detail17trampoline_kernelINS0_14default_configENS1_38merge_sort_block_merge_config_selectorIN6thrust23THRUST_200600_302600_NS4pairIiiEENS0_10empty_typeEEEZZNS1_27merge_sort_block_merge_implIS3_NS6_6detail15normal_iteratorINS6_10device_ptrIS8_EEEEPS9_mNS6_4lessIS8_EEEE10hipError_tT0_T1_T2_jT3_P12ihipStream_tbPNSt15iterator_traitsISL_E10value_typeEPNSR_ISM_E10value_typeEPSN_NS1_7vsmem_tEENKUlT_SL_SM_SN_E_clIPS8_SG_SH_SH_EESK_S10_SL_SM_SN_EUlS10_E0_NS1_11comp_targetILNS1_3genE3ELNS1_11target_archE908ELNS1_3gpuE7ELNS1_3repE0EEENS1_38merge_mergepath_config_static_selectorELNS0_4arch9wavefront6targetE1EEEvSM_.has_recursion, 0
	.set _ZN7rocprim17ROCPRIM_400000_NS6detail17trampoline_kernelINS0_14default_configENS1_38merge_sort_block_merge_config_selectorIN6thrust23THRUST_200600_302600_NS4pairIiiEENS0_10empty_typeEEEZZNS1_27merge_sort_block_merge_implIS3_NS6_6detail15normal_iteratorINS6_10device_ptrIS8_EEEEPS9_mNS6_4lessIS8_EEEE10hipError_tT0_T1_T2_jT3_P12ihipStream_tbPNSt15iterator_traitsISL_E10value_typeEPNSR_ISM_E10value_typeEPSN_NS1_7vsmem_tEENKUlT_SL_SM_SN_E_clIPS8_SG_SH_SH_EESK_S10_SL_SM_SN_EUlS10_E0_NS1_11comp_targetILNS1_3genE3ELNS1_11target_archE908ELNS1_3gpuE7ELNS1_3repE0EEENS1_38merge_mergepath_config_static_selectorELNS0_4arch9wavefront6targetE1EEEvSM_.has_indirect_call, 0
	.section	.AMDGPU.csdata,"",@progbits
; Kernel info:
; codeLenInByte = 0
; TotalNumSgprs: 6
; NumVgprs: 0
; NumAgprs: 0
; TotalNumVgprs: 0
; ScratchSize: 0
; MemoryBound: 0
; FloatMode: 240
; IeeeMode: 1
; LDSByteSize: 0 bytes/workgroup (compile time only)
; SGPRBlocks: 0
; VGPRBlocks: 0
; NumSGPRsForWavesPerEU: 6
; NumVGPRsForWavesPerEU: 1
; AccumOffset: 4
; Occupancy: 8
; WaveLimiterHint : 0
; COMPUTE_PGM_RSRC2:SCRATCH_EN: 0
; COMPUTE_PGM_RSRC2:USER_SGPR: 2
; COMPUTE_PGM_RSRC2:TRAP_HANDLER: 0
; COMPUTE_PGM_RSRC2:TGID_X_EN: 1
; COMPUTE_PGM_RSRC2:TGID_Y_EN: 0
; COMPUTE_PGM_RSRC2:TGID_Z_EN: 0
; COMPUTE_PGM_RSRC2:TIDIG_COMP_CNT: 0
; COMPUTE_PGM_RSRC3_GFX90A:ACCUM_OFFSET: 0
; COMPUTE_PGM_RSRC3_GFX90A:TG_SPLIT: 0
	.section	.text._ZN7rocprim17ROCPRIM_400000_NS6detail17trampoline_kernelINS0_14default_configENS1_38merge_sort_block_merge_config_selectorIN6thrust23THRUST_200600_302600_NS4pairIiiEENS0_10empty_typeEEEZZNS1_27merge_sort_block_merge_implIS3_NS6_6detail15normal_iteratorINS6_10device_ptrIS8_EEEEPS9_mNS6_4lessIS8_EEEE10hipError_tT0_T1_T2_jT3_P12ihipStream_tbPNSt15iterator_traitsISL_E10value_typeEPNSR_ISM_E10value_typeEPSN_NS1_7vsmem_tEENKUlT_SL_SM_SN_E_clIPS8_SG_SH_SH_EESK_S10_SL_SM_SN_EUlS10_E0_NS1_11comp_targetILNS1_3genE2ELNS1_11target_archE906ELNS1_3gpuE6ELNS1_3repE0EEENS1_38merge_mergepath_config_static_selectorELNS0_4arch9wavefront6targetE1EEEvSM_,"axG",@progbits,_ZN7rocprim17ROCPRIM_400000_NS6detail17trampoline_kernelINS0_14default_configENS1_38merge_sort_block_merge_config_selectorIN6thrust23THRUST_200600_302600_NS4pairIiiEENS0_10empty_typeEEEZZNS1_27merge_sort_block_merge_implIS3_NS6_6detail15normal_iteratorINS6_10device_ptrIS8_EEEEPS9_mNS6_4lessIS8_EEEE10hipError_tT0_T1_T2_jT3_P12ihipStream_tbPNSt15iterator_traitsISL_E10value_typeEPNSR_ISM_E10value_typeEPSN_NS1_7vsmem_tEENKUlT_SL_SM_SN_E_clIPS8_SG_SH_SH_EESK_S10_SL_SM_SN_EUlS10_E0_NS1_11comp_targetILNS1_3genE2ELNS1_11target_archE906ELNS1_3gpuE6ELNS1_3repE0EEENS1_38merge_mergepath_config_static_selectorELNS0_4arch9wavefront6targetE1EEEvSM_,comdat
	.protected	_ZN7rocprim17ROCPRIM_400000_NS6detail17trampoline_kernelINS0_14default_configENS1_38merge_sort_block_merge_config_selectorIN6thrust23THRUST_200600_302600_NS4pairIiiEENS0_10empty_typeEEEZZNS1_27merge_sort_block_merge_implIS3_NS6_6detail15normal_iteratorINS6_10device_ptrIS8_EEEEPS9_mNS6_4lessIS8_EEEE10hipError_tT0_T1_T2_jT3_P12ihipStream_tbPNSt15iterator_traitsISL_E10value_typeEPNSR_ISM_E10value_typeEPSN_NS1_7vsmem_tEENKUlT_SL_SM_SN_E_clIPS8_SG_SH_SH_EESK_S10_SL_SM_SN_EUlS10_E0_NS1_11comp_targetILNS1_3genE2ELNS1_11target_archE906ELNS1_3gpuE6ELNS1_3repE0EEENS1_38merge_mergepath_config_static_selectorELNS0_4arch9wavefront6targetE1EEEvSM_ ; -- Begin function _ZN7rocprim17ROCPRIM_400000_NS6detail17trampoline_kernelINS0_14default_configENS1_38merge_sort_block_merge_config_selectorIN6thrust23THRUST_200600_302600_NS4pairIiiEENS0_10empty_typeEEEZZNS1_27merge_sort_block_merge_implIS3_NS6_6detail15normal_iteratorINS6_10device_ptrIS8_EEEEPS9_mNS6_4lessIS8_EEEE10hipError_tT0_T1_T2_jT3_P12ihipStream_tbPNSt15iterator_traitsISL_E10value_typeEPNSR_ISM_E10value_typeEPSN_NS1_7vsmem_tEENKUlT_SL_SM_SN_E_clIPS8_SG_SH_SH_EESK_S10_SL_SM_SN_EUlS10_E0_NS1_11comp_targetILNS1_3genE2ELNS1_11target_archE906ELNS1_3gpuE6ELNS1_3repE0EEENS1_38merge_mergepath_config_static_selectorELNS0_4arch9wavefront6targetE1EEEvSM_
	.globl	_ZN7rocprim17ROCPRIM_400000_NS6detail17trampoline_kernelINS0_14default_configENS1_38merge_sort_block_merge_config_selectorIN6thrust23THRUST_200600_302600_NS4pairIiiEENS0_10empty_typeEEEZZNS1_27merge_sort_block_merge_implIS3_NS6_6detail15normal_iteratorINS6_10device_ptrIS8_EEEEPS9_mNS6_4lessIS8_EEEE10hipError_tT0_T1_T2_jT3_P12ihipStream_tbPNSt15iterator_traitsISL_E10value_typeEPNSR_ISM_E10value_typeEPSN_NS1_7vsmem_tEENKUlT_SL_SM_SN_E_clIPS8_SG_SH_SH_EESK_S10_SL_SM_SN_EUlS10_E0_NS1_11comp_targetILNS1_3genE2ELNS1_11target_archE906ELNS1_3gpuE6ELNS1_3repE0EEENS1_38merge_mergepath_config_static_selectorELNS0_4arch9wavefront6targetE1EEEvSM_
	.p2align	8
	.type	_ZN7rocprim17ROCPRIM_400000_NS6detail17trampoline_kernelINS0_14default_configENS1_38merge_sort_block_merge_config_selectorIN6thrust23THRUST_200600_302600_NS4pairIiiEENS0_10empty_typeEEEZZNS1_27merge_sort_block_merge_implIS3_NS6_6detail15normal_iteratorINS6_10device_ptrIS8_EEEEPS9_mNS6_4lessIS8_EEEE10hipError_tT0_T1_T2_jT3_P12ihipStream_tbPNSt15iterator_traitsISL_E10value_typeEPNSR_ISM_E10value_typeEPSN_NS1_7vsmem_tEENKUlT_SL_SM_SN_E_clIPS8_SG_SH_SH_EESK_S10_SL_SM_SN_EUlS10_E0_NS1_11comp_targetILNS1_3genE2ELNS1_11target_archE906ELNS1_3gpuE6ELNS1_3repE0EEENS1_38merge_mergepath_config_static_selectorELNS0_4arch9wavefront6targetE1EEEvSM_,@function
_ZN7rocprim17ROCPRIM_400000_NS6detail17trampoline_kernelINS0_14default_configENS1_38merge_sort_block_merge_config_selectorIN6thrust23THRUST_200600_302600_NS4pairIiiEENS0_10empty_typeEEEZZNS1_27merge_sort_block_merge_implIS3_NS6_6detail15normal_iteratorINS6_10device_ptrIS8_EEEEPS9_mNS6_4lessIS8_EEEE10hipError_tT0_T1_T2_jT3_P12ihipStream_tbPNSt15iterator_traitsISL_E10value_typeEPNSR_ISM_E10value_typeEPSN_NS1_7vsmem_tEENKUlT_SL_SM_SN_E_clIPS8_SG_SH_SH_EESK_S10_SL_SM_SN_EUlS10_E0_NS1_11comp_targetILNS1_3genE2ELNS1_11target_archE906ELNS1_3gpuE6ELNS1_3repE0EEENS1_38merge_mergepath_config_static_selectorELNS0_4arch9wavefront6targetE1EEEvSM_: ; @_ZN7rocprim17ROCPRIM_400000_NS6detail17trampoline_kernelINS0_14default_configENS1_38merge_sort_block_merge_config_selectorIN6thrust23THRUST_200600_302600_NS4pairIiiEENS0_10empty_typeEEEZZNS1_27merge_sort_block_merge_implIS3_NS6_6detail15normal_iteratorINS6_10device_ptrIS8_EEEEPS9_mNS6_4lessIS8_EEEE10hipError_tT0_T1_T2_jT3_P12ihipStream_tbPNSt15iterator_traitsISL_E10value_typeEPNSR_ISM_E10value_typeEPSN_NS1_7vsmem_tEENKUlT_SL_SM_SN_E_clIPS8_SG_SH_SH_EESK_S10_SL_SM_SN_EUlS10_E0_NS1_11comp_targetILNS1_3genE2ELNS1_11target_archE906ELNS1_3gpuE6ELNS1_3repE0EEENS1_38merge_mergepath_config_static_selectorELNS0_4arch9wavefront6targetE1EEEvSM_
; %bb.0:
	.section	.rodata,"a",@progbits
	.p2align	6, 0x0
	.amdhsa_kernel _ZN7rocprim17ROCPRIM_400000_NS6detail17trampoline_kernelINS0_14default_configENS1_38merge_sort_block_merge_config_selectorIN6thrust23THRUST_200600_302600_NS4pairIiiEENS0_10empty_typeEEEZZNS1_27merge_sort_block_merge_implIS3_NS6_6detail15normal_iteratorINS6_10device_ptrIS8_EEEEPS9_mNS6_4lessIS8_EEEE10hipError_tT0_T1_T2_jT3_P12ihipStream_tbPNSt15iterator_traitsISL_E10value_typeEPNSR_ISM_E10value_typeEPSN_NS1_7vsmem_tEENKUlT_SL_SM_SN_E_clIPS8_SG_SH_SH_EESK_S10_SL_SM_SN_EUlS10_E0_NS1_11comp_targetILNS1_3genE2ELNS1_11target_archE906ELNS1_3gpuE6ELNS1_3repE0EEENS1_38merge_mergepath_config_static_selectorELNS0_4arch9wavefront6targetE1EEEvSM_
		.amdhsa_group_segment_fixed_size 0
		.amdhsa_private_segment_fixed_size 0
		.amdhsa_kernarg_size 72
		.amdhsa_user_sgpr_count 2
		.amdhsa_user_sgpr_dispatch_ptr 0
		.amdhsa_user_sgpr_queue_ptr 0
		.amdhsa_user_sgpr_kernarg_segment_ptr 1
		.amdhsa_user_sgpr_dispatch_id 0
		.amdhsa_user_sgpr_kernarg_preload_length 0
		.amdhsa_user_sgpr_kernarg_preload_offset 0
		.amdhsa_user_sgpr_private_segment_size 0
		.amdhsa_uses_dynamic_stack 0
		.amdhsa_enable_private_segment 0
		.amdhsa_system_sgpr_workgroup_id_x 1
		.amdhsa_system_sgpr_workgroup_id_y 0
		.amdhsa_system_sgpr_workgroup_id_z 0
		.amdhsa_system_sgpr_workgroup_info 0
		.amdhsa_system_vgpr_workitem_id 0
		.amdhsa_next_free_vgpr 1
		.amdhsa_next_free_sgpr 0
		.amdhsa_accum_offset 4
		.amdhsa_reserve_vcc 0
		.amdhsa_float_round_mode_32 0
		.amdhsa_float_round_mode_16_64 0
		.amdhsa_float_denorm_mode_32 3
		.amdhsa_float_denorm_mode_16_64 3
		.amdhsa_dx10_clamp 1
		.amdhsa_ieee_mode 1
		.amdhsa_fp16_overflow 0
		.amdhsa_tg_split 0
		.amdhsa_exception_fp_ieee_invalid_op 0
		.amdhsa_exception_fp_denorm_src 0
		.amdhsa_exception_fp_ieee_div_zero 0
		.amdhsa_exception_fp_ieee_overflow 0
		.amdhsa_exception_fp_ieee_underflow 0
		.amdhsa_exception_fp_ieee_inexact 0
		.amdhsa_exception_int_div_zero 0
	.end_amdhsa_kernel
	.section	.text._ZN7rocprim17ROCPRIM_400000_NS6detail17trampoline_kernelINS0_14default_configENS1_38merge_sort_block_merge_config_selectorIN6thrust23THRUST_200600_302600_NS4pairIiiEENS0_10empty_typeEEEZZNS1_27merge_sort_block_merge_implIS3_NS6_6detail15normal_iteratorINS6_10device_ptrIS8_EEEEPS9_mNS6_4lessIS8_EEEE10hipError_tT0_T1_T2_jT3_P12ihipStream_tbPNSt15iterator_traitsISL_E10value_typeEPNSR_ISM_E10value_typeEPSN_NS1_7vsmem_tEENKUlT_SL_SM_SN_E_clIPS8_SG_SH_SH_EESK_S10_SL_SM_SN_EUlS10_E0_NS1_11comp_targetILNS1_3genE2ELNS1_11target_archE906ELNS1_3gpuE6ELNS1_3repE0EEENS1_38merge_mergepath_config_static_selectorELNS0_4arch9wavefront6targetE1EEEvSM_,"axG",@progbits,_ZN7rocprim17ROCPRIM_400000_NS6detail17trampoline_kernelINS0_14default_configENS1_38merge_sort_block_merge_config_selectorIN6thrust23THRUST_200600_302600_NS4pairIiiEENS0_10empty_typeEEEZZNS1_27merge_sort_block_merge_implIS3_NS6_6detail15normal_iteratorINS6_10device_ptrIS8_EEEEPS9_mNS6_4lessIS8_EEEE10hipError_tT0_T1_T2_jT3_P12ihipStream_tbPNSt15iterator_traitsISL_E10value_typeEPNSR_ISM_E10value_typeEPSN_NS1_7vsmem_tEENKUlT_SL_SM_SN_E_clIPS8_SG_SH_SH_EESK_S10_SL_SM_SN_EUlS10_E0_NS1_11comp_targetILNS1_3genE2ELNS1_11target_archE906ELNS1_3gpuE6ELNS1_3repE0EEENS1_38merge_mergepath_config_static_selectorELNS0_4arch9wavefront6targetE1EEEvSM_,comdat
.Lfunc_end646:
	.size	_ZN7rocprim17ROCPRIM_400000_NS6detail17trampoline_kernelINS0_14default_configENS1_38merge_sort_block_merge_config_selectorIN6thrust23THRUST_200600_302600_NS4pairIiiEENS0_10empty_typeEEEZZNS1_27merge_sort_block_merge_implIS3_NS6_6detail15normal_iteratorINS6_10device_ptrIS8_EEEEPS9_mNS6_4lessIS8_EEEE10hipError_tT0_T1_T2_jT3_P12ihipStream_tbPNSt15iterator_traitsISL_E10value_typeEPNSR_ISM_E10value_typeEPSN_NS1_7vsmem_tEENKUlT_SL_SM_SN_E_clIPS8_SG_SH_SH_EESK_S10_SL_SM_SN_EUlS10_E0_NS1_11comp_targetILNS1_3genE2ELNS1_11target_archE906ELNS1_3gpuE6ELNS1_3repE0EEENS1_38merge_mergepath_config_static_selectorELNS0_4arch9wavefront6targetE1EEEvSM_, .Lfunc_end646-_ZN7rocprim17ROCPRIM_400000_NS6detail17trampoline_kernelINS0_14default_configENS1_38merge_sort_block_merge_config_selectorIN6thrust23THRUST_200600_302600_NS4pairIiiEENS0_10empty_typeEEEZZNS1_27merge_sort_block_merge_implIS3_NS6_6detail15normal_iteratorINS6_10device_ptrIS8_EEEEPS9_mNS6_4lessIS8_EEEE10hipError_tT0_T1_T2_jT3_P12ihipStream_tbPNSt15iterator_traitsISL_E10value_typeEPNSR_ISM_E10value_typeEPSN_NS1_7vsmem_tEENKUlT_SL_SM_SN_E_clIPS8_SG_SH_SH_EESK_S10_SL_SM_SN_EUlS10_E0_NS1_11comp_targetILNS1_3genE2ELNS1_11target_archE906ELNS1_3gpuE6ELNS1_3repE0EEENS1_38merge_mergepath_config_static_selectorELNS0_4arch9wavefront6targetE1EEEvSM_
                                        ; -- End function
	.set _ZN7rocprim17ROCPRIM_400000_NS6detail17trampoline_kernelINS0_14default_configENS1_38merge_sort_block_merge_config_selectorIN6thrust23THRUST_200600_302600_NS4pairIiiEENS0_10empty_typeEEEZZNS1_27merge_sort_block_merge_implIS3_NS6_6detail15normal_iteratorINS6_10device_ptrIS8_EEEEPS9_mNS6_4lessIS8_EEEE10hipError_tT0_T1_T2_jT3_P12ihipStream_tbPNSt15iterator_traitsISL_E10value_typeEPNSR_ISM_E10value_typeEPSN_NS1_7vsmem_tEENKUlT_SL_SM_SN_E_clIPS8_SG_SH_SH_EESK_S10_SL_SM_SN_EUlS10_E0_NS1_11comp_targetILNS1_3genE2ELNS1_11target_archE906ELNS1_3gpuE6ELNS1_3repE0EEENS1_38merge_mergepath_config_static_selectorELNS0_4arch9wavefront6targetE1EEEvSM_.num_vgpr, 0
	.set _ZN7rocprim17ROCPRIM_400000_NS6detail17trampoline_kernelINS0_14default_configENS1_38merge_sort_block_merge_config_selectorIN6thrust23THRUST_200600_302600_NS4pairIiiEENS0_10empty_typeEEEZZNS1_27merge_sort_block_merge_implIS3_NS6_6detail15normal_iteratorINS6_10device_ptrIS8_EEEEPS9_mNS6_4lessIS8_EEEE10hipError_tT0_T1_T2_jT3_P12ihipStream_tbPNSt15iterator_traitsISL_E10value_typeEPNSR_ISM_E10value_typeEPSN_NS1_7vsmem_tEENKUlT_SL_SM_SN_E_clIPS8_SG_SH_SH_EESK_S10_SL_SM_SN_EUlS10_E0_NS1_11comp_targetILNS1_3genE2ELNS1_11target_archE906ELNS1_3gpuE6ELNS1_3repE0EEENS1_38merge_mergepath_config_static_selectorELNS0_4arch9wavefront6targetE1EEEvSM_.num_agpr, 0
	.set _ZN7rocprim17ROCPRIM_400000_NS6detail17trampoline_kernelINS0_14default_configENS1_38merge_sort_block_merge_config_selectorIN6thrust23THRUST_200600_302600_NS4pairIiiEENS0_10empty_typeEEEZZNS1_27merge_sort_block_merge_implIS3_NS6_6detail15normal_iteratorINS6_10device_ptrIS8_EEEEPS9_mNS6_4lessIS8_EEEE10hipError_tT0_T1_T2_jT3_P12ihipStream_tbPNSt15iterator_traitsISL_E10value_typeEPNSR_ISM_E10value_typeEPSN_NS1_7vsmem_tEENKUlT_SL_SM_SN_E_clIPS8_SG_SH_SH_EESK_S10_SL_SM_SN_EUlS10_E0_NS1_11comp_targetILNS1_3genE2ELNS1_11target_archE906ELNS1_3gpuE6ELNS1_3repE0EEENS1_38merge_mergepath_config_static_selectorELNS0_4arch9wavefront6targetE1EEEvSM_.numbered_sgpr, 0
	.set _ZN7rocprim17ROCPRIM_400000_NS6detail17trampoline_kernelINS0_14default_configENS1_38merge_sort_block_merge_config_selectorIN6thrust23THRUST_200600_302600_NS4pairIiiEENS0_10empty_typeEEEZZNS1_27merge_sort_block_merge_implIS3_NS6_6detail15normal_iteratorINS6_10device_ptrIS8_EEEEPS9_mNS6_4lessIS8_EEEE10hipError_tT0_T1_T2_jT3_P12ihipStream_tbPNSt15iterator_traitsISL_E10value_typeEPNSR_ISM_E10value_typeEPSN_NS1_7vsmem_tEENKUlT_SL_SM_SN_E_clIPS8_SG_SH_SH_EESK_S10_SL_SM_SN_EUlS10_E0_NS1_11comp_targetILNS1_3genE2ELNS1_11target_archE906ELNS1_3gpuE6ELNS1_3repE0EEENS1_38merge_mergepath_config_static_selectorELNS0_4arch9wavefront6targetE1EEEvSM_.num_named_barrier, 0
	.set _ZN7rocprim17ROCPRIM_400000_NS6detail17trampoline_kernelINS0_14default_configENS1_38merge_sort_block_merge_config_selectorIN6thrust23THRUST_200600_302600_NS4pairIiiEENS0_10empty_typeEEEZZNS1_27merge_sort_block_merge_implIS3_NS6_6detail15normal_iteratorINS6_10device_ptrIS8_EEEEPS9_mNS6_4lessIS8_EEEE10hipError_tT0_T1_T2_jT3_P12ihipStream_tbPNSt15iterator_traitsISL_E10value_typeEPNSR_ISM_E10value_typeEPSN_NS1_7vsmem_tEENKUlT_SL_SM_SN_E_clIPS8_SG_SH_SH_EESK_S10_SL_SM_SN_EUlS10_E0_NS1_11comp_targetILNS1_3genE2ELNS1_11target_archE906ELNS1_3gpuE6ELNS1_3repE0EEENS1_38merge_mergepath_config_static_selectorELNS0_4arch9wavefront6targetE1EEEvSM_.private_seg_size, 0
	.set _ZN7rocprim17ROCPRIM_400000_NS6detail17trampoline_kernelINS0_14default_configENS1_38merge_sort_block_merge_config_selectorIN6thrust23THRUST_200600_302600_NS4pairIiiEENS0_10empty_typeEEEZZNS1_27merge_sort_block_merge_implIS3_NS6_6detail15normal_iteratorINS6_10device_ptrIS8_EEEEPS9_mNS6_4lessIS8_EEEE10hipError_tT0_T1_T2_jT3_P12ihipStream_tbPNSt15iterator_traitsISL_E10value_typeEPNSR_ISM_E10value_typeEPSN_NS1_7vsmem_tEENKUlT_SL_SM_SN_E_clIPS8_SG_SH_SH_EESK_S10_SL_SM_SN_EUlS10_E0_NS1_11comp_targetILNS1_3genE2ELNS1_11target_archE906ELNS1_3gpuE6ELNS1_3repE0EEENS1_38merge_mergepath_config_static_selectorELNS0_4arch9wavefront6targetE1EEEvSM_.uses_vcc, 0
	.set _ZN7rocprim17ROCPRIM_400000_NS6detail17trampoline_kernelINS0_14default_configENS1_38merge_sort_block_merge_config_selectorIN6thrust23THRUST_200600_302600_NS4pairIiiEENS0_10empty_typeEEEZZNS1_27merge_sort_block_merge_implIS3_NS6_6detail15normal_iteratorINS6_10device_ptrIS8_EEEEPS9_mNS6_4lessIS8_EEEE10hipError_tT0_T1_T2_jT3_P12ihipStream_tbPNSt15iterator_traitsISL_E10value_typeEPNSR_ISM_E10value_typeEPSN_NS1_7vsmem_tEENKUlT_SL_SM_SN_E_clIPS8_SG_SH_SH_EESK_S10_SL_SM_SN_EUlS10_E0_NS1_11comp_targetILNS1_3genE2ELNS1_11target_archE906ELNS1_3gpuE6ELNS1_3repE0EEENS1_38merge_mergepath_config_static_selectorELNS0_4arch9wavefront6targetE1EEEvSM_.uses_flat_scratch, 0
	.set _ZN7rocprim17ROCPRIM_400000_NS6detail17trampoline_kernelINS0_14default_configENS1_38merge_sort_block_merge_config_selectorIN6thrust23THRUST_200600_302600_NS4pairIiiEENS0_10empty_typeEEEZZNS1_27merge_sort_block_merge_implIS3_NS6_6detail15normal_iteratorINS6_10device_ptrIS8_EEEEPS9_mNS6_4lessIS8_EEEE10hipError_tT0_T1_T2_jT3_P12ihipStream_tbPNSt15iterator_traitsISL_E10value_typeEPNSR_ISM_E10value_typeEPSN_NS1_7vsmem_tEENKUlT_SL_SM_SN_E_clIPS8_SG_SH_SH_EESK_S10_SL_SM_SN_EUlS10_E0_NS1_11comp_targetILNS1_3genE2ELNS1_11target_archE906ELNS1_3gpuE6ELNS1_3repE0EEENS1_38merge_mergepath_config_static_selectorELNS0_4arch9wavefront6targetE1EEEvSM_.has_dyn_sized_stack, 0
	.set _ZN7rocprim17ROCPRIM_400000_NS6detail17trampoline_kernelINS0_14default_configENS1_38merge_sort_block_merge_config_selectorIN6thrust23THRUST_200600_302600_NS4pairIiiEENS0_10empty_typeEEEZZNS1_27merge_sort_block_merge_implIS3_NS6_6detail15normal_iteratorINS6_10device_ptrIS8_EEEEPS9_mNS6_4lessIS8_EEEE10hipError_tT0_T1_T2_jT3_P12ihipStream_tbPNSt15iterator_traitsISL_E10value_typeEPNSR_ISM_E10value_typeEPSN_NS1_7vsmem_tEENKUlT_SL_SM_SN_E_clIPS8_SG_SH_SH_EESK_S10_SL_SM_SN_EUlS10_E0_NS1_11comp_targetILNS1_3genE2ELNS1_11target_archE906ELNS1_3gpuE6ELNS1_3repE0EEENS1_38merge_mergepath_config_static_selectorELNS0_4arch9wavefront6targetE1EEEvSM_.has_recursion, 0
	.set _ZN7rocprim17ROCPRIM_400000_NS6detail17trampoline_kernelINS0_14default_configENS1_38merge_sort_block_merge_config_selectorIN6thrust23THRUST_200600_302600_NS4pairIiiEENS0_10empty_typeEEEZZNS1_27merge_sort_block_merge_implIS3_NS6_6detail15normal_iteratorINS6_10device_ptrIS8_EEEEPS9_mNS6_4lessIS8_EEEE10hipError_tT0_T1_T2_jT3_P12ihipStream_tbPNSt15iterator_traitsISL_E10value_typeEPNSR_ISM_E10value_typeEPSN_NS1_7vsmem_tEENKUlT_SL_SM_SN_E_clIPS8_SG_SH_SH_EESK_S10_SL_SM_SN_EUlS10_E0_NS1_11comp_targetILNS1_3genE2ELNS1_11target_archE906ELNS1_3gpuE6ELNS1_3repE0EEENS1_38merge_mergepath_config_static_selectorELNS0_4arch9wavefront6targetE1EEEvSM_.has_indirect_call, 0
	.section	.AMDGPU.csdata,"",@progbits
; Kernel info:
; codeLenInByte = 0
; TotalNumSgprs: 6
; NumVgprs: 0
; NumAgprs: 0
; TotalNumVgprs: 0
; ScratchSize: 0
; MemoryBound: 0
; FloatMode: 240
; IeeeMode: 1
; LDSByteSize: 0 bytes/workgroup (compile time only)
; SGPRBlocks: 0
; VGPRBlocks: 0
; NumSGPRsForWavesPerEU: 6
; NumVGPRsForWavesPerEU: 1
; AccumOffset: 4
; Occupancy: 8
; WaveLimiterHint : 0
; COMPUTE_PGM_RSRC2:SCRATCH_EN: 0
; COMPUTE_PGM_RSRC2:USER_SGPR: 2
; COMPUTE_PGM_RSRC2:TRAP_HANDLER: 0
; COMPUTE_PGM_RSRC2:TGID_X_EN: 1
; COMPUTE_PGM_RSRC2:TGID_Y_EN: 0
; COMPUTE_PGM_RSRC2:TGID_Z_EN: 0
; COMPUTE_PGM_RSRC2:TIDIG_COMP_CNT: 0
; COMPUTE_PGM_RSRC3_GFX90A:ACCUM_OFFSET: 0
; COMPUTE_PGM_RSRC3_GFX90A:TG_SPLIT: 0
	.section	.text._ZN7rocprim17ROCPRIM_400000_NS6detail17trampoline_kernelINS0_14default_configENS1_38merge_sort_block_merge_config_selectorIN6thrust23THRUST_200600_302600_NS4pairIiiEENS0_10empty_typeEEEZZNS1_27merge_sort_block_merge_implIS3_NS6_6detail15normal_iteratorINS6_10device_ptrIS8_EEEEPS9_mNS6_4lessIS8_EEEE10hipError_tT0_T1_T2_jT3_P12ihipStream_tbPNSt15iterator_traitsISL_E10value_typeEPNSR_ISM_E10value_typeEPSN_NS1_7vsmem_tEENKUlT_SL_SM_SN_E_clIPS8_SG_SH_SH_EESK_S10_SL_SM_SN_EUlS10_E0_NS1_11comp_targetILNS1_3genE9ELNS1_11target_archE1100ELNS1_3gpuE3ELNS1_3repE0EEENS1_38merge_mergepath_config_static_selectorELNS0_4arch9wavefront6targetE1EEEvSM_,"axG",@progbits,_ZN7rocprim17ROCPRIM_400000_NS6detail17trampoline_kernelINS0_14default_configENS1_38merge_sort_block_merge_config_selectorIN6thrust23THRUST_200600_302600_NS4pairIiiEENS0_10empty_typeEEEZZNS1_27merge_sort_block_merge_implIS3_NS6_6detail15normal_iteratorINS6_10device_ptrIS8_EEEEPS9_mNS6_4lessIS8_EEEE10hipError_tT0_T1_T2_jT3_P12ihipStream_tbPNSt15iterator_traitsISL_E10value_typeEPNSR_ISM_E10value_typeEPSN_NS1_7vsmem_tEENKUlT_SL_SM_SN_E_clIPS8_SG_SH_SH_EESK_S10_SL_SM_SN_EUlS10_E0_NS1_11comp_targetILNS1_3genE9ELNS1_11target_archE1100ELNS1_3gpuE3ELNS1_3repE0EEENS1_38merge_mergepath_config_static_selectorELNS0_4arch9wavefront6targetE1EEEvSM_,comdat
	.protected	_ZN7rocprim17ROCPRIM_400000_NS6detail17trampoline_kernelINS0_14default_configENS1_38merge_sort_block_merge_config_selectorIN6thrust23THRUST_200600_302600_NS4pairIiiEENS0_10empty_typeEEEZZNS1_27merge_sort_block_merge_implIS3_NS6_6detail15normal_iteratorINS6_10device_ptrIS8_EEEEPS9_mNS6_4lessIS8_EEEE10hipError_tT0_T1_T2_jT3_P12ihipStream_tbPNSt15iterator_traitsISL_E10value_typeEPNSR_ISM_E10value_typeEPSN_NS1_7vsmem_tEENKUlT_SL_SM_SN_E_clIPS8_SG_SH_SH_EESK_S10_SL_SM_SN_EUlS10_E0_NS1_11comp_targetILNS1_3genE9ELNS1_11target_archE1100ELNS1_3gpuE3ELNS1_3repE0EEENS1_38merge_mergepath_config_static_selectorELNS0_4arch9wavefront6targetE1EEEvSM_ ; -- Begin function _ZN7rocprim17ROCPRIM_400000_NS6detail17trampoline_kernelINS0_14default_configENS1_38merge_sort_block_merge_config_selectorIN6thrust23THRUST_200600_302600_NS4pairIiiEENS0_10empty_typeEEEZZNS1_27merge_sort_block_merge_implIS3_NS6_6detail15normal_iteratorINS6_10device_ptrIS8_EEEEPS9_mNS6_4lessIS8_EEEE10hipError_tT0_T1_T2_jT3_P12ihipStream_tbPNSt15iterator_traitsISL_E10value_typeEPNSR_ISM_E10value_typeEPSN_NS1_7vsmem_tEENKUlT_SL_SM_SN_E_clIPS8_SG_SH_SH_EESK_S10_SL_SM_SN_EUlS10_E0_NS1_11comp_targetILNS1_3genE9ELNS1_11target_archE1100ELNS1_3gpuE3ELNS1_3repE0EEENS1_38merge_mergepath_config_static_selectorELNS0_4arch9wavefront6targetE1EEEvSM_
	.globl	_ZN7rocprim17ROCPRIM_400000_NS6detail17trampoline_kernelINS0_14default_configENS1_38merge_sort_block_merge_config_selectorIN6thrust23THRUST_200600_302600_NS4pairIiiEENS0_10empty_typeEEEZZNS1_27merge_sort_block_merge_implIS3_NS6_6detail15normal_iteratorINS6_10device_ptrIS8_EEEEPS9_mNS6_4lessIS8_EEEE10hipError_tT0_T1_T2_jT3_P12ihipStream_tbPNSt15iterator_traitsISL_E10value_typeEPNSR_ISM_E10value_typeEPSN_NS1_7vsmem_tEENKUlT_SL_SM_SN_E_clIPS8_SG_SH_SH_EESK_S10_SL_SM_SN_EUlS10_E0_NS1_11comp_targetILNS1_3genE9ELNS1_11target_archE1100ELNS1_3gpuE3ELNS1_3repE0EEENS1_38merge_mergepath_config_static_selectorELNS0_4arch9wavefront6targetE1EEEvSM_
	.p2align	8
	.type	_ZN7rocprim17ROCPRIM_400000_NS6detail17trampoline_kernelINS0_14default_configENS1_38merge_sort_block_merge_config_selectorIN6thrust23THRUST_200600_302600_NS4pairIiiEENS0_10empty_typeEEEZZNS1_27merge_sort_block_merge_implIS3_NS6_6detail15normal_iteratorINS6_10device_ptrIS8_EEEEPS9_mNS6_4lessIS8_EEEE10hipError_tT0_T1_T2_jT3_P12ihipStream_tbPNSt15iterator_traitsISL_E10value_typeEPNSR_ISM_E10value_typeEPSN_NS1_7vsmem_tEENKUlT_SL_SM_SN_E_clIPS8_SG_SH_SH_EESK_S10_SL_SM_SN_EUlS10_E0_NS1_11comp_targetILNS1_3genE9ELNS1_11target_archE1100ELNS1_3gpuE3ELNS1_3repE0EEENS1_38merge_mergepath_config_static_selectorELNS0_4arch9wavefront6targetE1EEEvSM_,@function
_ZN7rocprim17ROCPRIM_400000_NS6detail17trampoline_kernelINS0_14default_configENS1_38merge_sort_block_merge_config_selectorIN6thrust23THRUST_200600_302600_NS4pairIiiEENS0_10empty_typeEEEZZNS1_27merge_sort_block_merge_implIS3_NS6_6detail15normal_iteratorINS6_10device_ptrIS8_EEEEPS9_mNS6_4lessIS8_EEEE10hipError_tT0_T1_T2_jT3_P12ihipStream_tbPNSt15iterator_traitsISL_E10value_typeEPNSR_ISM_E10value_typeEPSN_NS1_7vsmem_tEENKUlT_SL_SM_SN_E_clIPS8_SG_SH_SH_EESK_S10_SL_SM_SN_EUlS10_E0_NS1_11comp_targetILNS1_3genE9ELNS1_11target_archE1100ELNS1_3gpuE3ELNS1_3repE0EEENS1_38merge_mergepath_config_static_selectorELNS0_4arch9wavefront6targetE1EEEvSM_: ; @_ZN7rocprim17ROCPRIM_400000_NS6detail17trampoline_kernelINS0_14default_configENS1_38merge_sort_block_merge_config_selectorIN6thrust23THRUST_200600_302600_NS4pairIiiEENS0_10empty_typeEEEZZNS1_27merge_sort_block_merge_implIS3_NS6_6detail15normal_iteratorINS6_10device_ptrIS8_EEEEPS9_mNS6_4lessIS8_EEEE10hipError_tT0_T1_T2_jT3_P12ihipStream_tbPNSt15iterator_traitsISL_E10value_typeEPNSR_ISM_E10value_typeEPSN_NS1_7vsmem_tEENKUlT_SL_SM_SN_E_clIPS8_SG_SH_SH_EESK_S10_SL_SM_SN_EUlS10_E0_NS1_11comp_targetILNS1_3genE9ELNS1_11target_archE1100ELNS1_3gpuE3ELNS1_3repE0EEENS1_38merge_mergepath_config_static_selectorELNS0_4arch9wavefront6targetE1EEEvSM_
; %bb.0:
	.section	.rodata,"a",@progbits
	.p2align	6, 0x0
	.amdhsa_kernel _ZN7rocprim17ROCPRIM_400000_NS6detail17trampoline_kernelINS0_14default_configENS1_38merge_sort_block_merge_config_selectorIN6thrust23THRUST_200600_302600_NS4pairIiiEENS0_10empty_typeEEEZZNS1_27merge_sort_block_merge_implIS3_NS6_6detail15normal_iteratorINS6_10device_ptrIS8_EEEEPS9_mNS6_4lessIS8_EEEE10hipError_tT0_T1_T2_jT3_P12ihipStream_tbPNSt15iterator_traitsISL_E10value_typeEPNSR_ISM_E10value_typeEPSN_NS1_7vsmem_tEENKUlT_SL_SM_SN_E_clIPS8_SG_SH_SH_EESK_S10_SL_SM_SN_EUlS10_E0_NS1_11comp_targetILNS1_3genE9ELNS1_11target_archE1100ELNS1_3gpuE3ELNS1_3repE0EEENS1_38merge_mergepath_config_static_selectorELNS0_4arch9wavefront6targetE1EEEvSM_
		.amdhsa_group_segment_fixed_size 0
		.amdhsa_private_segment_fixed_size 0
		.amdhsa_kernarg_size 72
		.amdhsa_user_sgpr_count 2
		.amdhsa_user_sgpr_dispatch_ptr 0
		.amdhsa_user_sgpr_queue_ptr 0
		.amdhsa_user_sgpr_kernarg_segment_ptr 1
		.amdhsa_user_sgpr_dispatch_id 0
		.amdhsa_user_sgpr_kernarg_preload_length 0
		.amdhsa_user_sgpr_kernarg_preload_offset 0
		.amdhsa_user_sgpr_private_segment_size 0
		.amdhsa_uses_dynamic_stack 0
		.amdhsa_enable_private_segment 0
		.amdhsa_system_sgpr_workgroup_id_x 1
		.amdhsa_system_sgpr_workgroup_id_y 0
		.amdhsa_system_sgpr_workgroup_id_z 0
		.amdhsa_system_sgpr_workgroup_info 0
		.amdhsa_system_vgpr_workitem_id 0
		.amdhsa_next_free_vgpr 1
		.amdhsa_next_free_sgpr 0
		.amdhsa_accum_offset 4
		.amdhsa_reserve_vcc 0
		.amdhsa_float_round_mode_32 0
		.amdhsa_float_round_mode_16_64 0
		.amdhsa_float_denorm_mode_32 3
		.amdhsa_float_denorm_mode_16_64 3
		.amdhsa_dx10_clamp 1
		.amdhsa_ieee_mode 1
		.amdhsa_fp16_overflow 0
		.amdhsa_tg_split 0
		.amdhsa_exception_fp_ieee_invalid_op 0
		.amdhsa_exception_fp_denorm_src 0
		.amdhsa_exception_fp_ieee_div_zero 0
		.amdhsa_exception_fp_ieee_overflow 0
		.amdhsa_exception_fp_ieee_underflow 0
		.amdhsa_exception_fp_ieee_inexact 0
		.amdhsa_exception_int_div_zero 0
	.end_amdhsa_kernel
	.section	.text._ZN7rocprim17ROCPRIM_400000_NS6detail17trampoline_kernelINS0_14default_configENS1_38merge_sort_block_merge_config_selectorIN6thrust23THRUST_200600_302600_NS4pairIiiEENS0_10empty_typeEEEZZNS1_27merge_sort_block_merge_implIS3_NS6_6detail15normal_iteratorINS6_10device_ptrIS8_EEEEPS9_mNS6_4lessIS8_EEEE10hipError_tT0_T1_T2_jT3_P12ihipStream_tbPNSt15iterator_traitsISL_E10value_typeEPNSR_ISM_E10value_typeEPSN_NS1_7vsmem_tEENKUlT_SL_SM_SN_E_clIPS8_SG_SH_SH_EESK_S10_SL_SM_SN_EUlS10_E0_NS1_11comp_targetILNS1_3genE9ELNS1_11target_archE1100ELNS1_3gpuE3ELNS1_3repE0EEENS1_38merge_mergepath_config_static_selectorELNS0_4arch9wavefront6targetE1EEEvSM_,"axG",@progbits,_ZN7rocprim17ROCPRIM_400000_NS6detail17trampoline_kernelINS0_14default_configENS1_38merge_sort_block_merge_config_selectorIN6thrust23THRUST_200600_302600_NS4pairIiiEENS0_10empty_typeEEEZZNS1_27merge_sort_block_merge_implIS3_NS6_6detail15normal_iteratorINS6_10device_ptrIS8_EEEEPS9_mNS6_4lessIS8_EEEE10hipError_tT0_T1_T2_jT3_P12ihipStream_tbPNSt15iterator_traitsISL_E10value_typeEPNSR_ISM_E10value_typeEPSN_NS1_7vsmem_tEENKUlT_SL_SM_SN_E_clIPS8_SG_SH_SH_EESK_S10_SL_SM_SN_EUlS10_E0_NS1_11comp_targetILNS1_3genE9ELNS1_11target_archE1100ELNS1_3gpuE3ELNS1_3repE0EEENS1_38merge_mergepath_config_static_selectorELNS0_4arch9wavefront6targetE1EEEvSM_,comdat
.Lfunc_end647:
	.size	_ZN7rocprim17ROCPRIM_400000_NS6detail17trampoline_kernelINS0_14default_configENS1_38merge_sort_block_merge_config_selectorIN6thrust23THRUST_200600_302600_NS4pairIiiEENS0_10empty_typeEEEZZNS1_27merge_sort_block_merge_implIS3_NS6_6detail15normal_iteratorINS6_10device_ptrIS8_EEEEPS9_mNS6_4lessIS8_EEEE10hipError_tT0_T1_T2_jT3_P12ihipStream_tbPNSt15iterator_traitsISL_E10value_typeEPNSR_ISM_E10value_typeEPSN_NS1_7vsmem_tEENKUlT_SL_SM_SN_E_clIPS8_SG_SH_SH_EESK_S10_SL_SM_SN_EUlS10_E0_NS1_11comp_targetILNS1_3genE9ELNS1_11target_archE1100ELNS1_3gpuE3ELNS1_3repE0EEENS1_38merge_mergepath_config_static_selectorELNS0_4arch9wavefront6targetE1EEEvSM_, .Lfunc_end647-_ZN7rocprim17ROCPRIM_400000_NS6detail17trampoline_kernelINS0_14default_configENS1_38merge_sort_block_merge_config_selectorIN6thrust23THRUST_200600_302600_NS4pairIiiEENS0_10empty_typeEEEZZNS1_27merge_sort_block_merge_implIS3_NS6_6detail15normal_iteratorINS6_10device_ptrIS8_EEEEPS9_mNS6_4lessIS8_EEEE10hipError_tT0_T1_T2_jT3_P12ihipStream_tbPNSt15iterator_traitsISL_E10value_typeEPNSR_ISM_E10value_typeEPSN_NS1_7vsmem_tEENKUlT_SL_SM_SN_E_clIPS8_SG_SH_SH_EESK_S10_SL_SM_SN_EUlS10_E0_NS1_11comp_targetILNS1_3genE9ELNS1_11target_archE1100ELNS1_3gpuE3ELNS1_3repE0EEENS1_38merge_mergepath_config_static_selectorELNS0_4arch9wavefront6targetE1EEEvSM_
                                        ; -- End function
	.set _ZN7rocprim17ROCPRIM_400000_NS6detail17trampoline_kernelINS0_14default_configENS1_38merge_sort_block_merge_config_selectorIN6thrust23THRUST_200600_302600_NS4pairIiiEENS0_10empty_typeEEEZZNS1_27merge_sort_block_merge_implIS3_NS6_6detail15normal_iteratorINS6_10device_ptrIS8_EEEEPS9_mNS6_4lessIS8_EEEE10hipError_tT0_T1_T2_jT3_P12ihipStream_tbPNSt15iterator_traitsISL_E10value_typeEPNSR_ISM_E10value_typeEPSN_NS1_7vsmem_tEENKUlT_SL_SM_SN_E_clIPS8_SG_SH_SH_EESK_S10_SL_SM_SN_EUlS10_E0_NS1_11comp_targetILNS1_3genE9ELNS1_11target_archE1100ELNS1_3gpuE3ELNS1_3repE0EEENS1_38merge_mergepath_config_static_selectorELNS0_4arch9wavefront6targetE1EEEvSM_.num_vgpr, 0
	.set _ZN7rocprim17ROCPRIM_400000_NS6detail17trampoline_kernelINS0_14default_configENS1_38merge_sort_block_merge_config_selectorIN6thrust23THRUST_200600_302600_NS4pairIiiEENS0_10empty_typeEEEZZNS1_27merge_sort_block_merge_implIS3_NS6_6detail15normal_iteratorINS6_10device_ptrIS8_EEEEPS9_mNS6_4lessIS8_EEEE10hipError_tT0_T1_T2_jT3_P12ihipStream_tbPNSt15iterator_traitsISL_E10value_typeEPNSR_ISM_E10value_typeEPSN_NS1_7vsmem_tEENKUlT_SL_SM_SN_E_clIPS8_SG_SH_SH_EESK_S10_SL_SM_SN_EUlS10_E0_NS1_11comp_targetILNS1_3genE9ELNS1_11target_archE1100ELNS1_3gpuE3ELNS1_3repE0EEENS1_38merge_mergepath_config_static_selectorELNS0_4arch9wavefront6targetE1EEEvSM_.num_agpr, 0
	.set _ZN7rocprim17ROCPRIM_400000_NS6detail17trampoline_kernelINS0_14default_configENS1_38merge_sort_block_merge_config_selectorIN6thrust23THRUST_200600_302600_NS4pairIiiEENS0_10empty_typeEEEZZNS1_27merge_sort_block_merge_implIS3_NS6_6detail15normal_iteratorINS6_10device_ptrIS8_EEEEPS9_mNS6_4lessIS8_EEEE10hipError_tT0_T1_T2_jT3_P12ihipStream_tbPNSt15iterator_traitsISL_E10value_typeEPNSR_ISM_E10value_typeEPSN_NS1_7vsmem_tEENKUlT_SL_SM_SN_E_clIPS8_SG_SH_SH_EESK_S10_SL_SM_SN_EUlS10_E0_NS1_11comp_targetILNS1_3genE9ELNS1_11target_archE1100ELNS1_3gpuE3ELNS1_3repE0EEENS1_38merge_mergepath_config_static_selectorELNS0_4arch9wavefront6targetE1EEEvSM_.numbered_sgpr, 0
	.set _ZN7rocprim17ROCPRIM_400000_NS6detail17trampoline_kernelINS0_14default_configENS1_38merge_sort_block_merge_config_selectorIN6thrust23THRUST_200600_302600_NS4pairIiiEENS0_10empty_typeEEEZZNS1_27merge_sort_block_merge_implIS3_NS6_6detail15normal_iteratorINS6_10device_ptrIS8_EEEEPS9_mNS6_4lessIS8_EEEE10hipError_tT0_T1_T2_jT3_P12ihipStream_tbPNSt15iterator_traitsISL_E10value_typeEPNSR_ISM_E10value_typeEPSN_NS1_7vsmem_tEENKUlT_SL_SM_SN_E_clIPS8_SG_SH_SH_EESK_S10_SL_SM_SN_EUlS10_E0_NS1_11comp_targetILNS1_3genE9ELNS1_11target_archE1100ELNS1_3gpuE3ELNS1_3repE0EEENS1_38merge_mergepath_config_static_selectorELNS0_4arch9wavefront6targetE1EEEvSM_.num_named_barrier, 0
	.set _ZN7rocprim17ROCPRIM_400000_NS6detail17trampoline_kernelINS0_14default_configENS1_38merge_sort_block_merge_config_selectorIN6thrust23THRUST_200600_302600_NS4pairIiiEENS0_10empty_typeEEEZZNS1_27merge_sort_block_merge_implIS3_NS6_6detail15normal_iteratorINS6_10device_ptrIS8_EEEEPS9_mNS6_4lessIS8_EEEE10hipError_tT0_T1_T2_jT3_P12ihipStream_tbPNSt15iterator_traitsISL_E10value_typeEPNSR_ISM_E10value_typeEPSN_NS1_7vsmem_tEENKUlT_SL_SM_SN_E_clIPS8_SG_SH_SH_EESK_S10_SL_SM_SN_EUlS10_E0_NS1_11comp_targetILNS1_3genE9ELNS1_11target_archE1100ELNS1_3gpuE3ELNS1_3repE0EEENS1_38merge_mergepath_config_static_selectorELNS0_4arch9wavefront6targetE1EEEvSM_.private_seg_size, 0
	.set _ZN7rocprim17ROCPRIM_400000_NS6detail17trampoline_kernelINS0_14default_configENS1_38merge_sort_block_merge_config_selectorIN6thrust23THRUST_200600_302600_NS4pairIiiEENS0_10empty_typeEEEZZNS1_27merge_sort_block_merge_implIS3_NS6_6detail15normal_iteratorINS6_10device_ptrIS8_EEEEPS9_mNS6_4lessIS8_EEEE10hipError_tT0_T1_T2_jT3_P12ihipStream_tbPNSt15iterator_traitsISL_E10value_typeEPNSR_ISM_E10value_typeEPSN_NS1_7vsmem_tEENKUlT_SL_SM_SN_E_clIPS8_SG_SH_SH_EESK_S10_SL_SM_SN_EUlS10_E0_NS1_11comp_targetILNS1_3genE9ELNS1_11target_archE1100ELNS1_3gpuE3ELNS1_3repE0EEENS1_38merge_mergepath_config_static_selectorELNS0_4arch9wavefront6targetE1EEEvSM_.uses_vcc, 0
	.set _ZN7rocprim17ROCPRIM_400000_NS6detail17trampoline_kernelINS0_14default_configENS1_38merge_sort_block_merge_config_selectorIN6thrust23THRUST_200600_302600_NS4pairIiiEENS0_10empty_typeEEEZZNS1_27merge_sort_block_merge_implIS3_NS6_6detail15normal_iteratorINS6_10device_ptrIS8_EEEEPS9_mNS6_4lessIS8_EEEE10hipError_tT0_T1_T2_jT3_P12ihipStream_tbPNSt15iterator_traitsISL_E10value_typeEPNSR_ISM_E10value_typeEPSN_NS1_7vsmem_tEENKUlT_SL_SM_SN_E_clIPS8_SG_SH_SH_EESK_S10_SL_SM_SN_EUlS10_E0_NS1_11comp_targetILNS1_3genE9ELNS1_11target_archE1100ELNS1_3gpuE3ELNS1_3repE0EEENS1_38merge_mergepath_config_static_selectorELNS0_4arch9wavefront6targetE1EEEvSM_.uses_flat_scratch, 0
	.set _ZN7rocprim17ROCPRIM_400000_NS6detail17trampoline_kernelINS0_14default_configENS1_38merge_sort_block_merge_config_selectorIN6thrust23THRUST_200600_302600_NS4pairIiiEENS0_10empty_typeEEEZZNS1_27merge_sort_block_merge_implIS3_NS6_6detail15normal_iteratorINS6_10device_ptrIS8_EEEEPS9_mNS6_4lessIS8_EEEE10hipError_tT0_T1_T2_jT3_P12ihipStream_tbPNSt15iterator_traitsISL_E10value_typeEPNSR_ISM_E10value_typeEPSN_NS1_7vsmem_tEENKUlT_SL_SM_SN_E_clIPS8_SG_SH_SH_EESK_S10_SL_SM_SN_EUlS10_E0_NS1_11comp_targetILNS1_3genE9ELNS1_11target_archE1100ELNS1_3gpuE3ELNS1_3repE0EEENS1_38merge_mergepath_config_static_selectorELNS0_4arch9wavefront6targetE1EEEvSM_.has_dyn_sized_stack, 0
	.set _ZN7rocprim17ROCPRIM_400000_NS6detail17trampoline_kernelINS0_14default_configENS1_38merge_sort_block_merge_config_selectorIN6thrust23THRUST_200600_302600_NS4pairIiiEENS0_10empty_typeEEEZZNS1_27merge_sort_block_merge_implIS3_NS6_6detail15normal_iteratorINS6_10device_ptrIS8_EEEEPS9_mNS6_4lessIS8_EEEE10hipError_tT0_T1_T2_jT3_P12ihipStream_tbPNSt15iterator_traitsISL_E10value_typeEPNSR_ISM_E10value_typeEPSN_NS1_7vsmem_tEENKUlT_SL_SM_SN_E_clIPS8_SG_SH_SH_EESK_S10_SL_SM_SN_EUlS10_E0_NS1_11comp_targetILNS1_3genE9ELNS1_11target_archE1100ELNS1_3gpuE3ELNS1_3repE0EEENS1_38merge_mergepath_config_static_selectorELNS0_4arch9wavefront6targetE1EEEvSM_.has_recursion, 0
	.set _ZN7rocprim17ROCPRIM_400000_NS6detail17trampoline_kernelINS0_14default_configENS1_38merge_sort_block_merge_config_selectorIN6thrust23THRUST_200600_302600_NS4pairIiiEENS0_10empty_typeEEEZZNS1_27merge_sort_block_merge_implIS3_NS6_6detail15normal_iteratorINS6_10device_ptrIS8_EEEEPS9_mNS6_4lessIS8_EEEE10hipError_tT0_T1_T2_jT3_P12ihipStream_tbPNSt15iterator_traitsISL_E10value_typeEPNSR_ISM_E10value_typeEPSN_NS1_7vsmem_tEENKUlT_SL_SM_SN_E_clIPS8_SG_SH_SH_EESK_S10_SL_SM_SN_EUlS10_E0_NS1_11comp_targetILNS1_3genE9ELNS1_11target_archE1100ELNS1_3gpuE3ELNS1_3repE0EEENS1_38merge_mergepath_config_static_selectorELNS0_4arch9wavefront6targetE1EEEvSM_.has_indirect_call, 0
	.section	.AMDGPU.csdata,"",@progbits
; Kernel info:
; codeLenInByte = 0
; TotalNumSgprs: 6
; NumVgprs: 0
; NumAgprs: 0
; TotalNumVgprs: 0
; ScratchSize: 0
; MemoryBound: 0
; FloatMode: 240
; IeeeMode: 1
; LDSByteSize: 0 bytes/workgroup (compile time only)
; SGPRBlocks: 0
; VGPRBlocks: 0
; NumSGPRsForWavesPerEU: 6
; NumVGPRsForWavesPerEU: 1
; AccumOffset: 4
; Occupancy: 8
; WaveLimiterHint : 0
; COMPUTE_PGM_RSRC2:SCRATCH_EN: 0
; COMPUTE_PGM_RSRC2:USER_SGPR: 2
; COMPUTE_PGM_RSRC2:TRAP_HANDLER: 0
; COMPUTE_PGM_RSRC2:TGID_X_EN: 1
; COMPUTE_PGM_RSRC2:TGID_Y_EN: 0
; COMPUTE_PGM_RSRC2:TGID_Z_EN: 0
; COMPUTE_PGM_RSRC2:TIDIG_COMP_CNT: 0
; COMPUTE_PGM_RSRC3_GFX90A:ACCUM_OFFSET: 0
; COMPUTE_PGM_RSRC3_GFX90A:TG_SPLIT: 0
	.section	.text._ZN7rocprim17ROCPRIM_400000_NS6detail17trampoline_kernelINS0_14default_configENS1_38merge_sort_block_merge_config_selectorIN6thrust23THRUST_200600_302600_NS4pairIiiEENS0_10empty_typeEEEZZNS1_27merge_sort_block_merge_implIS3_NS6_6detail15normal_iteratorINS6_10device_ptrIS8_EEEEPS9_mNS6_4lessIS8_EEEE10hipError_tT0_T1_T2_jT3_P12ihipStream_tbPNSt15iterator_traitsISL_E10value_typeEPNSR_ISM_E10value_typeEPSN_NS1_7vsmem_tEENKUlT_SL_SM_SN_E_clIPS8_SG_SH_SH_EESK_S10_SL_SM_SN_EUlS10_E0_NS1_11comp_targetILNS1_3genE8ELNS1_11target_archE1030ELNS1_3gpuE2ELNS1_3repE0EEENS1_38merge_mergepath_config_static_selectorELNS0_4arch9wavefront6targetE1EEEvSM_,"axG",@progbits,_ZN7rocprim17ROCPRIM_400000_NS6detail17trampoline_kernelINS0_14default_configENS1_38merge_sort_block_merge_config_selectorIN6thrust23THRUST_200600_302600_NS4pairIiiEENS0_10empty_typeEEEZZNS1_27merge_sort_block_merge_implIS3_NS6_6detail15normal_iteratorINS6_10device_ptrIS8_EEEEPS9_mNS6_4lessIS8_EEEE10hipError_tT0_T1_T2_jT3_P12ihipStream_tbPNSt15iterator_traitsISL_E10value_typeEPNSR_ISM_E10value_typeEPSN_NS1_7vsmem_tEENKUlT_SL_SM_SN_E_clIPS8_SG_SH_SH_EESK_S10_SL_SM_SN_EUlS10_E0_NS1_11comp_targetILNS1_3genE8ELNS1_11target_archE1030ELNS1_3gpuE2ELNS1_3repE0EEENS1_38merge_mergepath_config_static_selectorELNS0_4arch9wavefront6targetE1EEEvSM_,comdat
	.protected	_ZN7rocprim17ROCPRIM_400000_NS6detail17trampoline_kernelINS0_14default_configENS1_38merge_sort_block_merge_config_selectorIN6thrust23THRUST_200600_302600_NS4pairIiiEENS0_10empty_typeEEEZZNS1_27merge_sort_block_merge_implIS3_NS6_6detail15normal_iteratorINS6_10device_ptrIS8_EEEEPS9_mNS6_4lessIS8_EEEE10hipError_tT0_T1_T2_jT3_P12ihipStream_tbPNSt15iterator_traitsISL_E10value_typeEPNSR_ISM_E10value_typeEPSN_NS1_7vsmem_tEENKUlT_SL_SM_SN_E_clIPS8_SG_SH_SH_EESK_S10_SL_SM_SN_EUlS10_E0_NS1_11comp_targetILNS1_3genE8ELNS1_11target_archE1030ELNS1_3gpuE2ELNS1_3repE0EEENS1_38merge_mergepath_config_static_selectorELNS0_4arch9wavefront6targetE1EEEvSM_ ; -- Begin function _ZN7rocprim17ROCPRIM_400000_NS6detail17trampoline_kernelINS0_14default_configENS1_38merge_sort_block_merge_config_selectorIN6thrust23THRUST_200600_302600_NS4pairIiiEENS0_10empty_typeEEEZZNS1_27merge_sort_block_merge_implIS3_NS6_6detail15normal_iteratorINS6_10device_ptrIS8_EEEEPS9_mNS6_4lessIS8_EEEE10hipError_tT0_T1_T2_jT3_P12ihipStream_tbPNSt15iterator_traitsISL_E10value_typeEPNSR_ISM_E10value_typeEPSN_NS1_7vsmem_tEENKUlT_SL_SM_SN_E_clIPS8_SG_SH_SH_EESK_S10_SL_SM_SN_EUlS10_E0_NS1_11comp_targetILNS1_3genE8ELNS1_11target_archE1030ELNS1_3gpuE2ELNS1_3repE0EEENS1_38merge_mergepath_config_static_selectorELNS0_4arch9wavefront6targetE1EEEvSM_
	.globl	_ZN7rocprim17ROCPRIM_400000_NS6detail17trampoline_kernelINS0_14default_configENS1_38merge_sort_block_merge_config_selectorIN6thrust23THRUST_200600_302600_NS4pairIiiEENS0_10empty_typeEEEZZNS1_27merge_sort_block_merge_implIS3_NS6_6detail15normal_iteratorINS6_10device_ptrIS8_EEEEPS9_mNS6_4lessIS8_EEEE10hipError_tT0_T1_T2_jT3_P12ihipStream_tbPNSt15iterator_traitsISL_E10value_typeEPNSR_ISM_E10value_typeEPSN_NS1_7vsmem_tEENKUlT_SL_SM_SN_E_clIPS8_SG_SH_SH_EESK_S10_SL_SM_SN_EUlS10_E0_NS1_11comp_targetILNS1_3genE8ELNS1_11target_archE1030ELNS1_3gpuE2ELNS1_3repE0EEENS1_38merge_mergepath_config_static_selectorELNS0_4arch9wavefront6targetE1EEEvSM_
	.p2align	8
	.type	_ZN7rocprim17ROCPRIM_400000_NS6detail17trampoline_kernelINS0_14default_configENS1_38merge_sort_block_merge_config_selectorIN6thrust23THRUST_200600_302600_NS4pairIiiEENS0_10empty_typeEEEZZNS1_27merge_sort_block_merge_implIS3_NS6_6detail15normal_iteratorINS6_10device_ptrIS8_EEEEPS9_mNS6_4lessIS8_EEEE10hipError_tT0_T1_T2_jT3_P12ihipStream_tbPNSt15iterator_traitsISL_E10value_typeEPNSR_ISM_E10value_typeEPSN_NS1_7vsmem_tEENKUlT_SL_SM_SN_E_clIPS8_SG_SH_SH_EESK_S10_SL_SM_SN_EUlS10_E0_NS1_11comp_targetILNS1_3genE8ELNS1_11target_archE1030ELNS1_3gpuE2ELNS1_3repE0EEENS1_38merge_mergepath_config_static_selectorELNS0_4arch9wavefront6targetE1EEEvSM_,@function
_ZN7rocprim17ROCPRIM_400000_NS6detail17trampoline_kernelINS0_14default_configENS1_38merge_sort_block_merge_config_selectorIN6thrust23THRUST_200600_302600_NS4pairIiiEENS0_10empty_typeEEEZZNS1_27merge_sort_block_merge_implIS3_NS6_6detail15normal_iteratorINS6_10device_ptrIS8_EEEEPS9_mNS6_4lessIS8_EEEE10hipError_tT0_T1_T2_jT3_P12ihipStream_tbPNSt15iterator_traitsISL_E10value_typeEPNSR_ISM_E10value_typeEPSN_NS1_7vsmem_tEENKUlT_SL_SM_SN_E_clIPS8_SG_SH_SH_EESK_S10_SL_SM_SN_EUlS10_E0_NS1_11comp_targetILNS1_3genE8ELNS1_11target_archE1030ELNS1_3gpuE2ELNS1_3repE0EEENS1_38merge_mergepath_config_static_selectorELNS0_4arch9wavefront6targetE1EEEvSM_: ; @_ZN7rocprim17ROCPRIM_400000_NS6detail17trampoline_kernelINS0_14default_configENS1_38merge_sort_block_merge_config_selectorIN6thrust23THRUST_200600_302600_NS4pairIiiEENS0_10empty_typeEEEZZNS1_27merge_sort_block_merge_implIS3_NS6_6detail15normal_iteratorINS6_10device_ptrIS8_EEEEPS9_mNS6_4lessIS8_EEEE10hipError_tT0_T1_T2_jT3_P12ihipStream_tbPNSt15iterator_traitsISL_E10value_typeEPNSR_ISM_E10value_typeEPSN_NS1_7vsmem_tEENKUlT_SL_SM_SN_E_clIPS8_SG_SH_SH_EESK_S10_SL_SM_SN_EUlS10_E0_NS1_11comp_targetILNS1_3genE8ELNS1_11target_archE1030ELNS1_3gpuE2ELNS1_3repE0EEENS1_38merge_mergepath_config_static_selectorELNS0_4arch9wavefront6targetE1EEEvSM_
; %bb.0:
	.section	.rodata,"a",@progbits
	.p2align	6, 0x0
	.amdhsa_kernel _ZN7rocprim17ROCPRIM_400000_NS6detail17trampoline_kernelINS0_14default_configENS1_38merge_sort_block_merge_config_selectorIN6thrust23THRUST_200600_302600_NS4pairIiiEENS0_10empty_typeEEEZZNS1_27merge_sort_block_merge_implIS3_NS6_6detail15normal_iteratorINS6_10device_ptrIS8_EEEEPS9_mNS6_4lessIS8_EEEE10hipError_tT0_T1_T2_jT3_P12ihipStream_tbPNSt15iterator_traitsISL_E10value_typeEPNSR_ISM_E10value_typeEPSN_NS1_7vsmem_tEENKUlT_SL_SM_SN_E_clIPS8_SG_SH_SH_EESK_S10_SL_SM_SN_EUlS10_E0_NS1_11comp_targetILNS1_3genE8ELNS1_11target_archE1030ELNS1_3gpuE2ELNS1_3repE0EEENS1_38merge_mergepath_config_static_selectorELNS0_4arch9wavefront6targetE1EEEvSM_
		.amdhsa_group_segment_fixed_size 0
		.amdhsa_private_segment_fixed_size 0
		.amdhsa_kernarg_size 72
		.amdhsa_user_sgpr_count 2
		.amdhsa_user_sgpr_dispatch_ptr 0
		.amdhsa_user_sgpr_queue_ptr 0
		.amdhsa_user_sgpr_kernarg_segment_ptr 1
		.amdhsa_user_sgpr_dispatch_id 0
		.amdhsa_user_sgpr_kernarg_preload_length 0
		.amdhsa_user_sgpr_kernarg_preload_offset 0
		.amdhsa_user_sgpr_private_segment_size 0
		.amdhsa_uses_dynamic_stack 0
		.amdhsa_enable_private_segment 0
		.amdhsa_system_sgpr_workgroup_id_x 1
		.amdhsa_system_sgpr_workgroup_id_y 0
		.amdhsa_system_sgpr_workgroup_id_z 0
		.amdhsa_system_sgpr_workgroup_info 0
		.amdhsa_system_vgpr_workitem_id 0
		.amdhsa_next_free_vgpr 1
		.amdhsa_next_free_sgpr 0
		.amdhsa_accum_offset 4
		.amdhsa_reserve_vcc 0
		.amdhsa_float_round_mode_32 0
		.amdhsa_float_round_mode_16_64 0
		.amdhsa_float_denorm_mode_32 3
		.amdhsa_float_denorm_mode_16_64 3
		.amdhsa_dx10_clamp 1
		.amdhsa_ieee_mode 1
		.amdhsa_fp16_overflow 0
		.amdhsa_tg_split 0
		.amdhsa_exception_fp_ieee_invalid_op 0
		.amdhsa_exception_fp_denorm_src 0
		.amdhsa_exception_fp_ieee_div_zero 0
		.amdhsa_exception_fp_ieee_overflow 0
		.amdhsa_exception_fp_ieee_underflow 0
		.amdhsa_exception_fp_ieee_inexact 0
		.amdhsa_exception_int_div_zero 0
	.end_amdhsa_kernel
	.section	.text._ZN7rocprim17ROCPRIM_400000_NS6detail17trampoline_kernelINS0_14default_configENS1_38merge_sort_block_merge_config_selectorIN6thrust23THRUST_200600_302600_NS4pairIiiEENS0_10empty_typeEEEZZNS1_27merge_sort_block_merge_implIS3_NS6_6detail15normal_iteratorINS6_10device_ptrIS8_EEEEPS9_mNS6_4lessIS8_EEEE10hipError_tT0_T1_T2_jT3_P12ihipStream_tbPNSt15iterator_traitsISL_E10value_typeEPNSR_ISM_E10value_typeEPSN_NS1_7vsmem_tEENKUlT_SL_SM_SN_E_clIPS8_SG_SH_SH_EESK_S10_SL_SM_SN_EUlS10_E0_NS1_11comp_targetILNS1_3genE8ELNS1_11target_archE1030ELNS1_3gpuE2ELNS1_3repE0EEENS1_38merge_mergepath_config_static_selectorELNS0_4arch9wavefront6targetE1EEEvSM_,"axG",@progbits,_ZN7rocprim17ROCPRIM_400000_NS6detail17trampoline_kernelINS0_14default_configENS1_38merge_sort_block_merge_config_selectorIN6thrust23THRUST_200600_302600_NS4pairIiiEENS0_10empty_typeEEEZZNS1_27merge_sort_block_merge_implIS3_NS6_6detail15normal_iteratorINS6_10device_ptrIS8_EEEEPS9_mNS6_4lessIS8_EEEE10hipError_tT0_T1_T2_jT3_P12ihipStream_tbPNSt15iterator_traitsISL_E10value_typeEPNSR_ISM_E10value_typeEPSN_NS1_7vsmem_tEENKUlT_SL_SM_SN_E_clIPS8_SG_SH_SH_EESK_S10_SL_SM_SN_EUlS10_E0_NS1_11comp_targetILNS1_3genE8ELNS1_11target_archE1030ELNS1_3gpuE2ELNS1_3repE0EEENS1_38merge_mergepath_config_static_selectorELNS0_4arch9wavefront6targetE1EEEvSM_,comdat
.Lfunc_end648:
	.size	_ZN7rocprim17ROCPRIM_400000_NS6detail17trampoline_kernelINS0_14default_configENS1_38merge_sort_block_merge_config_selectorIN6thrust23THRUST_200600_302600_NS4pairIiiEENS0_10empty_typeEEEZZNS1_27merge_sort_block_merge_implIS3_NS6_6detail15normal_iteratorINS6_10device_ptrIS8_EEEEPS9_mNS6_4lessIS8_EEEE10hipError_tT0_T1_T2_jT3_P12ihipStream_tbPNSt15iterator_traitsISL_E10value_typeEPNSR_ISM_E10value_typeEPSN_NS1_7vsmem_tEENKUlT_SL_SM_SN_E_clIPS8_SG_SH_SH_EESK_S10_SL_SM_SN_EUlS10_E0_NS1_11comp_targetILNS1_3genE8ELNS1_11target_archE1030ELNS1_3gpuE2ELNS1_3repE0EEENS1_38merge_mergepath_config_static_selectorELNS0_4arch9wavefront6targetE1EEEvSM_, .Lfunc_end648-_ZN7rocprim17ROCPRIM_400000_NS6detail17trampoline_kernelINS0_14default_configENS1_38merge_sort_block_merge_config_selectorIN6thrust23THRUST_200600_302600_NS4pairIiiEENS0_10empty_typeEEEZZNS1_27merge_sort_block_merge_implIS3_NS6_6detail15normal_iteratorINS6_10device_ptrIS8_EEEEPS9_mNS6_4lessIS8_EEEE10hipError_tT0_T1_T2_jT3_P12ihipStream_tbPNSt15iterator_traitsISL_E10value_typeEPNSR_ISM_E10value_typeEPSN_NS1_7vsmem_tEENKUlT_SL_SM_SN_E_clIPS8_SG_SH_SH_EESK_S10_SL_SM_SN_EUlS10_E0_NS1_11comp_targetILNS1_3genE8ELNS1_11target_archE1030ELNS1_3gpuE2ELNS1_3repE0EEENS1_38merge_mergepath_config_static_selectorELNS0_4arch9wavefront6targetE1EEEvSM_
                                        ; -- End function
	.set _ZN7rocprim17ROCPRIM_400000_NS6detail17trampoline_kernelINS0_14default_configENS1_38merge_sort_block_merge_config_selectorIN6thrust23THRUST_200600_302600_NS4pairIiiEENS0_10empty_typeEEEZZNS1_27merge_sort_block_merge_implIS3_NS6_6detail15normal_iteratorINS6_10device_ptrIS8_EEEEPS9_mNS6_4lessIS8_EEEE10hipError_tT0_T1_T2_jT3_P12ihipStream_tbPNSt15iterator_traitsISL_E10value_typeEPNSR_ISM_E10value_typeEPSN_NS1_7vsmem_tEENKUlT_SL_SM_SN_E_clIPS8_SG_SH_SH_EESK_S10_SL_SM_SN_EUlS10_E0_NS1_11comp_targetILNS1_3genE8ELNS1_11target_archE1030ELNS1_3gpuE2ELNS1_3repE0EEENS1_38merge_mergepath_config_static_selectorELNS0_4arch9wavefront6targetE1EEEvSM_.num_vgpr, 0
	.set _ZN7rocprim17ROCPRIM_400000_NS6detail17trampoline_kernelINS0_14default_configENS1_38merge_sort_block_merge_config_selectorIN6thrust23THRUST_200600_302600_NS4pairIiiEENS0_10empty_typeEEEZZNS1_27merge_sort_block_merge_implIS3_NS6_6detail15normal_iteratorINS6_10device_ptrIS8_EEEEPS9_mNS6_4lessIS8_EEEE10hipError_tT0_T1_T2_jT3_P12ihipStream_tbPNSt15iterator_traitsISL_E10value_typeEPNSR_ISM_E10value_typeEPSN_NS1_7vsmem_tEENKUlT_SL_SM_SN_E_clIPS8_SG_SH_SH_EESK_S10_SL_SM_SN_EUlS10_E0_NS1_11comp_targetILNS1_3genE8ELNS1_11target_archE1030ELNS1_3gpuE2ELNS1_3repE0EEENS1_38merge_mergepath_config_static_selectorELNS0_4arch9wavefront6targetE1EEEvSM_.num_agpr, 0
	.set _ZN7rocprim17ROCPRIM_400000_NS6detail17trampoline_kernelINS0_14default_configENS1_38merge_sort_block_merge_config_selectorIN6thrust23THRUST_200600_302600_NS4pairIiiEENS0_10empty_typeEEEZZNS1_27merge_sort_block_merge_implIS3_NS6_6detail15normal_iteratorINS6_10device_ptrIS8_EEEEPS9_mNS6_4lessIS8_EEEE10hipError_tT0_T1_T2_jT3_P12ihipStream_tbPNSt15iterator_traitsISL_E10value_typeEPNSR_ISM_E10value_typeEPSN_NS1_7vsmem_tEENKUlT_SL_SM_SN_E_clIPS8_SG_SH_SH_EESK_S10_SL_SM_SN_EUlS10_E0_NS1_11comp_targetILNS1_3genE8ELNS1_11target_archE1030ELNS1_3gpuE2ELNS1_3repE0EEENS1_38merge_mergepath_config_static_selectorELNS0_4arch9wavefront6targetE1EEEvSM_.numbered_sgpr, 0
	.set _ZN7rocprim17ROCPRIM_400000_NS6detail17trampoline_kernelINS0_14default_configENS1_38merge_sort_block_merge_config_selectorIN6thrust23THRUST_200600_302600_NS4pairIiiEENS0_10empty_typeEEEZZNS1_27merge_sort_block_merge_implIS3_NS6_6detail15normal_iteratorINS6_10device_ptrIS8_EEEEPS9_mNS6_4lessIS8_EEEE10hipError_tT0_T1_T2_jT3_P12ihipStream_tbPNSt15iterator_traitsISL_E10value_typeEPNSR_ISM_E10value_typeEPSN_NS1_7vsmem_tEENKUlT_SL_SM_SN_E_clIPS8_SG_SH_SH_EESK_S10_SL_SM_SN_EUlS10_E0_NS1_11comp_targetILNS1_3genE8ELNS1_11target_archE1030ELNS1_3gpuE2ELNS1_3repE0EEENS1_38merge_mergepath_config_static_selectorELNS0_4arch9wavefront6targetE1EEEvSM_.num_named_barrier, 0
	.set _ZN7rocprim17ROCPRIM_400000_NS6detail17trampoline_kernelINS0_14default_configENS1_38merge_sort_block_merge_config_selectorIN6thrust23THRUST_200600_302600_NS4pairIiiEENS0_10empty_typeEEEZZNS1_27merge_sort_block_merge_implIS3_NS6_6detail15normal_iteratorINS6_10device_ptrIS8_EEEEPS9_mNS6_4lessIS8_EEEE10hipError_tT0_T1_T2_jT3_P12ihipStream_tbPNSt15iterator_traitsISL_E10value_typeEPNSR_ISM_E10value_typeEPSN_NS1_7vsmem_tEENKUlT_SL_SM_SN_E_clIPS8_SG_SH_SH_EESK_S10_SL_SM_SN_EUlS10_E0_NS1_11comp_targetILNS1_3genE8ELNS1_11target_archE1030ELNS1_3gpuE2ELNS1_3repE0EEENS1_38merge_mergepath_config_static_selectorELNS0_4arch9wavefront6targetE1EEEvSM_.private_seg_size, 0
	.set _ZN7rocprim17ROCPRIM_400000_NS6detail17trampoline_kernelINS0_14default_configENS1_38merge_sort_block_merge_config_selectorIN6thrust23THRUST_200600_302600_NS4pairIiiEENS0_10empty_typeEEEZZNS1_27merge_sort_block_merge_implIS3_NS6_6detail15normal_iteratorINS6_10device_ptrIS8_EEEEPS9_mNS6_4lessIS8_EEEE10hipError_tT0_T1_T2_jT3_P12ihipStream_tbPNSt15iterator_traitsISL_E10value_typeEPNSR_ISM_E10value_typeEPSN_NS1_7vsmem_tEENKUlT_SL_SM_SN_E_clIPS8_SG_SH_SH_EESK_S10_SL_SM_SN_EUlS10_E0_NS1_11comp_targetILNS1_3genE8ELNS1_11target_archE1030ELNS1_3gpuE2ELNS1_3repE0EEENS1_38merge_mergepath_config_static_selectorELNS0_4arch9wavefront6targetE1EEEvSM_.uses_vcc, 0
	.set _ZN7rocprim17ROCPRIM_400000_NS6detail17trampoline_kernelINS0_14default_configENS1_38merge_sort_block_merge_config_selectorIN6thrust23THRUST_200600_302600_NS4pairIiiEENS0_10empty_typeEEEZZNS1_27merge_sort_block_merge_implIS3_NS6_6detail15normal_iteratorINS6_10device_ptrIS8_EEEEPS9_mNS6_4lessIS8_EEEE10hipError_tT0_T1_T2_jT3_P12ihipStream_tbPNSt15iterator_traitsISL_E10value_typeEPNSR_ISM_E10value_typeEPSN_NS1_7vsmem_tEENKUlT_SL_SM_SN_E_clIPS8_SG_SH_SH_EESK_S10_SL_SM_SN_EUlS10_E0_NS1_11comp_targetILNS1_3genE8ELNS1_11target_archE1030ELNS1_3gpuE2ELNS1_3repE0EEENS1_38merge_mergepath_config_static_selectorELNS0_4arch9wavefront6targetE1EEEvSM_.uses_flat_scratch, 0
	.set _ZN7rocprim17ROCPRIM_400000_NS6detail17trampoline_kernelINS0_14default_configENS1_38merge_sort_block_merge_config_selectorIN6thrust23THRUST_200600_302600_NS4pairIiiEENS0_10empty_typeEEEZZNS1_27merge_sort_block_merge_implIS3_NS6_6detail15normal_iteratorINS6_10device_ptrIS8_EEEEPS9_mNS6_4lessIS8_EEEE10hipError_tT0_T1_T2_jT3_P12ihipStream_tbPNSt15iterator_traitsISL_E10value_typeEPNSR_ISM_E10value_typeEPSN_NS1_7vsmem_tEENKUlT_SL_SM_SN_E_clIPS8_SG_SH_SH_EESK_S10_SL_SM_SN_EUlS10_E0_NS1_11comp_targetILNS1_3genE8ELNS1_11target_archE1030ELNS1_3gpuE2ELNS1_3repE0EEENS1_38merge_mergepath_config_static_selectorELNS0_4arch9wavefront6targetE1EEEvSM_.has_dyn_sized_stack, 0
	.set _ZN7rocprim17ROCPRIM_400000_NS6detail17trampoline_kernelINS0_14default_configENS1_38merge_sort_block_merge_config_selectorIN6thrust23THRUST_200600_302600_NS4pairIiiEENS0_10empty_typeEEEZZNS1_27merge_sort_block_merge_implIS3_NS6_6detail15normal_iteratorINS6_10device_ptrIS8_EEEEPS9_mNS6_4lessIS8_EEEE10hipError_tT0_T1_T2_jT3_P12ihipStream_tbPNSt15iterator_traitsISL_E10value_typeEPNSR_ISM_E10value_typeEPSN_NS1_7vsmem_tEENKUlT_SL_SM_SN_E_clIPS8_SG_SH_SH_EESK_S10_SL_SM_SN_EUlS10_E0_NS1_11comp_targetILNS1_3genE8ELNS1_11target_archE1030ELNS1_3gpuE2ELNS1_3repE0EEENS1_38merge_mergepath_config_static_selectorELNS0_4arch9wavefront6targetE1EEEvSM_.has_recursion, 0
	.set _ZN7rocprim17ROCPRIM_400000_NS6detail17trampoline_kernelINS0_14default_configENS1_38merge_sort_block_merge_config_selectorIN6thrust23THRUST_200600_302600_NS4pairIiiEENS0_10empty_typeEEEZZNS1_27merge_sort_block_merge_implIS3_NS6_6detail15normal_iteratorINS6_10device_ptrIS8_EEEEPS9_mNS6_4lessIS8_EEEE10hipError_tT0_T1_T2_jT3_P12ihipStream_tbPNSt15iterator_traitsISL_E10value_typeEPNSR_ISM_E10value_typeEPSN_NS1_7vsmem_tEENKUlT_SL_SM_SN_E_clIPS8_SG_SH_SH_EESK_S10_SL_SM_SN_EUlS10_E0_NS1_11comp_targetILNS1_3genE8ELNS1_11target_archE1030ELNS1_3gpuE2ELNS1_3repE0EEENS1_38merge_mergepath_config_static_selectorELNS0_4arch9wavefront6targetE1EEEvSM_.has_indirect_call, 0
	.section	.AMDGPU.csdata,"",@progbits
; Kernel info:
; codeLenInByte = 0
; TotalNumSgprs: 6
; NumVgprs: 0
; NumAgprs: 0
; TotalNumVgprs: 0
; ScratchSize: 0
; MemoryBound: 0
; FloatMode: 240
; IeeeMode: 1
; LDSByteSize: 0 bytes/workgroup (compile time only)
; SGPRBlocks: 0
; VGPRBlocks: 0
; NumSGPRsForWavesPerEU: 6
; NumVGPRsForWavesPerEU: 1
; AccumOffset: 4
; Occupancy: 8
; WaveLimiterHint : 0
; COMPUTE_PGM_RSRC2:SCRATCH_EN: 0
; COMPUTE_PGM_RSRC2:USER_SGPR: 2
; COMPUTE_PGM_RSRC2:TRAP_HANDLER: 0
; COMPUTE_PGM_RSRC2:TGID_X_EN: 1
; COMPUTE_PGM_RSRC2:TGID_Y_EN: 0
; COMPUTE_PGM_RSRC2:TGID_Z_EN: 0
; COMPUTE_PGM_RSRC2:TIDIG_COMP_CNT: 0
; COMPUTE_PGM_RSRC3_GFX90A:ACCUM_OFFSET: 0
; COMPUTE_PGM_RSRC3_GFX90A:TG_SPLIT: 0
	.section	.text._ZN7rocprim17ROCPRIM_400000_NS6detail17trampoline_kernelINS0_14default_configENS1_38merge_sort_block_merge_config_selectorIN6thrust23THRUST_200600_302600_NS4pairIiiEENS0_10empty_typeEEEZZNS1_27merge_sort_block_merge_implIS3_NS6_6detail15normal_iteratorINS6_10device_ptrIS8_EEEEPS9_mNS6_4lessIS8_EEEE10hipError_tT0_T1_T2_jT3_P12ihipStream_tbPNSt15iterator_traitsISL_E10value_typeEPNSR_ISM_E10value_typeEPSN_NS1_7vsmem_tEENKUlT_SL_SM_SN_E_clIPS8_SG_SH_SH_EESK_S10_SL_SM_SN_EUlS10_E1_NS1_11comp_targetILNS1_3genE0ELNS1_11target_archE4294967295ELNS1_3gpuE0ELNS1_3repE0EEENS1_36merge_oddeven_config_static_selectorELNS0_4arch9wavefront6targetE1EEEvSM_,"axG",@progbits,_ZN7rocprim17ROCPRIM_400000_NS6detail17trampoline_kernelINS0_14default_configENS1_38merge_sort_block_merge_config_selectorIN6thrust23THRUST_200600_302600_NS4pairIiiEENS0_10empty_typeEEEZZNS1_27merge_sort_block_merge_implIS3_NS6_6detail15normal_iteratorINS6_10device_ptrIS8_EEEEPS9_mNS6_4lessIS8_EEEE10hipError_tT0_T1_T2_jT3_P12ihipStream_tbPNSt15iterator_traitsISL_E10value_typeEPNSR_ISM_E10value_typeEPSN_NS1_7vsmem_tEENKUlT_SL_SM_SN_E_clIPS8_SG_SH_SH_EESK_S10_SL_SM_SN_EUlS10_E1_NS1_11comp_targetILNS1_3genE0ELNS1_11target_archE4294967295ELNS1_3gpuE0ELNS1_3repE0EEENS1_36merge_oddeven_config_static_selectorELNS0_4arch9wavefront6targetE1EEEvSM_,comdat
	.protected	_ZN7rocprim17ROCPRIM_400000_NS6detail17trampoline_kernelINS0_14default_configENS1_38merge_sort_block_merge_config_selectorIN6thrust23THRUST_200600_302600_NS4pairIiiEENS0_10empty_typeEEEZZNS1_27merge_sort_block_merge_implIS3_NS6_6detail15normal_iteratorINS6_10device_ptrIS8_EEEEPS9_mNS6_4lessIS8_EEEE10hipError_tT0_T1_T2_jT3_P12ihipStream_tbPNSt15iterator_traitsISL_E10value_typeEPNSR_ISM_E10value_typeEPSN_NS1_7vsmem_tEENKUlT_SL_SM_SN_E_clIPS8_SG_SH_SH_EESK_S10_SL_SM_SN_EUlS10_E1_NS1_11comp_targetILNS1_3genE0ELNS1_11target_archE4294967295ELNS1_3gpuE0ELNS1_3repE0EEENS1_36merge_oddeven_config_static_selectorELNS0_4arch9wavefront6targetE1EEEvSM_ ; -- Begin function _ZN7rocprim17ROCPRIM_400000_NS6detail17trampoline_kernelINS0_14default_configENS1_38merge_sort_block_merge_config_selectorIN6thrust23THRUST_200600_302600_NS4pairIiiEENS0_10empty_typeEEEZZNS1_27merge_sort_block_merge_implIS3_NS6_6detail15normal_iteratorINS6_10device_ptrIS8_EEEEPS9_mNS6_4lessIS8_EEEE10hipError_tT0_T1_T2_jT3_P12ihipStream_tbPNSt15iterator_traitsISL_E10value_typeEPNSR_ISM_E10value_typeEPSN_NS1_7vsmem_tEENKUlT_SL_SM_SN_E_clIPS8_SG_SH_SH_EESK_S10_SL_SM_SN_EUlS10_E1_NS1_11comp_targetILNS1_3genE0ELNS1_11target_archE4294967295ELNS1_3gpuE0ELNS1_3repE0EEENS1_36merge_oddeven_config_static_selectorELNS0_4arch9wavefront6targetE1EEEvSM_
	.globl	_ZN7rocprim17ROCPRIM_400000_NS6detail17trampoline_kernelINS0_14default_configENS1_38merge_sort_block_merge_config_selectorIN6thrust23THRUST_200600_302600_NS4pairIiiEENS0_10empty_typeEEEZZNS1_27merge_sort_block_merge_implIS3_NS6_6detail15normal_iteratorINS6_10device_ptrIS8_EEEEPS9_mNS6_4lessIS8_EEEE10hipError_tT0_T1_T2_jT3_P12ihipStream_tbPNSt15iterator_traitsISL_E10value_typeEPNSR_ISM_E10value_typeEPSN_NS1_7vsmem_tEENKUlT_SL_SM_SN_E_clIPS8_SG_SH_SH_EESK_S10_SL_SM_SN_EUlS10_E1_NS1_11comp_targetILNS1_3genE0ELNS1_11target_archE4294967295ELNS1_3gpuE0ELNS1_3repE0EEENS1_36merge_oddeven_config_static_selectorELNS0_4arch9wavefront6targetE1EEEvSM_
	.p2align	8
	.type	_ZN7rocprim17ROCPRIM_400000_NS6detail17trampoline_kernelINS0_14default_configENS1_38merge_sort_block_merge_config_selectorIN6thrust23THRUST_200600_302600_NS4pairIiiEENS0_10empty_typeEEEZZNS1_27merge_sort_block_merge_implIS3_NS6_6detail15normal_iteratorINS6_10device_ptrIS8_EEEEPS9_mNS6_4lessIS8_EEEE10hipError_tT0_T1_T2_jT3_P12ihipStream_tbPNSt15iterator_traitsISL_E10value_typeEPNSR_ISM_E10value_typeEPSN_NS1_7vsmem_tEENKUlT_SL_SM_SN_E_clIPS8_SG_SH_SH_EESK_S10_SL_SM_SN_EUlS10_E1_NS1_11comp_targetILNS1_3genE0ELNS1_11target_archE4294967295ELNS1_3gpuE0ELNS1_3repE0EEENS1_36merge_oddeven_config_static_selectorELNS0_4arch9wavefront6targetE1EEEvSM_,@function
_ZN7rocprim17ROCPRIM_400000_NS6detail17trampoline_kernelINS0_14default_configENS1_38merge_sort_block_merge_config_selectorIN6thrust23THRUST_200600_302600_NS4pairIiiEENS0_10empty_typeEEEZZNS1_27merge_sort_block_merge_implIS3_NS6_6detail15normal_iteratorINS6_10device_ptrIS8_EEEEPS9_mNS6_4lessIS8_EEEE10hipError_tT0_T1_T2_jT3_P12ihipStream_tbPNSt15iterator_traitsISL_E10value_typeEPNSR_ISM_E10value_typeEPSN_NS1_7vsmem_tEENKUlT_SL_SM_SN_E_clIPS8_SG_SH_SH_EESK_S10_SL_SM_SN_EUlS10_E1_NS1_11comp_targetILNS1_3genE0ELNS1_11target_archE4294967295ELNS1_3gpuE0ELNS1_3repE0EEENS1_36merge_oddeven_config_static_selectorELNS0_4arch9wavefront6targetE1EEEvSM_: ; @_ZN7rocprim17ROCPRIM_400000_NS6detail17trampoline_kernelINS0_14default_configENS1_38merge_sort_block_merge_config_selectorIN6thrust23THRUST_200600_302600_NS4pairIiiEENS0_10empty_typeEEEZZNS1_27merge_sort_block_merge_implIS3_NS6_6detail15normal_iteratorINS6_10device_ptrIS8_EEEEPS9_mNS6_4lessIS8_EEEE10hipError_tT0_T1_T2_jT3_P12ihipStream_tbPNSt15iterator_traitsISL_E10value_typeEPNSR_ISM_E10value_typeEPSN_NS1_7vsmem_tEENKUlT_SL_SM_SN_E_clIPS8_SG_SH_SH_EESK_S10_SL_SM_SN_EUlS10_E1_NS1_11comp_targetILNS1_3genE0ELNS1_11target_archE4294967295ELNS1_3gpuE0ELNS1_3repE0EEENS1_36merge_oddeven_config_static_selectorELNS0_4arch9wavefront6targetE1EEEvSM_
; %bb.0:
	s_load_dword s3, s[0:1], 0x20
	s_lshl_b32 s16, s2, 8
	s_waitcnt lgkmcnt(0)
	s_lshr_b32 s4, s3, 8
	s_cmp_lg_u32 s2, s4
	s_cselect_b64 s[12:13], -1, 0
	s_cmp_eq_u32 s2, s4
	s_cselect_b64 s[14:15], -1, 0
	s_sub_i32 s4, s3, s16
	v_cmp_gt_u32_e64 s[4:5], s4, v0
	s_or_b64 s[6:7], s[12:13], s[4:5]
	s_and_saveexec_b64 s[8:9], s[6:7]
	s_cbranch_execz .LBB649_28
; %bb.1:
	s_load_dwordx4 s[8:11], s[0:1], 0x0
	s_load_dword s18, s[0:1], 0x28
	s_mov_b32 s17, 0
	s_lshl_b64 s[0:1], s[16:17], 3
	v_lshlrev_b32_e32 v1, 3, v0
	s_waitcnt lgkmcnt(0)
	s_add_u32 s0, s8, s0
	s_addc_u32 s1, s9, s1
	global_load_dwordx2 v[2:3], v1, s[0:1]
	s_lshr_b32 s0, s18, 8
	s_sub_i32 s1, 0, s0
	s_and_b32 s1, s2, s1
	s_and_b32 s0, s1, s0
	s_cmp_lg_u32 s0, 0
	s_cselect_b64 s[6:7], -1, 0
	s_lshl_b32 s2, s1, 8
	s_sub_i32 s1, 0, s18
	s_cmp_eq_u32 s0, 0
	s_cselect_b32 s22, s18, s1
	s_add_i32 s22, s22, s2
	s_cmp_lt_u32 s22, s3
	v_add_u32_e32 v0, s16, v0
	s_cbranch_scc1 .LBB649_3
; %bb.2:
	v_cmp_gt_u32_e32 vcc, s3, v0
	s_or_b64 s[12:13], vcc, s[12:13]
	s_and_b64 s[12:13], s[12:13], exec
	s_cbranch_execz .LBB649_4
	s_branch .LBB649_26
.LBB649_3:
	s_mov_b64 s[12:13], 0
.LBB649_4:
	s_min_u32 s23, s22, s3
	s_add_i32 s0, s23, s18
	s_min_u32 s24, s0, s3
	s_min_u32 s0, s2, s23
	s_add_i32 s2, s2, s23
	v_subrev_u32_e32 v0, s2, v0
	v_add_u32_e32 v6, s0, v0
	s_and_b64 vcc, exec, s[14:15]
	s_cbranch_vccz .LBB649_13
; %bb.5:
                                        ; implicit-def: $vgpr0
	s_and_saveexec_b64 s[14:15], s[4:5]
	s_cbranch_execz .LBB649_16
; %bb.6:
	s_cmp_ge_u32 s22, s24
	v_mov_b32_e32 v7, s23
	s_cbranch_scc1 .LBB649_15
; %bb.7:
	v_cndmask_b32_e64 v0, 0, 1, s[6:7]
	s_mov_b64 s[16:17], 0
	v_mov_b32_e32 v8, s24
	v_mov_b32_e32 v7, s23
	;; [unrolled: 1-line block ×3, first 2 shown]
	v_cmp_ne_u32_e64 s[0:1], 1, v0
	s_branch .LBB649_9
.LBB649_8:                              ;   in Loop: Header=BB649_9 Depth=1
	v_add_u32_e32 v4, 1, v0
	v_cndmask_b32_e64 v8, v0, v8, s[18:19]
	v_cndmask_b32_e64 v7, v7, v4, s[18:19]
	v_cmp_ge_u32_e32 vcc, v7, v8
	s_or_b64 s[16:17], vcc, s[16:17]
	s_andn2_b64 exec, exec, s[16:17]
	s_cbranch_execz .LBB649_14
.LBB649_9:                              ; =>This Inner Loop Header: Depth=1
	v_add_u32_e32 v0, v7, v8
	v_lshrrev_b32_e32 v0, 1, v0
	v_lshl_add_u64 v[4:5], v[0:1], 3, s[8:9]
	global_load_dwordx2 v[4:5], v[4:5], off
	s_mov_b64 s[20:21], -1
	s_and_b64 vcc, exec, s[0:1]
                                        ; implicit-def: $sgpr18_sgpr19
	s_waitcnt vmcnt(0)
	v_cmp_ge_i32_e64 s[2:3], v2, v4
	v_cmp_gt_i32_e64 s[4:5], v2, v4
	s_cbranch_vccnz .LBB649_11
; %bb.10:                               ;   in Loop: Header=BB649_9 Depth=1
	v_cmp_ge_i32_e32 vcc, v3, v5
	s_or_b64 s[4:5], s[4:5], vcc
	s_and_b64 s[18:19], s[2:3], s[4:5]
	s_mov_b64 s[20:21], 0
.LBB649_11:                             ;   in Loop: Header=BB649_9 Depth=1
	s_andn2_b64 vcc, exec, s[20:21]
	s_cbranch_vccnz .LBB649_8
; %bb.12:                               ;   in Loop: Header=BB649_9 Depth=1
	v_cmp_ge_i32_e64 s[2:3], v2, v4
	v_cmp_gt_i32_e64 s[4:5], v3, v5
	v_cmp_gt_i32_e32 vcc, v2, v4
	s_and_b64 s[2:3], s[2:3], s[4:5]
	s_or_b64 s[2:3], vcc, s[2:3]
	s_andn2_b64 s[4:5], s[18:19], exec
	s_and_b64 s[2:3], s[2:3], exec
	s_or_b64 s[18:19], s[4:5], s[2:3]
	s_branch .LBB649_8
.LBB649_13:
                                        ; implicit-def: $vgpr0
	s_cbranch_execnz .LBB649_17
	s_branch .LBB649_26
.LBB649_14:
	s_or_b64 exec, exec, s[16:17]
.LBB649_15:
	v_add_u32_e32 v0, v7, v6
	s_or_b64 s[12:13], s[12:13], exec
.LBB649_16:
	s_or_b64 exec, exec, s[14:15]
	s_branch .LBB649_26
.LBB649_17:
	s_cmp_ge_u32 s22, s24
	v_mov_b32_e32 v7, s23
	s_cbranch_scc1 .LBB649_25
; %bb.18:
	v_cndmask_b32_e64 v0, 0, 1, s[6:7]
	s_mov_b64 s[12:13], 0
	v_mov_b32_e32 v8, s24
	v_mov_b32_e32 v7, s23
	;; [unrolled: 1-line block ×3, first 2 shown]
	v_cmp_ne_u32_e64 s[0:1], 1, v0
	s_branch .LBB649_20
.LBB649_19:                             ;   in Loop: Header=BB649_20 Depth=1
	v_add_u32_e32 v4, 1, v0
	v_cndmask_b32_e64 v8, v0, v8, s[6:7]
	v_cndmask_b32_e64 v7, v7, v4, s[6:7]
	v_cmp_ge_u32_e32 vcc, v7, v8
	s_or_b64 s[12:13], vcc, s[12:13]
	s_andn2_b64 exec, exec, s[12:13]
	s_cbranch_execz .LBB649_24
.LBB649_20:                             ; =>This Inner Loop Header: Depth=1
	v_add_u32_e32 v0, v7, v8
	v_lshrrev_b32_e32 v0, 1, v0
	v_lshl_add_u64 v[4:5], v[0:1], 3, s[8:9]
	global_load_dwordx2 v[4:5], v[4:5], off
	s_mov_b64 s[14:15], -1
	s_and_b64 vcc, exec, s[0:1]
                                        ; implicit-def: $sgpr6_sgpr7
	s_waitcnt vmcnt(0)
	v_cmp_ge_i32_e64 s[2:3], v2, v4
	v_cmp_gt_i32_e64 s[4:5], v2, v4
	s_cbranch_vccnz .LBB649_22
; %bb.21:                               ;   in Loop: Header=BB649_20 Depth=1
	v_cmp_ge_i32_e32 vcc, v3, v5
	s_or_b64 s[4:5], s[4:5], vcc
	s_and_b64 s[6:7], s[2:3], s[4:5]
	s_mov_b64 s[14:15], 0
.LBB649_22:                             ;   in Loop: Header=BB649_20 Depth=1
	s_andn2_b64 vcc, exec, s[14:15]
	s_cbranch_vccnz .LBB649_19
; %bb.23:                               ;   in Loop: Header=BB649_20 Depth=1
	v_cmp_ge_i32_e64 s[2:3], v2, v4
	v_cmp_gt_i32_e64 s[4:5], v3, v5
	v_cmp_gt_i32_e32 vcc, v2, v4
	s_and_b64 s[2:3], s[2:3], s[4:5]
	s_or_b64 s[2:3], vcc, s[2:3]
	s_andn2_b64 s[4:5], s[6:7], exec
	s_and_b64 s[2:3], s[2:3], exec
	s_or_b64 s[6:7], s[4:5], s[2:3]
	s_branch .LBB649_19
.LBB649_24:
	s_or_b64 exec, exec, s[12:13]
.LBB649_25:
	v_add_u32_e32 v0, v7, v6
	s_mov_b64 s[12:13], -1
.LBB649_26:
	s_and_b64 exec, exec, s[12:13]
	s_cbranch_execz .LBB649_28
; %bb.27:
	v_mov_b32_e32 v4, s10
	v_mov_b32_e32 v5, s11
	;; [unrolled: 1-line block ×3, first 2 shown]
	v_lshl_add_u64 v[0:1], v[0:1], 3, v[4:5]
	s_waitcnt vmcnt(0)
	global_store_dwordx2 v[0:1], v[2:3], off
.LBB649_28:
	s_endpgm
	.section	.rodata,"a",@progbits
	.p2align	6, 0x0
	.amdhsa_kernel _ZN7rocprim17ROCPRIM_400000_NS6detail17trampoline_kernelINS0_14default_configENS1_38merge_sort_block_merge_config_selectorIN6thrust23THRUST_200600_302600_NS4pairIiiEENS0_10empty_typeEEEZZNS1_27merge_sort_block_merge_implIS3_NS6_6detail15normal_iteratorINS6_10device_ptrIS8_EEEEPS9_mNS6_4lessIS8_EEEE10hipError_tT0_T1_T2_jT3_P12ihipStream_tbPNSt15iterator_traitsISL_E10value_typeEPNSR_ISM_E10value_typeEPSN_NS1_7vsmem_tEENKUlT_SL_SM_SN_E_clIPS8_SG_SH_SH_EESK_S10_SL_SM_SN_EUlS10_E1_NS1_11comp_targetILNS1_3genE0ELNS1_11target_archE4294967295ELNS1_3gpuE0ELNS1_3repE0EEENS1_36merge_oddeven_config_static_selectorELNS0_4arch9wavefront6targetE1EEEvSM_
		.amdhsa_group_segment_fixed_size 0
		.amdhsa_private_segment_fixed_size 0
		.amdhsa_kernarg_size 56
		.amdhsa_user_sgpr_count 2
		.amdhsa_user_sgpr_dispatch_ptr 0
		.amdhsa_user_sgpr_queue_ptr 0
		.amdhsa_user_sgpr_kernarg_segment_ptr 1
		.amdhsa_user_sgpr_dispatch_id 0
		.amdhsa_user_sgpr_kernarg_preload_length 0
		.amdhsa_user_sgpr_kernarg_preload_offset 0
		.amdhsa_user_sgpr_private_segment_size 0
		.amdhsa_uses_dynamic_stack 0
		.amdhsa_enable_private_segment 0
		.amdhsa_system_sgpr_workgroup_id_x 1
		.amdhsa_system_sgpr_workgroup_id_y 0
		.amdhsa_system_sgpr_workgroup_id_z 0
		.amdhsa_system_sgpr_workgroup_info 0
		.amdhsa_system_vgpr_workitem_id 0
		.amdhsa_next_free_vgpr 9
		.amdhsa_next_free_sgpr 25
		.amdhsa_accum_offset 12
		.amdhsa_reserve_vcc 1
		.amdhsa_float_round_mode_32 0
		.amdhsa_float_round_mode_16_64 0
		.amdhsa_float_denorm_mode_32 3
		.amdhsa_float_denorm_mode_16_64 3
		.amdhsa_dx10_clamp 1
		.amdhsa_ieee_mode 1
		.amdhsa_fp16_overflow 0
		.amdhsa_tg_split 0
		.amdhsa_exception_fp_ieee_invalid_op 0
		.amdhsa_exception_fp_denorm_src 0
		.amdhsa_exception_fp_ieee_div_zero 0
		.amdhsa_exception_fp_ieee_overflow 0
		.amdhsa_exception_fp_ieee_underflow 0
		.amdhsa_exception_fp_ieee_inexact 0
		.amdhsa_exception_int_div_zero 0
	.end_amdhsa_kernel
	.section	.text._ZN7rocprim17ROCPRIM_400000_NS6detail17trampoline_kernelINS0_14default_configENS1_38merge_sort_block_merge_config_selectorIN6thrust23THRUST_200600_302600_NS4pairIiiEENS0_10empty_typeEEEZZNS1_27merge_sort_block_merge_implIS3_NS6_6detail15normal_iteratorINS6_10device_ptrIS8_EEEEPS9_mNS6_4lessIS8_EEEE10hipError_tT0_T1_T2_jT3_P12ihipStream_tbPNSt15iterator_traitsISL_E10value_typeEPNSR_ISM_E10value_typeEPSN_NS1_7vsmem_tEENKUlT_SL_SM_SN_E_clIPS8_SG_SH_SH_EESK_S10_SL_SM_SN_EUlS10_E1_NS1_11comp_targetILNS1_3genE0ELNS1_11target_archE4294967295ELNS1_3gpuE0ELNS1_3repE0EEENS1_36merge_oddeven_config_static_selectorELNS0_4arch9wavefront6targetE1EEEvSM_,"axG",@progbits,_ZN7rocprim17ROCPRIM_400000_NS6detail17trampoline_kernelINS0_14default_configENS1_38merge_sort_block_merge_config_selectorIN6thrust23THRUST_200600_302600_NS4pairIiiEENS0_10empty_typeEEEZZNS1_27merge_sort_block_merge_implIS3_NS6_6detail15normal_iteratorINS6_10device_ptrIS8_EEEEPS9_mNS6_4lessIS8_EEEE10hipError_tT0_T1_T2_jT3_P12ihipStream_tbPNSt15iterator_traitsISL_E10value_typeEPNSR_ISM_E10value_typeEPSN_NS1_7vsmem_tEENKUlT_SL_SM_SN_E_clIPS8_SG_SH_SH_EESK_S10_SL_SM_SN_EUlS10_E1_NS1_11comp_targetILNS1_3genE0ELNS1_11target_archE4294967295ELNS1_3gpuE0ELNS1_3repE0EEENS1_36merge_oddeven_config_static_selectorELNS0_4arch9wavefront6targetE1EEEvSM_,comdat
.Lfunc_end649:
	.size	_ZN7rocprim17ROCPRIM_400000_NS6detail17trampoline_kernelINS0_14default_configENS1_38merge_sort_block_merge_config_selectorIN6thrust23THRUST_200600_302600_NS4pairIiiEENS0_10empty_typeEEEZZNS1_27merge_sort_block_merge_implIS3_NS6_6detail15normal_iteratorINS6_10device_ptrIS8_EEEEPS9_mNS6_4lessIS8_EEEE10hipError_tT0_T1_T2_jT3_P12ihipStream_tbPNSt15iterator_traitsISL_E10value_typeEPNSR_ISM_E10value_typeEPSN_NS1_7vsmem_tEENKUlT_SL_SM_SN_E_clIPS8_SG_SH_SH_EESK_S10_SL_SM_SN_EUlS10_E1_NS1_11comp_targetILNS1_3genE0ELNS1_11target_archE4294967295ELNS1_3gpuE0ELNS1_3repE0EEENS1_36merge_oddeven_config_static_selectorELNS0_4arch9wavefront6targetE1EEEvSM_, .Lfunc_end649-_ZN7rocprim17ROCPRIM_400000_NS6detail17trampoline_kernelINS0_14default_configENS1_38merge_sort_block_merge_config_selectorIN6thrust23THRUST_200600_302600_NS4pairIiiEENS0_10empty_typeEEEZZNS1_27merge_sort_block_merge_implIS3_NS6_6detail15normal_iteratorINS6_10device_ptrIS8_EEEEPS9_mNS6_4lessIS8_EEEE10hipError_tT0_T1_T2_jT3_P12ihipStream_tbPNSt15iterator_traitsISL_E10value_typeEPNSR_ISM_E10value_typeEPSN_NS1_7vsmem_tEENKUlT_SL_SM_SN_E_clIPS8_SG_SH_SH_EESK_S10_SL_SM_SN_EUlS10_E1_NS1_11comp_targetILNS1_3genE0ELNS1_11target_archE4294967295ELNS1_3gpuE0ELNS1_3repE0EEENS1_36merge_oddeven_config_static_selectorELNS0_4arch9wavefront6targetE1EEEvSM_
                                        ; -- End function
	.set _ZN7rocprim17ROCPRIM_400000_NS6detail17trampoline_kernelINS0_14default_configENS1_38merge_sort_block_merge_config_selectorIN6thrust23THRUST_200600_302600_NS4pairIiiEENS0_10empty_typeEEEZZNS1_27merge_sort_block_merge_implIS3_NS6_6detail15normal_iteratorINS6_10device_ptrIS8_EEEEPS9_mNS6_4lessIS8_EEEE10hipError_tT0_T1_T2_jT3_P12ihipStream_tbPNSt15iterator_traitsISL_E10value_typeEPNSR_ISM_E10value_typeEPSN_NS1_7vsmem_tEENKUlT_SL_SM_SN_E_clIPS8_SG_SH_SH_EESK_S10_SL_SM_SN_EUlS10_E1_NS1_11comp_targetILNS1_3genE0ELNS1_11target_archE4294967295ELNS1_3gpuE0ELNS1_3repE0EEENS1_36merge_oddeven_config_static_selectorELNS0_4arch9wavefront6targetE1EEEvSM_.num_vgpr, 9
	.set _ZN7rocprim17ROCPRIM_400000_NS6detail17trampoline_kernelINS0_14default_configENS1_38merge_sort_block_merge_config_selectorIN6thrust23THRUST_200600_302600_NS4pairIiiEENS0_10empty_typeEEEZZNS1_27merge_sort_block_merge_implIS3_NS6_6detail15normal_iteratorINS6_10device_ptrIS8_EEEEPS9_mNS6_4lessIS8_EEEE10hipError_tT0_T1_T2_jT3_P12ihipStream_tbPNSt15iterator_traitsISL_E10value_typeEPNSR_ISM_E10value_typeEPSN_NS1_7vsmem_tEENKUlT_SL_SM_SN_E_clIPS8_SG_SH_SH_EESK_S10_SL_SM_SN_EUlS10_E1_NS1_11comp_targetILNS1_3genE0ELNS1_11target_archE4294967295ELNS1_3gpuE0ELNS1_3repE0EEENS1_36merge_oddeven_config_static_selectorELNS0_4arch9wavefront6targetE1EEEvSM_.num_agpr, 0
	.set _ZN7rocprim17ROCPRIM_400000_NS6detail17trampoline_kernelINS0_14default_configENS1_38merge_sort_block_merge_config_selectorIN6thrust23THRUST_200600_302600_NS4pairIiiEENS0_10empty_typeEEEZZNS1_27merge_sort_block_merge_implIS3_NS6_6detail15normal_iteratorINS6_10device_ptrIS8_EEEEPS9_mNS6_4lessIS8_EEEE10hipError_tT0_T1_T2_jT3_P12ihipStream_tbPNSt15iterator_traitsISL_E10value_typeEPNSR_ISM_E10value_typeEPSN_NS1_7vsmem_tEENKUlT_SL_SM_SN_E_clIPS8_SG_SH_SH_EESK_S10_SL_SM_SN_EUlS10_E1_NS1_11comp_targetILNS1_3genE0ELNS1_11target_archE4294967295ELNS1_3gpuE0ELNS1_3repE0EEENS1_36merge_oddeven_config_static_selectorELNS0_4arch9wavefront6targetE1EEEvSM_.numbered_sgpr, 25
	.set _ZN7rocprim17ROCPRIM_400000_NS6detail17trampoline_kernelINS0_14default_configENS1_38merge_sort_block_merge_config_selectorIN6thrust23THRUST_200600_302600_NS4pairIiiEENS0_10empty_typeEEEZZNS1_27merge_sort_block_merge_implIS3_NS6_6detail15normal_iteratorINS6_10device_ptrIS8_EEEEPS9_mNS6_4lessIS8_EEEE10hipError_tT0_T1_T2_jT3_P12ihipStream_tbPNSt15iterator_traitsISL_E10value_typeEPNSR_ISM_E10value_typeEPSN_NS1_7vsmem_tEENKUlT_SL_SM_SN_E_clIPS8_SG_SH_SH_EESK_S10_SL_SM_SN_EUlS10_E1_NS1_11comp_targetILNS1_3genE0ELNS1_11target_archE4294967295ELNS1_3gpuE0ELNS1_3repE0EEENS1_36merge_oddeven_config_static_selectorELNS0_4arch9wavefront6targetE1EEEvSM_.num_named_barrier, 0
	.set _ZN7rocprim17ROCPRIM_400000_NS6detail17trampoline_kernelINS0_14default_configENS1_38merge_sort_block_merge_config_selectorIN6thrust23THRUST_200600_302600_NS4pairIiiEENS0_10empty_typeEEEZZNS1_27merge_sort_block_merge_implIS3_NS6_6detail15normal_iteratorINS6_10device_ptrIS8_EEEEPS9_mNS6_4lessIS8_EEEE10hipError_tT0_T1_T2_jT3_P12ihipStream_tbPNSt15iterator_traitsISL_E10value_typeEPNSR_ISM_E10value_typeEPSN_NS1_7vsmem_tEENKUlT_SL_SM_SN_E_clIPS8_SG_SH_SH_EESK_S10_SL_SM_SN_EUlS10_E1_NS1_11comp_targetILNS1_3genE0ELNS1_11target_archE4294967295ELNS1_3gpuE0ELNS1_3repE0EEENS1_36merge_oddeven_config_static_selectorELNS0_4arch9wavefront6targetE1EEEvSM_.private_seg_size, 0
	.set _ZN7rocprim17ROCPRIM_400000_NS6detail17trampoline_kernelINS0_14default_configENS1_38merge_sort_block_merge_config_selectorIN6thrust23THRUST_200600_302600_NS4pairIiiEENS0_10empty_typeEEEZZNS1_27merge_sort_block_merge_implIS3_NS6_6detail15normal_iteratorINS6_10device_ptrIS8_EEEEPS9_mNS6_4lessIS8_EEEE10hipError_tT0_T1_T2_jT3_P12ihipStream_tbPNSt15iterator_traitsISL_E10value_typeEPNSR_ISM_E10value_typeEPSN_NS1_7vsmem_tEENKUlT_SL_SM_SN_E_clIPS8_SG_SH_SH_EESK_S10_SL_SM_SN_EUlS10_E1_NS1_11comp_targetILNS1_3genE0ELNS1_11target_archE4294967295ELNS1_3gpuE0ELNS1_3repE0EEENS1_36merge_oddeven_config_static_selectorELNS0_4arch9wavefront6targetE1EEEvSM_.uses_vcc, 1
	.set _ZN7rocprim17ROCPRIM_400000_NS6detail17trampoline_kernelINS0_14default_configENS1_38merge_sort_block_merge_config_selectorIN6thrust23THRUST_200600_302600_NS4pairIiiEENS0_10empty_typeEEEZZNS1_27merge_sort_block_merge_implIS3_NS6_6detail15normal_iteratorINS6_10device_ptrIS8_EEEEPS9_mNS6_4lessIS8_EEEE10hipError_tT0_T1_T2_jT3_P12ihipStream_tbPNSt15iterator_traitsISL_E10value_typeEPNSR_ISM_E10value_typeEPSN_NS1_7vsmem_tEENKUlT_SL_SM_SN_E_clIPS8_SG_SH_SH_EESK_S10_SL_SM_SN_EUlS10_E1_NS1_11comp_targetILNS1_3genE0ELNS1_11target_archE4294967295ELNS1_3gpuE0ELNS1_3repE0EEENS1_36merge_oddeven_config_static_selectorELNS0_4arch9wavefront6targetE1EEEvSM_.uses_flat_scratch, 0
	.set _ZN7rocprim17ROCPRIM_400000_NS6detail17trampoline_kernelINS0_14default_configENS1_38merge_sort_block_merge_config_selectorIN6thrust23THRUST_200600_302600_NS4pairIiiEENS0_10empty_typeEEEZZNS1_27merge_sort_block_merge_implIS3_NS6_6detail15normal_iteratorINS6_10device_ptrIS8_EEEEPS9_mNS6_4lessIS8_EEEE10hipError_tT0_T1_T2_jT3_P12ihipStream_tbPNSt15iterator_traitsISL_E10value_typeEPNSR_ISM_E10value_typeEPSN_NS1_7vsmem_tEENKUlT_SL_SM_SN_E_clIPS8_SG_SH_SH_EESK_S10_SL_SM_SN_EUlS10_E1_NS1_11comp_targetILNS1_3genE0ELNS1_11target_archE4294967295ELNS1_3gpuE0ELNS1_3repE0EEENS1_36merge_oddeven_config_static_selectorELNS0_4arch9wavefront6targetE1EEEvSM_.has_dyn_sized_stack, 0
	.set _ZN7rocprim17ROCPRIM_400000_NS6detail17trampoline_kernelINS0_14default_configENS1_38merge_sort_block_merge_config_selectorIN6thrust23THRUST_200600_302600_NS4pairIiiEENS0_10empty_typeEEEZZNS1_27merge_sort_block_merge_implIS3_NS6_6detail15normal_iteratorINS6_10device_ptrIS8_EEEEPS9_mNS6_4lessIS8_EEEE10hipError_tT0_T1_T2_jT3_P12ihipStream_tbPNSt15iterator_traitsISL_E10value_typeEPNSR_ISM_E10value_typeEPSN_NS1_7vsmem_tEENKUlT_SL_SM_SN_E_clIPS8_SG_SH_SH_EESK_S10_SL_SM_SN_EUlS10_E1_NS1_11comp_targetILNS1_3genE0ELNS1_11target_archE4294967295ELNS1_3gpuE0ELNS1_3repE0EEENS1_36merge_oddeven_config_static_selectorELNS0_4arch9wavefront6targetE1EEEvSM_.has_recursion, 0
	.set _ZN7rocprim17ROCPRIM_400000_NS6detail17trampoline_kernelINS0_14default_configENS1_38merge_sort_block_merge_config_selectorIN6thrust23THRUST_200600_302600_NS4pairIiiEENS0_10empty_typeEEEZZNS1_27merge_sort_block_merge_implIS3_NS6_6detail15normal_iteratorINS6_10device_ptrIS8_EEEEPS9_mNS6_4lessIS8_EEEE10hipError_tT0_T1_T2_jT3_P12ihipStream_tbPNSt15iterator_traitsISL_E10value_typeEPNSR_ISM_E10value_typeEPSN_NS1_7vsmem_tEENKUlT_SL_SM_SN_E_clIPS8_SG_SH_SH_EESK_S10_SL_SM_SN_EUlS10_E1_NS1_11comp_targetILNS1_3genE0ELNS1_11target_archE4294967295ELNS1_3gpuE0ELNS1_3repE0EEENS1_36merge_oddeven_config_static_selectorELNS0_4arch9wavefront6targetE1EEEvSM_.has_indirect_call, 0
	.section	.AMDGPU.csdata,"",@progbits
; Kernel info:
; codeLenInByte = 732
; TotalNumSgprs: 31
; NumVgprs: 9
; NumAgprs: 0
; TotalNumVgprs: 9
; ScratchSize: 0
; MemoryBound: 0
; FloatMode: 240
; IeeeMode: 1
; LDSByteSize: 0 bytes/workgroup (compile time only)
; SGPRBlocks: 3
; VGPRBlocks: 1
; NumSGPRsForWavesPerEU: 31
; NumVGPRsForWavesPerEU: 9
; AccumOffset: 12
; Occupancy: 8
; WaveLimiterHint : 0
; COMPUTE_PGM_RSRC2:SCRATCH_EN: 0
; COMPUTE_PGM_RSRC2:USER_SGPR: 2
; COMPUTE_PGM_RSRC2:TRAP_HANDLER: 0
; COMPUTE_PGM_RSRC2:TGID_X_EN: 1
; COMPUTE_PGM_RSRC2:TGID_Y_EN: 0
; COMPUTE_PGM_RSRC2:TGID_Z_EN: 0
; COMPUTE_PGM_RSRC2:TIDIG_COMP_CNT: 0
; COMPUTE_PGM_RSRC3_GFX90A:ACCUM_OFFSET: 2
; COMPUTE_PGM_RSRC3_GFX90A:TG_SPLIT: 0
	.section	.text._ZN7rocprim17ROCPRIM_400000_NS6detail17trampoline_kernelINS0_14default_configENS1_38merge_sort_block_merge_config_selectorIN6thrust23THRUST_200600_302600_NS4pairIiiEENS0_10empty_typeEEEZZNS1_27merge_sort_block_merge_implIS3_NS6_6detail15normal_iteratorINS6_10device_ptrIS8_EEEEPS9_mNS6_4lessIS8_EEEE10hipError_tT0_T1_T2_jT3_P12ihipStream_tbPNSt15iterator_traitsISL_E10value_typeEPNSR_ISM_E10value_typeEPSN_NS1_7vsmem_tEENKUlT_SL_SM_SN_E_clIPS8_SG_SH_SH_EESK_S10_SL_SM_SN_EUlS10_E1_NS1_11comp_targetILNS1_3genE10ELNS1_11target_archE1201ELNS1_3gpuE5ELNS1_3repE0EEENS1_36merge_oddeven_config_static_selectorELNS0_4arch9wavefront6targetE1EEEvSM_,"axG",@progbits,_ZN7rocprim17ROCPRIM_400000_NS6detail17trampoline_kernelINS0_14default_configENS1_38merge_sort_block_merge_config_selectorIN6thrust23THRUST_200600_302600_NS4pairIiiEENS0_10empty_typeEEEZZNS1_27merge_sort_block_merge_implIS3_NS6_6detail15normal_iteratorINS6_10device_ptrIS8_EEEEPS9_mNS6_4lessIS8_EEEE10hipError_tT0_T1_T2_jT3_P12ihipStream_tbPNSt15iterator_traitsISL_E10value_typeEPNSR_ISM_E10value_typeEPSN_NS1_7vsmem_tEENKUlT_SL_SM_SN_E_clIPS8_SG_SH_SH_EESK_S10_SL_SM_SN_EUlS10_E1_NS1_11comp_targetILNS1_3genE10ELNS1_11target_archE1201ELNS1_3gpuE5ELNS1_3repE0EEENS1_36merge_oddeven_config_static_selectorELNS0_4arch9wavefront6targetE1EEEvSM_,comdat
	.protected	_ZN7rocprim17ROCPRIM_400000_NS6detail17trampoline_kernelINS0_14default_configENS1_38merge_sort_block_merge_config_selectorIN6thrust23THRUST_200600_302600_NS4pairIiiEENS0_10empty_typeEEEZZNS1_27merge_sort_block_merge_implIS3_NS6_6detail15normal_iteratorINS6_10device_ptrIS8_EEEEPS9_mNS6_4lessIS8_EEEE10hipError_tT0_T1_T2_jT3_P12ihipStream_tbPNSt15iterator_traitsISL_E10value_typeEPNSR_ISM_E10value_typeEPSN_NS1_7vsmem_tEENKUlT_SL_SM_SN_E_clIPS8_SG_SH_SH_EESK_S10_SL_SM_SN_EUlS10_E1_NS1_11comp_targetILNS1_3genE10ELNS1_11target_archE1201ELNS1_3gpuE5ELNS1_3repE0EEENS1_36merge_oddeven_config_static_selectorELNS0_4arch9wavefront6targetE1EEEvSM_ ; -- Begin function _ZN7rocprim17ROCPRIM_400000_NS6detail17trampoline_kernelINS0_14default_configENS1_38merge_sort_block_merge_config_selectorIN6thrust23THRUST_200600_302600_NS4pairIiiEENS0_10empty_typeEEEZZNS1_27merge_sort_block_merge_implIS3_NS6_6detail15normal_iteratorINS6_10device_ptrIS8_EEEEPS9_mNS6_4lessIS8_EEEE10hipError_tT0_T1_T2_jT3_P12ihipStream_tbPNSt15iterator_traitsISL_E10value_typeEPNSR_ISM_E10value_typeEPSN_NS1_7vsmem_tEENKUlT_SL_SM_SN_E_clIPS8_SG_SH_SH_EESK_S10_SL_SM_SN_EUlS10_E1_NS1_11comp_targetILNS1_3genE10ELNS1_11target_archE1201ELNS1_3gpuE5ELNS1_3repE0EEENS1_36merge_oddeven_config_static_selectorELNS0_4arch9wavefront6targetE1EEEvSM_
	.globl	_ZN7rocprim17ROCPRIM_400000_NS6detail17trampoline_kernelINS0_14default_configENS1_38merge_sort_block_merge_config_selectorIN6thrust23THRUST_200600_302600_NS4pairIiiEENS0_10empty_typeEEEZZNS1_27merge_sort_block_merge_implIS3_NS6_6detail15normal_iteratorINS6_10device_ptrIS8_EEEEPS9_mNS6_4lessIS8_EEEE10hipError_tT0_T1_T2_jT3_P12ihipStream_tbPNSt15iterator_traitsISL_E10value_typeEPNSR_ISM_E10value_typeEPSN_NS1_7vsmem_tEENKUlT_SL_SM_SN_E_clIPS8_SG_SH_SH_EESK_S10_SL_SM_SN_EUlS10_E1_NS1_11comp_targetILNS1_3genE10ELNS1_11target_archE1201ELNS1_3gpuE5ELNS1_3repE0EEENS1_36merge_oddeven_config_static_selectorELNS0_4arch9wavefront6targetE1EEEvSM_
	.p2align	8
	.type	_ZN7rocprim17ROCPRIM_400000_NS6detail17trampoline_kernelINS0_14default_configENS1_38merge_sort_block_merge_config_selectorIN6thrust23THRUST_200600_302600_NS4pairIiiEENS0_10empty_typeEEEZZNS1_27merge_sort_block_merge_implIS3_NS6_6detail15normal_iteratorINS6_10device_ptrIS8_EEEEPS9_mNS6_4lessIS8_EEEE10hipError_tT0_T1_T2_jT3_P12ihipStream_tbPNSt15iterator_traitsISL_E10value_typeEPNSR_ISM_E10value_typeEPSN_NS1_7vsmem_tEENKUlT_SL_SM_SN_E_clIPS8_SG_SH_SH_EESK_S10_SL_SM_SN_EUlS10_E1_NS1_11comp_targetILNS1_3genE10ELNS1_11target_archE1201ELNS1_3gpuE5ELNS1_3repE0EEENS1_36merge_oddeven_config_static_selectorELNS0_4arch9wavefront6targetE1EEEvSM_,@function
_ZN7rocprim17ROCPRIM_400000_NS6detail17trampoline_kernelINS0_14default_configENS1_38merge_sort_block_merge_config_selectorIN6thrust23THRUST_200600_302600_NS4pairIiiEENS0_10empty_typeEEEZZNS1_27merge_sort_block_merge_implIS3_NS6_6detail15normal_iteratorINS6_10device_ptrIS8_EEEEPS9_mNS6_4lessIS8_EEEE10hipError_tT0_T1_T2_jT3_P12ihipStream_tbPNSt15iterator_traitsISL_E10value_typeEPNSR_ISM_E10value_typeEPSN_NS1_7vsmem_tEENKUlT_SL_SM_SN_E_clIPS8_SG_SH_SH_EESK_S10_SL_SM_SN_EUlS10_E1_NS1_11comp_targetILNS1_3genE10ELNS1_11target_archE1201ELNS1_3gpuE5ELNS1_3repE0EEENS1_36merge_oddeven_config_static_selectorELNS0_4arch9wavefront6targetE1EEEvSM_: ; @_ZN7rocprim17ROCPRIM_400000_NS6detail17trampoline_kernelINS0_14default_configENS1_38merge_sort_block_merge_config_selectorIN6thrust23THRUST_200600_302600_NS4pairIiiEENS0_10empty_typeEEEZZNS1_27merge_sort_block_merge_implIS3_NS6_6detail15normal_iteratorINS6_10device_ptrIS8_EEEEPS9_mNS6_4lessIS8_EEEE10hipError_tT0_T1_T2_jT3_P12ihipStream_tbPNSt15iterator_traitsISL_E10value_typeEPNSR_ISM_E10value_typeEPSN_NS1_7vsmem_tEENKUlT_SL_SM_SN_E_clIPS8_SG_SH_SH_EESK_S10_SL_SM_SN_EUlS10_E1_NS1_11comp_targetILNS1_3genE10ELNS1_11target_archE1201ELNS1_3gpuE5ELNS1_3repE0EEENS1_36merge_oddeven_config_static_selectorELNS0_4arch9wavefront6targetE1EEEvSM_
; %bb.0:
	.section	.rodata,"a",@progbits
	.p2align	6, 0x0
	.amdhsa_kernel _ZN7rocprim17ROCPRIM_400000_NS6detail17trampoline_kernelINS0_14default_configENS1_38merge_sort_block_merge_config_selectorIN6thrust23THRUST_200600_302600_NS4pairIiiEENS0_10empty_typeEEEZZNS1_27merge_sort_block_merge_implIS3_NS6_6detail15normal_iteratorINS6_10device_ptrIS8_EEEEPS9_mNS6_4lessIS8_EEEE10hipError_tT0_T1_T2_jT3_P12ihipStream_tbPNSt15iterator_traitsISL_E10value_typeEPNSR_ISM_E10value_typeEPSN_NS1_7vsmem_tEENKUlT_SL_SM_SN_E_clIPS8_SG_SH_SH_EESK_S10_SL_SM_SN_EUlS10_E1_NS1_11comp_targetILNS1_3genE10ELNS1_11target_archE1201ELNS1_3gpuE5ELNS1_3repE0EEENS1_36merge_oddeven_config_static_selectorELNS0_4arch9wavefront6targetE1EEEvSM_
		.amdhsa_group_segment_fixed_size 0
		.amdhsa_private_segment_fixed_size 0
		.amdhsa_kernarg_size 56
		.amdhsa_user_sgpr_count 2
		.amdhsa_user_sgpr_dispatch_ptr 0
		.amdhsa_user_sgpr_queue_ptr 0
		.amdhsa_user_sgpr_kernarg_segment_ptr 1
		.amdhsa_user_sgpr_dispatch_id 0
		.amdhsa_user_sgpr_kernarg_preload_length 0
		.amdhsa_user_sgpr_kernarg_preload_offset 0
		.amdhsa_user_sgpr_private_segment_size 0
		.amdhsa_uses_dynamic_stack 0
		.amdhsa_enable_private_segment 0
		.amdhsa_system_sgpr_workgroup_id_x 1
		.amdhsa_system_sgpr_workgroup_id_y 0
		.amdhsa_system_sgpr_workgroup_id_z 0
		.amdhsa_system_sgpr_workgroup_info 0
		.amdhsa_system_vgpr_workitem_id 0
		.amdhsa_next_free_vgpr 1
		.amdhsa_next_free_sgpr 0
		.amdhsa_accum_offset 4
		.amdhsa_reserve_vcc 0
		.amdhsa_float_round_mode_32 0
		.amdhsa_float_round_mode_16_64 0
		.amdhsa_float_denorm_mode_32 3
		.amdhsa_float_denorm_mode_16_64 3
		.amdhsa_dx10_clamp 1
		.amdhsa_ieee_mode 1
		.amdhsa_fp16_overflow 0
		.amdhsa_tg_split 0
		.amdhsa_exception_fp_ieee_invalid_op 0
		.amdhsa_exception_fp_denorm_src 0
		.amdhsa_exception_fp_ieee_div_zero 0
		.amdhsa_exception_fp_ieee_overflow 0
		.amdhsa_exception_fp_ieee_underflow 0
		.amdhsa_exception_fp_ieee_inexact 0
		.amdhsa_exception_int_div_zero 0
	.end_amdhsa_kernel
	.section	.text._ZN7rocprim17ROCPRIM_400000_NS6detail17trampoline_kernelINS0_14default_configENS1_38merge_sort_block_merge_config_selectorIN6thrust23THRUST_200600_302600_NS4pairIiiEENS0_10empty_typeEEEZZNS1_27merge_sort_block_merge_implIS3_NS6_6detail15normal_iteratorINS6_10device_ptrIS8_EEEEPS9_mNS6_4lessIS8_EEEE10hipError_tT0_T1_T2_jT3_P12ihipStream_tbPNSt15iterator_traitsISL_E10value_typeEPNSR_ISM_E10value_typeEPSN_NS1_7vsmem_tEENKUlT_SL_SM_SN_E_clIPS8_SG_SH_SH_EESK_S10_SL_SM_SN_EUlS10_E1_NS1_11comp_targetILNS1_3genE10ELNS1_11target_archE1201ELNS1_3gpuE5ELNS1_3repE0EEENS1_36merge_oddeven_config_static_selectorELNS0_4arch9wavefront6targetE1EEEvSM_,"axG",@progbits,_ZN7rocprim17ROCPRIM_400000_NS6detail17trampoline_kernelINS0_14default_configENS1_38merge_sort_block_merge_config_selectorIN6thrust23THRUST_200600_302600_NS4pairIiiEENS0_10empty_typeEEEZZNS1_27merge_sort_block_merge_implIS3_NS6_6detail15normal_iteratorINS6_10device_ptrIS8_EEEEPS9_mNS6_4lessIS8_EEEE10hipError_tT0_T1_T2_jT3_P12ihipStream_tbPNSt15iterator_traitsISL_E10value_typeEPNSR_ISM_E10value_typeEPSN_NS1_7vsmem_tEENKUlT_SL_SM_SN_E_clIPS8_SG_SH_SH_EESK_S10_SL_SM_SN_EUlS10_E1_NS1_11comp_targetILNS1_3genE10ELNS1_11target_archE1201ELNS1_3gpuE5ELNS1_3repE0EEENS1_36merge_oddeven_config_static_selectorELNS0_4arch9wavefront6targetE1EEEvSM_,comdat
.Lfunc_end650:
	.size	_ZN7rocprim17ROCPRIM_400000_NS6detail17trampoline_kernelINS0_14default_configENS1_38merge_sort_block_merge_config_selectorIN6thrust23THRUST_200600_302600_NS4pairIiiEENS0_10empty_typeEEEZZNS1_27merge_sort_block_merge_implIS3_NS6_6detail15normal_iteratorINS6_10device_ptrIS8_EEEEPS9_mNS6_4lessIS8_EEEE10hipError_tT0_T1_T2_jT3_P12ihipStream_tbPNSt15iterator_traitsISL_E10value_typeEPNSR_ISM_E10value_typeEPSN_NS1_7vsmem_tEENKUlT_SL_SM_SN_E_clIPS8_SG_SH_SH_EESK_S10_SL_SM_SN_EUlS10_E1_NS1_11comp_targetILNS1_3genE10ELNS1_11target_archE1201ELNS1_3gpuE5ELNS1_3repE0EEENS1_36merge_oddeven_config_static_selectorELNS0_4arch9wavefront6targetE1EEEvSM_, .Lfunc_end650-_ZN7rocprim17ROCPRIM_400000_NS6detail17trampoline_kernelINS0_14default_configENS1_38merge_sort_block_merge_config_selectorIN6thrust23THRUST_200600_302600_NS4pairIiiEENS0_10empty_typeEEEZZNS1_27merge_sort_block_merge_implIS3_NS6_6detail15normal_iteratorINS6_10device_ptrIS8_EEEEPS9_mNS6_4lessIS8_EEEE10hipError_tT0_T1_T2_jT3_P12ihipStream_tbPNSt15iterator_traitsISL_E10value_typeEPNSR_ISM_E10value_typeEPSN_NS1_7vsmem_tEENKUlT_SL_SM_SN_E_clIPS8_SG_SH_SH_EESK_S10_SL_SM_SN_EUlS10_E1_NS1_11comp_targetILNS1_3genE10ELNS1_11target_archE1201ELNS1_3gpuE5ELNS1_3repE0EEENS1_36merge_oddeven_config_static_selectorELNS0_4arch9wavefront6targetE1EEEvSM_
                                        ; -- End function
	.set _ZN7rocprim17ROCPRIM_400000_NS6detail17trampoline_kernelINS0_14default_configENS1_38merge_sort_block_merge_config_selectorIN6thrust23THRUST_200600_302600_NS4pairIiiEENS0_10empty_typeEEEZZNS1_27merge_sort_block_merge_implIS3_NS6_6detail15normal_iteratorINS6_10device_ptrIS8_EEEEPS9_mNS6_4lessIS8_EEEE10hipError_tT0_T1_T2_jT3_P12ihipStream_tbPNSt15iterator_traitsISL_E10value_typeEPNSR_ISM_E10value_typeEPSN_NS1_7vsmem_tEENKUlT_SL_SM_SN_E_clIPS8_SG_SH_SH_EESK_S10_SL_SM_SN_EUlS10_E1_NS1_11comp_targetILNS1_3genE10ELNS1_11target_archE1201ELNS1_3gpuE5ELNS1_3repE0EEENS1_36merge_oddeven_config_static_selectorELNS0_4arch9wavefront6targetE1EEEvSM_.num_vgpr, 0
	.set _ZN7rocprim17ROCPRIM_400000_NS6detail17trampoline_kernelINS0_14default_configENS1_38merge_sort_block_merge_config_selectorIN6thrust23THRUST_200600_302600_NS4pairIiiEENS0_10empty_typeEEEZZNS1_27merge_sort_block_merge_implIS3_NS6_6detail15normal_iteratorINS6_10device_ptrIS8_EEEEPS9_mNS6_4lessIS8_EEEE10hipError_tT0_T1_T2_jT3_P12ihipStream_tbPNSt15iterator_traitsISL_E10value_typeEPNSR_ISM_E10value_typeEPSN_NS1_7vsmem_tEENKUlT_SL_SM_SN_E_clIPS8_SG_SH_SH_EESK_S10_SL_SM_SN_EUlS10_E1_NS1_11comp_targetILNS1_3genE10ELNS1_11target_archE1201ELNS1_3gpuE5ELNS1_3repE0EEENS1_36merge_oddeven_config_static_selectorELNS0_4arch9wavefront6targetE1EEEvSM_.num_agpr, 0
	.set _ZN7rocprim17ROCPRIM_400000_NS6detail17trampoline_kernelINS0_14default_configENS1_38merge_sort_block_merge_config_selectorIN6thrust23THRUST_200600_302600_NS4pairIiiEENS0_10empty_typeEEEZZNS1_27merge_sort_block_merge_implIS3_NS6_6detail15normal_iteratorINS6_10device_ptrIS8_EEEEPS9_mNS6_4lessIS8_EEEE10hipError_tT0_T1_T2_jT3_P12ihipStream_tbPNSt15iterator_traitsISL_E10value_typeEPNSR_ISM_E10value_typeEPSN_NS1_7vsmem_tEENKUlT_SL_SM_SN_E_clIPS8_SG_SH_SH_EESK_S10_SL_SM_SN_EUlS10_E1_NS1_11comp_targetILNS1_3genE10ELNS1_11target_archE1201ELNS1_3gpuE5ELNS1_3repE0EEENS1_36merge_oddeven_config_static_selectorELNS0_4arch9wavefront6targetE1EEEvSM_.numbered_sgpr, 0
	.set _ZN7rocprim17ROCPRIM_400000_NS6detail17trampoline_kernelINS0_14default_configENS1_38merge_sort_block_merge_config_selectorIN6thrust23THRUST_200600_302600_NS4pairIiiEENS0_10empty_typeEEEZZNS1_27merge_sort_block_merge_implIS3_NS6_6detail15normal_iteratorINS6_10device_ptrIS8_EEEEPS9_mNS6_4lessIS8_EEEE10hipError_tT0_T1_T2_jT3_P12ihipStream_tbPNSt15iterator_traitsISL_E10value_typeEPNSR_ISM_E10value_typeEPSN_NS1_7vsmem_tEENKUlT_SL_SM_SN_E_clIPS8_SG_SH_SH_EESK_S10_SL_SM_SN_EUlS10_E1_NS1_11comp_targetILNS1_3genE10ELNS1_11target_archE1201ELNS1_3gpuE5ELNS1_3repE0EEENS1_36merge_oddeven_config_static_selectorELNS0_4arch9wavefront6targetE1EEEvSM_.num_named_barrier, 0
	.set _ZN7rocprim17ROCPRIM_400000_NS6detail17trampoline_kernelINS0_14default_configENS1_38merge_sort_block_merge_config_selectorIN6thrust23THRUST_200600_302600_NS4pairIiiEENS0_10empty_typeEEEZZNS1_27merge_sort_block_merge_implIS3_NS6_6detail15normal_iteratorINS6_10device_ptrIS8_EEEEPS9_mNS6_4lessIS8_EEEE10hipError_tT0_T1_T2_jT3_P12ihipStream_tbPNSt15iterator_traitsISL_E10value_typeEPNSR_ISM_E10value_typeEPSN_NS1_7vsmem_tEENKUlT_SL_SM_SN_E_clIPS8_SG_SH_SH_EESK_S10_SL_SM_SN_EUlS10_E1_NS1_11comp_targetILNS1_3genE10ELNS1_11target_archE1201ELNS1_3gpuE5ELNS1_3repE0EEENS1_36merge_oddeven_config_static_selectorELNS0_4arch9wavefront6targetE1EEEvSM_.private_seg_size, 0
	.set _ZN7rocprim17ROCPRIM_400000_NS6detail17trampoline_kernelINS0_14default_configENS1_38merge_sort_block_merge_config_selectorIN6thrust23THRUST_200600_302600_NS4pairIiiEENS0_10empty_typeEEEZZNS1_27merge_sort_block_merge_implIS3_NS6_6detail15normal_iteratorINS6_10device_ptrIS8_EEEEPS9_mNS6_4lessIS8_EEEE10hipError_tT0_T1_T2_jT3_P12ihipStream_tbPNSt15iterator_traitsISL_E10value_typeEPNSR_ISM_E10value_typeEPSN_NS1_7vsmem_tEENKUlT_SL_SM_SN_E_clIPS8_SG_SH_SH_EESK_S10_SL_SM_SN_EUlS10_E1_NS1_11comp_targetILNS1_3genE10ELNS1_11target_archE1201ELNS1_3gpuE5ELNS1_3repE0EEENS1_36merge_oddeven_config_static_selectorELNS0_4arch9wavefront6targetE1EEEvSM_.uses_vcc, 0
	.set _ZN7rocprim17ROCPRIM_400000_NS6detail17trampoline_kernelINS0_14default_configENS1_38merge_sort_block_merge_config_selectorIN6thrust23THRUST_200600_302600_NS4pairIiiEENS0_10empty_typeEEEZZNS1_27merge_sort_block_merge_implIS3_NS6_6detail15normal_iteratorINS6_10device_ptrIS8_EEEEPS9_mNS6_4lessIS8_EEEE10hipError_tT0_T1_T2_jT3_P12ihipStream_tbPNSt15iterator_traitsISL_E10value_typeEPNSR_ISM_E10value_typeEPSN_NS1_7vsmem_tEENKUlT_SL_SM_SN_E_clIPS8_SG_SH_SH_EESK_S10_SL_SM_SN_EUlS10_E1_NS1_11comp_targetILNS1_3genE10ELNS1_11target_archE1201ELNS1_3gpuE5ELNS1_3repE0EEENS1_36merge_oddeven_config_static_selectorELNS0_4arch9wavefront6targetE1EEEvSM_.uses_flat_scratch, 0
	.set _ZN7rocprim17ROCPRIM_400000_NS6detail17trampoline_kernelINS0_14default_configENS1_38merge_sort_block_merge_config_selectorIN6thrust23THRUST_200600_302600_NS4pairIiiEENS0_10empty_typeEEEZZNS1_27merge_sort_block_merge_implIS3_NS6_6detail15normal_iteratorINS6_10device_ptrIS8_EEEEPS9_mNS6_4lessIS8_EEEE10hipError_tT0_T1_T2_jT3_P12ihipStream_tbPNSt15iterator_traitsISL_E10value_typeEPNSR_ISM_E10value_typeEPSN_NS1_7vsmem_tEENKUlT_SL_SM_SN_E_clIPS8_SG_SH_SH_EESK_S10_SL_SM_SN_EUlS10_E1_NS1_11comp_targetILNS1_3genE10ELNS1_11target_archE1201ELNS1_3gpuE5ELNS1_3repE0EEENS1_36merge_oddeven_config_static_selectorELNS0_4arch9wavefront6targetE1EEEvSM_.has_dyn_sized_stack, 0
	.set _ZN7rocprim17ROCPRIM_400000_NS6detail17trampoline_kernelINS0_14default_configENS1_38merge_sort_block_merge_config_selectorIN6thrust23THRUST_200600_302600_NS4pairIiiEENS0_10empty_typeEEEZZNS1_27merge_sort_block_merge_implIS3_NS6_6detail15normal_iteratorINS6_10device_ptrIS8_EEEEPS9_mNS6_4lessIS8_EEEE10hipError_tT0_T1_T2_jT3_P12ihipStream_tbPNSt15iterator_traitsISL_E10value_typeEPNSR_ISM_E10value_typeEPSN_NS1_7vsmem_tEENKUlT_SL_SM_SN_E_clIPS8_SG_SH_SH_EESK_S10_SL_SM_SN_EUlS10_E1_NS1_11comp_targetILNS1_3genE10ELNS1_11target_archE1201ELNS1_3gpuE5ELNS1_3repE0EEENS1_36merge_oddeven_config_static_selectorELNS0_4arch9wavefront6targetE1EEEvSM_.has_recursion, 0
	.set _ZN7rocprim17ROCPRIM_400000_NS6detail17trampoline_kernelINS0_14default_configENS1_38merge_sort_block_merge_config_selectorIN6thrust23THRUST_200600_302600_NS4pairIiiEENS0_10empty_typeEEEZZNS1_27merge_sort_block_merge_implIS3_NS6_6detail15normal_iteratorINS6_10device_ptrIS8_EEEEPS9_mNS6_4lessIS8_EEEE10hipError_tT0_T1_T2_jT3_P12ihipStream_tbPNSt15iterator_traitsISL_E10value_typeEPNSR_ISM_E10value_typeEPSN_NS1_7vsmem_tEENKUlT_SL_SM_SN_E_clIPS8_SG_SH_SH_EESK_S10_SL_SM_SN_EUlS10_E1_NS1_11comp_targetILNS1_3genE10ELNS1_11target_archE1201ELNS1_3gpuE5ELNS1_3repE0EEENS1_36merge_oddeven_config_static_selectorELNS0_4arch9wavefront6targetE1EEEvSM_.has_indirect_call, 0
	.section	.AMDGPU.csdata,"",@progbits
; Kernel info:
; codeLenInByte = 0
; TotalNumSgprs: 6
; NumVgprs: 0
; NumAgprs: 0
; TotalNumVgprs: 0
; ScratchSize: 0
; MemoryBound: 0
; FloatMode: 240
; IeeeMode: 1
; LDSByteSize: 0 bytes/workgroup (compile time only)
; SGPRBlocks: 0
; VGPRBlocks: 0
; NumSGPRsForWavesPerEU: 6
; NumVGPRsForWavesPerEU: 1
; AccumOffset: 4
; Occupancy: 8
; WaveLimiterHint : 0
; COMPUTE_PGM_RSRC2:SCRATCH_EN: 0
; COMPUTE_PGM_RSRC2:USER_SGPR: 2
; COMPUTE_PGM_RSRC2:TRAP_HANDLER: 0
; COMPUTE_PGM_RSRC2:TGID_X_EN: 1
; COMPUTE_PGM_RSRC2:TGID_Y_EN: 0
; COMPUTE_PGM_RSRC2:TGID_Z_EN: 0
; COMPUTE_PGM_RSRC2:TIDIG_COMP_CNT: 0
; COMPUTE_PGM_RSRC3_GFX90A:ACCUM_OFFSET: 0
; COMPUTE_PGM_RSRC3_GFX90A:TG_SPLIT: 0
	.section	.text._ZN7rocprim17ROCPRIM_400000_NS6detail17trampoline_kernelINS0_14default_configENS1_38merge_sort_block_merge_config_selectorIN6thrust23THRUST_200600_302600_NS4pairIiiEENS0_10empty_typeEEEZZNS1_27merge_sort_block_merge_implIS3_NS6_6detail15normal_iteratorINS6_10device_ptrIS8_EEEEPS9_mNS6_4lessIS8_EEEE10hipError_tT0_T1_T2_jT3_P12ihipStream_tbPNSt15iterator_traitsISL_E10value_typeEPNSR_ISM_E10value_typeEPSN_NS1_7vsmem_tEENKUlT_SL_SM_SN_E_clIPS8_SG_SH_SH_EESK_S10_SL_SM_SN_EUlS10_E1_NS1_11comp_targetILNS1_3genE5ELNS1_11target_archE942ELNS1_3gpuE9ELNS1_3repE0EEENS1_36merge_oddeven_config_static_selectorELNS0_4arch9wavefront6targetE1EEEvSM_,"axG",@progbits,_ZN7rocprim17ROCPRIM_400000_NS6detail17trampoline_kernelINS0_14default_configENS1_38merge_sort_block_merge_config_selectorIN6thrust23THRUST_200600_302600_NS4pairIiiEENS0_10empty_typeEEEZZNS1_27merge_sort_block_merge_implIS3_NS6_6detail15normal_iteratorINS6_10device_ptrIS8_EEEEPS9_mNS6_4lessIS8_EEEE10hipError_tT0_T1_T2_jT3_P12ihipStream_tbPNSt15iterator_traitsISL_E10value_typeEPNSR_ISM_E10value_typeEPSN_NS1_7vsmem_tEENKUlT_SL_SM_SN_E_clIPS8_SG_SH_SH_EESK_S10_SL_SM_SN_EUlS10_E1_NS1_11comp_targetILNS1_3genE5ELNS1_11target_archE942ELNS1_3gpuE9ELNS1_3repE0EEENS1_36merge_oddeven_config_static_selectorELNS0_4arch9wavefront6targetE1EEEvSM_,comdat
	.protected	_ZN7rocprim17ROCPRIM_400000_NS6detail17trampoline_kernelINS0_14default_configENS1_38merge_sort_block_merge_config_selectorIN6thrust23THRUST_200600_302600_NS4pairIiiEENS0_10empty_typeEEEZZNS1_27merge_sort_block_merge_implIS3_NS6_6detail15normal_iteratorINS6_10device_ptrIS8_EEEEPS9_mNS6_4lessIS8_EEEE10hipError_tT0_T1_T2_jT3_P12ihipStream_tbPNSt15iterator_traitsISL_E10value_typeEPNSR_ISM_E10value_typeEPSN_NS1_7vsmem_tEENKUlT_SL_SM_SN_E_clIPS8_SG_SH_SH_EESK_S10_SL_SM_SN_EUlS10_E1_NS1_11comp_targetILNS1_3genE5ELNS1_11target_archE942ELNS1_3gpuE9ELNS1_3repE0EEENS1_36merge_oddeven_config_static_selectorELNS0_4arch9wavefront6targetE1EEEvSM_ ; -- Begin function _ZN7rocprim17ROCPRIM_400000_NS6detail17trampoline_kernelINS0_14default_configENS1_38merge_sort_block_merge_config_selectorIN6thrust23THRUST_200600_302600_NS4pairIiiEENS0_10empty_typeEEEZZNS1_27merge_sort_block_merge_implIS3_NS6_6detail15normal_iteratorINS6_10device_ptrIS8_EEEEPS9_mNS6_4lessIS8_EEEE10hipError_tT0_T1_T2_jT3_P12ihipStream_tbPNSt15iterator_traitsISL_E10value_typeEPNSR_ISM_E10value_typeEPSN_NS1_7vsmem_tEENKUlT_SL_SM_SN_E_clIPS8_SG_SH_SH_EESK_S10_SL_SM_SN_EUlS10_E1_NS1_11comp_targetILNS1_3genE5ELNS1_11target_archE942ELNS1_3gpuE9ELNS1_3repE0EEENS1_36merge_oddeven_config_static_selectorELNS0_4arch9wavefront6targetE1EEEvSM_
	.globl	_ZN7rocprim17ROCPRIM_400000_NS6detail17trampoline_kernelINS0_14default_configENS1_38merge_sort_block_merge_config_selectorIN6thrust23THRUST_200600_302600_NS4pairIiiEENS0_10empty_typeEEEZZNS1_27merge_sort_block_merge_implIS3_NS6_6detail15normal_iteratorINS6_10device_ptrIS8_EEEEPS9_mNS6_4lessIS8_EEEE10hipError_tT0_T1_T2_jT3_P12ihipStream_tbPNSt15iterator_traitsISL_E10value_typeEPNSR_ISM_E10value_typeEPSN_NS1_7vsmem_tEENKUlT_SL_SM_SN_E_clIPS8_SG_SH_SH_EESK_S10_SL_SM_SN_EUlS10_E1_NS1_11comp_targetILNS1_3genE5ELNS1_11target_archE942ELNS1_3gpuE9ELNS1_3repE0EEENS1_36merge_oddeven_config_static_selectorELNS0_4arch9wavefront6targetE1EEEvSM_
	.p2align	8
	.type	_ZN7rocprim17ROCPRIM_400000_NS6detail17trampoline_kernelINS0_14default_configENS1_38merge_sort_block_merge_config_selectorIN6thrust23THRUST_200600_302600_NS4pairIiiEENS0_10empty_typeEEEZZNS1_27merge_sort_block_merge_implIS3_NS6_6detail15normal_iteratorINS6_10device_ptrIS8_EEEEPS9_mNS6_4lessIS8_EEEE10hipError_tT0_T1_T2_jT3_P12ihipStream_tbPNSt15iterator_traitsISL_E10value_typeEPNSR_ISM_E10value_typeEPSN_NS1_7vsmem_tEENKUlT_SL_SM_SN_E_clIPS8_SG_SH_SH_EESK_S10_SL_SM_SN_EUlS10_E1_NS1_11comp_targetILNS1_3genE5ELNS1_11target_archE942ELNS1_3gpuE9ELNS1_3repE0EEENS1_36merge_oddeven_config_static_selectorELNS0_4arch9wavefront6targetE1EEEvSM_,@function
_ZN7rocprim17ROCPRIM_400000_NS6detail17trampoline_kernelINS0_14default_configENS1_38merge_sort_block_merge_config_selectorIN6thrust23THRUST_200600_302600_NS4pairIiiEENS0_10empty_typeEEEZZNS1_27merge_sort_block_merge_implIS3_NS6_6detail15normal_iteratorINS6_10device_ptrIS8_EEEEPS9_mNS6_4lessIS8_EEEE10hipError_tT0_T1_T2_jT3_P12ihipStream_tbPNSt15iterator_traitsISL_E10value_typeEPNSR_ISM_E10value_typeEPSN_NS1_7vsmem_tEENKUlT_SL_SM_SN_E_clIPS8_SG_SH_SH_EESK_S10_SL_SM_SN_EUlS10_E1_NS1_11comp_targetILNS1_3genE5ELNS1_11target_archE942ELNS1_3gpuE9ELNS1_3repE0EEENS1_36merge_oddeven_config_static_selectorELNS0_4arch9wavefront6targetE1EEEvSM_: ; @_ZN7rocprim17ROCPRIM_400000_NS6detail17trampoline_kernelINS0_14default_configENS1_38merge_sort_block_merge_config_selectorIN6thrust23THRUST_200600_302600_NS4pairIiiEENS0_10empty_typeEEEZZNS1_27merge_sort_block_merge_implIS3_NS6_6detail15normal_iteratorINS6_10device_ptrIS8_EEEEPS9_mNS6_4lessIS8_EEEE10hipError_tT0_T1_T2_jT3_P12ihipStream_tbPNSt15iterator_traitsISL_E10value_typeEPNSR_ISM_E10value_typeEPSN_NS1_7vsmem_tEENKUlT_SL_SM_SN_E_clIPS8_SG_SH_SH_EESK_S10_SL_SM_SN_EUlS10_E1_NS1_11comp_targetILNS1_3genE5ELNS1_11target_archE942ELNS1_3gpuE9ELNS1_3repE0EEENS1_36merge_oddeven_config_static_selectorELNS0_4arch9wavefront6targetE1EEEvSM_
; %bb.0:
	.section	.rodata,"a",@progbits
	.p2align	6, 0x0
	.amdhsa_kernel _ZN7rocprim17ROCPRIM_400000_NS6detail17trampoline_kernelINS0_14default_configENS1_38merge_sort_block_merge_config_selectorIN6thrust23THRUST_200600_302600_NS4pairIiiEENS0_10empty_typeEEEZZNS1_27merge_sort_block_merge_implIS3_NS6_6detail15normal_iteratorINS6_10device_ptrIS8_EEEEPS9_mNS6_4lessIS8_EEEE10hipError_tT0_T1_T2_jT3_P12ihipStream_tbPNSt15iterator_traitsISL_E10value_typeEPNSR_ISM_E10value_typeEPSN_NS1_7vsmem_tEENKUlT_SL_SM_SN_E_clIPS8_SG_SH_SH_EESK_S10_SL_SM_SN_EUlS10_E1_NS1_11comp_targetILNS1_3genE5ELNS1_11target_archE942ELNS1_3gpuE9ELNS1_3repE0EEENS1_36merge_oddeven_config_static_selectorELNS0_4arch9wavefront6targetE1EEEvSM_
		.amdhsa_group_segment_fixed_size 0
		.amdhsa_private_segment_fixed_size 0
		.amdhsa_kernarg_size 56
		.amdhsa_user_sgpr_count 2
		.amdhsa_user_sgpr_dispatch_ptr 0
		.amdhsa_user_sgpr_queue_ptr 0
		.amdhsa_user_sgpr_kernarg_segment_ptr 1
		.amdhsa_user_sgpr_dispatch_id 0
		.amdhsa_user_sgpr_kernarg_preload_length 0
		.amdhsa_user_sgpr_kernarg_preload_offset 0
		.amdhsa_user_sgpr_private_segment_size 0
		.amdhsa_uses_dynamic_stack 0
		.amdhsa_enable_private_segment 0
		.amdhsa_system_sgpr_workgroup_id_x 1
		.amdhsa_system_sgpr_workgroup_id_y 0
		.amdhsa_system_sgpr_workgroup_id_z 0
		.amdhsa_system_sgpr_workgroup_info 0
		.amdhsa_system_vgpr_workitem_id 0
		.amdhsa_next_free_vgpr 1
		.amdhsa_next_free_sgpr 0
		.amdhsa_accum_offset 4
		.amdhsa_reserve_vcc 0
		.amdhsa_float_round_mode_32 0
		.amdhsa_float_round_mode_16_64 0
		.amdhsa_float_denorm_mode_32 3
		.amdhsa_float_denorm_mode_16_64 3
		.amdhsa_dx10_clamp 1
		.amdhsa_ieee_mode 1
		.amdhsa_fp16_overflow 0
		.amdhsa_tg_split 0
		.amdhsa_exception_fp_ieee_invalid_op 0
		.amdhsa_exception_fp_denorm_src 0
		.amdhsa_exception_fp_ieee_div_zero 0
		.amdhsa_exception_fp_ieee_overflow 0
		.amdhsa_exception_fp_ieee_underflow 0
		.amdhsa_exception_fp_ieee_inexact 0
		.amdhsa_exception_int_div_zero 0
	.end_amdhsa_kernel
	.section	.text._ZN7rocprim17ROCPRIM_400000_NS6detail17trampoline_kernelINS0_14default_configENS1_38merge_sort_block_merge_config_selectorIN6thrust23THRUST_200600_302600_NS4pairIiiEENS0_10empty_typeEEEZZNS1_27merge_sort_block_merge_implIS3_NS6_6detail15normal_iteratorINS6_10device_ptrIS8_EEEEPS9_mNS6_4lessIS8_EEEE10hipError_tT0_T1_T2_jT3_P12ihipStream_tbPNSt15iterator_traitsISL_E10value_typeEPNSR_ISM_E10value_typeEPSN_NS1_7vsmem_tEENKUlT_SL_SM_SN_E_clIPS8_SG_SH_SH_EESK_S10_SL_SM_SN_EUlS10_E1_NS1_11comp_targetILNS1_3genE5ELNS1_11target_archE942ELNS1_3gpuE9ELNS1_3repE0EEENS1_36merge_oddeven_config_static_selectorELNS0_4arch9wavefront6targetE1EEEvSM_,"axG",@progbits,_ZN7rocprim17ROCPRIM_400000_NS6detail17trampoline_kernelINS0_14default_configENS1_38merge_sort_block_merge_config_selectorIN6thrust23THRUST_200600_302600_NS4pairIiiEENS0_10empty_typeEEEZZNS1_27merge_sort_block_merge_implIS3_NS6_6detail15normal_iteratorINS6_10device_ptrIS8_EEEEPS9_mNS6_4lessIS8_EEEE10hipError_tT0_T1_T2_jT3_P12ihipStream_tbPNSt15iterator_traitsISL_E10value_typeEPNSR_ISM_E10value_typeEPSN_NS1_7vsmem_tEENKUlT_SL_SM_SN_E_clIPS8_SG_SH_SH_EESK_S10_SL_SM_SN_EUlS10_E1_NS1_11comp_targetILNS1_3genE5ELNS1_11target_archE942ELNS1_3gpuE9ELNS1_3repE0EEENS1_36merge_oddeven_config_static_selectorELNS0_4arch9wavefront6targetE1EEEvSM_,comdat
.Lfunc_end651:
	.size	_ZN7rocprim17ROCPRIM_400000_NS6detail17trampoline_kernelINS0_14default_configENS1_38merge_sort_block_merge_config_selectorIN6thrust23THRUST_200600_302600_NS4pairIiiEENS0_10empty_typeEEEZZNS1_27merge_sort_block_merge_implIS3_NS6_6detail15normal_iteratorINS6_10device_ptrIS8_EEEEPS9_mNS6_4lessIS8_EEEE10hipError_tT0_T1_T2_jT3_P12ihipStream_tbPNSt15iterator_traitsISL_E10value_typeEPNSR_ISM_E10value_typeEPSN_NS1_7vsmem_tEENKUlT_SL_SM_SN_E_clIPS8_SG_SH_SH_EESK_S10_SL_SM_SN_EUlS10_E1_NS1_11comp_targetILNS1_3genE5ELNS1_11target_archE942ELNS1_3gpuE9ELNS1_3repE0EEENS1_36merge_oddeven_config_static_selectorELNS0_4arch9wavefront6targetE1EEEvSM_, .Lfunc_end651-_ZN7rocprim17ROCPRIM_400000_NS6detail17trampoline_kernelINS0_14default_configENS1_38merge_sort_block_merge_config_selectorIN6thrust23THRUST_200600_302600_NS4pairIiiEENS0_10empty_typeEEEZZNS1_27merge_sort_block_merge_implIS3_NS6_6detail15normal_iteratorINS6_10device_ptrIS8_EEEEPS9_mNS6_4lessIS8_EEEE10hipError_tT0_T1_T2_jT3_P12ihipStream_tbPNSt15iterator_traitsISL_E10value_typeEPNSR_ISM_E10value_typeEPSN_NS1_7vsmem_tEENKUlT_SL_SM_SN_E_clIPS8_SG_SH_SH_EESK_S10_SL_SM_SN_EUlS10_E1_NS1_11comp_targetILNS1_3genE5ELNS1_11target_archE942ELNS1_3gpuE9ELNS1_3repE0EEENS1_36merge_oddeven_config_static_selectorELNS0_4arch9wavefront6targetE1EEEvSM_
                                        ; -- End function
	.set _ZN7rocprim17ROCPRIM_400000_NS6detail17trampoline_kernelINS0_14default_configENS1_38merge_sort_block_merge_config_selectorIN6thrust23THRUST_200600_302600_NS4pairIiiEENS0_10empty_typeEEEZZNS1_27merge_sort_block_merge_implIS3_NS6_6detail15normal_iteratorINS6_10device_ptrIS8_EEEEPS9_mNS6_4lessIS8_EEEE10hipError_tT0_T1_T2_jT3_P12ihipStream_tbPNSt15iterator_traitsISL_E10value_typeEPNSR_ISM_E10value_typeEPSN_NS1_7vsmem_tEENKUlT_SL_SM_SN_E_clIPS8_SG_SH_SH_EESK_S10_SL_SM_SN_EUlS10_E1_NS1_11comp_targetILNS1_3genE5ELNS1_11target_archE942ELNS1_3gpuE9ELNS1_3repE0EEENS1_36merge_oddeven_config_static_selectorELNS0_4arch9wavefront6targetE1EEEvSM_.num_vgpr, 0
	.set _ZN7rocprim17ROCPRIM_400000_NS6detail17trampoline_kernelINS0_14default_configENS1_38merge_sort_block_merge_config_selectorIN6thrust23THRUST_200600_302600_NS4pairIiiEENS0_10empty_typeEEEZZNS1_27merge_sort_block_merge_implIS3_NS6_6detail15normal_iteratorINS6_10device_ptrIS8_EEEEPS9_mNS6_4lessIS8_EEEE10hipError_tT0_T1_T2_jT3_P12ihipStream_tbPNSt15iterator_traitsISL_E10value_typeEPNSR_ISM_E10value_typeEPSN_NS1_7vsmem_tEENKUlT_SL_SM_SN_E_clIPS8_SG_SH_SH_EESK_S10_SL_SM_SN_EUlS10_E1_NS1_11comp_targetILNS1_3genE5ELNS1_11target_archE942ELNS1_3gpuE9ELNS1_3repE0EEENS1_36merge_oddeven_config_static_selectorELNS0_4arch9wavefront6targetE1EEEvSM_.num_agpr, 0
	.set _ZN7rocprim17ROCPRIM_400000_NS6detail17trampoline_kernelINS0_14default_configENS1_38merge_sort_block_merge_config_selectorIN6thrust23THRUST_200600_302600_NS4pairIiiEENS0_10empty_typeEEEZZNS1_27merge_sort_block_merge_implIS3_NS6_6detail15normal_iteratorINS6_10device_ptrIS8_EEEEPS9_mNS6_4lessIS8_EEEE10hipError_tT0_T1_T2_jT3_P12ihipStream_tbPNSt15iterator_traitsISL_E10value_typeEPNSR_ISM_E10value_typeEPSN_NS1_7vsmem_tEENKUlT_SL_SM_SN_E_clIPS8_SG_SH_SH_EESK_S10_SL_SM_SN_EUlS10_E1_NS1_11comp_targetILNS1_3genE5ELNS1_11target_archE942ELNS1_3gpuE9ELNS1_3repE0EEENS1_36merge_oddeven_config_static_selectorELNS0_4arch9wavefront6targetE1EEEvSM_.numbered_sgpr, 0
	.set _ZN7rocprim17ROCPRIM_400000_NS6detail17trampoline_kernelINS0_14default_configENS1_38merge_sort_block_merge_config_selectorIN6thrust23THRUST_200600_302600_NS4pairIiiEENS0_10empty_typeEEEZZNS1_27merge_sort_block_merge_implIS3_NS6_6detail15normal_iteratorINS6_10device_ptrIS8_EEEEPS9_mNS6_4lessIS8_EEEE10hipError_tT0_T1_T2_jT3_P12ihipStream_tbPNSt15iterator_traitsISL_E10value_typeEPNSR_ISM_E10value_typeEPSN_NS1_7vsmem_tEENKUlT_SL_SM_SN_E_clIPS8_SG_SH_SH_EESK_S10_SL_SM_SN_EUlS10_E1_NS1_11comp_targetILNS1_3genE5ELNS1_11target_archE942ELNS1_3gpuE9ELNS1_3repE0EEENS1_36merge_oddeven_config_static_selectorELNS0_4arch9wavefront6targetE1EEEvSM_.num_named_barrier, 0
	.set _ZN7rocprim17ROCPRIM_400000_NS6detail17trampoline_kernelINS0_14default_configENS1_38merge_sort_block_merge_config_selectorIN6thrust23THRUST_200600_302600_NS4pairIiiEENS0_10empty_typeEEEZZNS1_27merge_sort_block_merge_implIS3_NS6_6detail15normal_iteratorINS6_10device_ptrIS8_EEEEPS9_mNS6_4lessIS8_EEEE10hipError_tT0_T1_T2_jT3_P12ihipStream_tbPNSt15iterator_traitsISL_E10value_typeEPNSR_ISM_E10value_typeEPSN_NS1_7vsmem_tEENKUlT_SL_SM_SN_E_clIPS8_SG_SH_SH_EESK_S10_SL_SM_SN_EUlS10_E1_NS1_11comp_targetILNS1_3genE5ELNS1_11target_archE942ELNS1_3gpuE9ELNS1_3repE0EEENS1_36merge_oddeven_config_static_selectorELNS0_4arch9wavefront6targetE1EEEvSM_.private_seg_size, 0
	.set _ZN7rocprim17ROCPRIM_400000_NS6detail17trampoline_kernelINS0_14default_configENS1_38merge_sort_block_merge_config_selectorIN6thrust23THRUST_200600_302600_NS4pairIiiEENS0_10empty_typeEEEZZNS1_27merge_sort_block_merge_implIS3_NS6_6detail15normal_iteratorINS6_10device_ptrIS8_EEEEPS9_mNS6_4lessIS8_EEEE10hipError_tT0_T1_T2_jT3_P12ihipStream_tbPNSt15iterator_traitsISL_E10value_typeEPNSR_ISM_E10value_typeEPSN_NS1_7vsmem_tEENKUlT_SL_SM_SN_E_clIPS8_SG_SH_SH_EESK_S10_SL_SM_SN_EUlS10_E1_NS1_11comp_targetILNS1_3genE5ELNS1_11target_archE942ELNS1_3gpuE9ELNS1_3repE0EEENS1_36merge_oddeven_config_static_selectorELNS0_4arch9wavefront6targetE1EEEvSM_.uses_vcc, 0
	.set _ZN7rocprim17ROCPRIM_400000_NS6detail17trampoline_kernelINS0_14default_configENS1_38merge_sort_block_merge_config_selectorIN6thrust23THRUST_200600_302600_NS4pairIiiEENS0_10empty_typeEEEZZNS1_27merge_sort_block_merge_implIS3_NS6_6detail15normal_iteratorINS6_10device_ptrIS8_EEEEPS9_mNS6_4lessIS8_EEEE10hipError_tT0_T1_T2_jT3_P12ihipStream_tbPNSt15iterator_traitsISL_E10value_typeEPNSR_ISM_E10value_typeEPSN_NS1_7vsmem_tEENKUlT_SL_SM_SN_E_clIPS8_SG_SH_SH_EESK_S10_SL_SM_SN_EUlS10_E1_NS1_11comp_targetILNS1_3genE5ELNS1_11target_archE942ELNS1_3gpuE9ELNS1_3repE0EEENS1_36merge_oddeven_config_static_selectorELNS0_4arch9wavefront6targetE1EEEvSM_.uses_flat_scratch, 0
	.set _ZN7rocprim17ROCPRIM_400000_NS6detail17trampoline_kernelINS0_14default_configENS1_38merge_sort_block_merge_config_selectorIN6thrust23THRUST_200600_302600_NS4pairIiiEENS0_10empty_typeEEEZZNS1_27merge_sort_block_merge_implIS3_NS6_6detail15normal_iteratorINS6_10device_ptrIS8_EEEEPS9_mNS6_4lessIS8_EEEE10hipError_tT0_T1_T2_jT3_P12ihipStream_tbPNSt15iterator_traitsISL_E10value_typeEPNSR_ISM_E10value_typeEPSN_NS1_7vsmem_tEENKUlT_SL_SM_SN_E_clIPS8_SG_SH_SH_EESK_S10_SL_SM_SN_EUlS10_E1_NS1_11comp_targetILNS1_3genE5ELNS1_11target_archE942ELNS1_3gpuE9ELNS1_3repE0EEENS1_36merge_oddeven_config_static_selectorELNS0_4arch9wavefront6targetE1EEEvSM_.has_dyn_sized_stack, 0
	.set _ZN7rocprim17ROCPRIM_400000_NS6detail17trampoline_kernelINS0_14default_configENS1_38merge_sort_block_merge_config_selectorIN6thrust23THRUST_200600_302600_NS4pairIiiEENS0_10empty_typeEEEZZNS1_27merge_sort_block_merge_implIS3_NS6_6detail15normal_iteratorINS6_10device_ptrIS8_EEEEPS9_mNS6_4lessIS8_EEEE10hipError_tT0_T1_T2_jT3_P12ihipStream_tbPNSt15iterator_traitsISL_E10value_typeEPNSR_ISM_E10value_typeEPSN_NS1_7vsmem_tEENKUlT_SL_SM_SN_E_clIPS8_SG_SH_SH_EESK_S10_SL_SM_SN_EUlS10_E1_NS1_11comp_targetILNS1_3genE5ELNS1_11target_archE942ELNS1_3gpuE9ELNS1_3repE0EEENS1_36merge_oddeven_config_static_selectorELNS0_4arch9wavefront6targetE1EEEvSM_.has_recursion, 0
	.set _ZN7rocprim17ROCPRIM_400000_NS6detail17trampoline_kernelINS0_14default_configENS1_38merge_sort_block_merge_config_selectorIN6thrust23THRUST_200600_302600_NS4pairIiiEENS0_10empty_typeEEEZZNS1_27merge_sort_block_merge_implIS3_NS6_6detail15normal_iteratorINS6_10device_ptrIS8_EEEEPS9_mNS6_4lessIS8_EEEE10hipError_tT0_T1_T2_jT3_P12ihipStream_tbPNSt15iterator_traitsISL_E10value_typeEPNSR_ISM_E10value_typeEPSN_NS1_7vsmem_tEENKUlT_SL_SM_SN_E_clIPS8_SG_SH_SH_EESK_S10_SL_SM_SN_EUlS10_E1_NS1_11comp_targetILNS1_3genE5ELNS1_11target_archE942ELNS1_3gpuE9ELNS1_3repE0EEENS1_36merge_oddeven_config_static_selectorELNS0_4arch9wavefront6targetE1EEEvSM_.has_indirect_call, 0
	.section	.AMDGPU.csdata,"",@progbits
; Kernel info:
; codeLenInByte = 0
; TotalNumSgprs: 6
; NumVgprs: 0
; NumAgprs: 0
; TotalNumVgprs: 0
; ScratchSize: 0
; MemoryBound: 0
; FloatMode: 240
; IeeeMode: 1
; LDSByteSize: 0 bytes/workgroup (compile time only)
; SGPRBlocks: 0
; VGPRBlocks: 0
; NumSGPRsForWavesPerEU: 6
; NumVGPRsForWavesPerEU: 1
; AccumOffset: 4
; Occupancy: 8
; WaveLimiterHint : 0
; COMPUTE_PGM_RSRC2:SCRATCH_EN: 0
; COMPUTE_PGM_RSRC2:USER_SGPR: 2
; COMPUTE_PGM_RSRC2:TRAP_HANDLER: 0
; COMPUTE_PGM_RSRC2:TGID_X_EN: 1
; COMPUTE_PGM_RSRC2:TGID_Y_EN: 0
; COMPUTE_PGM_RSRC2:TGID_Z_EN: 0
; COMPUTE_PGM_RSRC2:TIDIG_COMP_CNT: 0
; COMPUTE_PGM_RSRC3_GFX90A:ACCUM_OFFSET: 0
; COMPUTE_PGM_RSRC3_GFX90A:TG_SPLIT: 0
	.section	.text._ZN7rocprim17ROCPRIM_400000_NS6detail17trampoline_kernelINS0_14default_configENS1_38merge_sort_block_merge_config_selectorIN6thrust23THRUST_200600_302600_NS4pairIiiEENS0_10empty_typeEEEZZNS1_27merge_sort_block_merge_implIS3_NS6_6detail15normal_iteratorINS6_10device_ptrIS8_EEEEPS9_mNS6_4lessIS8_EEEE10hipError_tT0_T1_T2_jT3_P12ihipStream_tbPNSt15iterator_traitsISL_E10value_typeEPNSR_ISM_E10value_typeEPSN_NS1_7vsmem_tEENKUlT_SL_SM_SN_E_clIPS8_SG_SH_SH_EESK_S10_SL_SM_SN_EUlS10_E1_NS1_11comp_targetILNS1_3genE4ELNS1_11target_archE910ELNS1_3gpuE8ELNS1_3repE0EEENS1_36merge_oddeven_config_static_selectorELNS0_4arch9wavefront6targetE1EEEvSM_,"axG",@progbits,_ZN7rocprim17ROCPRIM_400000_NS6detail17trampoline_kernelINS0_14default_configENS1_38merge_sort_block_merge_config_selectorIN6thrust23THRUST_200600_302600_NS4pairIiiEENS0_10empty_typeEEEZZNS1_27merge_sort_block_merge_implIS3_NS6_6detail15normal_iteratorINS6_10device_ptrIS8_EEEEPS9_mNS6_4lessIS8_EEEE10hipError_tT0_T1_T2_jT3_P12ihipStream_tbPNSt15iterator_traitsISL_E10value_typeEPNSR_ISM_E10value_typeEPSN_NS1_7vsmem_tEENKUlT_SL_SM_SN_E_clIPS8_SG_SH_SH_EESK_S10_SL_SM_SN_EUlS10_E1_NS1_11comp_targetILNS1_3genE4ELNS1_11target_archE910ELNS1_3gpuE8ELNS1_3repE0EEENS1_36merge_oddeven_config_static_selectorELNS0_4arch9wavefront6targetE1EEEvSM_,comdat
	.protected	_ZN7rocprim17ROCPRIM_400000_NS6detail17trampoline_kernelINS0_14default_configENS1_38merge_sort_block_merge_config_selectorIN6thrust23THRUST_200600_302600_NS4pairIiiEENS0_10empty_typeEEEZZNS1_27merge_sort_block_merge_implIS3_NS6_6detail15normal_iteratorINS6_10device_ptrIS8_EEEEPS9_mNS6_4lessIS8_EEEE10hipError_tT0_T1_T2_jT3_P12ihipStream_tbPNSt15iterator_traitsISL_E10value_typeEPNSR_ISM_E10value_typeEPSN_NS1_7vsmem_tEENKUlT_SL_SM_SN_E_clIPS8_SG_SH_SH_EESK_S10_SL_SM_SN_EUlS10_E1_NS1_11comp_targetILNS1_3genE4ELNS1_11target_archE910ELNS1_3gpuE8ELNS1_3repE0EEENS1_36merge_oddeven_config_static_selectorELNS0_4arch9wavefront6targetE1EEEvSM_ ; -- Begin function _ZN7rocprim17ROCPRIM_400000_NS6detail17trampoline_kernelINS0_14default_configENS1_38merge_sort_block_merge_config_selectorIN6thrust23THRUST_200600_302600_NS4pairIiiEENS0_10empty_typeEEEZZNS1_27merge_sort_block_merge_implIS3_NS6_6detail15normal_iteratorINS6_10device_ptrIS8_EEEEPS9_mNS6_4lessIS8_EEEE10hipError_tT0_T1_T2_jT3_P12ihipStream_tbPNSt15iterator_traitsISL_E10value_typeEPNSR_ISM_E10value_typeEPSN_NS1_7vsmem_tEENKUlT_SL_SM_SN_E_clIPS8_SG_SH_SH_EESK_S10_SL_SM_SN_EUlS10_E1_NS1_11comp_targetILNS1_3genE4ELNS1_11target_archE910ELNS1_3gpuE8ELNS1_3repE0EEENS1_36merge_oddeven_config_static_selectorELNS0_4arch9wavefront6targetE1EEEvSM_
	.globl	_ZN7rocprim17ROCPRIM_400000_NS6detail17trampoline_kernelINS0_14default_configENS1_38merge_sort_block_merge_config_selectorIN6thrust23THRUST_200600_302600_NS4pairIiiEENS0_10empty_typeEEEZZNS1_27merge_sort_block_merge_implIS3_NS6_6detail15normal_iteratorINS6_10device_ptrIS8_EEEEPS9_mNS6_4lessIS8_EEEE10hipError_tT0_T1_T2_jT3_P12ihipStream_tbPNSt15iterator_traitsISL_E10value_typeEPNSR_ISM_E10value_typeEPSN_NS1_7vsmem_tEENKUlT_SL_SM_SN_E_clIPS8_SG_SH_SH_EESK_S10_SL_SM_SN_EUlS10_E1_NS1_11comp_targetILNS1_3genE4ELNS1_11target_archE910ELNS1_3gpuE8ELNS1_3repE0EEENS1_36merge_oddeven_config_static_selectorELNS0_4arch9wavefront6targetE1EEEvSM_
	.p2align	8
	.type	_ZN7rocprim17ROCPRIM_400000_NS6detail17trampoline_kernelINS0_14default_configENS1_38merge_sort_block_merge_config_selectorIN6thrust23THRUST_200600_302600_NS4pairIiiEENS0_10empty_typeEEEZZNS1_27merge_sort_block_merge_implIS3_NS6_6detail15normal_iteratorINS6_10device_ptrIS8_EEEEPS9_mNS6_4lessIS8_EEEE10hipError_tT0_T1_T2_jT3_P12ihipStream_tbPNSt15iterator_traitsISL_E10value_typeEPNSR_ISM_E10value_typeEPSN_NS1_7vsmem_tEENKUlT_SL_SM_SN_E_clIPS8_SG_SH_SH_EESK_S10_SL_SM_SN_EUlS10_E1_NS1_11comp_targetILNS1_3genE4ELNS1_11target_archE910ELNS1_3gpuE8ELNS1_3repE0EEENS1_36merge_oddeven_config_static_selectorELNS0_4arch9wavefront6targetE1EEEvSM_,@function
_ZN7rocprim17ROCPRIM_400000_NS6detail17trampoline_kernelINS0_14default_configENS1_38merge_sort_block_merge_config_selectorIN6thrust23THRUST_200600_302600_NS4pairIiiEENS0_10empty_typeEEEZZNS1_27merge_sort_block_merge_implIS3_NS6_6detail15normal_iteratorINS6_10device_ptrIS8_EEEEPS9_mNS6_4lessIS8_EEEE10hipError_tT0_T1_T2_jT3_P12ihipStream_tbPNSt15iterator_traitsISL_E10value_typeEPNSR_ISM_E10value_typeEPSN_NS1_7vsmem_tEENKUlT_SL_SM_SN_E_clIPS8_SG_SH_SH_EESK_S10_SL_SM_SN_EUlS10_E1_NS1_11comp_targetILNS1_3genE4ELNS1_11target_archE910ELNS1_3gpuE8ELNS1_3repE0EEENS1_36merge_oddeven_config_static_selectorELNS0_4arch9wavefront6targetE1EEEvSM_: ; @_ZN7rocprim17ROCPRIM_400000_NS6detail17trampoline_kernelINS0_14default_configENS1_38merge_sort_block_merge_config_selectorIN6thrust23THRUST_200600_302600_NS4pairIiiEENS0_10empty_typeEEEZZNS1_27merge_sort_block_merge_implIS3_NS6_6detail15normal_iteratorINS6_10device_ptrIS8_EEEEPS9_mNS6_4lessIS8_EEEE10hipError_tT0_T1_T2_jT3_P12ihipStream_tbPNSt15iterator_traitsISL_E10value_typeEPNSR_ISM_E10value_typeEPSN_NS1_7vsmem_tEENKUlT_SL_SM_SN_E_clIPS8_SG_SH_SH_EESK_S10_SL_SM_SN_EUlS10_E1_NS1_11comp_targetILNS1_3genE4ELNS1_11target_archE910ELNS1_3gpuE8ELNS1_3repE0EEENS1_36merge_oddeven_config_static_selectorELNS0_4arch9wavefront6targetE1EEEvSM_
; %bb.0:
	.section	.rodata,"a",@progbits
	.p2align	6, 0x0
	.amdhsa_kernel _ZN7rocprim17ROCPRIM_400000_NS6detail17trampoline_kernelINS0_14default_configENS1_38merge_sort_block_merge_config_selectorIN6thrust23THRUST_200600_302600_NS4pairIiiEENS0_10empty_typeEEEZZNS1_27merge_sort_block_merge_implIS3_NS6_6detail15normal_iteratorINS6_10device_ptrIS8_EEEEPS9_mNS6_4lessIS8_EEEE10hipError_tT0_T1_T2_jT3_P12ihipStream_tbPNSt15iterator_traitsISL_E10value_typeEPNSR_ISM_E10value_typeEPSN_NS1_7vsmem_tEENKUlT_SL_SM_SN_E_clIPS8_SG_SH_SH_EESK_S10_SL_SM_SN_EUlS10_E1_NS1_11comp_targetILNS1_3genE4ELNS1_11target_archE910ELNS1_3gpuE8ELNS1_3repE0EEENS1_36merge_oddeven_config_static_selectorELNS0_4arch9wavefront6targetE1EEEvSM_
		.amdhsa_group_segment_fixed_size 0
		.amdhsa_private_segment_fixed_size 0
		.amdhsa_kernarg_size 56
		.amdhsa_user_sgpr_count 2
		.amdhsa_user_sgpr_dispatch_ptr 0
		.amdhsa_user_sgpr_queue_ptr 0
		.amdhsa_user_sgpr_kernarg_segment_ptr 1
		.amdhsa_user_sgpr_dispatch_id 0
		.amdhsa_user_sgpr_kernarg_preload_length 0
		.amdhsa_user_sgpr_kernarg_preload_offset 0
		.amdhsa_user_sgpr_private_segment_size 0
		.amdhsa_uses_dynamic_stack 0
		.amdhsa_enable_private_segment 0
		.amdhsa_system_sgpr_workgroup_id_x 1
		.amdhsa_system_sgpr_workgroup_id_y 0
		.amdhsa_system_sgpr_workgroup_id_z 0
		.amdhsa_system_sgpr_workgroup_info 0
		.amdhsa_system_vgpr_workitem_id 0
		.amdhsa_next_free_vgpr 1
		.amdhsa_next_free_sgpr 0
		.amdhsa_accum_offset 4
		.amdhsa_reserve_vcc 0
		.amdhsa_float_round_mode_32 0
		.amdhsa_float_round_mode_16_64 0
		.amdhsa_float_denorm_mode_32 3
		.amdhsa_float_denorm_mode_16_64 3
		.amdhsa_dx10_clamp 1
		.amdhsa_ieee_mode 1
		.amdhsa_fp16_overflow 0
		.amdhsa_tg_split 0
		.amdhsa_exception_fp_ieee_invalid_op 0
		.amdhsa_exception_fp_denorm_src 0
		.amdhsa_exception_fp_ieee_div_zero 0
		.amdhsa_exception_fp_ieee_overflow 0
		.amdhsa_exception_fp_ieee_underflow 0
		.amdhsa_exception_fp_ieee_inexact 0
		.amdhsa_exception_int_div_zero 0
	.end_amdhsa_kernel
	.section	.text._ZN7rocprim17ROCPRIM_400000_NS6detail17trampoline_kernelINS0_14default_configENS1_38merge_sort_block_merge_config_selectorIN6thrust23THRUST_200600_302600_NS4pairIiiEENS0_10empty_typeEEEZZNS1_27merge_sort_block_merge_implIS3_NS6_6detail15normal_iteratorINS6_10device_ptrIS8_EEEEPS9_mNS6_4lessIS8_EEEE10hipError_tT0_T1_T2_jT3_P12ihipStream_tbPNSt15iterator_traitsISL_E10value_typeEPNSR_ISM_E10value_typeEPSN_NS1_7vsmem_tEENKUlT_SL_SM_SN_E_clIPS8_SG_SH_SH_EESK_S10_SL_SM_SN_EUlS10_E1_NS1_11comp_targetILNS1_3genE4ELNS1_11target_archE910ELNS1_3gpuE8ELNS1_3repE0EEENS1_36merge_oddeven_config_static_selectorELNS0_4arch9wavefront6targetE1EEEvSM_,"axG",@progbits,_ZN7rocprim17ROCPRIM_400000_NS6detail17trampoline_kernelINS0_14default_configENS1_38merge_sort_block_merge_config_selectorIN6thrust23THRUST_200600_302600_NS4pairIiiEENS0_10empty_typeEEEZZNS1_27merge_sort_block_merge_implIS3_NS6_6detail15normal_iteratorINS6_10device_ptrIS8_EEEEPS9_mNS6_4lessIS8_EEEE10hipError_tT0_T1_T2_jT3_P12ihipStream_tbPNSt15iterator_traitsISL_E10value_typeEPNSR_ISM_E10value_typeEPSN_NS1_7vsmem_tEENKUlT_SL_SM_SN_E_clIPS8_SG_SH_SH_EESK_S10_SL_SM_SN_EUlS10_E1_NS1_11comp_targetILNS1_3genE4ELNS1_11target_archE910ELNS1_3gpuE8ELNS1_3repE0EEENS1_36merge_oddeven_config_static_selectorELNS0_4arch9wavefront6targetE1EEEvSM_,comdat
.Lfunc_end652:
	.size	_ZN7rocprim17ROCPRIM_400000_NS6detail17trampoline_kernelINS0_14default_configENS1_38merge_sort_block_merge_config_selectorIN6thrust23THRUST_200600_302600_NS4pairIiiEENS0_10empty_typeEEEZZNS1_27merge_sort_block_merge_implIS3_NS6_6detail15normal_iteratorINS6_10device_ptrIS8_EEEEPS9_mNS6_4lessIS8_EEEE10hipError_tT0_T1_T2_jT3_P12ihipStream_tbPNSt15iterator_traitsISL_E10value_typeEPNSR_ISM_E10value_typeEPSN_NS1_7vsmem_tEENKUlT_SL_SM_SN_E_clIPS8_SG_SH_SH_EESK_S10_SL_SM_SN_EUlS10_E1_NS1_11comp_targetILNS1_3genE4ELNS1_11target_archE910ELNS1_3gpuE8ELNS1_3repE0EEENS1_36merge_oddeven_config_static_selectorELNS0_4arch9wavefront6targetE1EEEvSM_, .Lfunc_end652-_ZN7rocprim17ROCPRIM_400000_NS6detail17trampoline_kernelINS0_14default_configENS1_38merge_sort_block_merge_config_selectorIN6thrust23THRUST_200600_302600_NS4pairIiiEENS0_10empty_typeEEEZZNS1_27merge_sort_block_merge_implIS3_NS6_6detail15normal_iteratorINS6_10device_ptrIS8_EEEEPS9_mNS6_4lessIS8_EEEE10hipError_tT0_T1_T2_jT3_P12ihipStream_tbPNSt15iterator_traitsISL_E10value_typeEPNSR_ISM_E10value_typeEPSN_NS1_7vsmem_tEENKUlT_SL_SM_SN_E_clIPS8_SG_SH_SH_EESK_S10_SL_SM_SN_EUlS10_E1_NS1_11comp_targetILNS1_3genE4ELNS1_11target_archE910ELNS1_3gpuE8ELNS1_3repE0EEENS1_36merge_oddeven_config_static_selectorELNS0_4arch9wavefront6targetE1EEEvSM_
                                        ; -- End function
	.set _ZN7rocprim17ROCPRIM_400000_NS6detail17trampoline_kernelINS0_14default_configENS1_38merge_sort_block_merge_config_selectorIN6thrust23THRUST_200600_302600_NS4pairIiiEENS0_10empty_typeEEEZZNS1_27merge_sort_block_merge_implIS3_NS6_6detail15normal_iteratorINS6_10device_ptrIS8_EEEEPS9_mNS6_4lessIS8_EEEE10hipError_tT0_T1_T2_jT3_P12ihipStream_tbPNSt15iterator_traitsISL_E10value_typeEPNSR_ISM_E10value_typeEPSN_NS1_7vsmem_tEENKUlT_SL_SM_SN_E_clIPS8_SG_SH_SH_EESK_S10_SL_SM_SN_EUlS10_E1_NS1_11comp_targetILNS1_3genE4ELNS1_11target_archE910ELNS1_3gpuE8ELNS1_3repE0EEENS1_36merge_oddeven_config_static_selectorELNS0_4arch9wavefront6targetE1EEEvSM_.num_vgpr, 0
	.set _ZN7rocprim17ROCPRIM_400000_NS6detail17trampoline_kernelINS0_14default_configENS1_38merge_sort_block_merge_config_selectorIN6thrust23THRUST_200600_302600_NS4pairIiiEENS0_10empty_typeEEEZZNS1_27merge_sort_block_merge_implIS3_NS6_6detail15normal_iteratorINS6_10device_ptrIS8_EEEEPS9_mNS6_4lessIS8_EEEE10hipError_tT0_T1_T2_jT3_P12ihipStream_tbPNSt15iterator_traitsISL_E10value_typeEPNSR_ISM_E10value_typeEPSN_NS1_7vsmem_tEENKUlT_SL_SM_SN_E_clIPS8_SG_SH_SH_EESK_S10_SL_SM_SN_EUlS10_E1_NS1_11comp_targetILNS1_3genE4ELNS1_11target_archE910ELNS1_3gpuE8ELNS1_3repE0EEENS1_36merge_oddeven_config_static_selectorELNS0_4arch9wavefront6targetE1EEEvSM_.num_agpr, 0
	.set _ZN7rocprim17ROCPRIM_400000_NS6detail17trampoline_kernelINS0_14default_configENS1_38merge_sort_block_merge_config_selectorIN6thrust23THRUST_200600_302600_NS4pairIiiEENS0_10empty_typeEEEZZNS1_27merge_sort_block_merge_implIS3_NS6_6detail15normal_iteratorINS6_10device_ptrIS8_EEEEPS9_mNS6_4lessIS8_EEEE10hipError_tT0_T1_T2_jT3_P12ihipStream_tbPNSt15iterator_traitsISL_E10value_typeEPNSR_ISM_E10value_typeEPSN_NS1_7vsmem_tEENKUlT_SL_SM_SN_E_clIPS8_SG_SH_SH_EESK_S10_SL_SM_SN_EUlS10_E1_NS1_11comp_targetILNS1_3genE4ELNS1_11target_archE910ELNS1_3gpuE8ELNS1_3repE0EEENS1_36merge_oddeven_config_static_selectorELNS0_4arch9wavefront6targetE1EEEvSM_.numbered_sgpr, 0
	.set _ZN7rocprim17ROCPRIM_400000_NS6detail17trampoline_kernelINS0_14default_configENS1_38merge_sort_block_merge_config_selectorIN6thrust23THRUST_200600_302600_NS4pairIiiEENS0_10empty_typeEEEZZNS1_27merge_sort_block_merge_implIS3_NS6_6detail15normal_iteratorINS6_10device_ptrIS8_EEEEPS9_mNS6_4lessIS8_EEEE10hipError_tT0_T1_T2_jT3_P12ihipStream_tbPNSt15iterator_traitsISL_E10value_typeEPNSR_ISM_E10value_typeEPSN_NS1_7vsmem_tEENKUlT_SL_SM_SN_E_clIPS8_SG_SH_SH_EESK_S10_SL_SM_SN_EUlS10_E1_NS1_11comp_targetILNS1_3genE4ELNS1_11target_archE910ELNS1_3gpuE8ELNS1_3repE0EEENS1_36merge_oddeven_config_static_selectorELNS0_4arch9wavefront6targetE1EEEvSM_.num_named_barrier, 0
	.set _ZN7rocprim17ROCPRIM_400000_NS6detail17trampoline_kernelINS0_14default_configENS1_38merge_sort_block_merge_config_selectorIN6thrust23THRUST_200600_302600_NS4pairIiiEENS0_10empty_typeEEEZZNS1_27merge_sort_block_merge_implIS3_NS6_6detail15normal_iteratorINS6_10device_ptrIS8_EEEEPS9_mNS6_4lessIS8_EEEE10hipError_tT0_T1_T2_jT3_P12ihipStream_tbPNSt15iterator_traitsISL_E10value_typeEPNSR_ISM_E10value_typeEPSN_NS1_7vsmem_tEENKUlT_SL_SM_SN_E_clIPS8_SG_SH_SH_EESK_S10_SL_SM_SN_EUlS10_E1_NS1_11comp_targetILNS1_3genE4ELNS1_11target_archE910ELNS1_3gpuE8ELNS1_3repE0EEENS1_36merge_oddeven_config_static_selectorELNS0_4arch9wavefront6targetE1EEEvSM_.private_seg_size, 0
	.set _ZN7rocprim17ROCPRIM_400000_NS6detail17trampoline_kernelINS0_14default_configENS1_38merge_sort_block_merge_config_selectorIN6thrust23THRUST_200600_302600_NS4pairIiiEENS0_10empty_typeEEEZZNS1_27merge_sort_block_merge_implIS3_NS6_6detail15normal_iteratorINS6_10device_ptrIS8_EEEEPS9_mNS6_4lessIS8_EEEE10hipError_tT0_T1_T2_jT3_P12ihipStream_tbPNSt15iterator_traitsISL_E10value_typeEPNSR_ISM_E10value_typeEPSN_NS1_7vsmem_tEENKUlT_SL_SM_SN_E_clIPS8_SG_SH_SH_EESK_S10_SL_SM_SN_EUlS10_E1_NS1_11comp_targetILNS1_3genE4ELNS1_11target_archE910ELNS1_3gpuE8ELNS1_3repE0EEENS1_36merge_oddeven_config_static_selectorELNS0_4arch9wavefront6targetE1EEEvSM_.uses_vcc, 0
	.set _ZN7rocprim17ROCPRIM_400000_NS6detail17trampoline_kernelINS0_14default_configENS1_38merge_sort_block_merge_config_selectorIN6thrust23THRUST_200600_302600_NS4pairIiiEENS0_10empty_typeEEEZZNS1_27merge_sort_block_merge_implIS3_NS6_6detail15normal_iteratorINS6_10device_ptrIS8_EEEEPS9_mNS6_4lessIS8_EEEE10hipError_tT0_T1_T2_jT3_P12ihipStream_tbPNSt15iterator_traitsISL_E10value_typeEPNSR_ISM_E10value_typeEPSN_NS1_7vsmem_tEENKUlT_SL_SM_SN_E_clIPS8_SG_SH_SH_EESK_S10_SL_SM_SN_EUlS10_E1_NS1_11comp_targetILNS1_3genE4ELNS1_11target_archE910ELNS1_3gpuE8ELNS1_3repE0EEENS1_36merge_oddeven_config_static_selectorELNS0_4arch9wavefront6targetE1EEEvSM_.uses_flat_scratch, 0
	.set _ZN7rocprim17ROCPRIM_400000_NS6detail17trampoline_kernelINS0_14default_configENS1_38merge_sort_block_merge_config_selectorIN6thrust23THRUST_200600_302600_NS4pairIiiEENS0_10empty_typeEEEZZNS1_27merge_sort_block_merge_implIS3_NS6_6detail15normal_iteratorINS6_10device_ptrIS8_EEEEPS9_mNS6_4lessIS8_EEEE10hipError_tT0_T1_T2_jT3_P12ihipStream_tbPNSt15iterator_traitsISL_E10value_typeEPNSR_ISM_E10value_typeEPSN_NS1_7vsmem_tEENKUlT_SL_SM_SN_E_clIPS8_SG_SH_SH_EESK_S10_SL_SM_SN_EUlS10_E1_NS1_11comp_targetILNS1_3genE4ELNS1_11target_archE910ELNS1_3gpuE8ELNS1_3repE0EEENS1_36merge_oddeven_config_static_selectorELNS0_4arch9wavefront6targetE1EEEvSM_.has_dyn_sized_stack, 0
	.set _ZN7rocprim17ROCPRIM_400000_NS6detail17trampoline_kernelINS0_14default_configENS1_38merge_sort_block_merge_config_selectorIN6thrust23THRUST_200600_302600_NS4pairIiiEENS0_10empty_typeEEEZZNS1_27merge_sort_block_merge_implIS3_NS6_6detail15normal_iteratorINS6_10device_ptrIS8_EEEEPS9_mNS6_4lessIS8_EEEE10hipError_tT0_T1_T2_jT3_P12ihipStream_tbPNSt15iterator_traitsISL_E10value_typeEPNSR_ISM_E10value_typeEPSN_NS1_7vsmem_tEENKUlT_SL_SM_SN_E_clIPS8_SG_SH_SH_EESK_S10_SL_SM_SN_EUlS10_E1_NS1_11comp_targetILNS1_3genE4ELNS1_11target_archE910ELNS1_3gpuE8ELNS1_3repE0EEENS1_36merge_oddeven_config_static_selectorELNS0_4arch9wavefront6targetE1EEEvSM_.has_recursion, 0
	.set _ZN7rocprim17ROCPRIM_400000_NS6detail17trampoline_kernelINS0_14default_configENS1_38merge_sort_block_merge_config_selectorIN6thrust23THRUST_200600_302600_NS4pairIiiEENS0_10empty_typeEEEZZNS1_27merge_sort_block_merge_implIS3_NS6_6detail15normal_iteratorINS6_10device_ptrIS8_EEEEPS9_mNS6_4lessIS8_EEEE10hipError_tT0_T1_T2_jT3_P12ihipStream_tbPNSt15iterator_traitsISL_E10value_typeEPNSR_ISM_E10value_typeEPSN_NS1_7vsmem_tEENKUlT_SL_SM_SN_E_clIPS8_SG_SH_SH_EESK_S10_SL_SM_SN_EUlS10_E1_NS1_11comp_targetILNS1_3genE4ELNS1_11target_archE910ELNS1_3gpuE8ELNS1_3repE0EEENS1_36merge_oddeven_config_static_selectorELNS0_4arch9wavefront6targetE1EEEvSM_.has_indirect_call, 0
	.section	.AMDGPU.csdata,"",@progbits
; Kernel info:
; codeLenInByte = 0
; TotalNumSgprs: 6
; NumVgprs: 0
; NumAgprs: 0
; TotalNumVgprs: 0
; ScratchSize: 0
; MemoryBound: 0
; FloatMode: 240
; IeeeMode: 1
; LDSByteSize: 0 bytes/workgroup (compile time only)
; SGPRBlocks: 0
; VGPRBlocks: 0
; NumSGPRsForWavesPerEU: 6
; NumVGPRsForWavesPerEU: 1
; AccumOffset: 4
; Occupancy: 8
; WaveLimiterHint : 0
; COMPUTE_PGM_RSRC2:SCRATCH_EN: 0
; COMPUTE_PGM_RSRC2:USER_SGPR: 2
; COMPUTE_PGM_RSRC2:TRAP_HANDLER: 0
; COMPUTE_PGM_RSRC2:TGID_X_EN: 1
; COMPUTE_PGM_RSRC2:TGID_Y_EN: 0
; COMPUTE_PGM_RSRC2:TGID_Z_EN: 0
; COMPUTE_PGM_RSRC2:TIDIG_COMP_CNT: 0
; COMPUTE_PGM_RSRC3_GFX90A:ACCUM_OFFSET: 0
; COMPUTE_PGM_RSRC3_GFX90A:TG_SPLIT: 0
	.section	.text._ZN7rocprim17ROCPRIM_400000_NS6detail17trampoline_kernelINS0_14default_configENS1_38merge_sort_block_merge_config_selectorIN6thrust23THRUST_200600_302600_NS4pairIiiEENS0_10empty_typeEEEZZNS1_27merge_sort_block_merge_implIS3_NS6_6detail15normal_iteratorINS6_10device_ptrIS8_EEEEPS9_mNS6_4lessIS8_EEEE10hipError_tT0_T1_T2_jT3_P12ihipStream_tbPNSt15iterator_traitsISL_E10value_typeEPNSR_ISM_E10value_typeEPSN_NS1_7vsmem_tEENKUlT_SL_SM_SN_E_clIPS8_SG_SH_SH_EESK_S10_SL_SM_SN_EUlS10_E1_NS1_11comp_targetILNS1_3genE3ELNS1_11target_archE908ELNS1_3gpuE7ELNS1_3repE0EEENS1_36merge_oddeven_config_static_selectorELNS0_4arch9wavefront6targetE1EEEvSM_,"axG",@progbits,_ZN7rocprim17ROCPRIM_400000_NS6detail17trampoline_kernelINS0_14default_configENS1_38merge_sort_block_merge_config_selectorIN6thrust23THRUST_200600_302600_NS4pairIiiEENS0_10empty_typeEEEZZNS1_27merge_sort_block_merge_implIS3_NS6_6detail15normal_iteratorINS6_10device_ptrIS8_EEEEPS9_mNS6_4lessIS8_EEEE10hipError_tT0_T1_T2_jT3_P12ihipStream_tbPNSt15iterator_traitsISL_E10value_typeEPNSR_ISM_E10value_typeEPSN_NS1_7vsmem_tEENKUlT_SL_SM_SN_E_clIPS8_SG_SH_SH_EESK_S10_SL_SM_SN_EUlS10_E1_NS1_11comp_targetILNS1_3genE3ELNS1_11target_archE908ELNS1_3gpuE7ELNS1_3repE0EEENS1_36merge_oddeven_config_static_selectorELNS0_4arch9wavefront6targetE1EEEvSM_,comdat
	.protected	_ZN7rocprim17ROCPRIM_400000_NS6detail17trampoline_kernelINS0_14default_configENS1_38merge_sort_block_merge_config_selectorIN6thrust23THRUST_200600_302600_NS4pairIiiEENS0_10empty_typeEEEZZNS1_27merge_sort_block_merge_implIS3_NS6_6detail15normal_iteratorINS6_10device_ptrIS8_EEEEPS9_mNS6_4lessIS8_EEEE10hipError_tT0_T1_T2_jT3_P12ihipStream_tbPNSt15iterator_traitsISL_E10value_typeEPNSR_ISM_E10value_typeEPSN_NS1_7vsmem_tEENKUlT_SL_SM_SN_E_clIPS8_SG_SH_SH_EESK_S10_SL_SM_SN_EUlS10_E1_NS1_11comp_targetILNS1_3genE3ELNS1_11target_archE908ELNS1_3gpuE7ELNS1_3repE0EEENS1_36merge_oddeven_config_static_selectorELNS0_4arch9wavefront6targetE1EEEvSM_ ; -- Begin function _ZN7rocprim17ROCPRIM_400000_NS6detail17trampoline_kernelINS0_14default_configENS1_38merge_sort_block_merge_config_selectorIN6thrust23THRUST_200600_302600_NS4pairIiiEENS0_10empty_typeEEEZZNS1_27merge_sort_block_merge_implIS3_NS6_6detail15normal_iteratorINS6_10device_ptrIS8_EEEEPS9_mNS6_4lessIS8_EEEE10hipError_tT0_T1_T2_jT3_P12ihipStream_tbPNSt15iterator_traitsISL_E10value_typeEPNSR_ISM_E10value_typeEPSN_NS1_7vsmem_tEENKUlT_SL_SM_SN_E_clIPS8_SG_SH_SH_EESK_S10_SL_SM_SN_EUlS10_E1_NS1_11comp_targetILNS1_3genE3ELNS1_11target_archE908ELNS1_3gpuE7ELNS1_3repE0EEENS1_36merge_oddeven_config_static_selectorELNS0_4arch9wavefront6targetE1EEEvSM_
	.globl	_ZN7rocprim17ROCPRIM_400000_NS6detail17trampoline_kernelINS0_14default_configENS1_38merge_sort_block_merge_config_selectorIN6thrust23THRUST_200600_302600_NS4pairIiiEENS0_10empty_typeEEEZZNS1_27merge_sort_block_merge_implIS3_NS6_6detail15normal_iteratorINS6_10device_ptrIS8_EEEEPS9_mNS6_4lessIS8_EEEE10hipError_tT0_T1_T2_jT3_P12ihipStream_tbPNSt15iterator_traitsISL_E10value_typeEPNSR_ISM_E10value_typeEPSN_NS1_7vsmem_tEENKUlT_SL_SM_SN_E_clIPS8_SG_SH_SH_EESK_S10_SL_SM_SN_EUlS10_E1_NS1_11comp_targetILNS1_3genE3ELNS1_11target_archE908ELNS1_3gpuE7ELNS1_3repE0EEENS1_36merge_oddeven_config_static_selectorELNS0_4arch9wavefront6targetE1EEEvSM_
	.p2align	8
	.type	_ZN7rocprim17ROCPRIM_400000_NS6detail17trampoline_kernelINS0_14default_configENS1_38merge_sort_block_merge_config_selectorIN6thrust23THRUST_200600_302600_NS4pairIiiEENS0_10empty_typeEEEZZNS1_27merge_sort_block_merge_implIS3_NS6_6detail15normal_iteratorINS6_10device_ptrIS8_EEEEPS9_mNS6_4lessIS8_EEEE10hipError_tT0_T1_T2_jT3_P12ihipStream_tbPNSt15iterator_traitsISL_E10value_typeEPNSR_ISM_E10value_typeEPSN_NS1_7vsmem_tEENKUlT_SL_SM_SN_E_clIPS8_SG_SH_SH_EESK_S10_SL_SM_SN_EUlS10_E1_NS1_11comp_targetILNS1_3genE3ELNS1_11target_archE908ELNS1_3gpuE7ELNS1_3repE0EEENS1_36merge_oddeven_config_static_selectorELNS0_4arch9wavefront6targetE1EEEvSM_,@function
_ZN7rocprim17ROCPRIM_400000_NS6detail17trampoline_kernelINS0_14default_configENS1_38merge_sort_block_merge_config_selectorIN6thrust23THRUST_200600_302600_NS4pairIiiEENS0_10empty_typeEEEZZNS1_27merge_sort_block_merge_implIS3_NS6_6detail15normal_iteratorINS6_10device_ptrIS8_EEEEPS9_mNS6_4lessIS8_EEEE10hipError_tT0_T1_T2_jT3_P12ihipStream_tbPNSt15iterator_traitsISL_E10value_typeEPNSR_ISM_E10value_typeEPSN_NS1_7vsmem_tEENKUlT_SL_SM_SN_E_clIPS8_SG_SH_SH_EESK_S10_SL_SM_SN_EUlS10_E1_NS1_11comp_targetILNS1_3genE3ELNS1_11target_archE908ELNS1_3gpuE7ELNS1_3repE0EEENS1_36merge_oddeven_config_static_selectorELNS0_4arch9wavefront6targetE1EEEvSM_: ; @_ZN7rocprim17ROCPRIM_400000_NS6detail17trampoline_kernelINS0_14default_configENS1_38merge_sort_block_merge_config_selectorIN6thrust23THRUST_200600_302600_NS4pairIiiEENS0_10empty_typeEEEZZNS1_27merge_sort_block_merge_implIS3_NS6_6detail15normal_iteratorINS6_10device_ptrIS8_EEEEPS9_mNS6_4lessIS8_EEEE10hipError_tT0_T1_T2_jT3_P12ihipStream_tbPNSt15iterator_traitsISL_E10value_typeEPNSR_ISM_E10value_typeEPSN_NS1_7vsmem_tEENKUlT_SL_SM_SN_E_clIPS8_SG_SH_SH_EESK_S10_SL_SM_SN_EUlS10_E1_NS1_11comp_targetILNS1_3genE3ELNS1_11target_archE908ELNS1_3gpuE7ELNS1_3repE0EEENS1_36merge_oddeven_config_static_selectorELNS0_4arch9wavefront6targetE1EEEvSM_
; %bb.0:
	.section	.rodata,"a",@progbits
	.p2align	6, 0x0
	.amdhsa_kernel _ZN7rocprim17ROCPRIM_400000_NS6detail17trampoline_kernelINS0_14default_configENS1_38merge_sort_block_merge_config_selectorIN6thrust23THRUST_200600_302600_NS4pairIiiEENS0_10empty_typeEEEZZNS1_27merge_sort_block_merge_implIS3_NS6_6detail15normal_iteratorINS6_10device_ptrIS8_EEEEPS9_mNS6_4lessIS8_EEEE10hipError_tT0_T1_T2_jT3_P12ihipStream_tbPNSt15iterator_traitsISL_E10value_typeEPNSR_ISM_E10value_typeEPSN_NS1_7vsmem_tEENKUlT_SL_SM_SN_E_clIPS8_SG_SH_SH_EESK_S10_SL_SM_SN_EUlS10_E1_NS1_11comp_targetILNS1_3genE3ELNS1_11target_archE908ELNS1_3gpuE7ELNS1_3repE0EEENS1_36merge_oddeven_config_static_selectorELNS0_4arch9wavefront6targetE1EEEvSM_
		.amdhsa_group_segment_fixed_size 0
		.amdhsa_private_segment_fixed_size 0
		.amdhsa_kernarg_size 56
		.amdhsa_user_sgpr_count 2
		.amdhsa_user_sgpr_dispatch_ptr 0
		.amdhsa_user_sgpr_queue_ptr 0
		.amdhsa_user_sgpr_kernarg_segment_ptr 1
		.amdhsa_user_sgpr_dispatch_id 0
		.amdhsa_user_sgpr_kernarg_preload_length 0
		.amdhsa_user_sgpr_kernarg_preload_offset 0
		.amdhsa_user_sgpr_private_segment_size 0
		.amdhsa_uses_dynamic_stack 0
		.amdhsa_enable_private_segment 0
		.amdhsa_system_sgpr_workgroup_id_x 1
		.amdhsa_system_sgpr_workgroup_id_y 0
		.amdhsa_system_sgpr_workgroup_id_z 0
		.amdhsa_system_sgpr_workgroup_info 0
		.amdhsa_system_vgpr_workitem_id 0
		.amdhsa_next_free_vgpr 1
		.amdhsa_next_free_sgpr 0
		.amdhsa_accum_offset 4
		.amdhsa_reserve_vcc 0
		.amdhsa_float_round_mode_32 0
		.amdhsa_float_round_mode_16_64 0
		.amdhsa_float_denorm_mode_32 3
		.amdhsa_float_denorm_mode_16_64 3
		.amdhsa_dx10_clamp 1
		.amdhsa_ieee_mode 1
		.amdhsa_fp16_overflow 0
		.amdhsa_tg_split 0
		.amdhsa_exception_fp_ieee_invalid_op 0
		.amdhsa_exception_fp_denorm_src 0
		.amdhsa_exception_fp_ieee_div_zero 0
		.amdhsa_exception_fp_ieee_overflow 0
		.amdhsa_exception_fp_ieee_underflow 0
		.amdhsa_exception_fp_ieee_inexact 0
		.amdhsa_exception_int_div_zero 0
	.end_amdhsa_kernel
	.section	.text._ZN7rocprim17ROCPRIM_400000_NS6detail17trampoline_kernelINS0_14default_configENS1_38merge_sort_block_merge_config_selectorIN6thrust23THRUST_200600_302600_NS4pairIiiEENS0_10empty_typeEEEZZNS1_27merge_sort_block_merge_implIS3_NS6_6detail15normal_iteratorINS6_10device_ptrIS8_EEEEPS9_mNS6_4lessIS8_EEEE10hipError_tT0_T1_T2_jT3_P12ihipStream_tbPNSt15iterator_traitsISL_E10value_typeEPNSR_ISM_E10value_typeEPSN_NS1_7vsmem_tEENKUlT_SL_SM_SN_E_clIPS8_SG_SH_SH_EESK_S10_SL_SM_SN_EUlS10_E1_NS1_11comp_targetILNS1_3genE3ELNS1_11target_archE908ELNS1_3gpuE7ELNS1_3repE0EEENS1_36merge_oddeven_config_static_selectorELNS0_4arch9wavefront6targetE1EEEvSM_,"axG",@progbits,_ZN7rocprim17ROCPRIM_400000_NS6detail17trampoline_kernelINS0_14default_configENS1_38merge_sort_block_merge_config_selectorIN6thrust23THRUST_200600_302600_NS4pairIiiEENS0_10empty_typeEEEZZNS1_27merge_sort_block_merge_implIS3_NS6_6detail15normal_iteratorINS6_10device_ptrIS8_EEEEPS9_mNS6_4lessIS8_EEEE10hipError_tT0_T1_T2_jT3_P12ihipStream_tbPNSt15iterator_traitsISL_E10value_typeEPNSR_ISM_E10value_typeEPSN_NS1_7vsmem_tEENKUlT_SL_SM_SN_E_clIPS8_SG_SH_SH_EESK_S10_SL_SM_SN_EUlS10_E1_NS1_11comp_targetILNS1_3genE3ELNS1_11target_archE908ELNS1_3gpuE7ELNS1_3repE0EEENS1_36merge_oddeven_config_static_selectorELNS0_4arch9wavefront6targetE1EEEvSM_,comdat
.Lfunc_end653:
	.size	_ZN7rocprim17ROCPRIM_400000_NS6detail17trampoline_kernelINS0_14default_configENS1_38merge_sort_block_merge_config_selectorIN6thrust23THRUST_200600_302600_NS4pairIiiEENS0_10empty_typeEEEZZNS1_27merge_sort_block_merge_implIS3_NS6_6detail15normal_iteratorINS6_10device_ptrIS8_EEEEPS9_mNS6_4lessIS8_EEEE10hipError_tT0_T1_T2_jT3_P12ihipStream_tbPNSt15iterator_traitsISL_E10value_typeEPNSR_ISM_E10value_typeEPSN_NS1_7vsmem_tEENKUlT_SL_SM_SN_E_clIPS8_SG_SH_SH_EESK_S10_SL_SM_SN_EUlS10_E1_NS1_11comp_targetILNS1_3genE3ELNS1_11target_archE908ELNS1_3gpuE7ELNS1_3repE0EEENS1_36merge_oddeven_config_static_selectorELNS0_4arch9wavefront6targetE1EEEvSM_, .Lfunc_end653-_ZN7rocprim17ROCPRIM_400000_NS6detail17trampoline_kernelINS0_14default_configENS1_38merge_sort_block_merge_config_selectorIN6thrust23THRUST_200600_302600_NS4pairIiiEENS0_10empty_typeEEEZZNS1_27merge_sort_block_merge_implIS3_NS6_6detail15normal_iteratorINS6_10device_ptrIS8_EEEEPS9_mNS6_4lessIS8_EEEE10hipError_tT0_T1_T2_jT3_P12ihipStream_tbPNSt15iterator_traitsISL_E10value_typeEPNSR_ISM_E10value_typeEPSN_NS1_7vsmem_tEENKUlT_SL_SM_SN_E_clIPS8_SG_SH_SH_EESK_S10_SL_SM_SN_EUlS10_E1_NS1_11comp_targetILNS1_3genE3ELNS1_11target_archE908ELNS1_3gpuE7ELNS1_3repE0EEENS1_36merge_oddeven_config_static_selectorELNS0_4arch9wavefront6targetE1EEEvSM_
                                        ; -- End function
	.set _ZN7rocprim17ROCPRIM_400000_NS6detail17trampoline_kernelINS0_14default_configENS1_38merge_sort_block_merge_config_selectorIN6thrust23THRUST_200600_302600_NS4pairIiiEENS0_10empty_typeEEEZZNS1_27merge_sort_block_merge_implIS3_NS6_6detail15normal_iteratorINS6_10device_ptrIS8_EEEEPS9_mNS6_4lessIS8_EEEE10hipError_tT0_T1_T2_jT3_P12ihipStream_tbPNSt15iterator_traitsISL_E10value_typeEPNSR_ISM_E10value_typeEPSN_NS1_7vsmem_tEENKUlT_SL_SM_SN_E_clIPS8_SG_SH_SH_EESK_S10_SL_SM_SN_EUlS10_E1_NS1_11comp_targetILNS1_3genE3ELNS1_11target_archE908ELNS1_3gpuE7ELNS1_3repE0EEENS1_36merge_oddeven_config_static_selectorELNS0_4arch9wavefront6targetE1EEEvSM_.num_vgpr, 0
	.set _ZN7rocprim17ROCPRIM_400000_NS6detail17trampoline_kernelINS0_14default_configENS1_38merge_sort_block_merge_config_selectorIN6thrust23THRUST_200600_302600_NS4pairIiiEENS0_10empty_typeEEEZZNS1_27merge_sort_block_merge_implIS3_NS6_6detail15normal_iteratorINS6_10device_ptrIS8_EEEEPS9_mNS6_4lessIS8_EEEE10hipError_tT0_T1_T2_jT3_P12ihipStream_tbPNSt15iterator_traitsISL_E10value_typeEPNSR_ISM_E10value_typeEPSN_NS1_7vsmem_tEENKUlT_SL_SM_SN_E_clIPS8_SG_SH_SH_EESK_S10_SL_SM_SN_EUlS10_E1_NS1_11comp_targetILNS1_3genE3ELNS1_11target_archE908ELNS1_3gpuE7ELNS1_3repE0EEENS1_36merge_oddeven_config_static_selectorELNS0_4arch9wavefront6targetE1EEEvSM_.num_agpr, 0
	.set _ZN7rocprim17ROCPRIM_400000_NS6detail17trampoline_kernelINS0_14default_configENS1_38merge_sort_block_merge_config_selectorIN6thrust23THRUST_200600_302600_NS4pairIiiEENS0_10empty_typeEEEZZNS1_27merge_sort_block_merge_implIS3_NS6_6detail15normal_iteratorINS6_10device_ptrIS8_EEEEPS9_mNS6_4lessIS8_EEEE10hipError_tT0_T1_T2_jT3_P12ihipStream_tbPNSt15iterator_traitsISL_E10value_typeEPNSR_ISM_E10value_typeEPSN_NS1_7vsmem_tEENKUlT_SL_SM_SN_E_clIPS8_SG_SH_SH_EESK_S10_SL_SM_SN_EUlS10_E1_NS1_11comp_targetILNS1_3genE3ELNS1_11target_archE908ELNS1_3gpuE7ELNS1_3repE0EEENS1_36merge_oddeven_config_static_selectorELNS0_4arch9wavefront6targetE1EEEvSM_.numbered_sgpr, 0
	.set _ZN7rocprim17ROCPRIM_400000_NS6detail17trampoline_kernelINS0_14default_configENS1_38merge_sort_block_merge_config_selectorIN6thrust23THRUST_200600_302600_NS4pairIiiEENS0_10empty_typeEEEZZNS1_27merge_sort_block_merge_implIS3_NS6_6detail15normal_iteratorINS6_10device_ptrIS8_EEEEPS9_mNS6_4lessIS8_EEEE10hipError_tT0_T1_T2_jT3_P12ihipStream_tbPNSt15iterator_traitsISL_E10value_typeEPNSR_ISM_E10value_typeEPSN_NS1_7vsmem_tEENKUlT_SL_SM_SN_E_clIPS8_SG_SH_SH_EESK_S10_SL_SM_SN_EUlS10_E1_NS1_11comp_targetILNS1_3genE3ELNS1_11target_archE908ELNS1_3gpuE7ELNS1_3repE0EEENS1_36merge_oddeven_config_static_selectorELNS0_4arch9wavefront6targetE1EEEvSM_.num_named_barrier, 0
	.set _ZN7rocprim17ROCPRIM_400000_NS6detail17trampoline_kernelINS0_14default_configENS1_38merge_sort_block_merge_config_selectorIN6thrust23THRUST_200600_302600_NS4pairIiiEENS0_10empty_typeEEEZZNS1_27merge_sort_block_merge_implIS3_NS6_6detail15normal_iteratorINS6_10device_ptrIS8_EEEEPS9_mNS6_4lessIS8_EEEE10hipError_tT0_T1_T2_jT3_P12ihipStream_tbPNSt15iterator_traitsISL_E10value_typeEPNSR_ISM_E10value_typeEPSN_NS1_7vsmem_tEENKUlT_SL_SM_SN_E_clIPS8_SG_SH_SH_EESK_S10_SL_SM_SN_EUlS10_E1_NS1_11comp_targetILNS1_3genE3ELNS1_11target_archE908ELNS1_3gpuE7ELNS1_3repE0EEENS1_36merge_oddeven_config_static_selectorELNS0_4arch9wavefront6targetE1EEEvSM_.private_seg_size, 0
	.set _ZN7rocprim17ROCPRIM_400000_NS6detail17trampoline_kernelINS0_14default_configENS1_38merge_sort_block_merge_config_selectorIN6thrust23THRUST_200600_302600_NS4pairIiiEENS0_10empty_typeEEEZZNS1_27merge_sort_block_merge_implIS3_NS6_6detail15normal_iteratorINS6_10device_ptrIS8_EEEEPS9_mNS6_4lessIS8_EEEE10hipError_tT0_T1_T2_jT3_P12ihipStream_tbPNSt15iterator_traitsISL_E10value_typeEPNSR_ISM_E10value_typeEPSN_NS1_7vsmem_tEENKUlT_SL_SM_SN_E_clIPS8_SG_SH_SH_EESK_S10_SL_SM_SN_EUlS10_E1_NS1_11comp_targetILNS1_3genE3ELNS1_11target_archE908ELNS1_3gpuE7ELNS1_3repE0EEENS1_36merge_oddeven_config_static_selectorELNS0_4arch9wavefront6targetE1EEEvSM_.uses_vcc, 0
	.set _ZN7rocprim17ROCPRIM_400000_NS6detail17trampoline_kernelINS0_14default_configENS1_38merge_sort_block_merge_config_selectorIN6thrust23THRUST_200600_302600_NS4pairIiiEENS0_10empty_typeEEEZZNS1_27merge_sort_block_merge_implIS3_NS6_6detail15normal_iteratorINS6_10device_ptrIS8_EEEEPS9_mNS6_4lessIS8_EEEE10hipError_tT0_T1_T2_jT3_P12ihipStream_tbPNSt15iterator_traitsISL_E10value_typeEPNSR_ISM_E10value_typeEPSN_NS1_7vsmem_tEENKUlT_SL_SM_SN_E_clIPS8_SG_SH_SH_EESK_S10_SL_SM_SN_EUlS10_E1_NS1_11comp_targetILNS1_3genE3ELNS1_11target_archE908ELNS1_3gpuE7ELNS1_3repE0EEENS1_36merge_oddeven_config_static_selectorELNS0_4arch9wavefront6targetE1EEEvSM_.uses_flat_scratch, 0
	.set _ZN7rocprim17ROCPRIM_400000_NS6detail17trampoline_kernelINS0_14default_configENS1_38merge_sort_block_merge_config_selectorIN6thrust23THRUST_200600_302600_NS4pairIiiEENS0_10empty_typeEEEZZNS1_27merge_sort_block_merge_implIS3_NS6_6detail15normal_iteratorINS6_10device_ptrIS8_EEEEPS9_mNS6_4lessIS8_EEEE10hipError_tT0_T1_T2_jT3_P12ihipStream_tbPNSt15iterator_traitsISL_E10value_typeEPNSR_ISM_E10value_typeEPSN_NS1_7vsmem_tEENKUlT_SL_SM_SN_E_clIPS8_SG_SH_SH_EESK_S10_SL_SM_SN_EUlS10_E1_NS1_11comp_targetILNS1_3genE3ELNS1_11target_archE908ELNS1_3gpuE7ELNS1_3repE0EEENS1_36merge_oddeven_config_static_selectorELNS0_4arch9wavefront6targetE1EEEvSM_.has_dyn_sized_stack, 0
	.set _ZN7rocprim17ROCPRIM_400000_NS6detail17trampoline_kernelINS0_14default_configENS1_38merge_sort_block_merge_config_selectorIN6thrust23THRUST_200600_302600_NS4pairIiiEENS0_10empty_typeEEEZZNS1_27merge_sort_block_merge_implIS3_NS6_6detail15normal_iteratorINS6_10device_ptrIS8_EEEEPS9_mNS6_4lessIS8_EEEE10hipError_tT0_T1_T2_jT3_P12ihipStream_tbPNSt15iterator_traitsISL_E10value_typeEPNSR_ISM_E10value_typeEPSN_NS1_7vsmem_tEENKUlT_SL_SM_SN_E_clIPS8_SG_SH_SH_EESK_S10_SL_SM_SN_EUlS10_E1_NS1_11comp_targetILNS1_3genE3ELNS1_11target_archE908ELNS1_3gpuE7ELNS1_3repE0EEENS1_36merge_oddeven_config_static_selectorELNS0_4arch9wavefront6targetE1EEEvSM_.has_recursion, 0
	.set _ZN7rocprim17ROCPRIM_400000_NS6detail17trampoline_kernelINS0_14default_configENS1_38merge_sort_block_merge_config_selectorIN6thrust23THRUST_200600_302600_NS4pairIiiEENS0_10empty_typeEEEZZNS1_27merge_sort_block_merge_implIS3_NS6_6detail15normal_iteratorINS6_10device_ptrIS8_EEEEPS9_mNS6_4lessIS8_EEEE10hipError_tT0_T1_T2_jT3_P12ihipStream_tbPNSt15iterator_traitsISL_E10value_typeEPNSR_ISM_E10value_typeEPSN_NS1_7vsmem_tEENKUlT_SL_SM_SN_E_clIPS8_SG_SH_SH_EESK_S10_SL_SM_SN_EUlS10_E1_NS1_11comp_targetILNS1_3genE3ELNS1_11target_archE908ELNS1_3gpuE7ELNS1_3repE0EEENS1_36merge_oddeven_config_static_selectorELNS0_4arch9wavefront6targetE1EEEvSM_.has_indirect_call, 0
	.section	.AMDGPU.csdata,"",@progbits
; Kernel info:
; codeLenInByte = 0
; TotalNumSgprs: 6
; NumVgprs: 0
; NumAgprs: 0
; TotalNumVgprs: 0
; ScratchSize: 0
; MemoryBound: 0
; FloatMode: 240
; IeeeMode: 1
; LDSByteSize: 0 bytes/workgroup (compile time only)
; SGPRBlocks: 0
; VGPRBlocks: 0
; NumSGPRsForWavesPerEU: 6
; NumVGPRsForWavesPerEU: 1
; AccumOffset: 4
; Occupancy: 8
; WaveLimiterHint : 0
; COMPUTE_PGM_RSRC2:SCRATCH_EN: 0
; COMPUTE_PGM_RSRC2:USER_SGPR: 2
; COMPUTE_PGM_RSRC2:TRAP_HANDLER: 0
; COMPUTE_PGM_RSRC2:TGID_X_EN: 1
; COMPUTE_PGM_RSRC2:TGID_Y_EN: 0
; COMPUTE_PGM_RSRC2:TGID_Z_EN: 0
; COMPUTE_PGM_RSRC2:TIDIG_COMP_CNT: 0
; COMPUTE_PGM_RSRC3_GFX90A:ACCUM_OFFSET: 0
; COMPUTE_PGM_RSRC3_GFX90A:TG_SPLIT: 0
	.section	.text._ZN7rocprim17ROCPRIM_400000_NS6detail17trampoline_kernelINS0_14default_configENS1_38merge_sort_block_merge_config_selectorIN6thrust23THRUST_200600_302600_NS4pairIiiEENS0_10empty_typeEEEZZNS1_27merge_sort_block_merge_implIS3_NS6_6detail15normal_iteratorINS6_10device_ptrIS8_EEEEPS9_mNS6_4lessIS8_EEEE10hipError_tT0_T1_T2_jT3_P12ihipStream_tbPNSt15iterator_traitsISL_E10value_typeEPNSR_ISM_E10value_typeEPSN_NS1_7vsmem_tEENKUlT_SL_SM_SN_E_clIPS8_SG_SH_SH_EESK_S10_SL_SM_SN_EUlS10_E1_NS1_11comp_targetILNS1_3genE2ELNS1_11target_archE906ELNS1_3gpuE6ELNS1_3repE0EEENS1_36merge_oddeven_config_static_selectorELNS0_4arch9wavefront6targetE1EEEvSM_,"axG",@progbits,_ZN7rocprim17ROCPRIM_400000_NS6detail17trampoline_kernelINS0_14default_configENS1_38merge_sort_block_merge_config_selectorIN6thrust23THRUST_200600_302600_NS4pairIiiEENS0_10empty_typeEEEZZNS1_27merge_sort_block_merge_implIS3_NS6_6detail15normal_iteratorINS6_10device_ptrIS8_EEEEPS9_mNS6_4lessIS8_EEEE10hipError_tT0_T1_T2_jT3_P12ihipStream_tbPNSt15iterator_traitsISL_E10value_typeEPNSR_ISM_E10value_typeEPSN_NS1_7vsmem_tEENKUlT_SL_SM_SN_E_clIPS8_SG_SH_SH_EESK_S10_SL_SM_SN_EUlS10_E1_NS1_11comp_targetILNS1_3genE2ELNS1_11target_archE906ELNS1_3gpuE6ELNS1_3repE0EEENS1_36merge_oddeven_config_static_selectorELNS0_4arch9wavefront6targetE1EEEvSM_,comdat
	.protected	_ZN7rocprim17ROCPRIM_400000_NS6detail17trampoline_kernelINS0_14default_configENS1_38merge_sort_block_merge_config_selectorIN6thrust23THRUST_200600_302600_NS4pairIiiEENS0_10empty_typeEEEZZNS1_27merge_sort_block_merge_implIS3_NS6_6detail15normal_iteratorINS6_10device_ptrIS8_EEEEPS9_mNS6_4lessIS8_EEEE10hipError_tT0_T1_T2_jT3_P12ihipStream_tbPNSt15iterator_traitsISL_E10value_typeEPNSR_ISM_E10value_typeEPSN_NS1_7vsmem_tEENKUlT_SL_SM_SN_E_clIPS8_SG_SH_SH_EESK_S10_SL_SM_SN_EUlS10_E1_NS1_11comp_targetILNS1_3genE2ELNS1_11target_archE906ELNS1_3gpuE6ELNS1_3repE0EEENS1_36merge_oddeven_config_static_selectorELNS0_4arch9wavefront6targetE1EEEvSM_ ; -- Begin function _ZN7rocprim17ROCPRIM_400000_NS6detail17trampoline_kernelINS0_14default_configENS1_38merge_sort_block_merge_config_selectorIN6thrust23THRUST_200600_302600_NS4pairIiiEENS0_10empty_typeEEEZZNS1_27merge_sort_block_merge_implIS3_NS6_6detail15normal_iteratorINS6_10device_ptrIS8_EEEEPS9_mNS6_4lessIS8_EEEE10hipError_tT0_T1_T2_jT3_P12ihipStream_tbPNSt15iterator_traitsISL_E10value_typeEPNSR_ISM_E10value_typeEPSN_NS1_7vsmem_tEENKUlT_SL_SM_SN_E_clIPS8_SG_SH_SH_EESK_S10_SL_SM_SN_EUlS10_E1_NS1_11comp_targetILNS1_3genE2ELNS1_11target_archE906ELNS1_3gpuE6ELNS1_3repE0EEENS1_36merge_oddeven_config_static_selectorELNS0_4arch9wavefront6targetE1EEEvSM_
	.globl	_ZN7rocprim17ROCPRIM_400000_NS6detail17trampoline_kernelINS0_14default_configENS1_38merge_sort_block_merge_config_selectorIN6thrust23THRUST_200600_302600_NS4pairIiiEENS0_10empty_typeEEEZZNS1_27merge_sort_block_merge_implIS3_NS6_6detail15normal_iteratorINS6_10device_ptrIS8_EEEEPS9_mNS6_4lessIS8_EEEE10hipError_tT0_T1_T2_jT3_P12ihipStream_tbPNSt15iterator_traitsISL_E10value_typeEPNSR_ISM_E10value_typeEPSN_NS1_7vsmem_tEENKUlT_SL_SM_SN_E_clIPS8_SG_SH_SH_EESK_S10_SL_SM_SN_EUlS10_E1_NS1_11comp_targetILNS1_3genE2ELNS1_11target_archE906ELNS1_3gpuE6ELNS1_3repE0EEENS1_36merge_oddeven_config_static_selectorELNS0_4arch9wavefront6targetE1EEEvSM_
	.p2align	8
	.type	_ZN7rocprim17ROCPRIM_400000_NS6detail17trampoline_kernelINS0_14default_configENS1_38merge_sort_block_merge_config_selectorIN6thrust23THRUST_200600_302600_NS4pairIiiEENS0_10empty_typeEEEZZNS1_27merge_sort_block_merge_implIS3_NS6_6detail15normal_iteratorINS6_10device_ptrIS8_EEEEPS9_mNS6_4lessIS8_EEEE10hipError_tT0_T1_T2_jT3_P12ihipStream_tbPNSt15iterator_traitsISL_E10value_typeEPNSR_ISM_E10value_typeEPSN_NS1_7vsmem_tEENKUlT_SL_SM_SN_E_clIPS8_SG_SH_SH_EESK_S10_SL_SM_SN_EUlS10_E1_NS1_11comp_targetILNS1_3genE2ELNS1_11target_archE906ELNS1_3gpuE6ELNS1_3repE0EEENS1_36merge_oddeven_config_static_selectorELNS0_4arch9wavefront6targetE1EEEvSM_,@function
_ZN7rocprim17ROCPRIM_400000_NS6detail17trampoline_kernelINS0_14default_configENS1_38merge_sort_block_merge_config_selectorIN6thrust23THRUST_200600_302600_NS4pairIiiEENS0_10empty_typeEEEZZNS1_27merge_sort_block_merge_implIS3_NS6_6detail15normal_iteratorINS6_10device_ptrIS8_EEEEPS9_mNS6_4lessIS8_EEEE10hipError_tT0_T1_T2_jT3_P12ihipStream_tbPNSt15iterator_traitsISL_E10value_typeEPNSR_ISM_E10value_typeEPSN_NS1_7vsmem_tEENKUlT_SL_SM_SN_E_clIPS8_SG_SH_SH_EESK_S10_SL_SM_SN_EUlS10_E1_NS1_11comp_targetILNS1_3genE2ELNS1_11target_archE906ELNS1_3gpuE6ELNS1_3repE0EEENS1_36merge_oddeven_config_static_selectorELNS0_4arch9wavefront6targetE1EEEvSM_: ; @_ZN7rocprim17ROCPRIM_400000_NS6detail17trampoline_kernelINS0_14default_configENS1_38merge_sort_block_merge_config_selectorIN6thrust23THRUST_200600_302600_NS4pairIiiEENS0_10empty_typeEEEZZNS1_27merge_sort_block_merge_implIS3_NS6_6detail15normal_iteratorINS6_10device_ptrIS8_EEEEPS9_mNS6_4lessIS8_EEEE10hipError_tT0_T1_T2_jT3_P12ihipStream_tbPNSt15iterator_traitsISL_E10value_typeEPNSR_ISM_E10value_typeEPSN_NS1_7vsmem_tEENKUlT_SL_SM_SN_E_clIPS8_SG_SH_SH_EESK_S10_SL_SM_SN_EUlS10_E1_NS1_11comp_targetILNS1_3genE2ELNS1_11target_archE906ELNS1_3gpuE6ELNS1_3repE0EEENS1_36merge_oddeven_config_static_selectorELNS0_4arch9wavefront6targetE1EEEvSM_
; %bb.0:
	.section	.rodata,"a",@progbits
	.p2align	6, 0x0
	.amdhsa_kernel _ZN7rocprim17ROCPRIM_400000_NS6detail17trampoline_kernelINS0_14default_configENS1_38merge_sort_block_merge_config_selectorIN6thrust23THRUST_200600_302600_NS4pairIiiEENS0_10empty_typeEEEZZNS1_27merge_sort_block_merge_implIS3_NS6_6detail15normal_iteratorINS6_10device_ptrIS8_EEEEPS9_mNS6_4lessIS8_EEEE10hipError_tT0_T1_T2_jT3_P12ihipStream_tbPNSt15iterator_traitsISL_E10value_typeEPNSR_ISM_E10value_typeEPSN_NS1_7vsmem_tEENKUlT_SL_SM_SN_E_clIPS8_SG_SH_SH_EESK_S10_SL_SM_SN_EUlS10_E1_NS1_11comp_targetILNS1_3genE2ELNS1_11target_archE906ELNS1_3gpuE6ELNS1_3repE0EEENS1_36merge_oddeven_config_static_selectorELNS0_4arch9wavefront6targetE1EEEvSM_
		.amdhsa_group_segment_fixed_size 0
		.amdhsa_private_segment_fixed_size 0
		.amdhsa_kernarg_size 56
		.amdhsa_user_sgpr_count 2
		.amdhsa_user_sgpr_dispatch_ptr 0
		.amdhsa_user_sgpr_queue_ptr 0
		.amdhsa_user_sgpr_kernarg_segment_ptr 1
		.amdhsa_user_sgpr_dispatch_id 0
		.amdhsa_user_sgpr_kernarg_preload_length 0
		.amdhsa_user_sgpr_kernarg_preload_offset 0
		.amdhsa_user_sgpr_private_segment_size 0
		.amdhsa_uses_dynamic_stack 0
		.amdhsa_enable_private_segment 0
		.amdhsa_system_sgpr_workgroup_id_x 1
		.amdhsa_system_sgpr_workgroup_id_y 0
		.amdhsa_system_sgpr_workgroup_id_z 0
		.amdhsa_system_sgpr_workgroup_info 0
		.amdhsa_system_vgpr_workitem_id 0
		.amdhsa_next_free_vgpr 1
		.amdhsa_next_free_sgpr 0
		.amdhsa_accum_offset 4
		.amdhsa_reserve_vcc 0
		.amdhsa_float_round_mode_32 0
		.amdhsa_float_round_mode_16_64 0
		.amdhsa_float_denorm_mode_32 3
		.amdhsa_float_denorm_mode_16_64 3
		.amdhsa_dx10_clamp 1
		.amdhsa_ieee_mode 1
		.amdhsa_fp16_overflow 0
		.amdhsa_tg_split 0
		.amdhsa_exception_fp_ieee_invalid_op 0
		.amdhsa_exception_fp_denorm_src 0
		.amdhsa_exception_fp_ieee_div_zero 0
		.amdhsa_exception_fp_ieee_overflow 0
		.amdhsa_exception_fp_ieee_underflow 0
		.amdhsa_exception_fp_ieee_inexact 0
		.amdhsa_exception_int_div_zero 0
	.end_amdhsa_kernel
	.section	.text._ZN7rocprim17ROCPRIM_400000_NS6detail17trampoline_kernelINS0_14default_configENS1_38merge_sort_block_merge_config_selectorIN6thrust23THRUST_200600_302600_NS4pairIiiEENS0_10empty_typeEEEZZNS1_27merge_sort_block_merge_implIS3_NS6_6detail15normal_iteratorINS6_10device_ptrIS8_EEEEPS9_mNS6_4lessIS8_EEEE10hipError_tT0_T1_T2_jT3_P12ihipStream_tbPNSt15iterator_traitsISL_E10value_typeEPNSR_ISM_E10value_typeEPSN_NS1_7vsmem_tEENKUlT_SL_SM_SN_E_clIPS8_SG_SH_SH_EESK_S10_SL_SM_SN_EUlS10_E1_NS1_11comp_targetILNS1_3genE2ELNS1_11target_archE906ELNS1_3gpuE6ELNS1_3repE0EEENS1_36merge_oddeven_config_static_selectorELNS0_4arch9wavefront6targetE1EEEvSM_,"axG",@progbits,_ZN7rocprim17ROCPRIM_400000_NS6detail17trampoline_kernelINS0_14default_configENS1_38merge_sort_block_merge_config_selectorIN6thrust23THRUST_200600_302600_NS4pairIiiEENS0_10empty_typeEEEZZNS1_27merge_sort_block_merge_implIS3_NS6_6detail15normal_iteratorINS6_10device_ptrIS8_EEEEPS9_mNS6_4lessIS8_EEEE10hipError_tT0_T1_T2_jT3_P12ihipStream_tbPNSt15iterator_traitsISL_E10value_typeEPNSR_ISM_E10value_typeEPSN_NS1_7vsmem_tEENKUlT_SL_SM_SN_E_clIPS8_SG_SH_SH_EESK_S10_SL_SM_SN_EUlS10_E1_NS1_11comp_targetILNS1_3genE2ELNS1_11target_archE906ELNS1_3gpuE6ELNS1_3repE0EEENS1_36merge_oddeven_config_static_selectorELNS0_4arch9wavefront6targetE1EEEvSM_,comdat
.Lfunc_end654:
	.size	_ZN7rocprim17ROCPRIM_400000_NS6detail17trampoline_kernelINS0_14default_configENS1_38merge_sort_block_merge_config_selectorIN6thrust23THRUST_200600_302600_NS4pairIiiEENS0_10empty_typeEEEZZNS1_27merge_sort_block_merge_implIS3_NS6_6detail15normal_iteratorINS6_10device_ptrIS8_EEEEPS9_mNS6_4lessIS8_EEEE10hipError_tT0_T1_T2_jT3_P12ihipStream_tbPNSt15iterator_traitsISL_E10value_typeEPNSR_ISM_E10value_typeEPSN_NS1_7vsmem_tEENKUlT_SL_SM_SN_E_clIPS8_SG_SH_SH_EESK_S10_SL_SM_SN_EUlS10_E1_NS1_11comp_targetILNS1_3genE2ELNS1_11target_archE906ELNS1_3gpuE6ELNS1_3repE0EEENS1_36merge_oddeven_config_static_selectorELNS0_4arch9wavefront6targetE1EEEvSM_, .Lfunc_end654-_ZN7rocprim17ROCPRIM_400000_NS6detail17trampoline_kernelINS0_14default_configENS1_38merge_sort_block_merge_config_selectorIN6thrust23THRUST_200600_302600_NS4pairIiiEENS0_10empty_typeEEEZZNS1_27merge_sort_block_merge_implIS3_NS6_6detail15normal_iteratorINS6_10device_ptrIS8_EEEEPS9_mNS6_4lessIS8_EEEE10hipError_tT0_T1_T2_jT3_P12ihipStream_tbPNSt15iterator_traitsISL_E10value_typeEPNSR_ISM_E10value_typeEPSN_NS1_7vsmem_tEENKUlT_SL_SM_SN_E_clIPS8_SG_SH_SH_EESK_S10_SL_SM_SN_EUlS10_E1_NS1_11comp_targetILNS1_3genE2ELNS1_11target_archE906ELNS1_3gpuE6ELNS1_3repE0EEENS1_36merge_oddeven_config_static_selectorELNS0_4arch9wavefront6targetE1EEEvSM_
                                        ; -- End function
	.set _ZN7rocprim17ROCPRIM_400000_NS6detail17trampoline_kernelINS0_14default_configENS1_38merge_sort_block_merge_config_selectorIN6thrust23THRUST_200600_302600_NS4pairIiiEENS0_10empty_typeEEEZZNS1_27merge_sort_block_merge_implIS3_NS6_6detail15normal_iteratorINS6_10device_ptrIS8_EEEEPS9_mNS6_4lessIS8_EEEE10hipError_tT0_T1_T2_jT3_P12ihipStream_tbPNSt15iterator_traitsISL_E10value_typeEPNSR_ISM_E10value_typeEPSN_NS1_7vsmem_tEENKUlT_SL_SM_SN_E_clIPS8_SG_SH_SH_EESK_S10_SL_SM_SN_EUlS10_E1_NS1_11comp_targetILNS1_3genE2ELNS1_11target_archE906ELNS1_3gpuE6ELNS1_3repE0EEENS1_36merge_oddeven_config_static_selectorELNS0_4arch9wavefront6targetE1EEEvSM_.num_vgpr, 0
	.set _ZN7rocprim17ROCPRIM_400000_NS6detail17trampoline_kernelINS0_14default_configENS1_38merge_sort_block_merge_config_selectorIN6thrust23THRUST_200600_302600_NS4pairIiiEENS0_10empty_typeEEEZZNS1_27merge_sort_block_merge_implIS3_NS6_6detail15normal_iteratorINS6_10device_ptrIS8_EEEEPS9_mNS6_4lessIS8_EEEE10hipError_tT0_T1_T2_jT3_P12ihipStream_tbPNSt15iterator_traitsISL_E10value_typeEPNSR_ISM_E10value_typeEPSN_NS1_7vsmem_tEENKUlT_SL_SM_SN_E_clIPS8_SG_SH_SH_EESK_S10_SL_SM_SN_EUlS10_E1_NS1_11comp_targetILNS1_3genE2ELNS1_11target_archE906ELNS1_3gpuE6ELNS1_3repE0EEENS1_36merge_oddeven_config_static_selectorELNS0_4arch9wavefront6targetE1EEEvSM_.num_agpr, 0
	.set _ZN7rocprim17ROCPRIM_400000_NS6detail17trampoline_kernelINS0_14default_configENS1_38merge_sort_block_merge_config_selectorIN6thrust23THRUST_200600_302600_NS4pairIiiEENS0_10empty_typeEEEZZNS1_27merge_sort_block_merge_implIS3_NS6_6detail15normal_iteratorINS6_10device_ptrIS8_EEEEPS9_mNS6_4lessIS8_EEEE10hipError_tT0_T1_T2_jT3_P12ihipStream_tbPNSt15iterator_traitsISL_E10value_typeEPNSR_ISM_E10value_typeEPSN_NS1_7vsmem_tEENKUlT_SL_SM_SN_E_clIPS8_SG_SH_SH_EESK_S10_SL_SM_SN_EUlS10_E1_NS1_11comp_targetILNS1_3genE2ELNS1_11target_archE906ELNS1_3gpuE6ELNS1_3repE0EEENS1_36merge_oddeven_config_static_selectorELNS0_4arch9wavefront6targetE1EEEvSM_.numbered_sgpr, 0
	.set _ZN7rocprim17ROCPRIM_400000_NS6detail17trampoline_kernelINS0_14default_configENS1_38merge_sort_block_merge_config_selectorIN6thrust23THRUST_200600_302600_NS4pairIiiEENS0_10empty_typeEEEZZNS1_27merge_sort_block_merge_implIS3_NS6_6detail15normal_iteratorINS6_10device_ptrIS8_EEEEPS9_mNS6_4lessIS8_EEEE10hipError_tT0_T1_T2_jT3_P12ihipStream_tbPNSt15iterator_traitsISL_E10value_typeEPNSR_ISM_E10value_typeEPSN_NS1_7vsmem_tEENKUlT_SL_SM_SN_E_clIPS8_SG_SH_SH_EESK_S10_SL_SM_SN_EUlS10_E1_NS1_11comp_targetILNS1_3genE2ELNS1_11target_archE906ELNS1_3gpuE6ELNS1_3repE0EEENS1_36merge_oddeven_config_static_selectorELNS0_4arch9wavefront6targetE1EEEvSM_.num_named_barrier, 0
	.set _ZN7rocprim17ROCPRIM_400000_NS6detail17trampoline_kernelINS0_14default_configENS1_38merge_sort_block_merge_config_selectorIN6thrust23THRUST_200600_302600_NS4pairIiiEENS0_10empty_typeEEEZZNS1_27merge_sort_block_merge_implIS3_NS6_6detail15normal_iteratorINS6_10device_ptrIS8_EEEEPS9_mNS6_4lessIS8_EEEE10hipError_tT0_T1_T2_jT3_P12ihipStream_tbPNSt15iterator_traitsISL_E10value_typeEPNSR_ISM_E10value_typeEPSN_NS1_7vsmem_tEENKUlT_SL_SM_SN_E_clIPS8_SG_SH_SH_EESK_S10_SL_SM_SN_EUlS10_E1_NS1_11comp_targetILNS1_3genE2ELNS1_11target_archE906ELNS1_3gpuE6ELNS1_3repE0EEENS1_36merge_oddeven_config_static_selectorELNS0_4arch9wavefront6targetE1EEEvSM_.private_seg_size, 0
	.set _ZN7rocprim17ROCPRIM_400000_NS6detail17trampoline_kernelINS0_14default_configENS1_38merge_sort_block_merge_config_selectorIN6thrust23THRUST_200600_302600_NS4pairIiiEENS0_10empty_typeEEEZZNS1_27merge_sort_block_merge_implIS3_NS6_6detail15normal_iteratorINS6_10device_ptrIS8_EEEEPS9_mNS6_4lessIS8_EEEE10hipError_tT0_T1_T2_jT3_P12ihipStream_tbPNSt15iterator_traitsISL_E10value_typeEPNSR_ISM_E10value_typeEPSN_NS1_7vsmem_tEENKUlT_SL_SM_SN_E_clIPS8_SG_SH_SH_EESK_S10_SL_SM_SN_EUlS10_E1_NS1_11comp_targetILNS1_3genE2ELNS1_11target_archE906ELNS1_3gpuE6ELNS1_3repE0EEENS1_36merge_oddeven_config_static_selectorELNS0_4arch9wavefront6targetE1EEEvSM_.uses_vcc, 0
	.set _ZN7rocprim17ROCPRIM_400000_NS6detail17trampoline_kernelINS0_14default_configENS1_38merge_sort_block_merge_config_selectorIN6thrust23THRUST_200600_302600_NS4pairIiiEENS0_10empty_typeEEEZZNS1_27merge_sort_block_merge_implIS3_NS6_6detail15normal_iteratorINS6_10device_ptrIS8_EEEEPS9_mNS6_4lessIS8_EEEE10hipError_tT0_T1_T2_jT3_P12ihipStream_tbPNSt15iterator_traitsISL_E10value_typeEPNSR_ISM_E10value_typeEPSN_NS1_7vsmem_tEENKUlT_SL_SM_SN_E_clIPS8_SG_SH_SH_EESK_S10_SL_SM_SN_EUlS10_E1_NS1_11comp_targetILNS1_3genE2ELNS1_11target_archE906ELNS1_3gpuE6ELNS1_3repE0EEENS1_36merge_oddeven_config_static_selectorELNS0_4arch9wavefront6targetE1EEEvSM_.uses_flat_scratch, 0
	.set _ZN7rocprim17ROCPRIM_400000_NS6detail17trampoline_kernelINS0_14default_configENS1_38merge_sort_block_merge_config_selectorIN6thrust23THRUST_200600_302600_NS4pairIiiEENS0_10empty_typeEEEZZNS1_27merge_sort_block_merge_implIS3_NS6_6detail15normal_iteratorINS6_10device_ptrIS8_EEEEPS9_mNS6_4lessIS8_EEEE10hipError_tT0_T1_T2_jT3_P12ihipStream_tbPNSt15iterator_traitsISL_E10value_typeEPNSR_ISM_E10value_typeEPSN_NS1_7vsmem_tEENKUlT_SL_SM_SN_E_clIPS8_SG_SH_SH_EESK_S10_SL_SM_SN_EUlS10_E1_NS1_11comp_targetILNS1_3genE2ELNS1_11target_archE906ELNS1_3gpuE6ELNS1_3repE0EEENS1_36merge_oddeven_config_static_selectorELNS0_4arch9wavefront6targetE1EEEvSM_.has_dyn_sized_stack, 0
	.set _ZN7rocprim17ROCPRIM_400000_NS6detail17trampoline_kernelINS0_14default_configENS1_38merge_sort_block_merge_config_selectorIN6thrust23THRUST_200600_302600_NS4pairIiiEENS0_10empty_typeEEEZZNS1_27merge_sort_block_merge_implIS3_NS6_6detail15normal_iteratorINS6_10device_ptrIS8_EEEEPS9_mNS6_4lessIS8_EEEE10hipError_tT0_T1_T2_jT3_P12ihipStream_tbPNSt15iterator_traitsISL_E10value_typeEPNSR_ISM_E10value_typeEPSN_NS1_7vsmem_tEENKUlT_SL_SM_SN_E_clIPS8_SG_SH_SH_EESK_S10_SL_SM_SN_EUlS10_E1_NS1_11comp_targetILNS1_3genE2ELNS1_11target_archE906ELNS1_3gpuE6ELNS1_3repE0EEENS1_36merge_oddeven_config_static_selectorELNS0_4arch9wavefront6targetE1EEEvSM_.has_recursion, 0
	.set _ZN7rocprim17ROCPRIM_400000_NS6detail17trampoline_kernelINS0_14default_configENS1_38merge_sort_block_merge_config_selectorIN6thrust23THRUST_200600_302600_NS4pairIiiEENS0_10empty_typeEEEZZNS1_27merge_sort_block_merge_implIS3_NS6_6detail15normal_iteratorINS6_10device_ptrIS8_EEEEPS9_mNS6_4lessIS8_EEEE10hipError_tT0_T1_T2_jT3_P12ihipStream_tbPNSt15iterator_traitsISL_E10value_typeEPNSR_ISM_E10value_typeEPSN_NS1_7vsmem_tEENKUlT_SL_SM_SN_E_clIPS8_SG_SH_SH_EESK_S10_SL_SM_SN_EUlS10_E1_NS1_11comp_targetILNS1_3genE2ELNS1_11target_archE906ELNS1_3gpuE6ELNS1_3repE0EEENS1_36merge_oddeven_config_static_selectorELNS0_4arch9wavefront6targetE1EEEvSM_.has_indirect_call, 0
	.section	.AMDGPU.csdata,"",@progbits
; Kernel info:
; codeLenInByte = 0
; TotalNumSgprs: 6
; NumVgprs: 0
; NumAgprs: 0
; TotalNumVgprs: 0
; ScratchSize: 0
; MemoryBound: 0
; FloatMode: 240
; IeeeMode: 1
; LDSByteSize: 0 bytes/workgroup (compile time only)
; SGPRBlocks: 0
; VGPRBlocks: 0
; NumSGPRsForWavesPerEU: 6
; NumVGPRsForWavesPerEU: 1
; AccumOffset: 4
; Occupancy: 8
; WaveLimiterHint : 0
; COMPUTE_PGM_RSRC2:SCRATCH_EN: 0
; COMPUTE_PGM_RSRC2:USER_SGPR: 2
; COMPUTE_PGM_RSRC2:TRAP_HANDLER: 0
; COMPUTE_PGM_RSRC2:TGID_X_EN: 1
; COMPUTE_PGM_RSRC2:TGID_Y_EN: 0
; COMPUTE_PGM_RSRC2:TGID_Z_EN: 0
; COMPUTE_PGM_RSRC2:TIDIG_COMP_CNT: 0
; COMPUTE_PGM_RSRC3_GFX90A:ACCUM_OFFSET: 0
; COMPUTE_PGM_RSRC3_GFX90A:TG_SPLIT: 0
	.section	.text._ZN7rocprim17ROCPRIM_400000_NS6detail17trampoline_kernelINS0_14default_configENS1_38merge_sort_block_merge_config_selectorIN6thrust23THRUST_200600_302600_NS4pairIiiEENS0_10empty_typeEEEZZNS1_27merge_sort_block_merge_implIS3_NS6_6detail15normal_iteratorINS6_10device_ptrIS8_EEEEPS9_mNS6_4lessIS8_EEEE10hipError_tT0_T1_T2_jT3_P12ihipStream_tbPNSt15iterator_traitsISL_E10value_typeEPNSR_ISM_E10value_typeEPSN_NS1_7vsmem_tEENKUlT_SL_SM_SN_E_clIPS8_SG_SH_SH_EESK_S10_SL_SM_SN_EUlS10_E1_NS1_11comp_targetILNS1_3genE9ELNS1_11target_archE1100ELNS1_3gpuE3ELNS1_3repE0EEENS1_36merge_oddeven_config_static_selectorELNS0_4arch9wavefront6targetE1EEEvSM_,"axG",@progbits,_ZN7rocprim17ROCPRIM_400000_NS6detail17trampoline_kernelINS0_14default_configENS1_38merge_sort_block_merge_config_selectorIN6thrust23THRUST_200600_302600_NS4pairIiiEENS0_10empty_typeEEEZZNS1_27merge_sort_block_merge_implIS3_NS6_6detail15normal_iteratorINS6_10device_ptrIS8_EEEEPS9_mNS6_4lessIS8_EEEE10hipError_tT0_T1_T2_jT3_P12ihipStream_tbPNSt15iterator_traitsISL_E10value_typeEPNSR_ISM_E10value_typeEPSN_NS1_7vsmem_tEENKUlT_SL_SM_SN_E_clIPS8_SG_SH_SH_EESK_S10_SL_SM_SN_EUlS10_E1_NS1_11comp_targetILNS1_3genE9ELNS1_11target_archE1100ELNS1_3gpuE3ELNS1_3repE0EEENS1_36merge_oddeven_config_static_selectorELNS0_4arch9wavefront6targetE1EEEvSM_,comdat
	.protected	_ZN7rocprim17ROCPRIM_400000_NS6detail17trampoline_kernelINS0_14default_configENS1_38merge_sort_block_merge_config_selectorIN6thrust23THRUST_200600_302600_NS4pairIiiEENS0_10empty_typeEEEZZNS1_27merge_sort_block_merge_implIS3_NS6_6detail15normal_iteratorINS6_10device_ptrIS8_EEEEPS9_mNS6_4lessIS8_EEEE10hipError_tT0_T1_T2_jT3_P12ihipStream_tbPNSt15iterator_traitsISL_E10value_typeEPNSR_ISM_E10value_typeEPSN_NS1_7vsmem_tEENKUlT_SL_SM_SN_E_clIPS8_SG_SH_SH_EESK_S10_SL_SM_SN_EUlS10_E1_NS1_11comp_targetILNS1_3genE9ELNS1_11target_archE1100ELNS1_3gpuE3ELNS1_3repE0EEENS1_36merge_oddeven_config_static_selectorELNS0_4arch9wavefront6targetE1EEEvSM_ ; -- Begin function _ZN7rocprim17ROCPRIM_400000_NS6detail17trampoline_kernelINS0_14default_configENS1_38merge_sort_block_merge_config_selectorIN6thrust23THRUST_200600_302600_NS4pairIiiEENS0_10empty_typeEEEZZNS1_27merge_sort_block_merge_implIS3_NS6_6detail15normal_iteratorINS6_10device_ptrIS8_EEEEPS9_mNS6_4lessIS8_EEEE10hipError_tT0_T1_T2_jT3_P12ihipStream_tbPNSt15iterator_traitsISL_E10value_typeEPNSR_ISM_E10value_typeEPSN_NS1_7vsmem_tEENKUlT_SL_SM_SN_E_clIPS8_SG_SH_SH_EESK_S10_SL_SM_SN_EUlS10_E1_NS1_11comp_targetILNS1_3genE9ELNS1_11target_archE1100ELNS1_3gpuE3ELNS1_3repE0EEENS1_36merge_oddeven_config_static_selectorELNS0_4arch9wavefront6targetE1EEEvSM_
	.globl	_ZN7rocprim17ROCPRIM_400000_NS6detail17trampoline_kernelINS0_14default_configENS1_38merge_sort_block_merge_config_selectorIN6thrust23THRUST_200600_302600_NS4pairIiiEENS0_10empty_typeEEEZZNS1_27merge_sort_block_merge_implIS3_NS6_6detail15normal_iteratorINS6_10device_ptrIS8_EEEEPS9_mNS6_4lessIS8_EEEE10hipError_tT0_T1_T2_jT3_P12ihipStream_tbPNSt15iterator_traitsISL_E10value_typeEPNSR_ISM_E10value_typeEPSN_NS1_7vsmem_tEENKUlT_SL_SM_SN_E_clIPS8_SG_SH_SH_EESK_S10_SL_SM_SN_EUlS10_E1_NS1_11comp_targetILNS1_3genE9ELNS1_11target_archE1100ELNS1_3gpuE3ELNS1_3repE0EEENS1_36merge_oddeven_config_static_selectorELNS0_4arch9wavefront6targetE1EEEvSM_
	.p2align	8
	.type	_ZN7rocprim17ROCPRIM_400000_NS6detail17trampoline_kernelINS0_14default_configENS1_38merge_sort_block_merge_config_selectorIN6thrust23THRUST_200600_302600_NS4pairIiiEENS0_10empty_typeEEEZZNS1_27merge_sort_block_merge_implIS3_NS6_6detail15normal_iteratorINS6_10device_ptrIS8_EEEEPS9_mNS6_4lessIS8_EEEE10hipError_tT0_T1_T2_jT3_P12ihipStream_tbPNSt15iterator_traitsISL_E10value_typeEPNSR_ISM_E10value_typeEPSN_NS1_7vsmem_tEENKUlT_SL_SM_SN_E_clIPS8_SG_SH_SH_EESK_S10_SL_SM_SN_EUlS10_E1_NS1_11comp_targetILNS1_3genE9ELNS1_11target_archE1100ELNS1_3gpuE3ELNS1_3repE0EEENS1_36merge_oddeven_config_static_selectorELNS0_4arch9wavefront6targetE1EEEvSM_,@function
_ZN7rocprim17ROCPRIM_400000_NS6detail17trampoline_kernelINS0_14default_configENS1_38merge_sort_block_merge_config_selectorIN6thrust23THRUST_200600_302600_NS4pairIiiEENS0_10empty_typeEEEZZNS1_27merge_sort_block_merge_implIS3_NS6_6detail15normal_iteratorINS6_10device_ptrIS8_EEEEPS9_mNS6_4lessIS8_EEEE10hipError_tT0_T1_T2_jT3_P12ihipStream_tbPNSt15iterator_traitsISL_E10value_typeEPNSR_ISM_E10value_typeEPSN_NS1_7vsmem_tEENKUlT_SL_SM_SN_E_clIPS8_SG_SH_SH_EESK_S10_SL_SM_SN_EUlS10_E1_NS1_11comp_targetILNS1_3genE9ELNS1_11target_archE1100ELNS1_3gpuE3ELNS1_3repE0EEENS1_36merge_oddeven_config_static_selectorELNS0_4arch9wavefront6targetE1EEEvSM_: ; @_ZN7rocprim17ROCPRIM_400000_NS6detail17trampoline_kernelINS0_14default_configENS1_38merge_sort_block_merge_config_selectorIN6thrust23THRUST_200600_302600_NS4pairIiiEENS0_10empty_typeEEEZZNS1_27merge_sort_block_merge_implIS3_NS6_6detail15normal_iteratorINS6_10device_ptrIS8_EEEEPS9_mNS6_4lessIS8_EEEE10hipError_tT0_T1_T2_jT3_P12ihipStream_tbPNSt15iterator_traitsISL_E10value_typeEPNSR_ISM_E10value_typeEPSN_NS1_7vsmem_tEENKUlT_SL_SM_SN_E_clIPS8_SG_SH_SH_EESK_S10_SL_SM_SN_EUlS10_E1_NS1_11comp_targetILNS1_3genE9ELNS1_11target_archE1100ELNS1_3gpuE3ELNS1_3repE0EEENS1_36merge_oddeven_config_static_selectorELNS0_4arch9wavefront6targetE1EEEvSM_
; %bb.0:
	.section	.rodata,"a",@progbits
	.p2align	6, 0x0
	.amdhsa_kernel _ZN7rocprim17ROCPRIM_400000_NS6detail17trampoline_kernelINS0_14default_configENS1_38merge_sort_block_merge_config_selectorIN6thrust23THRUST_200600_302600_NS4pairIiiEENS0_10empty_typeEEEZZNS1_27merge_sort_block_merge_implIS3_NS6_6detail15normal_iteratorINS6_10device_ptrIS8_EEEEPS9_mNS6_4lessIS8_EEEE10hipError_tT0_T1_T2_jT3_P12ihipStream_tbPNSt15iterator_traitsISL_E10value_typeEPNSR_ISM_E10value_typeEPSN_NS1_7vsmem_tEENKUlT_SL_SM_SN_E_clIPS8_SG_SH_SH_EESK_S10_SL_SM_SN_EUlS10_E1_NS1_11comp_targetILNS1_3genE9ELNS1_11target_archE1100ELNS1_3gpuE3ELNS1_3repE0EEENS1_36merge_oddeven_config_static_selectorELNS0_4arch9wavefront6targetE1EEEvSM_
		.amdhsa_group_segment_fixed_size 0
		.amdhsa_private_segment_fixed_size 0
		.amdhsa_kernarg_size 56
		.amdhsa_user_sgpr_count 2
		.amdhsa_user_sgpr_dispatch_ptr 0
		.amdhsa_user_sgpr_queue_ptr 0
		.amdhsa_user_sgpr_kernarg_segment_ptr 1
		.amdhsa_user_sgpr_dispatch_id 0
		.amdhsa_user_sgpr_kernarg_preload_length 0
		.amdhsa_user_sgpr_kernarg_preload_offset 0
		.amdhsa_user_sgpr_private_segment_size 0
		.amdhsa_uses_dynamic_stack 0
		.amdhsa_enable_private_segment 0
		.amdhsa_system_sgpr_workgroup_id_x 1
		.amdhsa_system_sgpr_workgroup_id_y 0
		.amdhsa_system_sgpr_workgroup_id_z 0
		.amdhsa_system_sgpr_workgroup_info 0
		.amdhsa_system_vgpr_workitem_id 0
		.amdhsa_next_free_vgpr 1
		.amdhsa_next_free_sgpr 0
		.amdhsa_accum_offset 4
		.amdhsa_reserve_vcc 0
		.amdhsa_float_round_mode_32 0
		.amdhsa_float_round_mode_16_64 0
		.amdhsa_float_denorm_mode_32 3
		.amdhsa_float_denorm_mode_16_64 3
		.amdhsa_dx10_clamp 1
		.amdhsa_ieee_mode 1
		.amdhsa_fp16_overflow 0
		.amdhsa_tg_split 0
		.amdhsa_exception_fp_ieee_invalid_op 0
		.amdhsa_exception_fp_denorm_src 0
		.amdhsa_exception_fp_ieee_div_zero 0
		.amdhsa_exception_fp_ieee_overflow 0
		.amdhsa_exception_fp_ieee_underflow 0
		.amdhsa_exception_fp_ieee_inexact 0
		.amdhsa_exception_int_div_zero 0
	.end_amdhsa_kernel
	.section	.text._ZN7rocprim17ROCPRIM_400000_NS6detail17trampoline_kernelINS0_14default_configENS1_38merge_sort_block_merge_config_selectorIN6thrust23THRUST_200600_302600_NS4pairIiiEENS0_10empty_typeEEEZZNS1_27merge_sort_block_merge_implIS3_NS6_6detail15normal_iteratorINS6_10device_ptrIS8_EEEEPS9_mNS6_4lessIS8_EEEE10hipError_tT0_T1_T2_jT3_P12ihipStream_tbPNSt15iterator_traitsISL_E10value_typeEPNSR_ISM_E10value_typeEPSN_NS1_7vsmem_tEENKUlT_SL_SM_SN_E_clIPS8_SG_SH_SH_EESK_S10_SL_SM_SN_EUlS10_E1_NS1_11comp_targetILNS1_3genE9ELNS1_11target_archE1100ELNS1_3gpuE3ELNS1_3repE0EEENS1_36merge_oddeven_config_static_selectorELNS0_4arch9wavefront6targetE1EEEvSM_,"axG",@progbits,_ZN7rocprim17ROCPRIM_400000_NS6detail17trampoline_kernelINS0_14default_configENS1_38merge_sort_block_merge_config_selectorIN6thrust23THRUST_200600_302600_NS4pairIiiEENS0_10empty_typeEEEZZNS1_27merge_sort_block_merge_implIS3_NS6_6detail15normal_iteratorINS6_10device_ptrIS8_EEEEPS9_mNS6_4lessIS8_EEEE10hipError_tT0_T1_T2_jT3_P12ihipStream_tbPNSt15iterator_traitsISL_E10value_typeEPNSR_ISM_E10value_typeEPSN_NS1_7vsmem_tEENKUlT_SL_SM_SN_E_clIPS8_SG_SH_SH_EESK_S10_SL_SM_SN_EUlS10_E1_NS1_11comp_targetILNS1_3genE9ELNS1_11target_archE1100ELNS1_3gpuE3ELNS1_3repE0EEENS1_36merge_oddeven_config_static_selectorELNS0_4arch9wavefront6targetE1EEEvSM_,comdat
.Lfunc_end655:
	.size	_ZN7rocprim17ROCPRIM_400000_NS6detail17trampoline_kernelINS0_14default_configENS1_38merge_sort_block_merge_config_selectorIN6thrust23THRUST_200600_302600_NS4pairIiiEENS0_10empty_typeEEEZZNS1_27merge_sort_block_merge_implIS3_NS6_6detail15normal_iteratorINS6_10device_ptrIS8_EEEEPS9_mNS6_4lessIS8_EEEE10hipError_tT0_T1_T2_jT3_P12ihipStream_tbPNSt15iterator_traitsISL_E10value_typeEPNSR_ISM_E10value_typeEPSN_NS1_7vsmem_tEENKUlT_SL_SM_SN_E_clIPS8_SG_SH_SH_EESK_S10_SL_SM_SN_EUlS10_E1_NS1_11comp_targetILNS1_3genE9ELNS1_11target_archE1100ELNS1_3gpuE3ELNS1_3repE0EEENS1_36merge_oddeven_config_static_selectorELNS0_4arch9wavefront6targetE1EEEvSM_, .Lfunc_end655-_ZN7rocprim17ROCPRIM_400000_NS6detail17trampoline_kernelINS0_14default_configENS1_38merge_sort_block_merge_config_selectorIN6thrust23THRUST_200600_302600_NS4pairIiiEENS0_10empty_typeEEEZZNS1_27merge_sort_block_merge_implIS3_NS6_6detail15normal_iteratorINS6_10device_ptrIS8_EEEEPS9_mNS6_4lessIS8_EEEE10hipError_tT0_T1_T2_jT3_P12ihipStream_tbPNSt15iterator_traitsISL_E10value_typeEPNSR_ISM_E10value_typeEPSN_NS1_7vsmem_tEENKUlT_SL_SM_SN_E_clIPS8_SG_SH_SH_EESK_S10_SL_SM_SN_EUlS10_E1_NS1_11comp_targetILNS1_3genE9ELNS1_11target_archE1100ELNS1_3gpuE3ELNS1_3repE0EEENS1_36merge_oddeven_config_static_selectorELNS0_4arch9wavefront6targetE1EEEvSM_
                                        ; -- End function
	.set _ZN7rocprim17ROCPRIM_400000_NS6detail17trampoline_kernelINS0_14default_configENS1_38merge_sort_block_merge_config_selectorIN6thrust23THRUST_200600_302600_NS4pairIiiEENS0_10empty_typeEEEZZNS1_27merge_sort_block_merge_implIS3_NS6_6detail15normal_iteratorINS6_10device_ptrIS8_EEEEPS9_mNS6_4lessIS8_EEEE10hipError_tT0_T1_T2_jT3_P12ihipStream_tbPNSt15iterator_traitsISL_E10value_typeEPNSR_ISM_E10value_typeEPSN_NS1_7vsmem_tEENKUlT_SL_SM_SN_E_clIPS8_SG_SH_SH_EESK_S10_SL_SM_SN_EUlS10_E1_NS1_11comp_targetILNS1_3genE9ELNS1_11target_archE1100ELNS1_3gpuE3ELNS1_3repE0EEENS1_36merge_oddeven_config_static_selectorELNS0_4arch9wavefront6targetE1EEEvSM_.num_vgpr, 0
	.set _ZN7rocprim17ROCPRIM_400000_NS6detail17trampoline_kernelINS0_14default_configENS1_38merge_sort_block_merge_config_selectorIN6thrust23THRUST_200600_302600_NS4pairIiiEENS0_10empty_typeEEEZZNS1_27merge_sort_block_merge_implIS3_NS6_6detail15normal_iteratorINS6_10device_ptrIS8_EEEEPS9_mNS6_4lessIS8_EEEE10hipError_tT0_T1_T2_jT3_P12ihipStream_tbPNSt15iterator_traitsISL_E10value_typeEPNSR_ISM_E10value_typeEPSN_NS1_7vsmem_tEENKUlT_SL_SM_SN_E_clIPS8_SG_SH_SH_EESK_S10_SL_SM_SN_EUlS10_E1_NS1_11comp_targetILNS1_3genE9ELNS1_11target_archE1100ELNS1_3gpuE3ELNS1_3repE0EEENS1_36merge_oddeven_config_static_selectorELNS0_4arch9wavefront6targetE1EEEvSM_.num_agpr, 0
	.set _ZN7rocprim17ROCPRIM_400000_NS6detail17trampoline_kernelINS0_14default_configENS1_38merge_sort_block_merge_config_selectorIN6thrust23THRUST_200600_302600_NS4pairIiiEENS0_10empty_typeEEEZZNS1_27merge_sort_block_merge_implIS3_NS6_6detail15normal_iteratorINS6_10device_ptrIS8_EEEEPS9_mNS6_4lessIS8_EEEE10hipError_tT0_T1_T2_jT3_P12ihipStream_tbPNSt15iterator_traitsISL_E10value_typeEPNSR_ISM_E10value_typeEPSN_NS1_7vsmem_tEENKUlT_SL_SM_SN_E_clIPS8_SG_SH_SH_EESK_S10_SL_SM_SN_EUlS10_E1_NS1_11comp_targetILNS1_3genE9ELNS1_11target_archE1100ELNS1_3gpuE3ELNS1_3repE0EEENS1_36merge_oddeven_config_static_selectorELNS0_4arch9wavefront6targetE1EEEvSM_.numbered_sgpr, 0
	.set _ZN7rocprim17ROCPRIM_400000_NS6detail17trampoline_kernelINS0_14default_configENS1_38merge_sort_block_merge_config_selectorIN6thrust23THRUST_200600_302600_NS4pairIiiEENS0_10empty_typeEEEZZNS1_27merge_sort_block_merge_implIS3_NS6_6detail15normal_iteratorINS6_10device_ptrIS8_EEEEPS9_mNS6_4lessIS8_EEEE10hipError_tT0_T1_T2_jT3_P12ihipStream_tbPNSt15iterator_traitsISL_E10value_typeEPNSR_ISM_E10value_typeEPSN_NS1_7vsmem_tEENKUlT_SL_SM_SN_E_clIPS8_SG_SH_SH_EESK_S10_SL_SM_SN_EUlS10_E1_NS1_11comp_targetILNS1_3genE9ELNS1_11target_archE1100ELNS1_3gpuE3ELNS1_3repE0EEENS1_36merge_oddeven_config_static_selectorELNS0_4arch9wavefront6targetE1EEEvSM_.num_named_barrier, 0
	.set _ZN7rocprim17ROCPRIM_400000_NS6detail17trampoline_kernelINS0_14default_configENS1_38merge_sort_block_merge_config_selectorIN6thrust23THRUST_200600_302600_NS4pairIiiEENS0_10empty_typeEEEZZNS1_27merge_sort_block_merge_implIS3_NS6_6detail15normal_iteratorINS6_10device_ptrIS8_EEEEPS9_mNS6_4lessIS8_EEEE10hipError_tT0_T1_T2_jT3_P12ihipStream_tbPNSt15iterator_traitsISL_E10value_typeEPNSR_ISM_E10value_typeEPSN_NS1_7vsmem_tEENKUlT_SL_SM_SN_E_clIPS8_SG_SH_SH_EESK_S10_SL_SM_SN_EUlS10_E1_NS1_11comp_targetILNS1_3genE9ELNS1_11target_archE1100ELNS1_3gpuE3ELNS1_3repE0EEENS1_36merge_oddeven_config_static_selectorELNS0_4arch9wavefront6targetE1EEEvSM_.private_seg_size, 0
	.set _ZN7rocprim17ROCPRIM_400000_NS6detail17trampoline_kernelINS0_14default_configENS1_38merge_sort_block_merge_config_selectorIN6thrust23THRUST_200600_302600_NS4pairIiiEENS0_10empty_typeEEEZZNS1_27merge_sort_block_merge_implIS3_NS6_6detail15normal_iteratorINS6_10device_ptrIS8_EEEEPS9_mNS6_4lessIS8_EEEE10hipError_tT0_T1_T2_jT3_P12ihipStream_tbPNSt15iterator_traitsISL_E10value_typeEPNSR_ISM_E10value_typeEPSN_NS1_7vsmem_tEENKUlT_SL_SM_SN_E_clIPS8_SG_SH_SH_EESK_S10_SL_SM_SN_EUlS10_E1_NS1_11comp_targetILNS1_3genE9ELNS1_11target_archE1100ELNS1_3gpuE3ELNS1_3repE0EEENS1_36merge_oddeven_config_static_selectorELNS0_4arch9wavefront6targetE1EEEvSM_.uses_vcc, 0
	.set _ZN7rocprim17ROCPRIM_400000_NS6detail17trampoline_kernelINS0_14default_configENS1_38merge_sort_block_merge_config_selectorIN6thrust23THRUST_200600_302600_NS4pairIiiEENS0_10empty_typeEEEZZNS1_27merge_sort_block_merge_implIS3_NS6_6detail15normal_iteratorINS6_10device_ptrIS8_EEEEPS9_mNS6_4lessIS8_EEEE10hipError_tT0_T1_T2_jT3_P12ihipStream_tbPNSt15iterator_traitsISL_E10value_typeEPNSR_ISM_E10value_typeEPSN_NS1_7vsmem_tEENKUlT_SL_SM_SN_E_clIPS8_SG_SH_SH_EESK_S10_SL_SM_SN_EUlS10_E1_NS1_11comp_targetILNS1_3genE9ELNS1_11target_archE1100ELNS1_3gpuE3ELNS1_3repE0EEENS1_36merge_oddeven_config_static_selectorELNS0_4arch9wavefront6targetE1EEEvSM_.uses_flat_scratch, 0
	.set _ZN7rocprim17ROCPRIM_400000_NS6detail17trampoline_kernelINS0_14default_configENS1_38merge_sort_block_merge_config_selectorIN6thrust23THRUST_200600_302600_NS4pairIiiEENS0_10empty_typeEEEZZNS1_27merge_sort_block_merge_implIS3_NS6_6detail15normal_iteratorINS6_10device_ptrIS8_EEEEPS9_mNS6_4lessIS8_EEEE10hipError_tT0_T1_T2_jT3_P12ihipStream_tbPNSt15iterator_traitsISL_E10value_typeEPNSR_ISM_E10value_typeEPSN_NS1_7vsmem_tEENKUlT_SL_SM_SN_E_clIPS8_SG_SH_SH_EESK_S10_SL_SM_SN_EUlS10_E1_NS1_11comp_targetILNS1_3genE9ELNS1_11target_archE1100ELNS1_3gpuE3ELNS1_3repE0EEENS1_36merge_oddeven_config_static_selectorELNS0_4arch9wavefront6targetE1EEEvSM_.has_dyn_sized_stack, 0
	.set _ZN7rocprim17ROCPRIM_400000_NS6detail17trampoline_kernelINS0_14default_configENS1_38merge_sort_block_merge_config_selectorIN6thrust23THRUST_200600_302600_NS4pairIiiEENS0_10empty_typeEEEZZNS1_27merge_sort_block_merge_implIS3_NS6_6detail15normal_iteratorINS6_10device_ptrIS8_EEEEPS9_mNS6_4lessIS8_EEEE10hipError_tT0_T1_T2_jT3_P12ihipStream_tbPNSt15iterator_traitsISL_E10value_typeEPNSR_ISM_E10value_typeEPSN_NS1_7vsmem_tEENKUlT_SL_SM_SN_E_clIPS8_SG_SH_SH_EESK_S10_SL_SM_SN_EUlS10_E1_NS1_11comp_targetILNS1_3genE9ELNS1_11target_archE1100ELNS1_3gpuE3ELNS1_3repE0EEENS1_36merge_oddeven_config_static_selectorELNS0_4arch9wavefront6targetE1EEEvSM_.has_recursion, 0
	.set _ZN7rocprim17ROCPRIM_400000_NS6detail17trampoline_kernelINS0_14default_configENS1_38merge_sort_block_merge_config_selectorIN6thrust23THRUST_200600_302600_NS4pairIiiEENS0_10empty_typeEEEZZNS1_27merge_sort_block_merge_implIS3_NS6_6detail15normal_iteratorINS6_10device_ptrIS8_EEEEPS9_mNS6_4lessIS8_EEEE10hipError_tT0_T1_T2_jT3_P12ihipStream_tbPNSt15iterator_traitsISL_E10value_typeEPNSR_ISM_E10value_typeEPSN_NS1_7vsmem_tEENKUlT_SL_SM_SN_E_clIPS8_SG_SH_SH_EESK_S10_SL_SM_SN_EUlS10_E1_NS1_11comp_targetILNS1_3genE9ELNS1_11target_archE1100ELNS1_3gpuE3ELNS1_3repE0EEENS1_36merge_oddeven_config_static_selectorELNS0_4arch9wavefront6targetE1EEEvSM_.has_indirect_call, 0
	.section	.AMDGPU.csdata,"",@progbits
; Kernel info:
; codeLenInByte = 0
; TotalNumSgprs: 6
; NumVgprs: 0
; NumAgprs: 0
; TotalNumVgprs: 0
; ScratchSize: 0
; MemoryBound: 0
; FloatMode: 240
; IeeeMode: 1
; LDSByteSize: 0 bytes/workgroup (compile time only)
; SGPRBlocks: 0
; VGPRBlocks: 0
; NumSGPRsForWavesPerEU: 6
; NumVGPRsForWavesPerEU: 1
; AccumOffset: 4
; Occupancy: 8
; WaveLimiterHint : 0
; COMPUTE_PGM_RSRC2:SCRATCH_EN: 0
; COMPUTE_PGM_RSRC2:USER_SGPR: 2
; COMPUTE_PGM_RSRC2:TRAP_HANDLER: 0
; COMPUTE_PGM_RSRC2:TGID_X_EN: 1
; COMPUTE_PGM_RSRC2:TGID_Y_EN: 0
; COMPUTE_PGM_RSRC2:TGID_Z_EN: 0
; COMPUTE_PGM_RSRC2:TIDIG_COMP_CNT: 0
; COMPUTE_PGM_RSRC3_GFX90A:ACCUM_OFFSET: 0
; COMPUTE_PGM_RSRC3_GFX90A:TG_SPLIT: 0
	.section	.text._ZN7rocprim17ROCPRIM_400000_NS6detail17trampoline_kernelINS0_14default_configENS1_38merge_sort_block_merge_config_selectorIN6thrust23THRUST_200600_302600_NS4pairIiiEENS0_10empty_typeEEEZZNS1_27merge_sort_block_merge_implIS3_NS6_6detail15normal_iteratorINS6_10device_ptrIS8_EEEEPS9_mNS6_4lessIS8_EEEE10hipError_tT0_T1_T2_jT3_P12ihipStream_tbPNSt15iterator_traitsISL_E10value_typeEPNSR_ISM_E10value_typeEPSN_NS1_7vsmem_tEENKUlT_SL_SM_SN_E_clIPS8_SG_SH_SH_EESK_S10_SL_SM_SN_EUlS10_E1_NS1_11comp_targetILNS1_3genE8ELNS1_11target_archE1030ELNS1_3gpuE2ELNS1_3repE0EEENS1_36merge_oddeven_config_static_selectorELNS0_4arch9wavefront6targetE1EEEvSM_,"axG",@progbits,_ZN7rocprim17ROCPRIM_400000_NS6detail17trampoline_kernelINS0_14default_configENS1_38merge_sort_block_merge_config_selectorIN6thrust23THRUST_200600_302600_NS4pairIiiEENS0_10empty_typeEEEZZNS1_27merge_sort_block_merge_implIS3_NS6_6detail15normal_iteratorINS6_10device_ptrIS8_EEEEPS9_mNS6_4lessIS8_EEEE10hipError_tT0_T1_T2_jT3_P12ihipStream_tbPNSt15iterator_traitsISL_E10value_typeEPNSR_ISM_E10value_typeEPSN_NS1_7vsmem_tEENKUlT_SL_SM_SN_E_clIPS8_SG_SH_SH_EESK_S10_SL_SM_SN_EUlS10_E1_NS1_11comp_targetILNS1_3genE8ELNS1_11target_archE1030ELNS1_3gpuE2ELNS1_3repE0EEENS1_36merge_oddeven_config_static_selectorELNS0_4arch9wavefront6targetE1EEEvSM_,comdat
	.protected	_ZN7rocprim17ROCPRIM_400000_NS6detail17trampoline_kernelINS0_14default_configENS1_38merge_sort_block_merge_config_selectorIN6thrust23THRUST_200600_302600_NS4pairIiiEENS0_10empty_typeEEEZZNS1_27merge_sort_block_merge_implIS3_NS6_6detail15normal_iteratorINS6_10device_ptrIS8_EEEEPS9_mNS6_4lessIS8_EEEE10hipError_tT0_T1_T2_jT3_P12ihipStream_tbPNSt15iterator_traitsISL_E10value_typeEPNSR_ISM_E10value_typeEPSN_NS1_7vsmem_tEENKUlT_SL_SM_SN_E_clIPS8_SG_SH_SH_EESK_S10_SL_SM_SN_EUlS10_E1_NS1_11comp_targetILNS1_3genE8ELNS1_11target_archE1030ELNS1_3gpuE2ELNS1_3repE0EEENS1_36merge_oddeven_config_static_selectorELNS0_4arch9wavefront6targetE1EEEvSM_ ; -- Begin function _ZN7rocprim17ROCPRIM_400000_NS6detail17trampoline_kernelINS0_14default_configENS1_38merge_sort_block_merge_config_selectorIN6thrust23THRUST_200600_302600_NS4pairIiiEENS0_10empty_typeEEEZZNS1_27merge_sort_block_merge_implIS3_NS6_6detail15normal_iteratorINS6_10device_ptrIS8_EEEEPS9_mNS6_4lessIS8_EEEE10hipError_tT0_T1_T2_jT3_P12ihipStream_tbPNSt15iterator_traitsISL_E10value_typeEPNSR_ISM_E10value_typeEPSN_NS1_7vsmem_tEENKUlT_SL_SM_SN_E_clIPS8_SG_SH_SH_EESK_S10_SL_SM_SN_EUlS10_E1_NS1_11comp_targetILNS1_3genE8ELNS1_11target_archE1030ELNS1_3gpuE2ELNS1_3repE0EEENS1_36merge_oddeven_config_static_selectorELNS0_4arch9wavefront6targetE1EEEvSM_
	.globl	_ZN7rocprim17ROCPRIM_400000_NS6detail17trampoline_kernelINS0_14default_configENS1_38merge_sort_block_merge_config_selectorIN6thrust23THRUST_200600_302600_NS4pairIiiEENS0_10empty_typeEEEZZNS1_27merge_sort_block_merge_implIS3_NS6_6detail15normal_iteratorINS6_10device_ptrIS8_EEEEPS9_mNS6_4lessIS8_EEEE10hipError_tT0_T1_T2_jT3_P12ihipStream_tbPNSt15iterator_traitsISL_E10value_typeEPNSR_ISM_E10value_typeEPSN_NS1_7vsmem_tEENKUlT_SL_SM_SN_E_clIPS8_SG_SH_SH_EESK_S10_SL_SM_SN_EUlS10_E1_NS1_11comp_targetILNS1_3genE8ELNS1_11target_archE1030ELNS1_3gpuE2ELNS1_3repE0EEENS1_36merge_oddeven_config_static_selectorELNS0_4arch9wavefront6targetE1EEEvSM_
	.p2align	8
	.type	_ZN7rocprim17ROCPRIM_400000_NS6detail17trampoline_kernelINS0_14default_configENS1_38merge_sort_block_merge_config_selectorIN6thrust23THRUST_200600_302600_NS4pairIiiEENS0_10empty_typeEEEZZNS1_27merge_sort_block_merge_implIS3_NS6_6detail15normal_iteratorINS6_10device_ptrIS8_EEEEPS9_mNS6_4lessIS8_EEEE10hipError_tT0_T1_T2_jT3_P12ihipStream_tbPNSt15iterator_traitsISL_E10value_typeEPNSR_ISM_E10value_typeEPSN_NS1_7vsmem_tEENKUlT_SL_SM_SN_E_clIPS8_SG_SH_SH_EESK_S10_SL_SM_SN_EUlS10_E1_NS1_11comp_targetILNS1_3genE8ELNS1_11target_archE1030ELNS1_3gpuE2ELNS1_3repE0EEENS1_36merge_oddeven_config_static_selectorELNS0_4arch9wavefront6targetE1EEEvSM_,@function
_ZN7rocprim17ROCPRIM_400000_NS6detail17trampoline_kernelINS0_14default_configENS1_38merge_sort_block_merge_config_selectorIN6thrust23THRUST_200600_302600_NS4pairIiiEENS0_10empty_typeEEEZZNS1_27merge_sort_block_merge_implIS3_NS6_6detail15normal_iteratorINS6_10device_ptrIS8_EEEEPS9_mNS6_4lessIS8_EEEE10hipError_tT0_T1_T2_jT3_P12ihipStream_tbPNSt15iterator_traitsISL_E10value_typeEPNSR_ISM_E10value_typeEPSN_NS1_7vsmem_tEENKUlT_SL_SM_SN_E_clIPS8_SG_SH_SH_EESK_S10_SL_SM_SN_EUlS10_E1_NS1_11comp_targetILNS1_3genE8ELNS1_11target_archE1030ELNS1_3gpuE2ELNS1_3repE0EEENS1_36merge_oddeven_config_static_selectorELNS0_4arch9wavefront6targetE1EEEvSM_: ; @_ZN7rocprim17ROCPRIM_400000_NS6detail17trampoline_kernelINS0_14default_configENS1_38merge_sort_block_merge_config_selectorIN6thrust23THRUST_200600_302600_NS4pairIiiEENS0_10empty_typeEEEZZNS1_27merge_sort_block_merge_implIS3_NS6_6detail15normal_iteratorINS6_10device_ptrIS8_EEEEPS9_mNS6_4lessIS8_EEEE10hipError_tT0_T1_T2_jT3_P12ihipStream_tbPNSt15iterator_traitsISL_E10value_typeEPNSR_ISM_E10value_typeEPSN_NS1_7vsmem_tEENKUlT_SL_SM_SN_E_clIPS8_SG_SH_SH_EESK_S10_SL_SM_SN_EUlS10_E1_NS1_11comp_targetILNS1_3genE8ELNS1_11target_archE1030ELNS1_3gpuE2ELNS1_3repE0EEENS1_36merge_oddeven_config_static_selectorELNS0_4arch9wavefront6targetE1EEEvSM_
; %bb.0:
	.section	.rodata,"a",@progbits
	.p2align	6, 0x0
	.amdhsa_kernel _ZN7rocprim17ROCPRIM_400000_NS6detail17trampoline_kernelINS0_14default_configENS1_38merge_sort_block_merge_config_selectorIN6thrust23THRUST_200600_302600_NS4pairIiiEENS0_10empty_typeEEEZZNS1_27merge_sort_block_merge_implIS3_NS6_6detail15normal_iteratorINS6_10device_ptrIS8_EEEEPS9_mNS6_4lessIS8_EEEE10hipError_tT0_T1_T2_jT3_P12ihipStream_tbPNSt15iterator_traitsISL_E10value_typeEPNSR_ISM_E10value_typeEPSN_NS1_7vsmem_tEENKUlT_SL_SM_SN_E_clIPS8_SG_SH_SH_EESK_S10_SL_SM_SN_EUlS10_E1_NS1_11comp_targetILNS1_3genE8ELNS1_11target_archE1030ELNS1_3gpuE2ELNS1_3repE0EEENS1_36merge_oddeven_config_static_selectorELNS0_4arch9wavefront6targetE1EEEvSM_
		.amdhsa_group_segment_fixed_size 0
		.amdhsa_private_segment_fixed_size 0
		.amdhsa_kernarg_size 56
		.amdhsa_user_sgpr_count 2
		.amdhsa_user_sgpr_dispatch_ptr 0
		.amdhsa_user_sgpr_queue_ptr 0
		.amdhsa_user_sgpr_kernarg_segment_ptr 1
		.amdhsa_user_sgpr_dispatch_id 0
		.amdhsa_user_sgpr_kernarg_preload_length 0
		.amdhsa_user_sgpr_kernarg_preload_offset 0
		.amdhsa_user_sgpr_private_segment_size 0
		.amdhsa_uses_dynamic_stack 0
		.amdhsa_enable_private_segment 0
		.amdhsa_system_sgpr_workgroup_id_x 1
		.amdhsa_system_sgpr_workgroup_id_y 0
		.amdhsa_system_sgpr_workgroup_id_z 0
		.amdhsa_system_sgpr_workgroup_info 0
		.amdhsa_system_vgpr_workitem_id 0
		.amdhsa_next_free_vgpr 1
		.amdhsa_next_free_sgpr 0
		.amdhsa_accum_offset 4
		.amdhsa_reserve_vcc 0
		.amdhsa_float_round_mode_32 0
		.amdhsa_float_round_mode_16_64 0
		.amdhsa_float_denorm_mode_32 3
		.amdhsa_float_denorm_mode_16_64 3
		.amdhsa_dx10_clamp 1
		.amdhsa_ieee_mode 1
		.amdhsa_fp16_overflow 0
		.amdhsa_tg_split 0
		.amdhsa_exception_fp_ieee_invalid_op 0
		.amdhsa_exception_fp_denorm_src 0
		.amdhsa_exception_fp_ieee_div_zero 0
		.amdhsa_exception_fp_ieee_overflow 0
		.amdhsa_exception_fp_ieee_underflow 0
		.amdhsa_exception_fp_ieee_inexact 0
		.amdhsa_exception_int_div_zero 0
	.end_amdhsa_kernel
	.section	.text._ZN7rocprim17ROCPRIM_400000_NS6detail17trampoline_kernelINS0_14default_configENS1_38merge_sort_block_merge_config_selectorIN6thrust23THRUST_200600_302600_NS4pairIiiEENS0_10empty_typeEEEZZNS1_27merge_sort_block_merge_implIS3_NS6_6detail15normal_iteratorINS6_10device_ptrIS8_EEEEPS9_mNS6_4lessIS8_EEEE10hipError_tT0_T1_T2_jT3_P12ihipStream_tbPNSt15iterator_traitsISL_E10value_typeEPNSR_ISM_E10value_typeEPSN_NS1_7vsmem_tEENKUlT_SL_SM_SN_E_clIPS8_SG_SH_SH_EESK_S10_SL_SM_SN_EUlS10_E1_NS1_11comp_targetILNS1_3genE8ELNS1_11target_archE1030ELNS1_3gpuE2ELNS1_3repE0EEENS1_36merge_oddeven_config_static_selectorELNS0_4arch9wavefront6targetE1EEEvSM_,"axG",@progbits,_ZN7rocprim17ROCPRIM_400000_NS6detail17trampoline_kernelINS0_14default_configENS1_38merge_sort_block_merge_config_selectorIN6thrust23THRUST_200600_302600_NS4pairIiiEENS0_10empty_typeEEEZZNS1_27merge_sort_block_merge_implIS3_NS6_6detail15normal_iteratorINS6_10device_ptrIS8_EEEEPS9_mNS6_4lessIS8_EEEE10hipError_tT0_T1_T2_jT3_P12ihipStream_tbPNSt15iterator_traitsISL_E10value_typeEPNSR_ISM_E10value_typeEPSN_NS1_7vsmem_tEENKUlT_SL_SM_SN_E_clIPS8_SG_SH_SH_EESK_S10_SL_SM_SN_EUlS10_E1_NS1_11comp_targetILNS1_3genE8ELNS1_11target_archE1030ELNS1_3gpuE2ELNS1_3repE0EEENS1_36merge_oddeven_config_static_selectorELNS0_4arch9wavefront6targetE1EEEvSM_,comdat
.Lfunc_end656:
	.size	_ZN7rocprim17ROCPRIM_400000_NS6detail17trampoline_kernelINS0_14default_configENS1_38merge_sort_block_merge_config_selectorIN6thrust23THRUST_200600_302600_NS4pairIiiEENS0_10empty_typeEEEZZNS1_27merge_sort_block_merge_implIS3_NS6_6detail15normal_iteratorINS6_10device_ptrIS8_EEEEPS9_mNS6_4lessIS8_EEEE10hipError_tT0_T1_T2_jT3_P12ihipStream_tbPNSt15iterator_traitsISL_E10value_typeEPNSR_ISM_E10value_typeEPSN_NS1_7vsmem_tEENKUlT_SL_SM_SN_E_clIPS8_SG_SH_SH_EESK_S10_SL_SM_SN_EUlS10_E1_NS1_11comp_targetILNS1_3genE8ELNS1_11target_archE1030ELNS1_3gpuE2ELNS1_3repE0EEENS1_36merge_oddeven_config_static_selectorELNS0_4arch9wavefront6targetE1EEEvSM_, .Lfunc_end656-_ZN7rocprim17ROCPRIM_400000_NS6detail17trampoline_kernelINS0_14default_configENS1_38merge_sort_block_merge_config_selectorIN6thrust23THRUST_200600_302600_NS4pairIiiEENS0_10empty_typeEEEZZNS1_27merge_sort_block_merge_implIS3_NS6_6detail15normal_iteratorINS6_10device_ptrIS8_EEEEPS9_mNS6_4lessIS8_EEEE10hipError_tT0_T1_T2_jT3_P12ihipStream_tbPNSt15iterator_traitsISL_E10value_typeEPNSR_ISM_E10value_typeEPSN_NS1_7vsmem_tEENKUlT_SL_SM_SN_E_clIPS8_SG_SH_SH_EESK_S10_SL_SM_SN_EUlS10_E1_NS1_11comp_targetILNS1_3genE8ELNS1_11target_archE1030ELNS1_3gpuE2ELNS1_3repE0EEENS1_36merge_oddeven_config_static_selectorELNS0_4arch9wavefront6targetE1EEEvSM_
                                        ; -- End function
	.set _ZN7rocprim17ROCPRIM_400000_NS6detail17trampoline_kernelINS0_14default_configENS1_38merge_sort_block_merge_config_selectorIN6thrust23THRUST_200600_302600_NS4pairIiiEENS0_10empty_typeEEEZZNS1_27merge_sort_block_merge_implIS3_NS6_6detail15normal_iteratorINS6_10device_ptrIS8_EEEEPS9_mNS6_4lessIS8_EEEE10hipError_tT0_T1_T2_jT3_P12ihipStream_tbPNSt15iterator_traitsISL_E10value_typeEPNSR_ISM_E10value_typeEPSN_NS1_7vsmem_tEENKUlT_SL_SM_SN_E_clIPS8_SG_SH_SH_EESK_S10_SL_SM_SN_EUlS10_E1_NS1_11comp_targetILNS1_3genE8ELNS1_11target_archE1030ELNS1_3gpuE2ELNS1_3repE0EEENS1_36merge_oddeven_config_static_selectorELNS0_4arch9wavefront6targetE1EEEvSM_.num_vgpr, 0
	.set _ZN7rocprim17ROCPRIM_400000_NS6detail17trampoline_kernelINS0_14default_configENS1_38merge_sort_block_merge_config_selectorIN6thrust23THRUST_200600_302600_NS4pairIiiEENS0_10empty_typeEEEZZNS1_27merge_sort_block_merge_implIS3_NS6_6detail15normal_iteratorINS6_10device_ptrIS8_EEEEPS9_mNS6_4lessIS8_EEEE10hipError_tT0_T1_T2_jT3_P12ihipStream_tbPNSt15iterator_traitsISL_E10value_typeEPNSR_ISM_E10value_typeEPSN_NS1_7vsmem_tEENKUlT_SL_SM_SN_E_clIPS8_SG_SH_SH_EESK_S10_SL_SM_SN_EUlS10_E1_NS1_11comp_targetILNS1_3genE8ELNS1_11target_archE1030ELNS1_3gpuE2ELNS1_3repE0EEENS1_36merge_oddeven_config_static_selectorELNS0_4arch9wavefront6targetE1EEEvSM_.num_agpr, 0
	.set _ZN7rocprim17ROCPRIM_400000_NS6detail17trampoline_kernelINS0_14default_configENS1_38merge_sort_block_merge_config_selectorIN6thrust23THRUST_200600_302600_NS4pairIiiEENS0_10empty_typeEEEZZNS1_27merge_sort_block_merge_implIS3_NS6_6detail15normal_iteratorINS6_10device_ptrIS8_EEEEPS9_mNS6_4lessIS8_EEEE10hipError_tT0_T1_T2_jT3_P12ihipStream_tbPNSt15iterator_traitsISL_E10value_typeEPNSR_ISM_E10value_typeEPSN_NS1_7vsmem_tEENKUlT_SL_SM_SN_E_clIPS8_SG_SH_SH_EESK_S10_SL_SM_SN_EUlS10_E1_NS1_11comp_targetILNS1_3genE8ELNS1_11target_archE1030ELNS1_3gpuE2ELNS1_3repE0EEENS1_36merge_oddeven_config_static_selectorELNS0_4arch9wavefront6targetE1EEEvSM_.numbered_sgpr, 0
	.set _ZN7rocprim17ROCPRIM_400000_NS6detail17trampoline_kernelINS0_14default_configENS1_38merge_sort_block_merge_config_selectorIN6thrust23THRUST_200600_302600_NS4pairIiiEENS0_10empty_typeEEEZZNS1_27merge_sort_block_merge_implIS3_NS6_6detail15normal_iteratorINS6_10device_ptrIS8_EEEEPS9_mNS6_4lessIS8_EEEE10hipError_tT0_T1_T2_jT3_P12ihipStream_tbPNSt15iterator_traitsISL_E10value_typeEPNSR_ISM_E10value_typeEPSN_NS1_7vsmem_tEENKUlT_SL_SM_SN_E_clIPS8_SG_SH_SH_EESK_S10_SL_SM_SN_EUlS10_E1_NS1_11comp_targetILNS1_3genE8ELNS1_11target_archE1030ELNS1_3gpuE2ELNS1_3repE0EEENS1_36merge_oddeven_config_static_selectorELNS0_4arch9wavefront6targetE1EEEvSM_.num_named_barrier, 0
	.set _ZN7rocprim17ROCPRIM_400000_NS6detail17trampoline_kernelINS0_14default_configENS1_38merge_sort_block_merge_config_selectorIN6thrust23THRUST_200600_302600_NS4pairIiiEENS0_10empty_typeEEEZZNS1_27merge_sort_block_merge_implIS3_NS6_6detail15normal_iteratorINS6_10device_ptrIS8_EEEEPS9_mNS6_4lessIS8_EEEE10hipError_tT0_T1_T2_jT3_P12ihipStream_tbPNSt15iterator_traitsISL_E10value_typeEPNSR_ISM_E10value_typeEPSN_NS1_7vsmem_tEENKUlT_SL_SM_SN_E_clIPS8_SG_SH_SH_EESK_S10_SL_SM_SN_EUlS10_E1_NS1_11comp_targetILNS1_3genE8ELNS1_11target_archE1030ELNS1_3gpuE2ELNS1_3repE0EEENS1_36merge_oddeven_config_static_selectorELNS0_4arch9wavefront6targetE1EEEvSM_.private_seg_size, 0
	.set _ZN7rocprim17ROCPRIM_400000_NS6detail17trampoline_kernelINS0_14default_configENS1_38merge_sort_block_merge_config_selectorIN6thrust23THRUST_200600_302600_NS4pairIiiEENS0_10empty_typeEEEZZNS1_27merge_sort_block_merge_implIS3_NS6_6detail15normal_iteratorINS6_10device_ptrIS8_EEEEPS9_mNS6_4lessIS8_EEEE10hipError_tT0_T1_T2_jT3_P12ihipStream_tbPNSt15iterator_traitsISL_E10value_typeEPNSR_ISM_E10value_typeEPSN_NS1_7vsmem_tEENKUlT_SL_SM_SN_E_clIPS8_SG_SH_SH_EESK_S10_SL_SM_SN_EUlS10_E1_NS1_11comp_targetILNS1_3genE8ELNS1_11target_archE1030ELNS1_3gpuE2ELNS1_3repE0EEENS1_36merge_oddeven_config_static_selectorELNS0_4arch9wavefront6targetE1EEEvSM_.uses_vcc, 0
	.set _ZN7rocprim17ROCPRIM_400000_NS6detail17trampoline_kernelINS0_14default_configENS1_38merge_sort_block_merge_config_selectorIN6thrust23THRUST_200600_302600_NS4pairIiiEENS0_10empty_typeEEEZZNS1_27merge_sort_block_merge_implIS3_NS6_6detail15normal_iteratorINS6_10device_ptrIS8_EEEEPS9_mNS6_4lessIS8_EEEE10hipError_tT0_T1_T2_jT3_P12ihipStream_tbPNSt15iterator_traitsISL_E10value_typeEPNSR_ISM_E10value_typeEPSN_NS1_7vsmem_tEENKUlT_SL_SM_SN_E_clIPS8_SG_SH_SH_EESK_S10_SL_SM_SN_EUlS10_E1_NS1_11comp_targetILNS1_3genE8ELNS1_11target_archE1030ELNS1_3gpuE2ELNS1_3repE0EEENS1_36merge_oddeven_config_static_selectorELNS0_4arch9wavefront6targetE1EEEvSM_.uses_flat_scratch, 0
	.set _ZN7rocprim17ROCPRIM_400000_NS6detail17trampoline_kernelINS0_14default_configENS1_38merge_sort_block_merge_config_selectorIN6thrust23THRUST_200600_302600_NS4pairIiiEENS0_10empty_typeEEEZZNS1_27merge_sort_block_merge_implIS3_NS6_6detail15normal_iteratorINS6_10device_ptrIS8_EEEEPS9_mNS6_4lessIS8_EEEE10hipError_tT0_T1_T2_jT3_P12ihipStream_tbPNSt15iterator_traitsISL_E10value_typeEPNSR_ISM_E10value_typeEPSN_NS1_7vsmem_tEENKUlT_SL_SM_SN_E_clIPS8_SG_SH_SH_EESK_S10_SL_SM_SN_EUlS10_E1_NS1_11comp_targetILNS1_3genE8ELNS1_11target_archE1030ELNS1_3gpuE2ELNS1_3repE0EEENS1_36merge_oddeven_config_static_selectorELNS0_4arch9wavefront6targetE1EEEvSM_.has_dyn_sized_stack, 0
	.set _ZN7rocprim17ROCPRIM_400000_NS6detail17trampoline_kernelINS0_14default_configENS1_38merge_sort_block_merge_config_selectorIN6thrust23THRUST_200600_302600_NS4pairIiiEENS0_10empty_typeEEEZZNS1_27merge_sort_block_merge_implIS3_NS6_6detail15normal_iteratorINS6_10device_ptrIS8_EEEEPS9_mNS6_4lessIS8_EEEE10hipError_tT0_T1_T2_jT3_P12ihipStream_tbPNSt15iterator_traitsISL_E10value_typeEPNSR_ISM_E10value_typeEPSN_NS1_7vsmem_tEENKUlT_SL_SM_SN_E_clIPS8_SG_SH_SH_EESK_S10_SL_SM_SN_EUlS10_E1_NS1_11comp_targetILNS1_3genE8ELNS1_11target_archE1030ELNS1_3gpuE2ELNS1_3repE0EEENS1_36merge_oddeven_config_static_selectorELNS0_4arch9wavefront6targetE1EEEvSM_.has_recursion, 0
	.set _ZN7rocprim17ROCPRIM_400000_NS6detail17trampoline_kernelINS0_14default_configENS1_38merge_sort_block_merge_config_selectorIN6thrust23THRUST_200600_302600_NS4pairIiiEENS0_10empty_typeEEEZZNS1_27merge_sort_block_merge_implIS3_NS6_6detail15normal_iteratorINS6_10device_ptrIS8_EEEEPS9_mNS6_4lessIS8_EEEE10hipError_tT0_T1_T2_jT3_P12ihipStream_tbPNSt15iterator_traitsISL_E10value_typeEPNSR_ISM_E10value_typeEPSN_NS1_7vsmem_tEENKUlT_SL_SM_SN_E_clIPS8_SG_SH_SH_EESK_S10_SL_SM_SN_EUlS10_E1_NS1_11comp_targetILNS1_3genE8ELNS1_11target_archE1030ELNS1_3gpuE2ELNS1_3repE0EEENS1_36merge_oddeven_config_static_selectorELNS0_4arch9wavefront6targetE1EEEvSM_.has_indirect_call, 0
	.section	.AMDGPU.csdata,"",@progbits
; Kernel info:
; codeLenInByte = 0
; TotalNumSgprs: 6
; NumVgprs: 0
; NumAgprs: 0
; TotalNumVgprs: 0
; ScratchSize: 0
; MemoryBound: 0
; FloatMode: 240
; IeeeMode: 1
; LDSByteSize: 0 bytes/workgroup (compile time only)
; SGPRBlocks: 0
; VGPRBlocks: 0
; NumSGPRsForWavesPerEU: 6
; NumVGPRsForWavesPerEU: 1
; AccumOffset: 4
; Occupancy: 8
; WaveLimiterHint : 0
; COMPUTE_PGM_RSRC2:SCRATCH_EN: 0
; COMPUTE_PGM_RSRC2:USER_SGPR: 2
; COMPUTE_PGM_RSRC2:TRAP_HANDLER: 0
; COMPUTE_PGM_RSRC2:TGID_X_EN: 1
; COMPUTE_PGM_RSRC2:TGID_Y_EN: 0
; COMPUTE_PGM_RSRC2:TGID_Z_EN: 0
; COMPUTE_PGM_RSRC2:TIDIG_COMP_CNT: 0
; COMPUTE_PGM_RSRC3_GFX90A:ACCUM_OFFSET: 0
; COMPUTE_PGM_RSRC3_GFX90A:TG_SPLIT: 0
	.section	.text._ZN7rocprim17ROCPRIM_400000_NS6detail17trampoline_kernelINS0_14default_configENS1_38merge_sort_block_merge_config_selectorIN6thrust23THRUST_200600_302600_NS4pairIiiEENS0_10empty_typeEEEZZNS1_27merge_sort_block_merge_implIS3_NS6_6detail15normal_iteratorINS6_10device_ptrIS8_EEEEPS9_mNS6_4lessIS8_EEEE10hipError_tT0_T1_T2_jT3_P12ihipStream_tbPNSt15iterator_traitsISL_E10value_typeEPNSR_ISM_E10value_typeEPSN_NS1_7vsmem_tEENKUlT_SL_SM_SN_E_clISG_PS8_SH_SH_EESK_S10_SL_SM_SN_EUlS10_E_NS1_11comp_targetILNS1_3genE0ELNS1_11target_archE4294967295ELNS1_3gpuE0ELNS1_3repE0EEENS1_48merge_mergepath_partition_config_static_selectorELNS0_4arch9wavefront6targetE1EEEvSM_,"axG",@progbits,_ZN7rocprim17ROCPRIM_400000_NS6detail17trampoline_kernelINS0_14default_configENS1_38merge_sort_block_merge_config_selectorIN6thrust23THRUST_200600_302600_NS4pairIiiEENS0_10empty_typeEEEZZNS1_27merge_sort_block_merge_implIS3_NS6_6detail15normal_iteratorINS6_10device_ptrIS8_EEEEPS9_mNS6_4lessIS8_EEEE10hipError_tT0_T1_T2_jT3_P12ihipStream_tbPNSt15iterator_traitsISL_E10value_typeEPNSR_ISM_E10value_typeEPSN_NS1_7vsmem_tEENKUlT_SL_SM_SN_E_clISG_PS8_SH_SH_EESK_S10_SL_SM_SN_EUlS10_E_NS1_11comp_targetILNS1_3genE0ELNS1_11target_archE4294967295ELNS1_3gpuE0ELNS1_3repE0EEENS1_48merge_mergepath_partition_config_static_selectorELNS0_4arch9wavefront6targetE1EEEvSM_,comdat
	.protected	_ZN7rocprim17ROCPRIM_400000_NS6detail17trampoline_kernelINS0_14default_configENS1_38merge_sort_block_merge_config_selectorIN6thrust23THRUST_200600_302600_NS4pairIiiEENS0_10empty_typeEEEZZNS1_27merge_sort_block_merge_implIS3_NS6_6detail15normal_iteratorINS6_10device_ptrIS8_EEEEPS9_mNS6_4lessIS8_EEEE10hipError_tT0_T1_T2_jT3_P12ihipStream_tbPNSt15iterator_traitsISL_E10value_typeEPNSR_ISM_E10value_typeEPSN_NS1_7vsmem_tEENKUlT_SL_SM_SN_E_clISG_PS8_SH_SH_EESK_S10_SL_SM_SN_EUlS10_E_NS1_11comp_targetILNS1_3genE0ELNS1_11target_archE4294967295ELNS1_3gpuE0ELNS1_3repE0EEENS1_48merge_mergepath_partition_config_static_selectorELNS0_4arch9wavefront6targetE1EEEvSM_ ; -- Begin function _ZN7rocprim17ROCPRIM_400000_NS6detail17trampoline_kernelINS0_14default_configENS1_38merge_sort_block_merge_config_selectorIN6thrust23THRUST_200600_302600_NS4pairIiiEENS0_10empty_typeEEEZZNS1_27merge_sort_block_merge_implIS3_NS6_6detail15normal_iteratorINS6_10device_ptrIS8_EEEEPS9_mNS6_4lessIS8_EEEE10hipError_tT0_T1_T2_jT3_P12ihipStream_tbPNSt15iterator_traitsISL_E10value_typeEPNSR_ISM_E10value_typeEPSN_NS1_7vsmem_tEENKUlT_SL_SM_SN_E_clISG_PS8_SH_SH_EESK_S10_SL_SM_SN_EUlS10_E_NS1_11comp_targetILNS1_3genE0ELNS1_11target_archE4294967295ELNS1_3gpuE0ELNS1_3repE0EEENS1_48merge_mergepath_partition_config_static_selectorELNS0_4arch9wavefront6targetE1EEEvSM_
	.globl	_ZN7rocprim17ROCPRIM_400000_NS6detail17trampoline_kernelINS0_14default_configENS1_38merge_sort_block_merge_config_selectorIN6thrust23THRUST_200600_302600_NS4pairIiiEENS0_10empty_typeEEEZZNS1_27merge_sort_block_merge_implIS3_NS6_6detail15normal_iteratorINS6_10device_ptrIS8_EEEEPS9_mNS6_4lessIS8_EEEE10hipError_tT0_T1_T2_jT3_P12ihipStream_tbPNSt15iterator_traitsISL_E10value_typeEPNSR_ISM_E10value_typeEPSN_NS1_7vsmem_tEENKUlT_SL_SM_SN_E_clISG_PS8_SH_SH_EESK_S10_SL_SM_SN_EUlS10_E_NS1_11comp_targetILNS1_3genE0ELNS1_11target_archE4294967295ELNS1_3gpuE0ELNS1_3repE0EEENS1_48merge_mergepath_partition_config_static_selectorELNS0_4arch9wavefront6targetE1EEEvSM_
	.p2align	8
	.type	_ZN7rocprim17ROCPRIM_400000_NS6detail17trampoline_kernelINS0_14default_configENS1_38merge_sort_block_merge_config_selectorIN6thrust23THRUST_200600_302600_NS4pairIiiEENS0_10empty_typeEEEZZNS1_27merge_sort_block_merge_implIS3_NS6_6detail15normal_iteratorINS6_10device_ptrIS8_EEEEPS9_mNS6_4lessIS8_EEEE10hipError_tT0_T1_T2_jT3_P12ihipStream_tbPNSt15iterator_traitsISL_E10value_typeEPNSR_ISM_E10value_typeEPSN_NS1_7vsmem_tEENKUlT_SL_SM_SN_E_clISG_PS8_SH_SH_EESK_S10_SL_SM_SN_EUlS10_E_NS1_11comp_targetILNS1_3genE0ELNS1_11target_archE4294967295ELNS1_3gpuE0ELNS1_3repE0EEENS1_48merge_mergepath_partition_config_static_selectorELNS0_4arch9wavefront6targetE1EEEvSM_,@function
_ZN7rocprim17ROCPRIM_400000_NS6detail17trampoline_kernelINS0_14default_configENS1_38merge_sort_block_merge_config_selectorIN6thrust23THRUST_200600_302600_NS4pairIiiEENS0_10empty_typeEEEZZNS1_27merge_sort_block_merge_implIS3_NS6_6detail15normal_iteratorINS6_10device_ptrIS8_EEEEPS9_mNS6_4lessIS8_EEEE10hipError_tT0_T1_T2_jT3_P12ihipStream_tbPNSt15iterator_traitsISL_E10value_typeEPNSR_ISM_E10value_typeEPSN_NS1_7vsmem_tEENKUlT_SL_SM_SN_E_clISG_PS8_SH_SH_EESK_S10_SL_SM_SN_EUlS10_E_NS1_11comp_targetILNS1_3genE0ELNS1_11target_archE4294967295ELNS1_3gpuE0ELNS1_3repE0EEENS1_48merge_mergepath_partition_config_static_selectorELNS0_4arch9wavefront6targetE1EEEvSM_: ; @_ZN7rocprim17ROCPRIM_400000_NS6detail17trampoline_kernelINS0_14default_configENS1_38merge_sort_block_merge_config_selectorIN6thrust23THRUST_200600_302600_NS4pairIiiEENS0_10empty_typeEEEZZNS1_27merge_sort_block_merge_implIS3_NS6_6detail15normal_iteratorINS6_10device_ptrIS8_EEEEPS9_mNS6_4lessIS8_EEEE10hipError_tT0_T1_T2_jT3_P12ihipStream_tbPNSt15iterator_traitsISL_E10value_typeEPNSR_ISM_E10value_typeEPSN_NS1_7vsmem_tEENKUlT_SL_SM_SN_E_clISG_PS8_SH_SH_EESK_S10_SL_SM_SN_EUlS10_E_NS1_11comp_targetILNS1_3genE0ELNS1_11target_archE4294967295ELNS1_3gpuE0ELNS1_3repE0EEENS1_48merge_mergepath_partition_config_static_selectorELNS0_4arch9wavefront6targetE1EEEvSM_
; %bb.0:
	s_load_dword s3, s[0:1], 0x0
	v_lshl_or_b32 v0, s2, 7, v0
	s_waitcnt lgkmcnt(0)
	v_cmp_gt_u32_e32 vcc, s3, v0
	s_and_saveexec_b64 s[2:3], vcc
	s_cbranch_execz .LBB657_6
; %bb.1:
	s_load_dwordx4 s[8:11], s[0:1], 0x8
	s_load_dwordx2 s[4:5], s[0:1], 0x28
	v_mov_b32_e32 v5, 0
	v_mov_b32_e32 v7, v5
	s_waitcnt lgkmcnt(0)
	s_lshr_b64 s[2:3], s[8:9], 9
	s_and_b32 s2, s2, -2
	s_add_i32 s3, s2, -1
	s_sub_i32 s2, 0, s2
	v_and_b32_e32 v4, s2, v0
	v_lshlrev_b64 v[8:9], 10, v[4:5]
	v_mov_b32_e32 v1, s11
	v_cmp_lt_u64_e32 vcc, s[10:11], v[8:9]
	v_mov_b32_e32 v4, s10
	v_and_b32_e32 v6, s3, v0
	v_cndmask_b32_e32 v3, v9, v1, vcc
	v_cndmask_b32_e32 v2, v8, v4, vcc
	v_lshl_add_u64 v[8:9], v[8:9], 0, s[8:9]
	v_cmp_lt_u64_e32 vcc, s[10:11], v[8:9]
	s_nop 1
	v_cndmask_b32_e32 v9, v9, v1, vcc
	v_cndmask_b32_e32 v8, v8, v4, vcc
	v_lshl_add_u64 v[10:11], v[8:9], 0, s[8:9]
	v_cmp_lt_u64_e32 vcc, s[10:11], v[10:11]
	s_nop 1
	v_cndmask_b32_e32 v14, v10, v4, vcc
	v_cndmask_b32_e32 v1, v11, v1, vcc
	v_sub_co_u32_e32 v10, vcc, v14, v2
	v_lshlrev_b64 v[4:5], 10, v[6:7]
	s_nop 0
	v_subb_co_u32_e32 v11, vcc, v1, v3, vcc
	v_cmp_lt_u64_e32 vcc, v[10:11], v[4:5]
	s_nop 1
	v_cndmask_b32_e32 v13, v5, v11, vcc
	v_cndmask_b32_e32 v12, v4, v10, vcc
	v_sub_co_u32_e32 v6, vcc, v8, v2
	s_nop 1
	v_subb_co_u32_e32 v7, vcc, v9, v3, vcc
	v_sub_co_u32_e32 v4, vcc, v8, v14
	s_nop 1
	v_subb_co_u32_e32 v5, vcc, v9, v1, vcc
	v_lshl_add_u64 v[4:5], v[12:13], 0, v[4:5]
	v_cmp_gt_u64_e32 vcc, v[4:5], v[12:13]
	s_nop 1
	v_cndmask_b32_e64 v5, v5, 0, vcc
	v_cndmask_b32_e64 v4, v4, 0, vcc
	v_cmp_lt_u64_e32 vcc, v[12:13], v[6:7]
	s_nop 1
	v_cndmask_b32_e32 v7, v7, v13, vcc
	v_cndmask_b32_e32 v6, v6, v12, vcc
	v_cmp_lt_u64_e32 vcc, v[4:5], v[6:7]
	s_and_saveexec_b64 s[6:7], vcc
	s_cbranch_execz .LBB657_5
; %bb.2:
	s_load_dwordx2 s[0:1], s[0:1], 0x18
	s_mov_b64 s[8:9], 0
	s_waitcnt lgkmcnt(0)
	v_lshl_add_u64 v[8:9], v[8:9], 3, s[0:1]
	v_lshl_add_u64 v[10:11], v[2:3], 3, s[0:1]
	;; [unrolled: 1-line block ×3, first 2 shown]
.LBB657_3:                              ; =>This Inner Loop Header: Depth=1
	v_lshl_add_u64 v[12:13], v[6:7], 0, v[4:5]
	v_lshrrev_b64 v[12:13], 1, v[12:13]
	v_lshlrev_b64 v[14:15], 3, v[12:13]
	v_lshl_add_u64 v[16:17], v[10:11], 0, v[14:15]
	v_xor_b32_e32 v15, -1, v15
	v_xor_b32_e32 v14, -8, v14
	v_lshl_add_u64 v[14:15], v[8:9], 0, v[14:15]
	flat_load_dwordx2 v[16:17], v[16:17]
	v_lshl_add_u64 v[18:19], v[12:13], 0, 1
	flat_load_dwordx2 v[14:15], v[14:15]
	s_waitcnt vmcnt(0) lgkmcnt(0)
	v_cmp_ge_i32_e64 s[0:1], v16, v14
	v_cmp_lt_i32_e64 s[2:3], v15, v17
	v_cmp_lt_i32_e32 vcc, v14, v16
	s_and_b64 s[0:1], s[0:1], s[2:3]
	s_or_b64 vcc, vcc, s[0:1]
	v_cndmask_b32_e32 v7, v7, v13, vcc
	v_cndmask_b32_e32 v6, v6, v12, vcc
	;; [unrolled: 1-line block ×4, first 2 shown]
	v_cmp_ge_u64_e32 vcc, v[4:5], v[6:7]
	s_or_b64 s[8:9], vcc, s[8:9]
	s_andn2_b64 exec, exec, s[8:9]
	s_cbranch_execnz .LBB657_3
; %bb.4:
	s_or_b64 exec, exec, s[8:9]
.LBB657_5:
	s_or_b64 exec, exec, s[6:7]
	v_mov_b32_e32 v1, 0
	v_lshl_add_u64 v[2:3], v[4:5], 0, v[2:3]
	v_lshl_add_u64 v[0:1], v[0:1], 3, s[4:5]
	global_store_dwordx2 v[0:1], v[2:3], off
.LBB657_6:
	s_endpgm
	.section	.rodata,"a",@progbits
	.p2align	6, 0x0
	.amdhsa_kernel _ZN7rocprim17ROCPRIM_400000_NS6detail17trampoline_kernelINS0_14default_configENS1_38merge_sort_block_merge_config_selectorIN6thrust23THRUST_200600_302600_NS4pairIiiEENS0_10empty_typeEEEZZNS1_27merge_sort_block_merge_implIS3_NS6_6detail15normal_iteratorINS6_10device_ptrIS8_EEEEPS9_mNS6_4lessIS8_EEEE10hipError_tT0_T1_T2_jT3_P12ihipStream_tbPNSt15iterator_traitsISL_E10value_typeEPNSR_ISM_E10value_typeEPSN_NS1_7vsmem_tEENKUlT_SL_SM_SN_E_clISG_PS8_SH_SH_EESK_S10_SL_SM_SN_EUlS10_E_NS1_11comp_targetILNS1_3genE0ELNS1_11target_archE4294967295ELNS1_3gpuE0ELNS1_3repE0EEENS1_48merge_mergepath_partition_config_static_selectorELNS0_4arch9wavefront6targetE1EEEvSM_
		.amdhsa_group_segment_fixed_size 0
		.amdhsa_private_segment_fixed_size 0
		.amdhsa_kernarg_size 48
		.amdhsa_user_sgpr_count 2
		.amdhsa_user_sgpr_dispatch_ptr 0
		.amdhsa_user_sgpr_queue_ptr 0
		.amdhsa_user_sgpr_kernarg_segment_ptr 1
		.amdhsa_user_sgpr_dispatch_id 0
		.amdhsa_user_sgpr_kernarg_preload_length 0
		.amdhsa_user_sgpr_kernarg_preload_offset 0
		.amdhsa_user_sgpr_private_segment_size 0
		.amdhsa_uses_dynamic_stack 0
		.amdhsa_enable_private_segment 0
		.amdhsa_system_sgpr_workgroup_id_x 1
		.amdhsa_system_sgpr_workgroup_id_y 0
		.amdhsa_system_sgpr_workgroup_id_z 0
		.amdhsa_system_sgpr_workgroup_info 0
		.amdhsa_system_vgpr_workitem_id 0
		.amdhsa_next_free_vgpr 20
		.amdhsa_next_free_sgpr 12
		.amdhsa_accum_offset 20
		.amdhsa_reserve_vcc 1
		.amdhsa_float_round_mode_32 0
		.amdhsa_float_round_mode_16_64 0
		.amdhsa_float_denorm_mode_32 3
		.amdhsa_float_denorm_mode_16_64 3
		.amdhsa_dx10_clamp 1
		.amdhsa_ieee_mode 1
		.amdhsa_fp16_overflow 0
		.amdhsa_tg_split 0
		.amdhsa_exception_fp_ieee_invalid_op 0
		.amdhsa_exception_fp_denorm_src 0
		.amdhsa_exception_fp_ieee_div_zero 0
		.amdhsa_exception_fp_ieee_overflow 0
		.amdhsa_exception_fp_ieee_underflow 0
		.amdhsa_exception_fp_ieee_inexact 0
		.amdhsa_exception_int_div_zero 0
	.end_amdhsa_kernel
	.section	.text._ZN7rocprim17ROCPRIM_400000_NS6detail17trampoline_kernelINS0_14default_configENS1_38merge_sort_block_merge_config_selectorIN6thrust23THRUST_200600_302600_NS4pairIiiEENS0_10empty_typeEEEZZNS1_27merge_sort_block_merge_implIS3_NS6_6detail15normal_iteratorINS6_10device_ptrIS8_EEEEPS9_mNS6_4lessIS8_EEEE10hipError_tT0_T1_T2_jT3_P12ihipStream_tbPNSt15iterator_traitsISL_E10value_typeEPNSR_ISM_E10value_typeEPSN_NS1_7vsmem_tEENKUlT_SL_SM_SN_E_clISG_PS8_SH_SH_EESK_S10_SL_SM_SN_EUlS10_E_NS1_11comp_targetILNS1_3genE0ELNS1_11target_archE4294967295ELNS1_3gpuE0ELNS1_3repE0EEENS1_48merge_mergepath_partition_config_static_selectorELNS0_4arch9wavefront6targetE1EEEvSM_,"axG",@progbits,_ZN7rocprim17ROCPRIM_400000_NS6detail17trampoline_kernelINS0_14default_configENS1_38merge_sort_block_merge_config_selectorIN6thrust23THRUST_200600_302600_NS4pairIiiEENS0_10empty_typeEEEZZNS1_27merge_sort_block_merge_implIS3_NS6_6detail15normal_iteratorINS6_10device_ptrIS8_EEEEPS9_mNS6_4lessIS8_EEEE10hipError_tT0_T1_T2_jT3_P12ihipStream_tbPNSt15iterator_traitsISL_E10value_typeEPNSR_ISM_E10value_typeEPSN_NS1_7vsmem_tEENKUlT_SL_SM_SN_E_clISG_PS8_SH_SH_EESK_S10_SL_SM_SN_EUlS10_E_NS1_11comp_targetILNS1_3genE0ELNS1_11target_archE4294967295ELNS1_3gpuE0ELNS1_3repE0EEENS1_48merge_mergepath_partition_config_static_selectorELNS0_4arch9wavefront6targetE1EEEvSM_,comdat
.Lfunc_end657:
	.size	_ZN7rocprim17ROCPRIM_400000_NS6detail17trampoline_kernelINS0_14default_configENS1_38merge_sort_block_merge_config_selectorIN6thrust23THRUST_200600_302600_NS4pairIiiEENS0_10empty_typeEEEZZNS1_27merge_sort_block_merge_implIS3_NS6_6detail15normal_iteratorINS6_10device_ptrIS8_EEEEPS9_mNS6_4lessIS8_EEEE10hipError_tT0_T1_T2_jT3_P12ihipStream_tbPNSt15iterator_traitsISL_E10value_typeEPNSR_ISM_E10value_typeEPSN_NS1_7vsmem_tEENKUlT_SL_SM_SN_E_clISG_PS8_SH_SH_EESK_S10_SL_SM_SN_EUlS10_E_NS1_11comp_targetILNS1_3genE0ELNS1_11target_archE4294967295ELNS1_3gpuE0ELNS1_3repE0EEENS1_48merge_mergepath_partition_config_static_selectorELNS0_4arch9wavefront6targetE1EEEvSM_, .Lfunc_end657-_ZN7rocprim17ROCPRIM_400000_NS6detail17trampoline_kernelINS0_14default_configENS1_38merge_sort_block_merge_config_selectorIN6thrust23THRUST_200600_302600_NS4pairIiiEENS0_10empty_typeEEEZZNS1_27merge_sort_block_merge_implIS3_NS6_6detail15normal_iteratorINS6_10device_ptrIS8_EEEEPS9_mNS6_4lessIS8_EEEE10hipError_tT0_T1_T2_jT3_P12ihipStream_tbPNSt15iterator_traitsISL_E10value_typeEPNSR_ISM_E10value_typeEPSN_NS1_7vsmem_tEENKUlT_SL_SM_SN_E_clISG_PS8_SH_SH_EESK_S10_SL_SM_SN_EUlS10_E_NS1_11comp_targetILNS1_3genE0ELNS1_11target_archE4294967295ELNS1_3gpuE0ELNS1_3repE0EEENS1_48merge_mergepath_partition_config_static_selectorELNS0_4arch9wavefront6targetE1EEEvSM_
                                        ; -- End function
	.set _ZN7rocprim17ROCPRIM_400000_NS6detail17trampoline_kernelINS0_14default_configENS1_38merge_sort_block_merge_config_selectorIN6thrust23THRUST_200600_302600_NS4pairIiiEENS0_10empty_typeEEEZZNS1_27merge_sort_block_merge_implIS3_NS6_6detail15normal_iteratorINS6_10device_ptrIS8_EEEEPS9_mNS6_4lessIS8_EEEE10hipError_tT0_T1_T2_jT3_P12ihipStream_tbPNSt15iterator_traitsISL_E10value_typeEPNSR_ISM_E10value_typeEPSN_NS1_7vsmem_tEENKUlT_SL_SM_SN_E_clISG_PS8_SH_SH_EESK_S10_SL_SM_SN_EUlS10_E_NS1_11comp_targetILNS1_3genE0ELNS1_11target_archE4294967295ELNS1_3gpuE0ELNS1_3repE0EEENS1_48merge_mergepath_partition_config_static_selectorELNS0_4arch9wavefront6targetE1EEEvSM_.num_vgpr, 20
	.set _ZN7rocprim17ROCPRIM_400000_NS6detail17trampoline_kernelINS0_14default_configENS1_38merge_sort_block_merge_config_selectorIN6thrust23THRUST_200600_302600_NS4pairIiiEENS0_10empty_typeEEEZZNS1_27merge_sort_block_merge_implIS3_NS6_6detail15normal_iteratorINS6_10device_ptrIS8_EEEEPS9_mNS6_4lessIS8_EEEE10hipError_tT0_T1_T2_jT3_P12ihipStream_tbPNSt15iterator_traitsISL_E10value_typeEPNSR_ISM_E10value_typeEPSN_NS1_7vsmem_tEENKUlT_SL_SM_SN_E_clISG_PS8_SH_SH_EESK_S10_SL_SM_SN_EUlS10_E_NS1_11comp_targetILNS1_3genE0ELNS1_11target_archE4294967295ELNS1_3gpuE0ELNS1_3repE0EEENS1_48merge_mergepath_partition_config_static_selectorELNS0_4arch9wavefront6targetE1EEEvSM_.num_agpr, 0
	.set _ZN7rocprim17ROCPRIM_400000_NS6detail17trampoline_kernelINS0_14default_configENS1_38merge_sort_block_merge_config_selectorIN6thrust23THRUST_200600_302600_NS4pairIiiEENS0_10empty_typeEEEZZNS1_27merge_sort_block_merge_implIS3_NS6_6detail15normal_iteratorINS6_10device_ptrIS8_EEEEPS9_mNS6_4lessIS8_EEEE10hipError_tT0_T1_T2_jT3_P12ihipStream_tbPNSt15iterator_traitsISL_E10value_typeEPNSR_ISM_E10value_typeEPSN_NS1_7vsmem_tEENKUlT_SL_SM_SN_E_clISG_PS8_SH_SH_EESK_S10_SL_SM_SN_EUlS10_E_NS1_11comp_targetILNS1_3genE0ELNS1_11target_archE4294967295ELNS1_3gpuE0ELNS1_3repE0EEENS1_48merge_mergepath_partition_config_static_selectorELNS0_4arch9wavefront6targetE1EEEvSM_.numbered_sgpr, 12
	.set _ZN7rocprim17ROCPRIM_400000_NS6detail17trampoline_kernelINS0_14default_configENS1_38merge_sort_block_merge_config_selectorIN6thrust23THRUST_200600_302600_NS4pairIiiEENS0_10empty_typeEEEZZNS1_27merge_sort_block_merge_implIS3_NS6_6detail15normal_iteratorINS6_10device_ptrIS8_EEEEPS9_mNS6_4lessIS8_EEEE10hipError_tT0_T1_T2_jT3_P12ihipStream_tbPNSt15iterator_traitsISL_E10value_typeEPNSR_ISM_E10value_typeEPSN_NS1_7vsmem_tEENKUlT_SL_SM_SN_E_clISG_PS8_SH_SH_EESK_S10_SL_SM_SN_EUlS10_E_NS1_11comp_targetILNS1_3genE0ELNS1_11target_archE4294967295ELNS1_3gpuE0ELNS1_3repE0EEENS1_48merge_mergepath_partition_config_static_selectorELNS0_4arch9wavefront6targetE1EEEvSM_.num_named_barrier, 0
	.set _ZN7rocprim17ROCPRIM_400000_NS6detail17trampoline_kernelINS0_14default_configENS1_38merge_sort_block_merge_config_selectorIN6thrust23THRUST_200600_302600_NS4pairIiiEENS0_10empty_typeEEEZZNS1_27merge_sort_block_merge_implIS3_NS6_6detail15normal_iteratorINS6_10device_ptrIS8_EEEEPS9_mNS6_4lessIS8_EEEE10hipError_tT0_T1_T2_jT3_P12ihipStream_tbPNSt15iterator_traitsISL_E10value_typeEPNSR_ISM_E10value_typeEPSN_NS1_7vsmem_tEENKUlT_SL_SM_SN_E_clISG_PS8_SH_SH_EESK_S10_SL_SM_SN_EUlS10_E_NS1_11comp_targetILNS1_3genE0ELNS1_11target_archE4294967295ELNS1_3gpuE0ELNS1_3repE0EEENS1_48merge_mergepath_partition_config_static_selectorELNS0_4arch9wavefront6targetE1EEEvSM_.private_seg_size, 0
	.set _ZN7rocprim17ROCPRIM_400000_NS6detail17trampoline_kernelINS0_14default_configENS1_38merge_sort_block_merge_config_selectorIN6thrust23THRUST_200600_302600_NS4pairIiiEENS0_10empty_typeEEEZZNS1_27merge_sort_block_merge_implIS3_NS6_6detail15normal_iteratorINS6_10device_ptrIS8_EEEEPS9_mNS6_4lessIS8_EEEE10hipError_tT0_T1_T2_jT3_P12ihipStream_tbPNSt15iterator_traitsISL_E10value_typeEPNSR_ISM_E10value_typeEPSN_NS1_7vsmem_tEENKUlT_SL_SM_SN_E_clISG_PS8_SH_SH_EESK_S10_SL_SM_SN_EUlS10_E_NS1_11comp_targetILNS1_3genE0ELNS1_11target_archE4294967295ELNS1_3gpuE0ELNS1_3repE0EEENS1_48merge_mergepath_partition_config_static_selectorELNS0_4arch9wavefront6targetE1EEEvSM_.uses_vcc, 1
	.set _ZN7rocprim17ROCPRIM_400000_NS6detail17trampoline_kernelINS0_14default_configENS1_38merge_sort_block_merge_config_selectorIN6thrust23THRUST_200600_302600_NS4pairIiiEENS0_10empty_typeEEEZZNS1_27merge_sort_block_merge_implIS3_NS6_6detail15normal_iteratorINS6_10device_ptrIS8_EEEEPS9_mNS6_4lessIS8_EEEE10hipError_tT0_T1_T2_jT3_P12ihipStream_tbPNSt15iterator_traitsISL_E10value_typeEPNSR_ISM_E10value_typeEPSN_NS1_7vsmem_tEENKUlT_SL_SM_SN_E_clISG_PS8_SH_SH_EESK_S10_SL_SM_SN_EUlS10_E_NS1_11comp_targetILNS1_3genE0ELNS1_11target_archE4294967295ELNS1_3gpuE0ELNS1_3repE0EEENS1_48merge_mergepath_partition_config_static_selectorELNS0_4arch9wavefront6targetE1EEEvSM_.uses_flat_scratch, 0
	.set _ZN7rocprim17ROCPRIM_400000_NS6detail17trampoline_kernelINS0_14default_configENS1_38merge_sort_block_merge_config_selectorIN6thrust23THRUST_200600_302600_NS4pairIiiEENS0_10empty_typeEEEZZNS1_27merge_sort_block_merge_implIS3_NS6_6detail15normal_iteratorINS6_10device_ptrIS8_EEEEPS9_mNS6_4lessIS8_EEEE10hipError_tT0_T1_T2_jT3_P12ihipStream_tbPNSt15iterator_traitsISL_E10value_typeEPNSR_ISM_E10value_typeEPSN_NS1_7vsmem_tEENKUlT_SL_SM_SN_E_clISG_PS8_SH_SH_EESK_S10_SL_SM_SN_EUlS10_E_NS1_11comp_targetILNS1_3genE0ELNS1_11target_archE4294967295ELNS1_3gpuE0ELNS1_3repE0EEENS1_48merge_mergepath_partition_config_static_selectorELNS0_4arch9wavefront6targetE1EEEvSM_.has_dyn_sized_stack, 0
	.set _ZN7rocprim17ROCPRIM_400000_NS6detail17trampoline_kernelINS0_14default_configENS1_38merge_sort_block_merge_config_selectorIN6thrust23THRUST_200600_302600_NS4pairIiiEENS0_10empty_typeEEEZZNS1_27merge_sort_block_merge_implIS3_NS6_6detail15normal_iteratorINS6_10device_ptrIS8_EEEEPS9_mNS6_4lessIS8_EEEE10hipError_tT0_T1_T2_jT3_P12ihipStream_tbPNSt15iterator_traitsISL_E10value_typeEPNSR_ISM_E10value_typeEPSN_NS1_7vsmem_tEENKUlT_SL_SM_SN_E_clISG_PS8_SH_SH_EESK_S10_SL_SM_SN_EUlS10_E_NS1_11comp_targetILNS1_3genE0ELNS1_11target_archE4294967295ELNS1_3gpuE0ELNS1_3repE0EEENS1_48merge_mergepath_partition_config_static_selectorELNS0_4arch9wavefront6targetE1EEEvSM_.has_recursion, 0
	.set _ZN7rocprim17ROCPRIM_400000_NS6detail17trampoline_kernelINS0_14default_configENS1_38merge_sort_block_merge_config_selectorIN6thrust23THRUST_200600_302600_NS4pairIiiEENS0_10empty_typeEEEZZNS1_27merge_sort_block_merge_implIS3_NS6_6detail15normal_iteratorINS6_10device_ptrIS8_EEEEPS9_mNS6_4lessIS8_EEEE10hipError_tT0_T1_T2_jT3_P12ihipStream_tbPNSt15iterator_traitsISL_E10value_typeEPNSR_ISM_E10value_typeEPSN_NS1_7vsmem_tEENKUlT_SL_SM_SN_E_clISG_PS8_SH_SH_EESK_S10_SL_SM_SN_EUlS10_E_NS1_11comp_targetILNS1_3genE0ELNS1_11target_archE4294967295ELNS1_3gpuE0ELNS1_3repE0EEENS1_48merge_mergepath_partition_config_static_selectorELNS0_4arch9wavefront6targetE1EEEvSM_.has_indirect_call, 0
	.section	.AMDGPU.csdata,"",@progbits
; Kernel info:
; codeLenInByte = 496
; TotalNumSgprs: 18
; NumVgprs: 20
; NumAgprs: 0
; TotalNumVgprs: 20
; ScratchSize: 0
; MemoryBound: 0
; FloatMode: 240
; IeeeMode: 1
; LDSByteSize: 0 bytes/workgroup (compile time only)
; SGPRBlocks: 2
; VGPRBlocks: 2
; NumSGPRsForWavesPerEU: 18
; NumVGPRsForWavesPerEU: 20
; AccumOffset: 20
; Occupancy: 8
; WaveLimiterHint : 0
; COMPUTE_PGM_RSRC2:SCRATCH_EN: 0
; COMPUTE_PGM_RSRC2:USER_SGPR: 2
; COMPUTE_PGM_RSRC2:TRAP_HANDLER: 0
; COMPUTE_PGM_RSRC2:TGID_X_EN: 1
; COMPUTE_PGM_RSRC2:TGID_Y_EN: 0
; COMPUTE_PGM_RSRC2:TGID_Z_EN: 0
; COMPUTE_PGM_RSRC2:TIDIG_COMP_CNT: 0
; COMPUTE_PGM_RSRC3_GFX90A:ACCUM_OFFSET: 4
; COMPUTE_PGM_RSRC3_GFX90A:TG_SPLIT: 0
	.section	.text._ZN7rocprim17ROCPRIM_400000_NS6detail17trampoline_kernelINS0_14default_configENS1_38merge_sort_block_merge_config_selectorIN6thrust23THRUST_200600_302600_NS4pairIiiEENS0_10empty_typeEEEZZNS1_27merge_sort_block_merge_implIS3_NS6_6detail15normal_iteratorINS6_10device_ptrIS8_EEEEPS9_mNS6_4lessIS8_EEEE10hipError_tT0_T1_T2_jT3_P12ihipStream_tbPNSt15iterator_traitsISL_E10value_typeEPNSR_ISM_E10value_typeEPSN_NS1_7vsmem_tEENKUlT_SL_SM_SN_E_clISG_PS8_SH_SH_EESK_S10_SL_SM_SN_EUlS10_E_NS1_11comp_targetILNS1_3genE10ELNS1_11target_archE1201ELNS1_3gpuE5ELNS1_3repE0EEENS1_48merge_mergepath_partition_config_static_selectorELNS0_4arch9wavefront6targetE1EEEvSM_,"axG",@progbits,_ZN7rocprim17ROCPRIM_400000_NS6detail17trampoline_kernelINS0_14default_configENS1_38merge_sort_block_merge_config_selectorIN6thrust23THRUST_200600_302600_NS4pairIiiEENS0_10empty_typeEEEZZNS1_27merge_sort_block_merge_implIS3_NS6_6detail15normal_iteratorINS6_10device_ptrIS8_EEEEPS9_mNS6_4lessIS8_EEEE10hipError_tT0_T1_T2_jT3_P12ihipStream_tbPNSt15iterator_traitsISL_E10value_typeEPNSR_ISM_E10value_typeEPSN_NS1_7vsmem_tEENKUlT_SL_SM_SN_E_clISG_PS8_SH_SH_EESK_S10_SL_SM_SN_EUlS10_E_NS1_11comp_targetILNS1_3genE10ELNS1_11target_archE1201ELNS1_3gpuE5ELNS1_3repE0EEENS1_48merge_mergepath_partition_config_static_selectorELNS0_4arch9wavefront6targetE1EEEvSM_,comdat
	.protected	_ZN7rocprim17ROCPRIM_400000_NS6detail17trampoline_kernelINS0_14default_configENS1_38merge_sort_block_merge_config_selectorIN6thrust23THRUST_200600_302600_NS4pairIiiEENS0_10empty_typeEEEZZNS1_27merge_sort_block_merge_implIS3_NS6_6detail15normal_iteratorINS6_10device_ptrIS8_EEEEPS9_mNS6_4lessIS8_EEEE10hipError_tT0_T1_T2_jT3_P12ihipStream_tbPNSt15iterator_traitsISL_E10value_typeEPNSR_ISM_E10value_typeEPSN_NS1_7vsmem_tEENKUlT_SL_SM_SN_E_clISG_PS8_SH_SH_EESK_S10_SL_SM_SN_EUlS10_E_NS1_11comp_targetILNS1_3genE10ELNS1_11target_archE1201ELNS1_3gpuE5ELNS1_3repE0EEENS1_48merge_mergepath_partition_config_static_selectorELNS0_4arch9wavefront6targetE1EEEvSM_ ; -- Begin function _ZN7rocprim17ROCPRIM_400000_NS6detail17trampoline_kernelINS0_14default_configENS1_38merge_sort_block_merge_config_selectorIN6thrust23THRUST_200600_302600_NS4pairIiiEENS0_10empty_typeEEEZZNS1_27merge_sort_block_merge_implIS3_NS6_6detail15normal_iteratorINS6_10device_ptrIS8_EEEEPS9_mNS6_4lessIS8_EEEE10hipError_tT0_T1_T2_jT3_P12ihipStream_tbPNSt15iterator_traitsISL_E10value_typeEPNSR_ISM_E10value_typeEPSN_NS1_7vsmem_tEENKUlT_SL_SM_SN_E_clISG_PS8_SH_SH_EESK_S10_SL_SM_SN_EUlS10_E_NS1_11comp_targetILNS1_3genE10ELNS1_11target_archE1201ELNS1_3gpuE5ELNS1_3repE0EEENS1_48merge_mergepath_partition_config_static_selectorELNS0_4arch9wavefront6targetE1EEEvSM_
	.globl	_ZN7rocprim17ROCPRIM_400000_NS6detail17trampoline_kernelINS0_14default_configENS1_38merge_sort_block_merge_config_selectorIN6thrust23THRUST_200600_302600_NS4pairIiiEENS0_10empty_typeEEEZZNS1_27merge_sort_block_merge_implIS3_NS6_6detail15normal_iteratorINS6_10device_ptrIS8_EEEEPS9_mNS6_4lessIS8_EEEE10hipError_tT0_T1_T2_jT3_P12ihipStream_tbPNSt15iterator_traitsISL_E10value_typeEPNSR_ISM_E10value_typeEPSN_NS1_7vsmem_tEENKUlT_SL_SM_SN_E_clISG_PS8_SH_SH_EESK_S10_SL_SM_SN_EUlS10_E_NS1_11comp_targetILNS1_3genE10ELNS1_11target_archE1201ELNS1_3gpuE5ELNS1_3repE0EEENS1_48merge_mergepath_partition_config_static_selectorELNS0_4arch9wavefront6targetE1EEEvSM_
	.p2align	8
	.type	_ZN7rocprim17ROCPRIM_400000_NS6detail17trampoline_kernelINS0_14default_configENS1_38merge_sort_block_merge_config_selectorIN6thrust23THRUST_200600_302600_NS4pairIiiEENS0_10empty_typeEEEZZNS1_27merge_sort_block_merge_implIS3_NS6_6detail15normal_iteratorINS6_10device_ptrIS8_EEEEPS9_mNS6_4lessIS8_EEEE10hipError_tT0_T1_T2_jT3_P12ihipStream_tbPNSt15iterator_traitsISL_E10value_typeEPNSR_ISM_E10value_typeEPSN_NS1_7vsmem_tEENKUlT_SL_SM_SN_E_clISG_PS8_SH_SH_EESK_S10_SL_SM_SN_EUlS10_E_NS1_11comp_targetILNS1_3genE10ELNS1_11target_archE1201ELNS1_3gpuE5ELNS1_3repE0EEENS1_48merge_mergepath_partition_config_static_selectorELNS0_4arch9wavefront6targetE1EEEvSM_,@function
_ZN7rocprim17ROCPRIM_400000_NS6detail17trampoline_kernelINS0_14default_configENS1_38merge_sort_block_merge_config_selectorIN6thrust23THRUST_200600_302600_NS4pairIiiEENS0_10empty_typeEEEZZNS1_27merge_sort_block_merge_implIS3_NS6_6detail15normal_iteratorINS6_10device_ptrIS8_EEEEPS9_mNS6_4lessIS8_EEEE10hipError_tT0_T1_T2_jT3_P12ihipStream_tbPNSt15iterator_traitsISL_E10value_typeEPNSR_ISM_E10value_typeEPSN_NS1_7vsmem_tEENKUlT_SL_SM_SN_E_clISG_PS8_SH_SH_EESK_S10_SL_SM_SN_EUlS10_E_NS1_11comp_targetILNS1_3genE10ELNS1_11target_archE1201ELNS1_3gpuE5ELNS1_3repE0EEENS1_48merge_mergepath_partition_config_static_selectorELNS0_4arch9wavefront6targetE1EEEvSM_: ; @_ZN7rocprim17ROCPRIM_400000_NS6detail17trampoline_kernelINS0_14default_configENS1_38merge_sort_block_merge_config_selectorIN6thrust23THRUST_200600_302600_NS4pairIiiEENS0_10empty_typeEEEZZNS1_27merge_sort_block_merge_implIS3_NS6_6detail15normal_iteratorINS6_10device_ptrIS8_EEEEPS9_mNS6_4lessIS8_EEEE10hipError_tT0_T1_T2_jT3_P12ihipStream_tbPNSt15iterator_traitsISL_E10value_typeEPNSR_ISM_E10value_typeEPSN_NS1_7vsmem_tEENKUlT_SL_SM_SN_E_clISG_PS8_SH_SH_EESK_S10_SL_SM_SN_EUlS10_E_NS1_11comp_targetILNS1_3genE10ELNS1_11target_archE1201ELNS1_3gpuE5ELNS1_3repE0EEENS1_48merge_mergepath_partition_config_static_selectorELNS0_4arch9wavefront6targetE1EEEvSM_
; %bb.0:
	.section	.rodata,"a",@progbits
	.p2align	6, 0x0
	.amdhsa_kernel _ZN7rocprim17ROCPRIM_400000_NS6detail17trampoline_kernelINS0_14default_configENS1_38merge_sort_block_merge_config_selectorIN6thrust23THRUST_200600_302600_NS4pairIiiEENS0_10empty_typeEEEZZNS1_27merge_sort_block_merge_implIS3_NS6_6detail15normal_iteratorINS6_10device_ptrIS8_EEEEPS9_mNS6_4lessIS8_EEEE10hipError_tT0_T1_T2_jT3_P12ihipStream_tbPNSt15iterator_traitsISL_E10value_typeEPNSR_ISM_E10value_typeEPSN_NS1_7vsmem_tEENKUlT_SL_SM_SN_E_clISG_PS8_SH_SH_EESK_S10_SL_SM_SN_EUlS10_E_NS1_11comp_targetILNS1_3genE10ELNS1_11target_archE1201ELNS1_3gpuE5ELNS1_3repE0EEENS1_48merge_mergepath_partition_config_static_selectorELNS0_4arch9wavefront6targetE1EEEvSM_
		.amdhsa_group_segment_fixed_size 0
		.amdhsa_private_segment_fixed_size 0
		.amdhsa_kernarg_size 48
		.amdhsa_user_sgpr_count 2
		.amdhsa_user_sgpr_dispatch_ptr 0
		.amdhsa_user_sgpr_queue_ptr 0
		.amdhsa_user_sgpr_kernarg_segment_ptr 1
		.amdhsa_user_sgpr_dispatch_id 0
		.amdhsa_user_sgpr_kernarg_preload_length 0
		.amdhsa_user_sgpr_kernarg_preload_offset 0
		.amdhsa_user_sgpr_private_segment_size 0
		.amdhsa_uses_dynamic_stack 0
		.amdhsa_enable_private_segment 0
		.amdhsa_system_sgpr_workgroup_id_x 1
		.amdhsa_system_sgpr_workgroup_id_y 0
		.amdhsa_system_sgpr_workgroup_id_z 0
		.amdhsa_system_sgpr_workgroup_info 0
		.amdhsa_system_vgpr_workitem_id 0
		.amdhsa_next_free_vgpr 1
		.amdhsa_next_free_sgpr 0
		.amdhsa_accum_offset 4
		.amdhsa_reserve_vcc 0
		.amdhsa_float_round_mode_32 0
		.amdhsa_float_round_mode_16_64 0
		.amdhsa_float_denorm_mode_32 3
		.amdhsa_float_denorm_mode_16_64 3
		.amdhsa_dx10_clamp 1
		.amdhsa_ieee_mode 1
		.amdhsa_fp16_overflow 0
		.amdhsa_tg_split 0
		.amdhsa_exception_fp_ieee_invalid_op 0
		.amdhsa_exception_fp_denorm_src 0
		.amdhsa_exception_fp_ieee_div_zero 0
		.amdhsa_exception_fp_ieee_overflow 0
		.amdhsa_exception_fp_ieee_underflow 0
		.amdhsa_exception_fp_ieee_inexact 0
		.amdhsa_exception_int_div_zero 0
	.end_amdhsa_kernel
	.section	.text._ZN7rocprim17ROCPRIM_400000_NS6detail17trampoline_kernelINS0_14default_configENS1_38merge_sort_block_merge_config_selectorIN6thrust23THRUST_200600_302600_NS4pairIiiEENS0_10empty_typeEEEZZNS1_27merge_sort_block_merge_implIS3_NS6_6detail15normal_iteratorINS6_10device_ptrIS8_EEEEPS9_mNS6_4lessIS8_EEEE10hipError_tT0_T1_T2_jT3_P12ihipStream_tbPNSt15iterator_traitsISL_E10value_typeEPNSR_ISM_E10value_typeEPSN_NS1_7vsmem_tEENKUlT_SL_SM_SN_E_clISG_PS8_SH_SH_EESK_S10_SL_SM_SN_EUlS10_E_NS1_11comp_targetILNS1_3genE10ELNS1_11target_archE1201ELNS1_3gpuE5ELNS1_3repE0EEENS1_48merge_mergepath_partition_config_static_selectorELNS0_4arch9wavefront6targetE1EEEvSM_,"axG",@progbits,_ZN7rocprim17ROCPRIM_400000_NS6detail17trampoline_kernelINS0_14default_configENS1_38merge_sort_block_merge_config_selectorIN6thrust23THRUST_200600_302600_NS4pairIiiEENS0_10empty_typeEEEZZNS1_27merge_sort_block_merge_implIS3_NS6_6detail15normal_iteratorINS6_10device_ptrIS8_EEEEPS9_mNS6_4lessIS8_EEEE10hipError_tT0_T1_T2_jT3_P12ihipStream_tbPNSt15iterator_traitsISL_E10value_typeEPNSR_ISM_E10value_typeEPSN_NS1_7vsmem_tEENKUlT_SL_SM_SN_E_clISG_PS8_SH_SH_EESK_S10_SL_SM_SN_EUlS10_E_NS1_11comp_targetILNS1_3genE10ELNS1_11target_archE1201ELNS1_3gpuE5ELNS1_3repE0EEENS1_48merge_mergepath_partition_config_static_selectorELNS0_4arch9wavefront6targetE1EEEvSM_,comdat
.Lfunc_end658:
	.size	_ZN7rocprim17ROCPRIM_400000_NS6detail17trampoline_kernelINS0_14default_configENS1_38merge_sort_block_merge_config_selectorIN6thrust23THRUST_200600_302600_NS4pairIiiEENS0_10empty_typeEEEZZNS1_27merge_sort_block_merge_implIS3_NS6_6detail15normal_iteratorINS6_10device_ptrIS8_EEEEPS9_mNS6_4lessIS8_EEEE10hipError_tT0_T1_T2_jT3_P12ihipStream_tbPNSt15iterator_traitsISL_E10value_typeEPNSR_ISM_E10value_typeEPSN_NS1_7vsmem_tEENKUlT_SL_SM_SN_E_clISG_PS8_SH_SH_EESK_S10_SL_SM_SN_EUlS10_E_NS1_11comp_targetILNS1_3genE10ELNS1_11target_archE1201ELNS1_3gpuE5ELNS1_3repE0EEENS1_48merge_mergepath_partition_config_static_selectorELNS0_4arch9wavefront6targetE1EEEvSM_, .Lfunc_end658-_ZN7rocprim17ROCPRIM_400000_NS6detail17trampoline_kernelINS0_14default_configENS1_38merge_sort_block_merge_config_selectorIN6thrust23THRUST_200600_302600_NS4pairIiiEENS0_10empty_typeEEEZZNS1_27merge_sort_block_merge_implIS3_NS6_6detail15normal_iteratorINS6_10device_ptrIS8_EEEEPS9_mNS6_4lessIS8_EEEE10hipError_tT0_T1_T2_jT3_P12ihipStream_tbPNSt15iterator_traitsISL_E10value_typeEPNSR_ISM_E10value_typeEPSN_NS1_7vsmem_tEENKUlT_SL_SM_SN_E_clISG_PS8_SH_SH_EESK_S10_SL_SM_SN_EUlS10_E_NS1_11comp_targetILNS1_3genE10ELNS1_11target_archE1201ELNS1_3gpuE5ELNS1_3repE0EEENS1_48merge_mergepath_partition_config_static_selectorELNS0_4arch9wavefront6targetE1EEEvSM_
                                        ; -- End function
	.set _ZN7rocprim17ROCPRIM_400000_NS6detail17trampoline_kernelINS0_14default_configENS1_38merge_sort_block_merge_config_selectorIN6thrust23THRUST_200600_302600_NS4pairIiiEENS0_10empty_typeEEEZZNS1_27merge_sort_block_merge_implIS3_NS6_6detail15normal_iteratorINS6_10device_ptrIS8_EEEEPS9_mNS6_4lessIS8_EEEE10hipError_tT0_T1_T2_jT3_P12ihipStream_tbPNSt15iterator_traitsISL_E10value_typeEPNSR_ISM_E10value_typeEPSN_NS1_7vsmem_tEENKUlT_SL_SM_SN_E_clISG_PS8_SH_SH_EESK_S10_SL_SM_SN_EUlS10_E_NS1_11comp_targetILNS1_3genE10ELNS1_11target_archE1201ELNS1_3gpuE5ELNS1_3repE0EEENS1_48merge_mergepath_partition_config_static_selectorELNS0_4arch9wavefront6targetE1EEEvSM_.num_vgpr, 0
	.set _ZN7rocprim17ROCPRIM_400000_NS6detail17trampoline_kernelINS0_14default_configENS1_38merge_sort_block_merge_config_selectorIN6thrust23THRUST_200600_302600_NS4pairIiiEENS0_10empty_typeEEEZZNS1_27merge_sort_block_merge_implIS3_NS6_6detail15normal_iteratorINS6_10device_ptrIS8_EEEEPS9_mNS6_4lessIS8_EEEE10hipError_tT0_T1_T2_jT3_P12ihipStream_tbPNSt15iterator_traitsISL_E10value_typeEPNSR_ISM_E10value_typeEPSN_NS1_7vsmem_tEENKUlT_SL_SM_SN_E_clISG_PS8_SH_SH_EESK_S10_SL_SM_SN_EUlS10_E_NS1_11comp_targetILNS1_3genE10ELNS1_11target_archE1201ELNS1_3gpuE5ELNS1_3repE0EEENS1_48merge_mergepath_partition_config_static_selectorELNS0_4arch9wavefront6targetE1EEEvSM_.num_agpr, 0
	.set _ZN7rocprim17ROCPRIM_400000_NS6detail17trampoline_kernelINS0_14default_configENS1_38merge_sort_block_merge_config_selectorIN6thrust23THRUST_200600_302600_NS4pairIiiEENS0_10empty_typeEEEZZNS1_27merge_sort_block_merge_implIS3_NS6_6detail15normal_iteratorINS6_10device_ptrIS8_EEEEPS9_mNS6_4lessIS8_EEEE10hipError_tT0_T1_T2_jT3_P12ihipStream_tbPNSt15iterator_traitsISL_E10value_typeEPNSR_ISM_E10value_typeEPSN_NS1_7vsmem_tEENKUlT_SL_SM_SN_E_clISG_PS8_SH_SH_EESK_S10_SL_SM_SN_EUlS10_E_NS1_11comp_targetILNS1_3genE10ELNS1_11target_archE1201ELNS1_3gpuE5ELNS1_3repE0EEENS1_48merge_mergepath_partition_config_static_selectorELNS0_4arch9wavefront6targetE1EEEvSM_.numbered_sgpr, 0
	.set _ZN7rocprim17ROCPRIM_400000_NS6detail17trampoline_kernelINS0_14default_configENS1_38merge_sort_block_merge_config_selectorIN6thrust23THRUST_200600_302600_NS4pairIiiEENS0_10empty_typeEEEZZNS1_27merge_sort_block_merge_implIS3_NS6_6detail15normal_iteratorINS6_10device_ptrIS8_EEEEPS9_mNS6_4lessIS8_EEEE10hipError_tT0_T1_T2_jT3_P12ihipStream_tbPNSt15iterator_traitsISL_E10value_typeEPNSR_ISM_E10value_typeEPSN_NS1_7vsmem_tEENKUlT_SL_SM_SN_E_clISG_PS8_SH_SH_EESK_S10_SL_SM_SN_EUlS10_E_NS1_11comp_targetILNS1_3genE10ELNS1_11target_archE1201ELNS1_3gpuE5ELNS1_3repE0EEENS1_48merge_mergepath_partition_config_static_selectorELNS0_4arch9wavefront6targetE1EEEvSM_.num_named_barrier, 0
	.set _ZN7rocprim17ROCPRIM_400000_NS6detail17trampoline_kernelINS0_14default_configENS1_38merge_sort_block_merge_config_selectorIN6thrust23THRUST_200600_302600_NS4pairIiiEENS0_10empty_typeEEEZZNS1_27merge_sort_block_merge_implIS3_NS6_6detail15normal_iteratorINS6_10device_ptrIS8_EEEEPS9_mNS6_4lessIS8_EEEE10hipError_tT0_T1_T2_jT3_P12ihipStream_tbPNSt15iterator_traitsISL_E10value_typeEPNSR_ISM_E10value_typeEPSN_NS1_7vsmem_tEENKUlT_SL_SM_SN_E_clISG_PS8_SH_SH_EESK_S10_SL_SM_SN_EUlS10_E_NS1_11comp_targetILNS1_3genE10ELNS1_11target_archE1201ELNS1_3gpuE5ELNS1_3repE0EEENS1_48merge_mergepath_partition_config_static_selectorELNS0_4arch9wavefront6targetE1EEEvSM_.private_seg_size, 0
	.set _ZN7rocprim17ROCPRIM_400000_NS6detail17trampoline_kernelINS0_14default_configENS1_38merge_sort_block_merge_config_selectorIN6thrust23THRUST_200600_302600_NS4pairIiiEENS0_10empty_typeEEEZZNS1_27merge_sort_block_merge_implIS3_NS6_6detail15normal_iteratorINS6_10device_ptrIS8_EEEEPS9_mNS6_4lessIS8_EEEE10hipError_tT0_T1_T2_jT3_P12ihipStream_tbPNSt15iterator_traitsISL_E10value_typeEPNSR_ISM_E10value_typeEPSN_NS1_7vsmem_tEENKUlT_SL_SM_SN_E_clISG_PS8_SH_SH_EESK_S10_SL_SM_SN_EUlS10_E_NS1_11comp_targetILNS1_3genE10ELNS1_11target_archE1201ELNS1_3gpuE5ELNS1_3repE0EEENS1_48merge_mergepath_partition_config_static_selectorELNS0_4arch9wavefront6targetE1EEEvSM_.uses_vcc, 0
	.set _ZN7rocprim17ROCPRIM_400000_NS6detail17trampoline_kernelINS0_14default_configENS1_38merge_sort_block_merge_config_selectorIN6thrust23THRUST_200600_302600_NS4pairIiiEENS0_10empty_typeEEEZZNS1_27merge_sort_block_merge_implIS3_NS6_6detail15normal_iteratorINS6_10device_ptrIS8_EEEEPS9_mNS6_4lessIS8_EEEE10hipError_tT0_T1_T2_jT3_P12ihipStream_tbPNSt15iterator_traitsISL_E10value_typeEPNSR_ISM_E10value_typeEPSN_NS1_7vsmem_tEENKUlT_SL_SM_SN_E_clISG_PS8_SH_SH_EESK_S10_SL_SM_SN_EUlS10_E_NS1_11comp_targetILNS1_3genE10ELNS1_11target_archE1201ELNS1_3gpuE5ELNS1_3repE0EEENS1_48merge_mergepath_partition_config_static_selectorELNS0_4arch9wavefront6targetE1EEEvSM_.uses_flat_scratch, 0
	.set _ZN7rocprim17ROCPRIM_400000_NS6detail17trampoline_kernelINS0_14default_configENS1_38merge_sort_block_merge_config_selectorIN6thrust23THRUST_200600_302600_NS4pairIiiEENS0_10empty_typeEEEZZNS1_27merge_sort_block_merge_implIS3_NS6_6detail15normal_iteratorINS6_10device_ptrIS8_EEEEPS9_mNS6_4lessIS8_EEEE10hipError_tT0_T1_T2_jT3_P12ihipStream_tbPNSt15iterator_traitsISL_E10value_typeEPNSR_ISM_E10value_typeEPSN_NS1_7vsmem_tEENKUlT_SL_SM_SN_E_clISG_PS8_SH_SH_EESK_S10_SL_SM_SN_EUlS10_E_NS1_11comp_targetILNS1_3genE10ELNS1_11target_archE1201ELNS1_3gpuE5ELNS1_3repE0EEENS1_48merge_mergepath_partition_config_static_selectorELNS0_4arch9wavefront6targetE1EEEvSM_.has_dyn_sized_stack, 0
	.set _ZN7rocprim17ROCPRIM_400000_NS6detail17trampoline_kernelINS0_14default_configENS1_38merge_sort_block_merge_config_selectorIN6thrust23THRUST_200600_302600_NS4pairIiiEENS0_10empty_typeEEEZZNS1_27merge_sort_block_merge_implIS3_NS6_6detail15normal_iteratorINS6_10device_ptrIS8_EEEEPS9_mNS6_4lessIS8_EEEE10hipError_tT0_T1_T2_jT3_P12ihipStream_tbPNSt15iterator_traitsISL_E10value_typeEPNSR_ISM_E10value_typeEPSN_NS1_7vsmem_tEENKUlT_SL_SM_SN_E_clISG_PS8_SH_SH_EESK_S10_SL_SM_SN_EUlS10_E_NS1_11comp_targetILNS1_3genE10ELNS1_11target_archE1201ELNS1_3gpuE5ELNS1_3repE0EEENS1_48merge_mergepath_partition_config_static_selectorELNS0_4arch9wavefront6targetE1EEEvSM_.has_recursion, 0
	.set _ZN7rocprim17ROCPRIM_400000_NS6detail17trampoline_kernelINS0_14default_configENS1_38merge_sort_block_merge_config_selectorIN6thrust23THRUST_200600_302600_NS4pairIiiEENS0_10empty_typeEEEZZNS1_27merge_sort_block_merge_implIS3_NS6_6detail15normal_iteratorINS6_10device_ptrIS8_EEEEPS9_mNS6_4lessIS8_EEEE10hipError_tT0_T1_T2_jT3_P12ihipStream_tbPNSt15iterator_traitsISL_E10value_typeEPNSR_ISM_E10value_typeEPSN_NS1_7vsmem_tEENKUlT_SL_SM_SN_E_clISG_PS8_SH_SH_EESK_S10_SL_SM_SN_EUlS10_E_NS1_11comp_targetILNS1_3genE10ELNS1_11target_archE1201ELNS1_3gpuE5ELNS1_3repE0EEENS1_48merge_mergepath_partition_config_static_selectorELNS0_4arch9wavefront6targetE1EEEvSM_.has_indirect_call, 0
	.section	.AMDGPU.csdata,"",@progbits
; Kernel info:
; codeLenInByte = 0
; TotalNumSgprs: 6
; NumVgprs: 0
; NumAgprs: 0
; TotalNumVgprs: 0
; ScratchSize: 0
; MemoryBound: 0
; FloatMode: 240
; IeeeMode: 1
; LDSByteSize: 0 bytes/workgroup (compile time only)
; SGPRBlocks: 0
; VGPRBlocks: 0
; NumSGPRsForWavesPerEU: 6
; NumVGPRsForWavesPerEU: 1
; AccumOffset: 4
; Occupancy: 8
; WaveLimiterHint : 0
; COMPUTE_PGM_RSRC2:SCRATCH_EN: 0
; COMPUTE_PGM_RSRC2:USER_SGPR: 2
; COMPUTE_PGM_RSRC2:TRAP_HANDLER: 0
; COMPUTE_PGM_RSRC2:TGID_X_EN: 1
; COMPUTE_PGM_RSRC2:TGID_Y_EN: 0
; COMPUTE_PGM_RSRC2:TGID_Z_EN: 0
; COMPUTE_PGM_RSRC2:TIDIG_COMP_CNT: 0
; COMPUTE_PGM_RSRC3_GFX90A:ACCUM_OFFSET: 0
; COMPUTE_PGM_RSRC3_GFX90A:TG_SPLIT: 0
	.section	.text._ZN7rocprim17ROCPRIM_400000_NS6detail17trampoline_kernelINS0_14default_configENS1_38merge_sort_block_merge_config_selectorIN6thrust23THRUST_200600_302600_NS4pairIiiEENS0_10empty_typeEEEZZNS1_27merge_sort_block_merge_implIS3_NS6_6detail15normal_iteratorINS6_10device_ptrIS8_EEEEPS9_mNS6_4lessIS8_EEEE10hipError_tT0_T1_T2_jT3_P12ihipStream_tbPNSt15iterator_traitsISL_E10value_typeEPNSR_ISM_E10value_typeEPSN_NS1_7vsmem_tEENKUlT_SL_SM_SN_E_clISG_PS8_SH_SH_EESK_S10_SL_SM_SN_EUlS10_E_NS1_11comp_targetILNS1_3genE5ELNS1_11target_archE942ELNS1_3gpuE9ELNS1_3repE0EEENS1_48merge_mergepath_partition_config_static_selectorELNS0_4arch9wavefront6targetE1EEEvSM_,"axG",@progbits,_ZN7rocprim17ROCPRIM_400000_NS6detail17trampoline_kernelINS0_14default_configENS1_38merge_sort_block_merge_config_selectorIN6thrust23THRUST_200600_302600_NS4pairIiiEENS0_10empty_typeEEEZZNS1_27merge_sort_block_merge_implIS3_NS6_6detail15normal_iteratorINS6_10device_ptrIS8_EEEEPS9_mNS6_4lessIS8_EEEE10hipError_tT0_T1_T2_jT3_P12ihipStream_tbPNSt15iterator_traitsISL_E10value_typeEPNSR_ISM_E10value_typeEPSN_NS1_7vsmem_tEENKUlT_SL_SM_SN_E_clISG_PS8_SH_SH_EESK_S10_SL_SM_SN_EUlS10_E_NS1_11comp_targetILNS1_3genE5ELNS1_11target_archE942ELNS1_3gpuE9ELNS1_3repE0EEENS1_48merge_mergepath_partition_config_static_selectorELNS0_4arch9wavefront6targetE1EEEvSM_,comdat
	.protected	_ZN7rocprim17ROCPRIM_400000_NS6detail17trampoline_kernelINS0_14default_configENS1_38merge_sort_block_merge_config_selectorIN6thrust23THRUST_200600_302600_NS4pairIiiEENS0_10empty_typeEEEZZNS1_27merge_sort_block_merge_implIS3_NS6_6detail15normal_iteratorINS6_10device_ptrIS8_EEEEPS9_mNS6_4lessIS8_EEEE10hipError_tT0_T1_T2_jT3_P12ihipStream_tbPNSt15iterator_traitsISL_E10value_typeEPNSR_ISM_E10value_typeEPSN_NS1_7vsmem_tEENKUlT_SL_SM_SN_E_clISG_PS8_SH_SH_EESK_S10_SL_SM_SN_EUlS10_E_NS1_11comp_targetILNS1_3genE5ELNS1_11target_archE942ELNS1_3gpuE9ELNS1_3repE0EEENS1_48merge_mergepath_partition_config_static_selectorELNS0_4arch9wavefront6targetE1EEEvSM_ ; -- Begin function _ZN7rocprim17ROCPRIM_400000_NS6detail17trampoline_kernelINS0_14default_configENS1_38merge_sort_block_merge_config_selectorIN6thrust23THRUST_200600_302600_NS4pairIiiEENS0_10empty_typeEEEZZNS1_27merge_sort_block_merge_implIS3_NS6_6detail15normal_iteratorINS6_10device_ptrIS8_EEEEPS9_mNS6_4lessIS8_EEEE10hipError_tT0_T1_T2_jT3_P12ihipStream_tbPNSt15iterator_traitsISL_E10value_typeEPNSR_ISM_E10value_typeEPSN_NS1_7vsmem_tEENKUlT_SL_SM_SN_E_clISG_PS8_SH_SH_EESK_S10_SL_SM_SN_EUlS10_E_NS1_11comp_targetILNS1_3genE5ELNS1_11target_archE942ELNS1_3gpuE9ELNS1_3repE0EEENS1_48merge_mergepath_partition_config_static_selectorELNS0_4arch9wavefront6targetE1EEEvSM_
	.globl	_ZN7rocprim17ROCPRIM_400000_NS6detail17trampoline_kernelINS0_14default_configENS1_38merge_sort_block_merge_config_selectorIN6thrust23THRUST_200600_302600_NS4pairIiiEENS0_10empty_typeEEEZZNS1_27merge_sort_block_merge_implIS3_NS6_6detail15normal_iteratorINS6_10device_ptrIS8_EEEEPS9_mNS6_4lessIS8_EEEE10hipError_tT0_T1_T2_jT3_P12ihipStream_tbPNSt15iterator_traitsISL_E10value_typeEPNSR_ISM_E10value_typeEPSN_NS1_7vsmem_tEENKUlT_SL_SM_SN_E_clISG_PS8_SH_SH_EESK_S10_SL_SM_SN_EUlS10_E_NS1_11comp_targetILNS1_3genE5ELNS1_11target_archE942ELNS1_3gpuE9ELNS1_3repE0EEENS1_48merge_mergepath_partition_config_static_selectorELNS0_4arch9wavefront6targetE1EEEvSM_
	.p2align	8
	.type	_ZN7rocprim17ROCPRIM_400000_NS6detail17trampoline_kernelINS0_14default_configENS1_38merge_sort_block_merge_config_selectorIN6thrust23THRUST_200600_302600_NS4pairIiiEENS0_10empty_typeEEEZZNS1_27merge_sort_block_merge_implIS3_NS6_6detail15normal_iteratorINS6_10device_ptrIS8_EEEEPS9_mNS6_4lessIS8_EEEE10hipError_tT0_T1_T2_jT3_P12ihipStream_tbPNSt15iterator_traitsISL_E10value_typeEPNSR_ISM_E10value_typeEPSN_NS1_7vsmem_tEENKUlT_SL_SM_SN_E_clISG_PS8_SH_SH_EESK_S10_SL_SM_SN_EUlS10_E_NS1_11comp_targetILNS1_3genE5ELNS1_11target_archE942ELNS1_3gpuE9ELNS1_3repE0EEENS1_48merge_mergepath_partition_config_static_selectorELNS0_4arch9wavefront6targetE1EEEvSM_,@function
_ZN7rocprim17ROCPRIM_400000_NS6detail17trampoline_kernelINS0_14default_configENS1_38merge_sort_block_merge_config_selectorIN6thrust23THRUST_200600_302600_NS4pairIiiEENS0_10empty_typeEEEZZNS1_27merge_sort_block_merge_implIS3_NS6_6detail15normal_iteratorINS6_10device_ptrIS8_EEEEPS9_mNS6_4lessIS8_EEEE10hipError_tT0_T1_T2_jT3_P12ihipStream_tbPNSt15iterator_traitsISL_E10value_typeEPNSR_ISM_E10value_typeEPSN_NS1_7vsmem_tEENKUlT_SL_SM_SN_E_clISG_PS8_SH_SH_EESK_S10_SL_SM_SN_EUlS10_E_NS1_11comp_targetILNS1_3genE5ELNS1_11target_archE942ELNS1_3gpuE9ELNS1_3repE0EEENS1_48merge_mergepath_partition_config_static_selectorELNS0_4arch9wavefront6targetE1EEEvSM_: ; @_ZN7rocprim17ROCPRIM_400000_NS6detail17trampoline_kernelINS0_14default_configENS1_38merge_sort_block_merge_config_selectorIN6thrust23THRUST_200600_302600_NS4pairIiiEENS0_10empty_typeEEEZZNS1_27merge_sort_block_merge_implIS3_NS6_6detail15normal_iteratorINS6_10device_ptrIS8_EEEEPS9_mNS6_4lessIS8_EEEE10hipError_tT0_T1_T2_jT3_P12ihipStream_tbPNSt15iterator_traitsISL_E10value_typeEPNSR_ISM_E10value_typeEPSN_NS1_7vsmem_tEENKUlT_SL_SM_SN_E_clISG_PS8_SH_SH_EESK_S10_SL_SM_SN_EUlS10_E_NS1_11comp_targetILNS1_3genE5ELNS1_11target_archE942ELNS1_3gpuE9ELNS1_3repE0EEENS1_48merge_mergepath_partition_config_static_selectorELNS0_4arch9wavefront6targetE1EEEvSM_
; %bb.0:
	.section	.rodata,"a",@progbits
	.p2align	6, 0x0
	.amdhsa_kernel _ZN7rocprim17ROCPRIM_400000_NS6detail17trampoline_kernelINS0_14default_configENS1_38merge_sort_block_merge_config_selectorIN6thrust23THRUST_200600_302600_NS4pairIiiEENS0_10empty_typeEEEZZNS1_27merge_sort_block_merge_implIS3_NS6_6detail15normal_iteratorINS6_10device_ptrIS8_EEEEPS9_mNS6_4lessIS8_EEEE10hipError_tT0_T1_T2_jT3_P12ihipStream_tbPNSt15iterator_traitsISL_E10value_typeEPNSR_ISM_E10value_typeEPSN_NS1_7vsmem_tEENKUlT_SL_SM_SN_E_clISG_PS8_SH_SH_EESK_S10_SL_SM_SN_EUlS10_E_NS1_11comp_targetILNS1_3genE5ELNS1_11target_archE942ELNS1_3gpuE9ELNS1_3repE0EEENS1_48merge_mergepath_partition_config_static_selectorELNS0_4arch9wavefront6targetE1EEEvSM_
		.amdhsa_group_segment_fixed_size 0
		.amdhsa_private_segment_fixed_size 0
		.amdhsa_kernarg_size 48
		.amdhsa_user_sgpr_count 2
		.amdhsa_user_sgpr_dispatch_ptr 0
		.amdhsa_user_sgpr_queue_ptr 0
		.amdhsa_user_sgpr_kernarg_segment_ptr 1
		.amdhsa_user_sgpr_dispatch_id 0
		.amdhsa_user_sgpr_kernarg_preload_length 0
		.amdhsa_user_sgpr_kernarg_preload_offset 0
		.amdhsa_user_sgpr_private_segment_size 0
		.amdhsa_uses_dynamic_stack 0
		.amdhsa_enable_private_segment 0
		.amdhsa_system_sgpr_workgroup_id_x 1
		.amdhsa_system_sgpr_workgroup_id_y 0
		.amdhsa_system_sgpr_workgroup_id_z 0
		.amdhsa_system_sgpr_workgroup_info 0
		.amdhsa_system_vgpr_workitem_id 0
		.amdhsa_next_free_vgpr 1
		.amdhsa_next_free_sgpr 0
		.amdhsa_accum_offset 4
		.amdhsa_reserve_vcc 0
		.amdhsa_float_round_mode_32 0
		.amdhsa_float_round_mode_16_64 0
		.amdhsa_float_denorm_mode_32 3
		.amdhsa_float_denorm_mode_16_64 3
		.amdhsa_dx10_clamp 1
		.amdhsa_ieee_mode 1
		.amdhsa_fp16_overflow 0
		.amdhsa_tg_split 0
		.amdhsa_exception_fp_ieee_invalid_op 0
		.amdhsa_exception_fp_denorm_src 0
		.amdhsa_exception_fp_ieee_div_zero 0
		.amdhsa_exception_fp_ieee_overflow 0
		.amdhsa_exception_fp_ieee_underflow 0
		.amdhsa_exception_fp_ieee_inexact 0
		.amdhsa_exception_int_div_zero 0
	.end_amdhsa_kernel
	.section	.text._ZN7rocprim17ROCPRIM_400000_NS6detail17trampoline_kernelINS0_14default_configENS1_38merge_sort_block_merge_config_selectorIN6thrust23THRUST_200600_302600_NS4pairIiiEENS0_10empty_typeEEEZZNS1_27merge_sort_block_merge_implIS3_NS6_6detail15normal_iteratorINS6_10device_ptrIS8_EEEEPS9_mNS6_4lessIS8_EEEE10hipError_tT0_T1_T2_jT3_P12ihipStream_tbPNSt15iterator_traitsISL_E10value_typeEPNSR_ISM_E10value_typeEPSN_NS1_7vsmem_tEENKUlT_SL_SM_SN_E_clISG_PS8_SH_SH_EESK_S10_SL_SM_SN_EUlS10_E_NS1_11comp_targetILNS1_3genE5ELNS1_11target_archE942ELNS1_3gpuE9ELNS1_3repE0EEENS1_48merge_mergepath_partition_config_static_selectorELNS0_4arch9wavefront6targetE1EEEvSM_,"axG",@progbits,_ZN7rocprim17ROCPRIM_400000_NS6detail17trampoline_kernelINS0_14default_configENS1_38merge_sort_block_merge_config_selectorIN6thrust23THRUST_200600_302600_NS4pairIiiEENS0_10empty_typeEEEZZNS1_27merge_sort_block_merge_implIS3_NS6_6detail15normal_iteratorINS6_10device_ptrIS8_EEEEPS9_mNS6_4lessIS8_EEEE10hipError_tT0_T1_T2_jT3_P12ihipStream_tbPNSt15iterator_traitsISL_E10value_typeEPNSR_ISM_E10value_typeEPSN_NS1_7vsmem_tEENKUlT_SL_SM_SN_E_clISG_PS8_SH_SH_EESK_S10_SL_SM_SN_EUlS10_E_NS1_11comp_targetILNS1_3genE5ELNS1_11target_archE942ELNS1_3gpuE9ELNS1_3repE0EEENS1_48merge_mergepath_partition_config_static_selectorELNS0_4arch9wavefront6targetE1EEEvSM_,comdat
.Lfunc_end659:
	.size	_ZN7rocprim17ROCPRIM_400000_NS6detail17trampoline_kernelINS0_14default_configENS1_38merge_sort_block_merge_config_selectorIN6thrust23THRUST_200600_302600_NS4pairIiiEENS0_10empty_typeEEEZZNS1_27merge_sort_block_merge_implIS3_NS6_6detail15normal_iteratorINS6_10device_ptrIS8_EEEEPS9_mNS6_4lessIS8_EEEE10hipError_tT0_T1_T2_jT3_P12ihipStream_tbPNSt15iterator_traitsISL_E10value_typeEPNSR_ISM_E10value_typeEPSN_NS1_7vsmem_tEENKUlT_SL_SM_SN_E_clISG_PS8_SH_SH_EESK_S10_SL_SM_SN_EUlS10_E_NS1_11comp_targetILNS1_3genE5ELNS1_11target_archE942ELNS1_3gpuE9ELNS1_3repE0EEENS1_48merge_mergepath_partition_config_static_selectorELNS0_4arch9wavefront6targetE1EEEvSM_, .Lfunc_end659-_ZN7rocprim17ROCPRIM_400000_NS6detail17trampoline_kernelINS0_14default_configENS1_38merge_sort_block_merge_config_selectorIN6thrust23THRUST_200600_302600_NS4pairIiiEENS0_10empty_typeEEEZZNS1_27merge_sort_block_merge_implIS3_NS6_6detail15normal_iteratorINS6_10device_ptrIS8_EEEEPS9_mNS6_4lessIS8_EEEE10hipError_tT0_T1_T2_jT3_P12ihipStream_tbPNSt15iterator_traitsISL_E10value_typeEPNSR_ISM_E10value_typeEPSN_NS1_7vsmem_tEENKUlT_SL_SM_SN_E_clISG_PS8_SH_SH_EESK_S10_SL_SM_SN_EUlS10_E_NS1_11comp_targetILNS1_3genE5ELNS1_11target_archE942ELNS1_3gpuE9ELNS1_3repE0EEENS1_48merge_mergepath_partition_config_static_selectorELNS0_4arch9wavefront6targetE1EEEvSM_
                                        ; -- End function
	.set _ZN7rocprim17ROCPRIM_400000_NS6detail17trampoline_kernelINS0_14default_configENS1_38merge_sort_block_merge_config_selectorIN6thrust23THRUST_200600_302600_NS4pairIiiEENS0_10empty_typeEEEZZNS1_27merge_sort_block_merge_implIS3_NS6_6detail15normal_iteratorINS6_10device_ptrIS8_EEEEPS9_mNS6_4lessIS8_EEEE10hipError_tT0_T1_T2_jT3_P12ihipStream_tbPNSt15iterator_traitsISL_E10value_typeEPNSR_ISM_E10value_typeEPSN_NS1_7vsmem_tEENKUlT_SL_SM_SN_E_clISG_PS8_SH_SH_EESK_S10_SL_SM_SN_EUlS10_E_NS1_11comp_targetILNS1_3genE5ELNS1_11target_archE942ELNS1_3gpuE9ELNS1_3repE0EEENS1_48merge_mergepath_partition_config_static_selectorELNS0_4arch9wavefront6targetE1EEEvSM_.num_vgpr, 0
	.set _ZN7rocprim17ROCPRIM_400000_NS6detail17trampoline_kernelINS0_14default_configENS1_38merge_sort_block_merge_config_selectorIN6thrust23THRUST_200600_302600_NS4pairIiiEENS0_10empty_typeEEEZZNS1_27merge_sort_block_merge_implIS3_NS6_6detail15normal_iteratorINS6_10device_ptrIS8_EEEEPS9_mNS6_4lessIS8_EEEE10hipError_tT0_T1_T2_jT3_P12ihipStream_tbPNSt15iterator_traitsISL_E10value_typeEPNSR_ISM_E10value_typeEPSN_NS1_7vsmem_tEENKUlT_SL_SM_SN_E_clISG_PS8_SH_SH_EESK_S10_SL_SM_SN_EUlS10_E_NS1_11comp_targetILNS1_3genE5ELNS1_11target_archE942ELNS1_3gpuE9ELNS1_3repE0EEENS1_48merge_mergepath_partition_config_static_selectorELNS0_4arch9wavefront6targetE1EEEvSM_.num_agpr, 0
	.set _ZN7rocprim17ROCPRIM_400000_NS6detail17trampoline_kernelINS0_14default_configENS1_38merge_sort_block_merge_config_selectorIN6thrust23THRUST_200600_302600_NS4pairIiiEENS0_10empty_typeEEEZZNS1_27merge_sort_block_merge_implIS3_NS6_6detail15normal_iteratorINS6_10device_ptrIS8_EEEEPS9_mNS6_4lessIS8_EEEE10hipError_tT0_T1_T2_jT3_P12ihipStream_tbPNSt15iterator_traitsISL_E10value_typeEPNSR_ISM_E10value_typeEPSN_NS1_7vsmem_tEENKUlT_SL_SM_SN_E_clISG_PS8_SH_SH_EESK_S10_SL_SM_SN_EUlS10_E_NS1_11comp_targetILNS1_3genE5ELNS1_11target_archE942ELNS1_3gpuE9ELNS1_3repE0EEENS1_48merge_mergepath_partition_config_static_selectorELNS0_4arch9wavefront6targetE1EEEvSM_.numbered_sgpr, 0
	.set _ZN7rocprim17ROCPRIM_400000_NS6detail17trampoline_kernelINS0_14default_configENS1_38merge_sort_block_merge_config_selectorIN6thrust23THRUST_200600_302600_NS4pairIiiEENS0_10empty_typeEEEZZNS1_27merge_sort_block_merge_implIS3_NS6_6detail15normal_iteratorINS6_10device_ptrIS8_EEEEPS9_mNS6_4lessIS8_EEEE10hipError_tT0_T1_T2_jT3_P12ihipStream_tbPNSt15iterator_traitsISL_E10value_typeEPNSR_ISM_E10value_typeEPSN_NS1_7vsmem_tEENKUlT_SL_SM_SN_E_clISG_PS8_SH_SH_EESK_S10_SL_SM_SN_EUlS10_E_NS1_11comp_targetILNS1_3genE5ELNS1_11target_archE942ELNS1_3gpuE9ELNS1_3repE0EEENS1_48merge_mergepath_partition_config_static_selectorELNS0_4arch9wavefront6targetE1EEEvSM_.num_named_barrier, 0
	.set _ZN7rocprim17ROCPRIM_400000_NS6detail17trampoline_kernelINS0_14default_configENS1_38merge_sort_block_merge_config_selectorIN6thrust23THRUST_200600_302600_NS4pairIiiEENS0_10empty_typeEEEZZNS1_27merge_sort_block_merge_implIS3_NS6_6detail15normal_iteratorINS6_10device_ptrIS8_EEEEPS9_mNS6_4lessIS8_EEEE10hipError_tT0_T1_T2_jT3_P12ihipStream_tbPNSt15iterator_traitsISL_E10value_typeEPNSR_ISM_E10value_typeEPSN_NS1_7vsmem_tEENKUlT_SL_SM_SN_E_clISG_PS8_SH_SH_EESK_S10_SL_SM_SN_EUlS10_E_NS1_11comp_targetILNS1_3genE5ELNS1_11target_archE942ELNS1_3gpuE9ELNS1_3repE0EEENS1_48merge_mergepath_partition_config_static_selectorELNS0_4arch9wavefront6targetE1EEEvSM_.private_seg_size, 0
	.set _ZN7rocprim17ROCPRIM_400000_NS6detail17trampoline_kernelINS0_14default_configENS1_38merge_sort_block_merge_config_selectorIN6thrust23THRUST_200600_302600_NS4pairIiiEENS0_10empty_typeEEEZZNS1_27merge_sort_block_merge_implIS3_NS6_6detail15normal_iteratorINS6_10device_ptrIS8_EEEEPS9_mNS6_4lessIS8_EEEE10hipError_tT0_T1_T2_jT3_P12ihipStream_tbPNSt15iterator_traitsISL_E10value_typeEPNSR_ISM_E10value_typeEPSN_NS1_7vsmem_tEENKUlT_SL_SM_SN_E_clISG_PS8_SH_SH_EESK_S10_SL_SM_SN_EUlS10_E_NS1_11comp_targetILNS1_3genE5ELNS1_11target_archE942ELNS1_3gpuE9ELNS1_3repE0EEENS1_48merge_mergepath_partition_config_static_selectorELNS0_4arch9wavefront6targetE1EEEvSM_.uses_vcc, 0
	.set _ZN7rocprim17ROCPRIM_400000_NS6detail17trampoline_kernelINS0_14default_configENS1_38merge_sort_block_merge_config_selectorIN6thrust23THRUST_200600_302600_NS4pairIiiEENS0_10empty_typeEEEZZNS1_27merge_sort_block_merge_implIS3_NS6_6detail15normal_iteratorINS6_10device_ptrIS8_EEEEPS9_mNS6_4lessIS8_EEEE10hipError_tT0_T1_T2_jT3_P12ihipStream_tbPNSt15iterator_traitsISL_E10value_typeEPNSR_ISM_E10value_typeEPSN_NS1_7vsmem_tEENKUlT_SL_SM_SN_E_clISG_PS8_SH_SH_EESK_S10_SL_SM_SN_EUlS10_E_NS1_11comp_targetILNS1_3genE5ELNS1_11target_archE942ELNS1_3gpuE9ELNS1_3repE0EEENS1_48merge_mergepath_partition_config_static_selectorELNS0_4arch9wavefront6targetE1EEEvSM_.uses_flat_scratch, 0
	.set _ZN7rocprim17ROCPRIM_400000_NS6detail17trampoline_kernelINS0_14default_configENS1_38merge_sort_block_merge_config_selectorIN6thrust23THRUST_200600_302600_NS4pairIiiEENS0_10empty_typeEEEZZNS1_27merge_sort_block_merge_implIS3_NS6_6detail15normal_iteratorINS6_10device_ptrIS8_EEEEPS9_mNS6_4lessIS8_EEEE10hipError_tT0_T1_T2_jT3_P12ihipStream_tbPNSt15iterator_traitsISL_E10value_typeEPNSR_ISM_E10value_typeEPSN_NS1_7vsmem_tEENKUlT_SL_SM_SN_E_clISG_PS8_SH_SH_EESK_S10_SL_SM_SN_EUlS10_E_NS1_11comp_targetILNS1_3genE5ELNS1_11target_archE942ELNS1_3gpuE9ELNS1_3repE0EEENS1_48merge_mergepath_partition_config_static_selectorELNS0_4arch9wavefront6targetE1EEEvSM_.has_dyn_sized_stack, 0
	.set _ZN7rocprim17ROCPRIM_400000_NS6detail17trampoline_kernelINS0_14default_configENS1_38merge_sort_block_merge_config_selectorIN6thrust23THRUST_200600_302600_NS4pairIiiEENS0_10empty_typeEEEZZNS1_27merge_sort_block_merge_implIS3_NS6_6detail15normal_iteratorINS6_10device_ptrIS8_EEEEPS9_mNS6_4lessIS8_EEEE10hipError_tT0_T1_T2_jT3_P12ihipStream_tbPNSt15iterator_traitsISL_E10value_typeEPNSR_ISM_E10value_typeEPSN_NS1_7vsmem_tEENKUlT_SL_SM_SN_E_clISG_PS8_SH_SH_EESK_S10_SL_SM_SN_EUlS10_E_NS1_11comp_targetILNS1_3genE5ELNS1_11target_archE942ELNS1_3gpuE9ELNS1_3repE0EEENS1_48merge_mergepath_partition_config_static_selectorELNS0_4arch9wavefront6targetE1EEEvSM_.has_recursion, 0
	.set _ZN7rocprim17ROCPRIM_400000_NS6detail17trampoline_kernelINS0_14default_configENS1_38merge_sort_block_merge_config_selectorIN6thrust23THRUST_200600_302600_NS4pairIiiEENS0_10empty_typeEEEZZNS1_27merge_sort_block_merge_implIS3_NS6_6detail15normal_iteratorINS6_10device_ptrIS8_EEEEPS9_mNS6_4lessIS8_EEEE10hipError_tT0_T1_T2_jT3_P12ihipStream_tbPNSt15iterator_traitsISL_E10value_typeEPNSR_ISM_E10value_typeEPSN_NS1_7vsmem_tEENKUlT_SL_SM_SN_E_clISG_PS8_SH_SH_EESK_S10_SL_SM_SN_EUlS10_E_NS1_11comp_targetILNS1_3genE5ELNS1_11target_archE942ELNS1_3gpuE9ELNS1_3repE0EEENS1_48merge_mergepath_partition_config_static_selectorELNS0_4arch9wavefront6targetE1EEEvSM_.has_indirect_call, 0
	.section	.AMDGPU.csdata,"",@progbits
; Kernel info:
; codeLenInByte = 0
; TotalNumSgprs: 6
; NumVgprs: 0
; NumAgprs: 0
; TotalNumVgprs: 0
; ScratchSize: 0
; MemoryBound: 0
; FloatMode: 240
; IeeeMode: 1
; LDSByteSize: 0 bytes/workgroup (compile time only)
; SGPRBlocks: 0
; VGPRBlocks: 0
; NumSGPRsForWavesPerEU: 6
; NumVGPRsForWavesPerEU: 1
; AccumOffset: 4
; Occupancy: 8
; WaveLimiterHint : 0
; COMPUTE_PGM_RSRC2:SCRATCH_EN: 0
; COMPUTE_PGM_RSRC2:USER_SGPR: 2
; COMPUTE_PGM_RSRC2:TRAP_HANDLER: 0
; COMPUTE_PGM_RSRC2:TGID_X_EN: 1
; COMPUTE_PGM_RSRC2:TGID_Y_EN: 0
; COMPUTE_PGM_RSRC2:TGID_Z_EN: 0
; COMPUTE_PGM_RSRC2:TIDIG_COMP_CNT: 0
; COMPUTE_PGM_RSRC3_GFX90A:ACCUM_OFFSET: 0
; COMPUTE_PGM_RSRC3_GFX90A:TG_SPLIT: 0
	.section	.text._ZN7rocprim17ROCPRIM_400000_NS6detail17trampoline_kernelINS0_14default_configENS1_38merge_sort_block_merge_config_selectorIN6thrust23THRUST_200600_302600_NS4pairIiiEENS0_10empty_typeEEEZZNS1_27merge_sort_block_merge_implIS3_NS6_6detail15normal_iteratorINS6_10device_ptrIS8_EEEEPS9_mNS6_4lessIS8_EEEE10hipError_tT0_T1_T2_jT3_P12ihipStream_tbPNSt15iterator_traitsISL_E10value_typeEPNSR_ISM_E10value_typeEPSN_NS1_7vsmem_tEENKUlT_SL_SM_SN_E_clISG_PS8_SH_SH_EESK_S10_SL_SM_SN_EUlS10_E_NS1_11comp_targetILNS1_3genE4ELNS1_11target_archE910ELNS1_3gpuE8ELNS1_3repE0EEENS1_48merge_mergepath_partition_config_static_selectorELNS0_4arch9wavefront6targetE1EEEvSM_,"axG",@progbits,_ZN7rocprim17ROCPRIM_400000_NS6detail17trampoline_kernelINS0_14default_configENS1_38merge_sort_block_merge_config_selectorIN6thrust23THRUST_200600_302600_NS4pairIiiEENS0_10empty_typeEEEZZNS1_27merge_sort_block_merge_implIS3_NS6_6detail15normal_iteratorINS6_10device_ptrIS8_EEEEPS9_mNS6_4lessIS8_EEEE10hipError_tT0_T1_T2_jT3_P12ihipStream_tbPNSt15iterator_traitsISL_E10value_typeEPNSR_ISM_E10value_typeEPSN_NS1_7vsmem_tEENKUlT_SL_SM_SN_E_clISG_PS8_SH_SH_EESK_S10_SL_SM_SN_EUlS10_E_NS1_11comp_targetILNS1_3genE4ELNS1_11target_archE910ELNS1_3gpuE8ELNS1_3repE0EEENS1_48merge_mergepath_partition_config_static_selectorELNS0_4arch9wavefront6targetE1EEEvSM_,comdat
	.protected	_ZN7rocprim17ROCPRIM_400000_NS6detail17trampoline_kernelINS0_14default_configENS1_38merge_sort_block_merge_config_selectorIN6thrust23THRUST_200600_302600_NS4pairIiiEENS0_10empty_typeEEEZZNS1_27merge_sort_block_merge_implIS3_NS6_6detail15normal_iteratorINS6_10device_ptrIS8_EEEEPS9_mNS6_4lessIS8_EEEE10hipError_tT0_T1_T2_jT3_P12ihipStream_tbPNSt15iterator_traitsISL_E10value_typeEPNSR_ISM_E10value_typeEPSN_NS1_7vsmem_tEENKUlT_SL_SM_SN_E_clISG_PS8_SH_SH_EESK_S10_SL_SM_SN_EUlS10_E_NS1_11comp_targetILNS1_3genE4ELNS1_11target_archE910ELNS1_3gpuE8ELNS1_3repE0EEENS1_48merge_mergepath_partition_config_static_selectorELNS0_4arch9wavefront6targetE1EEEvSM_ ; -- Begin function _ZN7rocprim17ROCPRIM_400000_NS6detail17trampoline_kernelINS0_14default_configENS1_38merge_sort_block_merge_config_selectorIN6thrust23THRUST_200600_302600_NS4pairIiiEENS0_10empty_typeEEEZZNS1_27merge_sort_block_merge_implIS3_NS6_6detail15normal_iteratorINS6_10device_ptrIS8_EEEEPS9_mNS6_4lessIS8_EEEE10hipError_tT0_T1_T2_jT3_P12ihipStream_tbPNSt15iterator_traitsISL_E10value_typeEPNSR_ISM_E10value_typeEPSN_NS1_7vsmem_tEENKUlT_SL_SM_SN_E_clISG_PS8_SH_SH_EESK_S10_SL_SM_SN_EUlS10_E_NS1_11comp_targetILNS1_3genE4ELNS1_11target_archE910ELNS1_3gpuE8ELNS1_3repE0EEENS1_48merge_mergepath_partition_config_static_selectorELNS0_4arch9wavefront6targetE1EEEvSM_
	.globl	_ZN7rocprim17ROCPRIM_400000_NS6detail17trampoline_kernelINS0_14default_configENS1_38merge_sort_block_merge_config_selectorIN6thrust23THRUST_200600_302600_NS4pairIiiEENS0_10empty_typeEEEZZNS1_27merge_sort_block_merge_implIS3_NS6_6detail15normal_iteratorINS6_10device_ptrIS8_EEEEPS9_mNS6_4lessIS8_EEEE10hipError_tT0_T1_T2_jT3_P12ihipStream_tbPNSt15iterator_traitsISL_E10value_typeEPNSR_ISM_E10value_typeEPSN_NS1_7vsmem_tEENKUlT_SL_SM_SN_E_clISG_PS8_SH_SH_EESK_S10_SL_SM_SN_EUlS10_E_NS1_11comp_targetILNS1_3genE4ELNS1_11target_archE910ELNS1_3gpuE8ELNS1_3repE0EEENS1_48merge_mergepath_partition_config_static_selectorELNS0_4arch9wavefront6targetE1EEEvSM_
	.p2align	8
	.type	_ZN7rocprim17ROCPRIM_400000_NS6detail17trampoline_kernelINS0_14default_configENS1_38merge_sort_block_merge_config_selectorIN6thrust23THRUST_200600_302600_NS4pairIiiEENS0_10empty_typeEEEZZNS1_27merge_sort_block_merge_implIS3_NS6_6detail15normal_iteratorINS6_10device_ptrIS8_EEEEPS9_mNS6_4lessIS8_EEEE10hipError_tT0_T1_T2_jT3_P12ihipStream_tbPNSt15iterator_traitsISL_E10value_typeEPNSR_ISM_E10value_typeEPSN_NS1_7vsmem_tEENKUlT_SL_SM_SN_E_clISG_PS8_SH_SH_EESK_S10_SL_SM_SN_EUlS10_E_NS1_11comp_targetILNS1_3genE4ELNS1_11target_archE910ELNS1_3gpuE8ELNS1_3repE0EEENS1_48merge_mergepath_partition_config_static_selectorELNS0_4arch9wavefront6targetE1EEEvSM_,@function
_ZN7rocprim17ROCPRIM_400000_NS6detail17trampoline_kernelINS0_14default_configENS1_38merge_sort_block_merge_config_selectorIN6thrust23THRUST_200600_302600_NS4pairIiiEENS0_10empty_typeEEEZZNS1_27merge_sort_block_merge_implIS3_NS6_6detail15normal_iteratorINS6_10device_ptrIS8_EEEEPS9_mNS6_4lessIS8_EEEE10hipError_tT0_T1_T2_jT3_P12ihipStream_tbPNSt15iterator_traitsISL_E10value_typeEPNSR_ISM_E10value_typeEPSN_NS1_7vsmem_tEENKUlT_SL_SM_SN_E_clISG_PS8_SH_SH_EESK_S10_SL_SM_SN_EUlS10_E_NS1_11comp_targetILNS1_3genE4ELNS1_11target_archE910ELNS1_3gpuE8ELNS1_3repE0EEENS1_48merge_mergepath_partition_config_static_selectorELNS0_4arch9wavefront6targetE1EEEvSM_: ; @_ZN7rocprim17ROCPRIM_400000_NS6detail17trampoline_kernelINS0_14default_configENS1_38merge_sort_block_merge_config_selectorIN6thrust23THRUST_200600_302600_NS4pairIiiEENS0_10empty_typeEEEZZNS1_27merge_sort_block_merge_implIS3_NS6_6detail15normal_iteratorINS6_10device_ptrIS8_EEEEPS9_mNS6_4lessIS8_EEEE10hipError_tT0_T1_T2_jT3_P12ihipStream_tbPNSt15iterator_traitsISL_E10value_typeEPNSR_ISM_E10value_typeEPSN_NS1_7vsmem_tEENKUlT_SL_SM_SN_E_clISG_PS8_SH_SH_EESK_S10_SL_SM_SN_EUlS10_E_NS1_11comp_targetILNS1_3genE4ELNS1_11target_archE910ELNS1_3gpuE8ELNS1_3repE0EEENS1_48merge_mergepath_partition_config_static_selectorELNS0_4arch9wavefront6targetE1EEEvSM_
; %bb.0:
	.section	.rodata,"a",@progbits
	.p2align	6, 0x0
	.amdhsa_kernel _ZN7rocprim17ROCPRIM_400000_NS6detail17trampoline_kernelINS0_14default_configENS1_38merge_sort_block_merge_config_selectorIN6thrust23THRUST_200600_302600_NS4pairIiiEENS0_10empty_typeEEEZZNS1_27merge_sort_block_merge_implIS3_NS6_6detail15normal_iteratorINS6_10device_ptrIS8_EEEEPS9_mNS6_4lessIS8_EEEE10hipError_tT0_T1_T2_jT3_P12ihipStream_tbPNSt15iterator_traitsISL_E10value_typeEPNSR_ISM_E10value_typeEPSN_NS1_7vsmem_tEENKUlT_SL_SM_SN_E_clISG_PS8_SH_SH_EESK_S10_SL_SM_SN_EUlS10_E_NS1_11comp_targetILNS1_3genE4ELNS1_11target_archE910ELNS1_3gpuE8ELNS1_3repE0EEENS1_48merge_mergepath_partition_config_static_selectorELNS0_4arch9wavefront6targetE1EEEvSM_
		.amdhsa_group_segment_fixed_size 0
		.amdhsa_private_segment_fixed_size 0
		.amdhsa_kernarg_size 48
		.amdhsa_user_sgpr_count 2
		.amdhsa_user_sgpr_dispatch_ptr 0
		.amdhsa_user_sgpr_queue_ptr 0
		.amdhsa_user_sgpr_kernarg_segment_ptr 1
		.amdhsa_user_sgpr_dispatch_id 0
		.amdhsa_user_sgpr_kernarg_preload_length 0
		.amdhsa_user_sgpr_kernarg_preload_offset 0
		.amdhsa_user_sgpr_private_segment_size 0
		.amdhsa_uses_dynamic_stack 0
		.amdhsa_enable_private_segment 0
		.amdhsa_system_sgpr_workgroup_id_x 1
		.amdhsa_system_sgpr_workgroup_id_y 0
		.amdhsa_system_sgpr_workgroup_id_z 0
		.amdhsa_system_sgpr_workgroup_info 0
		.amdhsa_system_vgpr_workitem_id 0
		.amdhsa_next_free_vgpr 1
		.amdhsa_next_free_sgpr 0
		.amdhsa_accum_offset 4
		.amdhsa_reserve_vcc 0
		.amdhsa_float_round_mode_32 0
		.amdhsa_float_round_mode_16_64 0
		.amdhsa_float_denorm_mode_32 3
		.amdhsa_float_denorm_mode_16_64 3
		.amdhsa_dx10_clamp 1
		.amdhsa_ieee_mode 1
		.amdhsa_fp16_overflow 0
		.amdhsa_tg_split 0
		.amdhsa_exception_fp_ieee_invalid_op 0
		.amdhsa_exception_fp_denorm_src 0
		.amdhsa_exception_fp_ieee_div_zero 0
		.amdhsa_exception_fp_ieee_overflow 0
		.amdhsa_exception_fp_ieee_underflow 0
		.amdhsa_exception_fp_ieee_inexact 0
		.amdhsa_exception_int_div_zero 0
	.end_amdhsa_kernel
	.section	.text._ZN7rocprim17ROCPRIM_400000_NS6detail17trampoline_kernelINS0_14default_configENS1_38merge_sort_block_merge_config_selectorIN6thrust23THRUST_200600_302600_NS4pairIiiEENS0_10empty_typeEEEZZNS1_27merge_sort_block_merge_implIS3_NS6_6detail15normal_iteratorINS6_10device_ptrIS8_EEEEPS9_mNS6_4lessIS8_EEEE10hipError_tT0_T1_T2_jT3_P12ihipStream_tbPNSt15iterator_traitsISL_E10value_typeEPNSR_ISM_E10value_typeEPSN_NS1_7vsmem_tEENKUlT_SL_SM_SN_E_clISG_PS8_SH_SH_EESK_S10_SL_SM_SN_EUlS10_E_NS1_11comp_targetILNS1_3genE4ELNS1_11target_archE910ELNS1_3gpuE8ELNS1_3repE0EEENS1_48merge_mergepath_partition_config_static_selectorELNS0_4arch9wavefront6targetE1EEEvSM_,"axG",@progbits,_ZN7rocprim17ROCPRIM_400000_NS6detail17trampoline_kernelINS0_14default_configENS1_38merge_sort_block_merge_config_selectorIN6thrust23THRUST_200600_302600_NS4pairIiiEENS0_10empty_typeEEEZZNS1_27merge_sort_block_merge_implIS3_NS6_6detail15normal_iteratorINS6_10device_ptrIS8_EEEEPS9_mNS6_4lessIS8_EEEE10hipError_tT0_T1_T2_jT3_P12ihipStream_tbPNSt15iterator_traitsISL_E10value_typeEPNSR_ISM_E10value_typeEPSN_NS1_7vsmem_tEENKUlT_SL_SM_SN_E_clISG_PS8_SH_SH_EESK_S10_SL_SM_SN_EUlS10_E_NS1_11comp_targetILNS1_3genE4ELNS1_11target_archE910ELNS1_3gpuE8ELNS1_3repE0EEENS1_48merge_mergepath_partition_config_static_selectorELNS0_4arch9wavefront6targetE1EEEvSM_,comdat
.Lfunc_end660:
	.size	_ZN7rocprim17ROCPRIM_400000_NS6detail17trampoline_kernelINS0_14default_configENS1_38merge_sort_block_merge_config_selectorIN6thrust23THRUST_200600_302600_NS4pairIiiEENS0_10empty_typeEEEZZNS1_27merge_sort_block_merge_implIS3_NS6_6detail15normal_iteratorINS6_10device_ptrIS8_EEEEPS9_mNS6_4lessIS8_EEEE10hipError_tT0_T1_T2_jT3_P12ihipStream_tbPNSt15iterator_traitsISL_E10value_typeEPNSR_ISM_E10value_typeEPSN_NS1_7vsmem_tEENKUlT_SL_SM_SN_E_clISG_PS8_SH_SH_EESK_S10_SL_SM_SN_EUlS10_E_NS1_11comp_targetILNS1_3genE4ELNS1_11target_archE910ELNS1_3gpuE8ELNS1_3repE0EEENS1_48merge_mergepath_partition_config_static_selectorELNS0_4arch9wavefront6targetE1EEEvSM_, .Lfunc_end660-_ZN7rocprim17ROCPRIM_400000_NS6detail17trampoline_kernelINS0_14default_configENS1_38merge_sort_block_merge_config_selectorIN6thrust23THRUST_200600_302600_NS4pairIiiEENS0_10empty_typeEEEZZNS1_27merge_sort_block_merge_implIS3_NS6_6detail15normal_iteratorINS6_10device_ptrIS8_EEEEPS9_mNS6_4lessIS8_EEEE10hipError_tT0_T1_T2_jT3_P12ihipStream_tbPNSt15iterator_traitsISL_E10value_typeEPNSR_ISM_E10value_typeEPSN_NS1_7vsmem_tEENKUlT_SL_SM_SN_E_clISG_PS8_SH_SH_EESK_S10_SL_SM_SN_EUlS10_E_NS1_11comp_targetILNS1_3genE4ELNS1_11target_archE910ELNS1_3gpuE8ELNS1_3repE0EEENS1_48merge_mergepath_partition_config_static_selectorELNS0_4arch9wavefront6targetE1EEEvSM_
                                        ; -- End function
	.set _ZN7rocprim17ROCPRIM_400000_NS6detail17trampoline_kernelINS0_14default_configENS1_38merge_sort_block_merge_config_selectorIN6thrust23THRUST_200600_302600_NS4pairIiiEENS0_10empty_typeEEEZZNS1_27merge_sort_block_merge_implIS3_NS6_6detail15normal_iteratorINS6_10device_ptrIS8_EEEEPS9_mNS6_4lessIS8_EEEE10hipError_tT0_T1_T2_jT3_P12ihipStream_tbPNSt15iterator_traitsISL_E10value_typeEPNSR_ISM_E10value_typeEPSN_NS1_7vsmem_tEENKUlT_SL_SM_SN_E_clISG_PS8_SH_SH_EESK_S10_SL_SM_SN_EUlS10_E_NS1_11comp_targetILNS1_3genE4ELNS1_11target_archE910ELNS1_3gpuE8ELNS1_3repE0EEENS1_48merge_mergepath_partition_config_static_selectorELNS0_4arch9wavefront6targetE1EEEvSM_.num_vgpr, 0
	.set _ZN7rocprim17ROCPRIM_400000_NS6detail17trampoline_kernelINS0_14default_configENS1_38merge_sort_block_merge_config_selectorIN6thrust23THRUST_200600_302600_NS4pairIiiEENS0_10empty_typeEEEZZNS1_27merge_sort_block_merge_implIS3_NS6_6detail15normal_iteratorINS6_10device_ptrIS8_EEEEPS9_mNS6_4lessIS8_EEEE10hipError_tT0_T1_T2_jT3_P12ihipStream_tbPNSt15iterator_traitsISL_E10value_typeEPNSR_ISM_E10value_typeEPSN_NS1_7vsmem_tEENKUlT_SL_SM_SN_E_clISG_PS8_SH_SH_EESK_S10_SL_SM_SN_EUlS10_E_NS1_11comp_targetILNS1_3genE4ELNS1_11target_archE910ELNS1_3gpuE8ELNS1_3repE0EEENS1_48merge_mergepath_partition_config_static_selectorELNS0_4arch9wavefront6targetE1EEEvSM_.num_agpr, 0
	.set _ZN7rocprim17ROCPRIM_400000_NS6detail17trampoline_kernelINS0_14default_configENS1_38merge_sort_block_merge_config_selectorIN6thrust23THRUST_200600_302600_NS4pairIiiEENS0_10empty_typeEEEZZNS1_27merge_sort_block_merge_implIS3_NS6_6detail15normal_iteratorINS6_10device_ptrIS8_EEEEPS9_mNS6_4lessIS8_EEEE10hipError_tT0_T1_T2_jT3_P12ihipStream_tbPNSt15iterator_traitsISL_E10value_typeEPNSR_ISM_E10value_typeEPSN_NS1_7vsmem_tEENKUlT_SL_SM_SN_E_clISG_PS8_SH_SH_EESK_S10_SL_SM_SN_EUlS10_E_NS1_11comp_targetILNS1_3genE4ELNS1_11target_archE910ELNS1_3gpuE8ELNS1_3repE0EEENS1_48merge_mergepath_partition_config_static_selectorELNS0_4arch9wavefront6targetE1EEEvSM_.numbered_sgpr, 0
	.set _ZN7rocprim17ROCPRIM_400000_NS6detail17trampoline_kernelINS0_14default_configENS1_38merge_sort_block_merge_config_selectorIN6thrust23THRUST_200600_302600_NS4pairIiiEENS0_10empty_typeEEEZZNS1_27merge_sort_block_merge_implIS3_NS6_6detail15normal_iteratorINS6_10device_ptrIS8_EEEEPS9_mNS6_4lessIS8_EEEE10hipError_tT0_T1_T2_jT3_P12ihipStream_tbPNSt15iterator_traitsISL_E10value_typeEPNSR_ISM_E10value_typeEPSN_NS1_7vsmem_tEENKUlT_SL_SM_SN_E_clISG_PS8_SH_SH_EESK_S10_SL_SM_SN_EUlS10_E_NS1_11comp_targetILNS1_3genE4ELNS1_11target_archE910ELNS1_3gpuE8ELNS1_3repE0EEENS1_48merge_mergepath_partition_config_static_selectorELNS0_4arch9wavefront6targetE1EEEvSM_.num_named_barrier, 0
	.set _ZN7rocprim17ROCPRIM_400000_NS6detail17trampoline_kernelINS0_14default_configENS1_38merge_sort_block_merge_config_selectorIN6thrust23THRUST_200600_302600_NS4pairIiiEENS0_10empty_typeEEEZZNS1_27merge_sort_block_merge_implIS3_NS6_6detail15normal_iteratorINS6_10device_ptrIS8_EEEEPS9_mNS6_4lessIS8_EEEE10hipError_tT0_T1_T2_jT3_P12ihipStream_tbPNSt15iterator_traitsISL_E10value_typeEPNSR_ISM_E10value_typeEPSN_NS1_7vsmem_tEENKUlT_SL_SM_SN_E_clISG_PS8_SH_SH_EESK_S10_SL_SM_SN_EUlS10_E_NS1_11comp_targetILNS1_3genE4ELNS1_11target_archE910ELNS1_3gpuE8ELNS1_3repE0EEENS1_48merge_mergepath_partition_config_static_selectorELNS0_4arch9wavefront6targetE1EEEvSM_.private_seg_size, 0
	.set _ZN7rocprim17ROCPRIM_400000_NS6detail17trampoline_kernelINS0_14default_configENS1_38merge_sort_block_merge_config_selectorIN6thrust23THRUST_200600_302600_NS4pairIiiEENS0_10empty_typeEEEZZNS1_27merge_sort_block_merge_implIS3_NS6_6detail15normal_iteratorINS6_10device_ptrIS8_EEEEPS9_mNS6_4lessIS8_EEEE10hipError_tT0_T1_T2_jT3_P12ihipStream_tbPNSt15iterator_traitsISL_E10value_typeEPNSR_ISM_E10value_typeEPSN_NS1_7vsmem_tEENKUlT_SL_SM_SN_E_clISG_PS8_SH_SH_EESK_S10_SL_SM_SN_EUlS10_E_NS1_11comp_targetILNS1_3genE4ELNS1_11target_archE910ELNS1_3gpuE8ELNS1_3repE0EEENS1_48merge_mergepath_partition_config_static_selectorELNS0_4arch9wavefront6targetE1EEEvSM_.uses_vcc, 0
	.set _ZN7rocprim17ROCPRIM_400000_NS6detail17trampoline_kernelINS0_14default_configENS1_38merge_sort_block_merge_config_selectorIN6thrust23THRUST_200600_302600_NS4pairIiiEENS0_10empty_typeEEEZZNS1_27merge_sort_block_merge_implIS3_NS6_6detail15normal_iteratorINS6_10device_ptrIS8_EEEEPS9_mNS6_4lessIS8_EEEE10hipError_tT0_T1_T2_jT3_P12ihipStream_tbPNSt15iterator_traitsISL_E10value_typeEPNSR_ISM_E10value_typeEPSN_NS1_7vsmem_tEENKUlT_SL_SM_SN_E_clISG_PS8_SH_SH_EESK_S10_SL_SM_SN_EUlS10_E_NS1_11comp_targetILNS1_3genE4ELNS1_11target_archE910ELNS1_3gpuE8ELNS1_3repE0EEENS1_48merge_mergepath_partition_config_static_selectorELNS0_4arch9wavefront6targetE1EEEvSM_.uses_flat_scratch, 0
	.set _ZN7rocprim17ROCPRIM_400000_NS6detail17trampoline_kernelINS0_14default_configENS1_38merge_sort_block_merge_config_selectorIN6thrust23THRUST_200600_302600_NS4pairIiiEENS0_10empty_typeEEEZZNS1_27merge_sort_block_merge_implIS3_NS6_6detail15normal_iteratorINS6_10device_ptrIS8_EEEEPS9_mNS6_4lessIS8_EEEE10hipError_tT0_T1_T2_jT3_P12ihipStream_tbPNSt15iterator_traitsISL_E10value_typeEPNSR_ISM_E10value_typeEPSN_NS1_7vsmem_tEENKUlT_SL_SM_SN_E_clISG_PS8_SH_SH_EESK_S10_SL_SM_SN_EUlS10_E_NS1_11comp_targetILNS1_3genE4ELNS1_11target_archE910ELNS1_3gpuE8ELNS1_3repE0EEENS1_48merge_mergepath_partition_config_static_selectorELNS0_4arch9wavefront6targetE1EEEvSM_.has_dyn_sized_stack, 0
	.set _ZN7rocprim17ROCPRIM_400000_NS6detail17trampoline_kernelINS0_14default_configENS1_38merge_sort_block_merge_config_selectorIN6thrust23THRUST_200600_302600_NS4pairIiiEENS0_10empty_typeEEEZZNS1_27merge_sort_block_merge_implIS3_NS6_6detail15normal_iteratorINS6_10device_ptrIS8_EEEEPS9_mNS6_4lessIS8_EEEE10hipError_tT0_T1_T2_jT3_P12ihipStream_tbPNSt15iterator_traitsISL_E10value_typeEPNSR_ISM_E10value_typeEPSN_NS1_7vsmem_tEENKUlT_SL_SM_SN_E_clISG_PS8_SH_SH_EESK_S10_SL_SM_SN_EUlS10_E_NS1_11comp_targetILNS1_3genE4ELNS1_11target_archE910ELNS1_3gpuE8ELNS1_3repE0EEENS1_48merge_mergepath_partition_config_static_selectorELNS0_4arch9wavefront6targetE1EEEvSM_.has_recursion, 0
	.set _ZN7rocprim17ROCPRIM_400000_NS6detail17trampoline_kernelINS0_14default_configENS1_38merge_sort_block_merge_config_selectorIN6thrust23THRUST_200600_302600_NS4pairIiiEENS0_10empty_typeEEEZZNS1_27merge_sort_block_merge_implIS3_NS6_6detail15normal_iteratorINS6_10device_ptrIS8_EEEEPS9_mNS6_4lessIS8_EEEE10hipError_tT0_T1_T2_jT3_P12ihipStream_tbPNSt15iterator_traitsISL_E10value_typeEPNSR_ISM_E10value_typeEPSN_NS1_7vsmem_tEENKUlT_SL_SM_SN_E_clISG_PS8_SH_SH_EESK_S10_SL_SM_SN_EUlS10_E_NS1_11comp_targetILNS1_3genE4ELNS1_11target_archE910ELNS1_3gpuE8ELNS1_3repE0EEENS1_48merge_mergepath_partition_config_static_selectorELNS0_4arch9wavefront6targetE1EEEvSM_.has_indirect_call, 0
	.section	.AMDGPU.csdata,"",@progbits
; Kernel info:
; codeLenInByte = 0
; TotalNumSgprs: 6
; NumVgprs: 0
; NumAgprs: 0
; TotalNumVgprs: 0
; ScratchSize: 0
; MemoryBound: 0
; FloatMode: 240
; IeeeMode: 1
; LDSByteSize: 0 bytes/workgroup (compile time only)
; SGPRBlocks: 0
; VGPRBlocks: 0
; NumSGPRsForWavesPerEU: 6
; NumVGPRsForWavesPerEU: 1
; AccumOffset: 4
; Occupancy: 8
; WaveLimiterHint : 0
; COMPUTE_PGM_RSRC2:SCRATCH_EN: 0
; COMPUTE_PGM_RSRC2:USER_SGPR: 2
; COMPUTE_PGM_RSRC2:TRAP_HANDLER: 0
; COMPUTE_PGM_RSRC2:TGID_X_EN: 1
; COMPUTE_PGM_RSRC2:TGID_Y_EN: 0
; COMPUTE_PGM_RSRC2:TGID_Z_EN: 0
; COMPUTE_PGM_RSRC2:TIDIG_COMP_CNT: 0
; COMPUTE_PGM_RSRC3_GFX90A:ACCUM_OFFSET: 0
; COMPUTE_PGM_RSRC3_GFX90A:TG_SPLIT: 0
	.section	.text._ZN7rocprim17ROCPRIM_400000_NS6detail17trampoline_kernelINS0_14default_configENS1_38merge_sort_block_merge_config_selectorIN6thrust23THRUST_200600_302600_NS4pairIiiEENS0_10empty_typeEEEZZNS1_27merge_sort_block_merge_implIS3_NS6_6detail15normal_iteratorINS6_10device_ptrIS8_EEEEPS9_mNS6_4lessIS8_EEEE10hipError_tT0_T1_T2_jT3_P12ihipStream_tbPNSt15iterator_traitsISL_E10value_typeEPNSR_ISM_E10value_typeEPSN_NS1_7vsmem_tEENKUlT_SL_SM_SN_E_clISG_PS8_SH_SH_EESK_S10_SL_SM_SN_EUlS10_E_NS1_11comp_targetILNS1_3genE3ELNS1_11target_archE908ELNS1_3gpuE7ELNS1_3repE0EEENS1_48merge_mergepath_partition_config_static_selectorELNS0_4arch9wavefront6targetE1EEEvSM_,"axG",@progbits,_ZN7rocprim17ROCPRIM_400000_NS6detail17trampoline_kernelINS0_14default_configENS1_38merge_sort_block_merge_config_selectorIN6thrust23THRUST_200600_302600_NS4pairIiiEENS0_10empty_typeEEEZZNS1_27merge_sort_block_merge_implIS3_NS6_6detail15normal_iteratorINS6_10device_ptrIS8_EEEEPS9_mNS6_4lessIS8_EEEE10hipError_tT0_T1_T2_jT3_P12ihipStream_tbPNSt15iterator_traitsISL_E10value_typeEPNSR_ISM_E10value_typeEPSN_NS1_7vsmem_tEENKUlT_SL_SM_SN_E_clISG_PS8_SH_SH_EESK_S10_SL_SM_SN_EUlS10_E_NS1_11comp_targetILNS1_3genE3ELNS1_11target_archE908ELNS1_3gpuE7ELNS1_3repE0EEENS1_48merge_mergepath_partition_config_static_selectorELNS0_4arch9wavefront6targetE1EEEvSM_,comdat
	.protected	_ZN7rocprim17ROCPRIM_400000_NS6detail17trampoline_kernelINS0_14default_configENS1_38merge_sort_block_merge_config_selectorIN6thrust23THRUST_200600_302600_NS4pairIiiEENS0_10empty_typeEEEZZNS1_27merge_sort_block_merge_implIS3_NS6_6detail15normal_iteratorINS6_10device_ptrIS8_EEEEPS9_mNS6_4lessIS8_EEEE10hipError_tT0_T1_T2_jT3_P12ihipStream_tbPNSt15iterator_traitsISL_E10value_typeEPNSR_ISM_E10value_typeEPSN_NS1_7vsmem_tEENKUlT_SL_SM_SN_E_clISG_PS8_SH_SH_EESK_S10_SL_SM_SN_EUlS10_E_NS1_11comp_targetILNS1_3genE3ELNS1_11target_archE908ELNS1_3gpuE7ELNS1_3repE0EEENS1_48merge_mergepath_partition_config_static_selectorELNS0_4arch9wavefront6targetE1EEEvSM_ ; -- Begin function _ZN7rocprim17ROCPRIM_400000_NS6detail17trampoline_kernelINS0_14default_configENS1_38merge_sort_block_merge_config_selectorIN6thrust23THRUST_200600_302600_NS4pairIiiEENS0_10empty_typeEEEZZNS1_27merge_sort_block_merge_implIS3_NS6_6detail15normal_iteratorINS6_10device_ptrIS8_EEEEPS9_mNS6_4lessIS8_EEEE10hipError_tT0_T1_T2_jT3_P12ihipStream_tbPNSt15iterator_traitsISL_E10value_typeEPNSR_ISM_E10value_typeEPSN_NS1_7vsmem_tEENKUlT_SL_SM_SN_E_clISG_PS8_SH_SH_EESK_S10_SL_SM_SN_EUlS10_E_NS1_11comp_targetILNS1_3genE3ELNS1_11target_archE908ELNS1_3gpuE7ELNS1_3repE0EEENS1_48merge_mergepath_partition_config_static_selectorELNS0_4arch9wavefront6targetE1EEEvSM_
	.globl	_ZN7rocprim17ROCPRIM_400000_NS6detail17trampoline_kernelINS0_14default_configENS1_38merge_sort_block_merge_config_selectorIN6thrust23THRUST_200600_302600_NS4pairIiiEENS0_10empty_typeEEEZZNS1_27merge_sort_block_merge_implIS3_NS6_6detail15normal_iteratorINS6_10device_ptrIS8_EEEEPS9_mNS6_4lessIS8_EEEE10hipError_tT0_T1_T2_jT3_P12ihipStream_tbPNSt15iterator_traitsISL_E10value_typeEPNSR_ISM_E10value_typeEPSN_NS1_7vsmem_tEENKUlT_SL_SM_SN_E_clISG_PS8_SH_SH_EESK_S10_SL_SM_SN_EUlS10_E_NS1_11comp_targetILNS1_3genE3ELNS1_11target_archE908ELNS1_3gpuE7ELNS1_3repE0EEENS1_48merge_mergepath_partition_config_static_selectorELNS0_4arch9wavefront6targetE1EEEvSM_
	.p2align	8
	.type	_ZN7rocprim17ROCPRIM_400000_NS6detail17trampoline_kernelINS0_14default_configENS1_38merge_sort_block_merge_config_selectorIN6thrust23THRUST_200600_302600_NS4pairIiiEENS0_10empty_typeEEEZZNS1_27merge_sort_block_merge_implIS3_NS6_6detail15normal_iteratorINS6_10device_ptrIS8_EEEEPS9_mNS6_4lessIS8_EEEE10hipError_tT0_T1_T2_jT3_P12ihipStream_tbPNSt15iterator_traitsISL_E10value_typeEPNSR_ISM_E10value_typeEPSN_NS1_7vsmem_tEENKUlT_SL_SM_SN_E_clISG_PS8_SH_SH_EESK_S10_SL_SM_SN_EUlS10_E_NS1_11comp_targetILNS1_3genE3ELNS1_11target_archE908ELNS1_3gpuE7ELNS1_3repE0EEENS1_48merge_mergepath_partition_config_static_selectorELNS0_4arch9wavefront6targetE1EEEvSM_,@function
_ZN7rocprim17ROCPRIM_400000_NS6detail17trampoline_kernelINS0_14default_configENS1_38merge_sort_block_merge_config_selectorIN6thrust23THRUST_200600_302600_NS4pairIiiEENS0_10empty_typeEEEZZNS1_27merge_sort_block_merge_implIS3_NS6_6detail15normal_iteratorINS6_10device_ptrIS8_EEEEPS9_mNS6_4lessIS8_EEEE10hipError_tT0_T1_T2_jT3_P12ihipStream_tbPNSt15iterator_traitsISL_E10value_typeEPNSR_ISM_E10value_typeEPSN_NS1_7vsmem_tEENKUlT_SL_SM_SN_E_clISG_PS8_SH_SH_EESK_S10_SL_SM_SN_EUlS10_E_NS1_11comp_targetILNS1_3genE3ELNS1_11target_archE908ELNS1_3gpuE7ELNS1_3repE0EEENS1_48merge_mergepath_partition_config_static_selectorELNS0_4arch9wavefront6targetE1EEEvSM_: ; @_ZN7rocprim17ROCPRIM_400000_NS6detail17trampoline_kernelINS0_14default_configENS1_38merge_sort_block_merge_config_selectorIN6thrust23THRUST_200600_302600_NS4pairIiiEENS0_10empty_typeEEEZZNS1_27merge_sort_block_merge_implIS3_NS6_6detail15normal_iteratorINS6_10device_ptrIS8_EEEEPS9_mNS6_4lessIS8_EEEE10hipError_tT0_T1_T2_jT3_P12ihipStream_tbPNSt15iterator_traitsISL_E10value_typeEPNSR_ISM_E10value_typeEPSN_NS1_7vsmem_tEENKUlT_SL_SM_SN_E_clISG_PS8_SH_SH_EESK_S10_SL_SM_SN_EUlS10_E_NS1_11comp_targetILNS1_3genE3ELNS1_11target_archE908ELNS1_3gpuE7ELNS1_3repE0EEENS1_48merge_mergepath_partition_config_static_selectorELNS0_4arch9wavefront6targetE1EEEvSM_
; %bb.0:
	.section	.rodata,"a",@progbits
	.p2align	6, 0x0
	.amdhsa_kernel _ZN7rocprim17ROCPRIM_400000_NS6detail17trampoline_kernelINS0_14default_configENS1_38merge_sort_block_merge_config_selectorIN6thrust23THRUST_200600_302600_NS4pairIiiEENS0_10empty_typeEEEZZNS1_27merge_sort_block_merge_implIS3_NS6_6detail15normal_iteratorINS6_10device_ptrIS8_EEEEPS9_mNS6_4lessIS8_EEEE10hipError_tT0_T1_T2_jT3_P12ihipStream_tbPNSt15iterator_traitsISL_E10value_typeEPNSR_ISM_E10value_typeEPSN_NS1_7vsmem_tEENKUlT_SL_SM_SN_E_clISG_PS8_SH_SH_EESK_S10_SL_SM_SN_EUlS10_E_NS1_11comp_targetILNS1_3genE3ELNS1_11target_archE908ELNS1_3gpuE7ELNS1_3repE0EEENS1_48merge_mergepath_partition_config_static_selectorELNS0_4arch9wavefront6targetE1EEEvSM_
		.amdhsa_group_segment_fixed_size 0
		.amdhsa_private_segment_fixed_size 0
		.amdhsa_kernarg_size 48
		.amdhsa_user_sgpr_count 2
		.amdhsa_user_sgpr_dispatch_ptr 0
		.amdhsa_user_sgpr_queue_ptr 0
		.amdhsa_user_sgpr_kernarg_segment_ptr 1
		.amdhsa_user_sgpr_dispatch_id 0
		.amdhsa_user_sgpr_kernarg_preload_length 0
		.amdhsa_user_sgpr_kernarg_preload_offset 0
		.amdhsa_user_sgpr_private_segment_size 0
		.amdhsa_uses_dynamic_stack 0
		.amdhsa_enable_private_segment 0
		.amdhsa_system_sgpr_workgroup_id_x 1
		.amdhsa_system_sgpr_workgroup_id_y 0
		.amdhsa_system_sgpr_workgroup_id_z 0
		.amdhsa_system_sgpr_workgroup_info 0
		.amdhsa_system_vgpr_workitem_id 0
		.amdhsa_next_free_vgpr 1
		.amdhsa_next_free_sgpr 0
		.amdhsa_accum_offset 4
		.amdhsa_reserve_vcc 0
		.amdhsa_float_round_mode_32 0
		.amdhsa_float_round_mode_16_64 0
		.amdhsa_float_denorm_mode_32 3
		.amdhsa_float_denorm_mode_16_64 3
		.amdhsa_dx10_clamp 1
		.amdhsa_ieee_mode 1
		.amdhsa_fp16_overflow 0
		.amdhsa_tg_split 0
		.amdhsa_exception_fp_ieee_invalid_op 0
		.amdhsa_exception_fp_denorm_src 0
		.amdhsa_exception_fp_ieee_div_zero 0
		.amdhsa_exception_fp_ieee_overflow 0
		.amdhsa_exception_fp_ieee_underflow 0
		.amdhsa_exception_fp_ieee_inexact 0
		.amdhsa_exception_int_div_zero 0
	.end_amdhsa_kernel
	.section	.text._ZN7rocprim17ROCPRIM_400000_NS6detail17trampoline_kernelINS0_14default_configENS1_38merge_sort_block_merge_config_selectorIN6thrust23THRUST_200600_302600_NS4pairIiiEENS0_10empty_typeEEEZZNS1_27merge_sort_block_merge_implIS3_NS6_6detail15normal_iteratorINS6_10device_ptrIS8_EEEEPS9_mNS6_4lessIS8_EEEE10hipError_tT0_T1_T2_jT3_P12ihipStream_tbPNSt15iterator_traitsISL_E10value_typeEPNSR_ISM_E10value_typeEPSN_NS1_7vsmem_tEENKUlT_SL_SM_SN_E_clISG_PS8_SH_SH_EESK_S10_SL_SM_SN_EUlS10_E_NS1_11comp_targetILNS1_3genE3ELNS1_11target_archE908ELNS1_3gpuE7ELNS1_3repE0EEENS1_48merge_mergepath_partition_config_static_selectorELNS0_4arch9wavefront6targetE1EEEvSM_,"axG",@progbits,_ZN7rocprim17ROCPRIM_400000_NS6detail17trampoline_kernelINS0_14default_configENS1_38merge_sort_block_merge_config_selectorIN6thrust23THRUST_200600_302600_NS4pairIiiEENS0_10empty_typeEEEZZNS1_27merge_sort_block_merge_implIS3_NS6_6detail15normal_iteratorINS6_10device_ptrIS8_EEEEPS9_mNS6_4lessIS8_EEEE10hipError_tT0_T1_T2_jT3_P12ihipStream_tbPNSt15iterator_traitsISL_E10value_typeEPNSR_ISM_E10value_typeEPSN_NS1_7vsmem_tEENKUlT_SL_SM_SN_E_clISG_PS8_SH_SH_EESK_S10_SL_SM_SN_EUlS10_E_NS1_11comp_targetILNS1_3genE3ELNS1_11target_archE908ELNS1_3gpuE7ELNS1_3repE0EEENS1_48merge_mergepath_partition_config_static_selectorELNS0_4arch9wavefront6targetE1EEEvSM_,comdat
.Lfunc_end661:
	.size	_ZN7rocprim17ROCPRIM_400000_NS6detail17trampoline_kernelINS0_14default_configENS1_38merge_sort_block_merge_config_selectorIN6thrust23THRUST_200600_302600_NS4pairIiiEENS0_10empty_typeEEEZZNS1_27merge_sort_block_merge_implIS3_NS6_6detail15normal_iteratorINS6_10device_ptrIS8_EEEEPS9_mNS6_4lessIS8_EEEE10hipError_tT0_T1_T2_jT3_P12ihipStream_tbPNSt15iterator_traitsISL_E10value_typeEPNSR_ISM_E10value_typeEPSN_NS1_7vsmem_tEENKUlT_SL_SM_SN_E_clISG_PS8_SH_SH_EESK_S10_SL_SM_SN_EUlS10_E_NS1_11comp_targetILNS1_3genE3ELNS1_11target_archE908ELNS1_3gpuE7ELNS1_3repE0EEENS1_48merge_mergepath_partition_config_static_selectorELNS0_4arch9wavefront6targetE1EEEvSM_, .Lfunc_end661-_ZN7rocprim17ROCPRIM_400000_NS6detail17trampoline_kernelINS0_14default_configENS1_38merge_sort_block_merge_config_selectorIN6thrust23THRUST_200600_302600_NS4pairIiiEENS0_10empty_typeEEEZZNS1_27merge_sort_block_merge_implIS3_NS6_6detail15normal_iteratorINS6_10device_ptrIS8_EEEEPS9_mNS6_4lessIS8_EEEE10hipError_tT0_T1_T2_jT3_P12ihipStream_tbPNSt15iterator_traitsISL_E10value_typeEPNSR_ISM_E10value_typeEPSN_NS1_7vsmem_tEENKUlT_SL_SM_SN_E_clISG_PS8_SH_SH_EESK_S10_SL_SM_SN_EUlS10_E_NS1_11comp_targetILNS1_3genE3ELNS1_11target_archE908ELNS1_3gpuE7ELNS1_3repE0EEENS1_48merge_mergepath_partition_config_static_selectorELNS0_4arch9wavefront6targetE1EEEvSM_
                                        ; -- End function
	.set _ZN7rocprim17ROCPRIM_400000_NS6detail17trampoline_kernelINS0_14default_configENS1_38merge_sort_block_merge_config_selectorIN6thrust23THRUST_200600_302600_NS4pairIiiEENS0_10empty_typeEEEZZNS1_27merge_sort_block_merge_implIS3_NS6_6detail15normal_iteratorINS6_10device_ptrIS8_EEEEPS9_mNS6_4lessIS8_EEEE10hipError_tT0_T1_T2_jT3_P12ihipStream_tbPNSt15iterator_traitsISL_E10value_typeEPNSR_ISM_E10value_typeEPSN_NS1_7vsmem_tEENKUlT_SL_SM_SN_E_clISG_PS8_SH_SH_EESK_S10_SL_SM_SN_EUlS10_E_NS1_11comp_targetILNS1_3genE3ELNS1_11target_archE908ELNS1_3gpuE7ELNS1_3repE0EEENS1_48merge_mergepath_partition_config_static_selectorELNS0_4arch9wavefront6targetE1EEEvSM_.num_vgpr, 0
	.set _ZN7rocprim17ROCPRIM_400000_NS6detail17trampoline_kernelINS0_14default_configENS1_38merge_sort_block_merge_config_selectorIN6thrust23THRUST_200600_302600_NS4pairIiiEENS0_10empty_typeEEEZZNS1_27merge_sort_block_merge_implIS3_NS6_6detail15normal_iteratorINS6_10device_ptrIS8_EEEEPS9_mNS6_4lessIS8_EEEE10hipError_tT0_T1_T2_jT3_P12ihipStream_tbPNSt15iterator_traitsISL_E10value_typeEPNSR_ISM_E10value_typeEPSN_NS1_7vsmem_tEENKUlT_SL_SM_SN_E_clISG_PS8_SH_SH_EESK_S10_SL_SM_SN_EUlS10_E_NS1_11comp_targetILNS1_3genE3ELNS1_11target_archE908ELNS1_3gpuE7ELNS1_3repE0EEENS1_48merge_mergepath_partition_config_static_selectorELNS0_4arch9wavefront6targetE1EEEvSM_.num_agpr, 0
	.set _ZN7rocprim17ROCPRIM_400000_NS6detail17trampoline_kernelINS0_14default_configENS1_38merge_sort_block_merge_config_selectorIN6thrust23THRUST_200600_302600_NS4pairIiiEENS0_10empty_typeEEEZZNS1_27merge_sort_block_merge_implIS3_NS6_6detail15normal_iteratorINS6_10device_ptrIS8_EEEEPS9_mNS6_4lessIS8_EEEE10hipError_tT0_T1_T2_jT3_P12ihipStream_tbPNSt15iterator_traitsISL_E10value_typeEPNSR_ISM_E10value_typeEPSN_NS1_7vsmem_tEENKUlT_SL_SM_SN_E_clISG_PS8_SH_SH_EESK_S10_SL_SM_SN_EUlS10_E_NS1_11comp_targetILNS1_3genE3ELNS1_11target_archE908ELNS1_3gpuE7ELNS1_3repE0EEENS1_48merge_mergepath_partition_config_static_selectorELNS0_4arch9wavefront6targetE1EEEvSM_.numbered_sgpr, 0
	.set _ZN7rocprim17ROCPRIM_400000_NS6detail17trampoline_kernelINS0_14default_configENS1_38merge_sort_block_merge_config_selectorIN6thrust23THRUST_200600_302600_NS4pairIiiEENS0_10empty_typeEEEZZNS1_27merge_sort_block_merge_implIS3_NS6_6detail15normal_iteratorINS6_10device_ptrIS8_EEEEPS9_mNS6_4lessIS8_EEEE10hipError_tT0_T1_T2_jT3_P12ihipStream_tbPNSt15iterator_traitsISL_E10value_typeEPNSR_ISM_E10value_typeEPSN_NS1_7vsmem_tEENKUlT_SL_SM_SN_E_clISG_PS8_SH_SH_EESK_S10_SL_SM_SN_EUlS10_E_NS1_11comp_targetILNS1_3genE3ELNS1_11target_archE908ELNS1_3gpuE7ELNS1_3repE0EEENS1_48merge_mergepath_partition_config_static_selectorELNS0_4arch9wavefront6targetE1EEEvSM_.num_named_barrier, 0
	.set _ZN7rocprim17ROCPRIM_400000_NS6detail17trampoline_kernelINS0_14default_configENS1_38merge_sort_block_merge_config_selectorIN6thrust23THRUST_200600_302600_NS4pairIiiEENS0_10empty_typeEEEZZNS1_27merge_sort_block_merge_implIS3_NS6_6detail15normal_iteratorINS6_10device_ptrIS8_EEEEPS9_mNS6_4lessIS8_EEEE10hipError_tT0_T1_T2_jT3_P12ihipStream_tbPNSt15iterator_traitsISL_E10value_typeEPNSR_ISM_E10value_typeEPSN_NS1_7vsmem_tEENKUlT_SL_SM_SN_E_clISG_PS8_SH_SH_EESK_S10_SL_SM_SN_EUlS10_E_NS1_11comp_targetILNS1_3genE3ELNS1_11target_archE908ELNS1_3gpuE7ELNS1_3repE0EEENS1_48merge_mergepath_partition_config_static_selectorELNS0_4arch9wavefront6targetE1EEEvSM_.private_seg_size, 0
	.set _ZN7rocprim17ROCPRIM_400000_NS6detail17trampoline_kernelINS0_14default_configENS1_38merge_sort_block_merge_config_selectorIN6thrust23THRUST_200600_302600_NS4pairIiiEENS0_10empty_typeEEEZZNS1_27merge_sort_block_merge_implIS3_NS6_6detail15normal_iteratorINS6_10device_ptrIS8_EEEEPS9_mNS6_4lessIS8_EEEE10hipError_tT0_T1_T2_jT3_P12ihipStream_tbPNSt15iterator_traitsISL_E10value_typeEPNSR_ISM_E10value_typeEPSN_NS1_7vsmem_tEENKUlT_SL_SM_SN_E_clISG_PS8_SH_SH_EESK_S10_SL_SM_SN_EUlS10_E_NS1_11comp_targetILNS1_3genE3ELNS1_11target_archE908ELNS1_3gpuE7ELNS1_3repE0EEENS1_48merge_mergepath_partition_config_static_selectorELNS0_4arch9wavefront6targetE1EEEvSM_.uses_vcc, 0
	.set _ZN7rocprim17ROCPRIM_400000_NS6detail17trampoline_kernelINS0_14default_configENS1_38merge_sort_block_merge_config_selectorIN6thrust23THRUST_200600_302600_NS4pairIiiEENS0_10empty_typeEEEZZNS1_27merge_sort_block_merge_implIS3_NS6_6detail15normal_iteratorINS6_10device_ptrIS8_EEEEPS9_mNS6_4lessIS8_EEEE10hipError_tT0_T1_T2_jT3_P12ihipStream_tbPNSt15iterator_traitsISL_E10value_typeEPNSR_ISM_E10value_typeEPSN_NS1_7vsmem_tEENKUlT_SL_SM_SN_E_clISG_PS8_SH_SH_EESK_S10_SL_SM_SN_EUlS10_E_NS1_11comp_targetILNS1_3genE3ELNS1_11target_archE908ELNS1_3gpuE7ELNS1_3repE0EEENS1_48merge_mergepath_partition_config_static_selectorELNS0_4arch9wavefront6targetE1EEEvSM_.uses_flat_scratch, 0
	.set _ZN7rocprim17ROCPRIM_400000_NS6detail17trampoline_kernelINS0_14default_configENS1_38merge_sort_block_merge_config_selectorIN6thrust23THRUST_200600_302600_NS4pairIiiEENS0_10empty_typeEEEZZNS1_27merge_sort_block_merge_implIS3_NS6_6detail15normal_iteratorINS6_10device_ptrIS8_EEEEPS9_mNS6_4lessIS8_EEEE10hipError_tT0_T1_T2_jT3_P12ihipStream_tbPNSt15iterator_traitsISL_E10value_typeEPNSR_ISM_E10value_typeEPSN_NS1_7vsmem_tEENKUlT_SL_SM_SN_E_clISG_PS8_SH_SH_EESK_S10_SL_SM_SN_EUlS10_E_NS1_11comp_targetILNS1_3genE3ELNS1_11target_archE908ELNS1_3gpuE7ELNS1_3repE0EEENS1_48merge_mergepath_partition_config_static_selectorELNS0_4arch9wavefront6targetE1EEEvSM_.has_dyn_sized_stack, 0
	.set _ZN7rocprim17ROCPRIM_400000_NS6detail17trampoline_kernelINS0_14default_configENS1_38merge_sort_block_merge_config_selectorIN6thrust23THRUST_200600_302600_NS4pairIiiEENS0_10empty_typeEEEZZNS1_27merge_sort_block_merge_implIS3_NS6_6detail15normal_iteratorINS6_10device_ptrIS8_EEEEPS9_mNS6_4lessIS8_EEEE10hipError_tT0_T1_T2_jT3_P12ihipStream_tbPNSt15iterator_traitsISL_E10value_typeEPNSR_ISM_E10value_typeEPSN_NS1_7vsmem_tEENKUlT_SL_SM_SN_E_clISG_PS8_SH_SH_EESK_S10_SL_SM_SN_EUlS10_E_NS1_11comp_targetILNS1_3genE3ELNS1_11target_archE908ELNS1_3gpuE7ELNS1_3repE0EEENS1_48merge_mergepath_partition_config_static_selectorELNS0_4arch9wavefront6targetE1EEEvSM_.has_recursion, 0
	.set _ZN7rocprim17ROCPRIM_400000_NS6detail17trampoline_kernelINS0_14default_configENS1_38merge_sort_block_merge_config_selectorIN6thrust23THRUST_200600_302600_NS4pairIiiEENS0_10empty_typeEEEZZNS1_27merge_sort_block_merge_implIS3_NS6_6detail15normal_iteratorINS6_10device_ptrIS8_EEEEPS9_mNS6_4lessIS8_EEEE10hipError_tT0_T1_T2_jT3_P12ihipStream_tbPNSt15iterator_traitsISL_E10value_typeEPNSR_ISM_E10value_typeEPSN_NS1_7vsmem_tEENKUlT_SL_SM_SN_E_clISG_PS8_SH_SH_EESK_S10_SL_SM_SN_EUlS10_E_NS1_11comp_targetILNS1_3genE3ELNS1_11target_archE908ELNS1_3gpuE7ELNS1_3repE0EEENS1_48merge_mergepath_partition_config_static_selectorELNS0_4arch9wavefront6targetE1EEEvSM_.has_indirect_call, 0
	.section	.AMDGPU.csdata,"",@progbits
; Kernel info:
; codeLenInByte = 0
; TotalNumSgprs: 6
; NumVgprs: 0
; NumAgprs: 0
; TotalNumVgprs: 0
; ScratchSize: 0
; MemoryBound: 0
; FloatMode: 240
; IeeeMode: 1
; LDSByteSize: 0 bytes/workgroup (compile time only)
; SGPRBlocks: 0
; VGPRBlocks: 0
; NumSGPRsForWavesPerEU: 6
; NumVGPRsForWavesPerEU: 1
; AccumOffset: 4
; Occupancy: 8
; WaveLimiterHint : 0
; COMPUTE_PGM_RSRC2:SCRATCH_EN: 0
; COMPUTE_PGM_RSRC2:USER_SGPR: 2
; COMPUTE_PGM_RSRC2:TRAP_HANDLER: 0
; COMPUTE_PGM_RSRC2:TGID_X_EN: 1
; COMPUTE_PGM_RSRC2:TGID_Y_EN: 0
; COMPUTE_PGM_RSRC2:TGID_Z_EN: 0
; COMPUTE_PGM_RSRC2:TIDIG_COMP_CNT: 0
; COMPUTE_PGM_RSRC3_GFX90A:ACCUM_OFFSET: 0
; COMPUTE_PGM_RSRC3_GFX90A:TG_SPLIT: 0
	.section	.text._ZN7rocprim17ROCPRIM_400000_NS6detail17trampoline_kernelINS0_14default_configENS1_38merge_sort_block_merge_config_selectorIN6thrust23THRUST_200600_302600_NS4pairIiiEENS0_10empty_typeEEEZZNS1_27merge_sort_block_merge_implIS3_NS6_6detail15normal_iteratorINS6_10device_ptrIS8_EEEEPS9_mNS6_4lessIS8_EEEE10hipError_tT0_T1_T2_jT3_P12ihipStream_tbPNSt15iterator_traitsISL_E10value_typeEPNSR_ISM_E10value_typeEPSN_NS1_7vsmem_tEENKUlT_SL_SM_SN_E_clISG_PS8_SH_SH_EESK_S10_SL_SM_SN_EUlS10_E_NS1_11comp_targetILNS1_3genE2ELNS1_11target_archE906ELNS1_3gpuE6ELNS1_3repE0EEENS1_48merge_mergepath_partition_config_static_selectorELNS0_4arch9wavefront6targetE1EEEvSM_,"axG",@progbits,_ZN7rocprim17ROCPRIM_400000_NS6detail17trampoline_kernelINS0_14default_configENS1_38merge_sort_block_merge_config_selectorIN6thrust23THRUST_200600_302600_NS4pairIiiEENS0_10empty_typeEEEZZNS1_27merge_sort_block_merge_implIS3_NS6_6detail15normal_iteratorINS6_10device_ptrIS8_EEEEPS9_mNS6_4lessIS8_EEEE10hipError_tT0_T1_T2_jT3_P12ihipStream_tbPNSt15iterator_traitsISL_E10value_typeEPNSR_ISM_E10value_typeEPSN_NS1_7vsmem_tEENKUlT_SL_SM_SN_E_clISG_PS8_SH_SH_EESK_S10_SL_SM_SN_EUlS10_E_NS1_11comp_targetILNS1_3genE2ELNS1_11target_archE906ELNS1_3gpuE6ELNS1_3repE0EEENS1_48merge_mergepath_partition_config_static_selectorELNS0_4arch9wavefront6targetE1EEEvSM_,comdat
	.protected	_ZN7rocprim17ROCPRIM_400000_NS6detail17trampoline_kernelINS0_14default_configENS1_38merge_sort_block_merge_config_selectorIN6thrust23THRUST_200600_302600_NS4pairIiiEENS0_10empty_typeEEEZZNS1_27merge_sort_block_merge_implIS3_NS6_6detail15normal_iteratorINS6_10device_ptrIS8_EEEEPS9_mNS6_4lessIS8_EEEE10hipError_tT0_T1_T2_jT3_P12ihipStream_tbPNSt15iterator_traitsISL_E10value_typeEPNSR_ISM_E10value_typeEPSN_NS1_7vsmem_tEENKUlT_SL_SM_SN_E_clISG_PS8_SH_SH_EESK_S10_SL_SM_SN_EUlS10_E_NS1_11comp_targetILNS1_3genE2ELNS1_11target_archE906ELNS1_3gpuE6ELNS1_3repE0EEENS1_48merge_mergepath_partition_config_static_selectorELNS0_4arch9wavefront6targetE1EEEvSM_ ; -- Begin function _ZN7rocprim17ROCPRIM_400000_NS6detail17trampoline_kernelINS0_14default_configENS1_38merge_sort_block_merge_config_selectorIN6thrust23THRUST_200600_302600_NS4pairIiiEENS0_10empty_typeEEEZZNS1_27merge_sort_block_merge_implIS3_NS6_6detail15normal_iteratorINS6_10device_ptrIS8_EEEEPS9_mNS6_4lessIS8_EEEE10hipError_tT0_T1_T2_jT3_P12ihipStream_tbPNSt15iterator_traitsISL_E10value_typeEPNSR_ISM_E10value_typeEPSN_NS1_7vsmem_tEENKUlT_SL_SM_SN_E_clISG_PS8_SH_SH_EESK_S10_SL_SM_SN_EUlS10_E_NS1_11comp_targetILNS1_3genE2ELNS1_11target_archE906ELNS1_3gpuE6ELNS1_3repE0EEENS1_48merge_mergepath_partition_config_static_selectorELNS0_4arch9wavefront6targetE1EEEvSM_
	.globl	_ZN7rocprim17ROCPRIM_400000_NS6detail17trampoline_kernelINS0_14default_configENS1_38merge_sort_block_merge_config_selectorIN6thrust23THRUST_200600_302600_NS4pairIiiEENS0_10empty_typeEEEZZNS1_27merge_sort_block_merge_implIS3_NS6_6detail15normal_iteratorINS6_10device_ptrIS8_EEEEPS9_mNS6_4lessIS8_EEEE10hipError_tT0_T1_T2_jT3_P12ihipStream_tbPNSt15iterator_traitsISL_E10value_typeEPNSR_ISM_E10value_typeEPSN_NS1_7vsmem_tEENKUlT_SL_SM_SN_E_clISG_PS8_SH_SH_EESK_S10_SL_SM_SN_EUlS10_E_NS1_11comp_targetILNS1_3genE2ELNS1_11target_archE906ELNS1_3gpuE6ELNS1_3repE0EEENS1_48merge_mergepath_partition_config_static_selectorELNS0_4arch9wavefront6targetE1EEEvSM_
	.p2align	8
	.type	_ZN7rocprim17ROCPRIM_400000_NS6detail17trampoline_kernelINS0_14default_configENS1_38merge_sort_block_merge_config_selectorIN6thrust23THRUST_200600_302600_NS4pairIiiEENS0_10empty_typeEEEZZNS1_27merge_sort_block_merge_implIS3_NS6_6detail15normal_iteratorINS6_10device_ptrIS8_EEEEPS9_mNS6_4lessIS8_EEEE10hipError_tT0_T1_T2_jT3_P12ihipStream_tbPNSt15iterator_traitsISL_E10value_typeEPNSR_ISM_E10value_typeEPSN_NS1_7vsmem_tEENKUlT_SL_SM_SN_E_clISG_PS8_SH_SH_EESK_S10_SL_SM_SN_EUlS10_E_NS1_11comp_targetILNS1_3genE2ELNS1_11target_archE906ELNS1_3gpuE6ELNS1_3repE0EEENS1_48merge_mergepath_partition_config_static_selectorELNS0_4arch9wavefront6targetE1EEEvSM_,@function
_ZN7rocprim17ROCPRIM_400000_NS6detail17trampoline_kernelINS0_14default_configENS1_38merge_sort_block_merge_config_selectorIN6thrust23THRUST_200600_302600_NS4pairIiiEENS0_10empty_typeEEEZZNS1_27merge_sort_block_merge_implIS3_NS6_6detail15normal_iteratorINS6_10device_ptrIS8_EEEEPS9_mNS6_4lessIS8_EEEE10hipError_tT0_T1_T2_jT3_P12ihipStream_tbPNSt15iterator_traitsISL_E10value_typeEPNSR_ISM_E10value_typeEPSN_NS1_7vsmem_tEENKUlT_SL_SM_SN_E_clISG_PS8_SH_SH_EESK_S10_SL_SM_SN_EUlS10_E_NS1_11comp_targetILNS1_3genE2ELNS1_11target_archE906ELNS1_3gpuE6ELNS1_3repE0EEENS1_48merge_mergepath_partition_config_static_selectorELNS0_4arch9wavefront6targetE1EEEvSM_: ; @_ZN7rocprim17ROCPRIM_400000_NS6detail17trampoline_kernelINS0_14default_configENS1_38merge_sort_block_merge_config_selectorIN6thrust23THRUST_200600_302600_NS4pairIiiEENS0_10empty_typeEEEZZNS1_27merge_sort_block_merge_implIS3_NS6_6detail15normal_iteratorINS6_10device_ptrIS8_EEEEPS9_mNS6_4lessIS8_EEEE10hipError_tT0_T1_T2_jT3_P12ihipStream_tbPNSt15iterator_traitsISL_E10value_typeEPNSR_ISM_E10value_typeEPSN_NS1_7vsmem_tEENKUlT_SL_SM_SN_E_clISG_PS8_SH_SH_EESK_S10_SL_SM_SN_EUlS10_E_NS1_11comp_targetILNS1_3genE2ELNS1_11target_archE906ELNS1_3gpuE6ELNS1_3repE0EEENS1_48merge_mergepath_partition_config_static_selectorELNS0_4arch9wavefront6targetE1EEEvSM_
; %bb.0:
	.section	.rodata,"a",@progbits
	.p2align	6, 0x0
	.amdhsa_kernel _ZN7rocprim17ROCPRIM_400000_NS6detail17trampoline_kernelINS0_14default_configENS1_38merge_sort_block_merge_config_selectorIN6thrust23THRUST_200600_302600_NS4pairIiiEENS0_10empty_typeEEEZZNS1_27merge_sort_block_merge_implIS3_NS6_6detail15normal_iteratorINS6_10device_ptrIS8_EEEEPS9_mNS6_4lessIS8_EEEE10hipError_tT0_T1_T2_jT3_P12ihipStream_tbPNSt15iterator_traitsISL_E10value_typeEPNSR_ISM_E10value_typeEPSN_NS1_7vsmem_tEENKUlT_SL_SM_SN_E_clISG_PS8_SH_SH_EESK_S10_SL_SM_SN_EUlS10_E_NS1_11comp_targetILNS1_3genE2ELNS1_11target_archE906ELNS1_3gpuE6ELNS1_3repE0EEENS1_48merge_mergepath_partition_config_static_selectorELNS0_4arch9wavefront6targetE1EEEvSM_
		.amdhsa_group_segment_fixed_size 0
		.amdhsa_private_segment_fixed_size 0
		.amdhsa_kernarg_size 48
		.amdhsa_user_sgpr_count 2
		.amdhsa_user_sgpr_dispatch_ptr 0
		.amdhsa_user_sgpr_queue_ptr 0
		.amdhsa_user_sgpr_kernarg_segment_ptr 1
		.amdhsa_user_sgpr_dispatch_id 0
		.amdhsa_user_sgpr_kernarg_preload_length 0
		.amdhsa_user_sgpr_kernarg_preload_offset 0
		.amdhsa_user_sgpr_private_segment_size 0
		.amdhsa_uses_dynamic_stack 0
		.amdhsa_enable_private_segment 0
		.amdhsa_system_sgpr_workgroup_id_x 1
		.amdhsa_system_sgpr_workgroup_id_y 0
		.amdhsa_system_sgpr_workgroup_id_z 0
		.amdhsa_system_sgpr_workgroup_info 0
		.amdhsa_system_vgpr_workitem_id 0
		.amdhsa_next_free_vgpr 1
		.amdhsa_next_free_sgpr 0
		.amdhsa_accum_offset 4
		.amdhsa_reserve_vcc 0
		.amdhsa_float_round_mode_32 0
		.amdhsa_float_round_mode_16_64 0
		.amdhsa_float_denorm_mode_32 3
		.amdhsa_float_denorm_mode_16_64 3
		.amdhsa_dx10_clamp 1
		.amdhsa_ieee_mode 1
		.amdhsa_fp16_overflow 0
		.amdhsa_tg_split 0
		.amdhsa_exception_fp_ieee_invalid_op 0
		.amdhsa_exception_fp_denorm_src 0
		.amdhsa_exception_fp_ieee_div_zero 0
		.amdhsa_exception_fp_ieee_overflow 0
		.amdhsa_exception_fp_ieee_underflow 0
		.amdhsa_exception_fp_ieee_inexact 0
		.amdhsa_exception_int_div_zero 0
	.end_amdhsa_kernel
	.section	.text._ZN7rocprim17ROCPRIM_400000_NS6detail17trampoline_kernelINS0_14default_configENS1_38merge_sort_block_merge_config_selectorIN6thrust23THRUST_200600_302600_NS4pairIiiEENS0_10empty_typeEEEZZNS1_27merge_sort_block_merge_implIS3_NS6_6detail15normal_iteratorINS6_10device_ptrIS8_EEEEPS9_mNS6_4lessIS8_EEEE10hipError_tT0_T1_T2_jT3_P12ihipStream_tbPNSt15iterator_traitsISL_E10value_typeEPNSR_ISM_E10value_typeEPSN_NS1_7vsmem_tEENKUlT_SL_SM_SN_E_clISG_PS8_SH_SH_EESK_S10_SL_SM_SN_EUlS10_E_NS1_11comp_targetILNS1_3genE2ELNS1_11target_archE906ELNS1_3gpuE6ELNS1_3repE0EEENS1_48merge_mergepath_partition_config_static_selectorELNS0_4arch9wavefront6targetE1EEEvSM_,"axG",@progbits,_ZN7rocprim17ROCPRIM_400000_NS6detail17trampoline_kernelINS0_14default_configENS1_38merge_sort_block_merge_config_selectorIN6thrust23THRUST_200600_302600_NS4pairIiiEENS0_10empty_typeEEEZZNS1_27merge_sort_block_merge_implIS3_NS6_6detail15normal_iteratorINS6_10device_ptrIS8_EEEEPS9_mNS6_4lessIS8_EEEE10hipError_tT0_T1_T2_jT3_P12ihipStream_tbPNSt15iterator_traitsISL_E10value_typeEPNSR_ISM_E10value_typeEPSN_NS1_7vsmem_tEENKUlT_SL_SM_SN_E_clISG_PS8_SH_SH_EESK_S10_SL_SM_SN_EUlS10_E_NS1_11comp_targetILNS1_3genE2ELNS1_11target_archE906ELNS1_3gpuE6ELNS1_3repE0EEENS1_48merge_mergepath_partition_config_static_selectorELNS0_4arch9wavefront6targetE1EEEvSM_,comdat
.Lfunc_end662:
	.size	_ZN7rocprim17ROCPRIM_400000_NS6detail17trampoline_kernelINS0_14default_configENS1_38merge_sort_block_merge_config_selectorIN6thrust23THRUST_200600_302600_NS4pairIiiEENS0_10empty_typeEEEZZNS1_27merge_sort_block_merge_implIS3_NS6_6detail15normal_iteratorINS6_10device_ptrIS8_EEEEPS9_mNS6_4lessIS8_EEEE10hipError_tT0_T1_T2_jT3_P12ihipStream_tbPNSt15iterator_traitsISL_E10value_typeEPNSR_ISM_E10value_typeEPSN_NS1_7vsmem_tEENKUlT_SL_SM_SN_E_clISG_PS8_SH_SH_EESK_S10_SL_SM_SN_EUlS10_E_NS1_11comp_targetILNS1_3genE2ELNS1_11target_archE906ELNS1_3gpuE6ELNS1_3repE0EEENS1_48merge_mergepath_partition_config_static_selectorELNS0_4arch9wavefront6targetE1EEEvSM_, .Lfunc_end662-_ZN7rocprim17ROCPRIM_400000_NS6detail17trampoline_kernelINS0_14default_configENS1_38merge_sort_block_merge_config_selectorIN6thrust23THRUST_200600_302600_NS4pairIiiEENS0_10empty_typeEEEZZNS1_27merge_sort_block_merge_implIS3_NS6_6detail15normal_iteratorINS6_10device_ptrIS8_EEEEPS9_mNS6_4lessIS8_EEEE10hipError_tT0_T1_T2_jT3_P12ihipStream_tbPNSt15iterator_traitsISL_E10value_typeEPNSR_ISM_E10value_typeEPSN_NS1_7vsmem_tEENKUlT_SL_SM_SN_E_clISG_PS8_SH_SH_EESK_S10_SL_SM_SN_EUlS10_E_NS1_11comp_targetILNS1_3genE2ELNS1_11target_archE906ELNS1_3gpuE6ELNS1_3repE0EEENS1_48merge_mergepath_partition_config_static_selectorELNS0_4arch9wavefront6targetE1EEEvSM_
                                        ; -- End function
	.set _ZN7rocprim17ROCPRIM_400000_NS6detail17trampoline_kernelINS0_14default_configENS1_38merge_sort_block_merge_config_selectorIN6thrust23THRUST_200600_302600_NS4pairIiiEENS0_10empty_typeEEEZZNS1_27merge_sort_block_merge_implIS3_NS6_6detail15normal_iteratorINS6_10device_ptrIS8_EEEEPS9_mNS6_4lessIS8_EEEE10hipError_tT0_T1_T2_jT3_P12ihipStream_tbPNSt15iterator_traitsISL_E10value_typeEPNSR_ISM_E10value_typeEPSN_NS1_7vsmem_tEENKUlT_SL_SM_SN_E_clISG_PS8_SH_SH_EESK_S10_SL_SM_SN_EUlS10_E_NS1_11comp_targetILNS1_3genE2ELNS1_11target_archE906ELNS1_3gpuE6ELNS1_3repE0EEENS1_48merge_mergepath_partition_config_static_selectorELNS0_4arch9wavefront6targetE1EEEvSM_.num_vgpr, 0
	.set _ZN7rocprim17ROCPRIM_400000_NS6detail17trampoline_kernelINS0_14default_configENS1_38merge_sort_block_merge_config_selectorIN6thrust23THRUST_200600_302600_NS4pairIiiEENS0_10empty_typeEEEZZNS1_27merge_sort_block_merge_implIS3_NS6_6detail15normal_iteratorINS6_10device_ptrIS8_EEEEPS9_mNS6_4lessIS8_EEEE10hipError_tT0_T1_T2_jT3_P12ihipStream_tbPNSt15iterator_traitsISL_E10value_typeEPNSR_ISM_E10value_typeEPSN_NS1_7vsmem_tEENKUlT_SL_SM_SN_E_clISG_PS8_SH_SH_EESK_S10_SL_SM_SN_EUlS10_E_NS1_11comp_targetILNS1_3genE2ELNS1_11target_archE906ELNS1_3gpuE6ELNS1_3repE0EEENS1_48merge_mergepath_partition_config_static_selectorELNS0_4arch9wavefront6targetE1EEEvSM_.num_agpr, 0
	.set _ZN7rocprim17ROCPRIM_400000_NS6detail17trampoline_kernelINS0_14default_configENS1_38merge_sort_block_merge_config_selectorIN6thrust23THRUST_200600_302600_NS4pairIiiEENS0_10empty_typeEEEZZNS1_27merge_sort_block_merge_implIS3_NS6_6detail15normal_iteratorINS6_10device_ptrIS8_EEEEPS9_mNS6_4lessIS8_EEEE10hipError_tT0_T1_T2_jT3_P12ihipStream_tbPNSt15iterator_traitsISL_E10value_typeEPNSR_ISM_E10value_typeEPSN_NS1_7vsmem_tEENKUlT_SL_SM_SN_E_clISG_PS8_SH_SH_EESK_S10_SL_SM_SN_EUlS10_E_NS1_11comp_targetILNS1_3genE2ELNS1_11target_archE906ELNS1_3gpuE6ELNS1_3repE0EEENS1_48merge_mergepath_partition_config_static_selectorELNS0_4arch9wavefront6targetE1EEEvSM_.numbered_sgpr, 0
	.set _ZN7rocprim17ROCPRIM_400000_NS6detail17trampoline_kernelINS0_14default_configENS1_38merge_sort_block_merge_config_selectorIN6thrust23THRUST_200600_302600_NS4pairIiiEENS0_10empty_typeEEEZZNS1_27merge_sort_block_merge_implIS3_NS6_6detail15normal_iteratorINS6_10device_ptrIS8_EEEEPS9_mNS6_4lessIS8_EEEE10hipError_tT0_T1_T2_jT3_P12ihipStream_tbPNSt15iterator_traitsISL_E10value_typeEPNSR_ISM_E10value_typeEPSN_NS1_7vsmem_tEENKUlT_SL_SM_SN_E_clISG_PS8_SH_SH_EESK_S10_SL_SM_SN_EUlS10_E_NS1_11comp_targetILNS1_3genE2ELNS1_11target_archE906ELNS1_3gpuE6ELNS1_3repE0EEENS1_48merge_mergepath_partition_config_static_selectorELNS0_4arch9wavefront6targetE1EEEvSM_.num_named_barrier, 0
	.set _ZN7rocprim17ROCPRIM_400000_NS6detail17trampoline_kernelINS0_14default_configENS1_38merge_sort_block_merge_config_selectorIN6thrust23THRUST_200600_302600_NS4pairIiiEENS0_10empty_typeEEEZZNS1_27merge_sort_block_merge_implIS3_NS6_6detail15normal_iteratorINS6_10device_ptrIS8_EEEEPS9_mNS6_4lessIS8_EEEE10hipError_tT0_T1_T2_jT3_P12ihipStream_tbPNSt15iterator_traitsISL_E10value_typeEPNSR_ISM_E10value_typeEPSN_NS1_7vsmem_tEENKUlT_SL_SM_SN_E_clISG_PS8_SH_SH_EESK_S10_SL_SM_SN_EUlS10_E_NS1_11comp_targetILNS1_3genE2ELNS1_11target_archE906ELNS1_3gpuE6ELNS1_3repE0EEENS1_48merge_mergepath_partition_config_static_selectorELNS0_4arch9wavefront6targetE1EEEvSM_.private_seg_size, 0
	.set _ZN7rocprim17ROCPRIM_400000_NS6detail17trampoline_kernelINS0_14default_configENS1_38merge_sort_block_merge_config_selectorIN6thrust23THRUST_200600_302600_NS4pairIiiEENS0_10empty_typeEEEZZNS1_27merge_sort_block_merge_implIS3_NS6_6detail15normal_iteratorINS6_10device_ptrIS8_EEEEPS9_mNS6_4lessIS8_EEEE10hipError_tT0_T1_T2_jT3_P12ihipStream_tbPNSt15iterator_traitsISL_E10value_typeEPNSR_ISM_E10value_typeEPSN_NS1_7vsmem_tEENKUlT_SL_SM_SN_E_clISG_PS8_SH_SH_EESK_S10_SL_SM_SN_EUlS10_E_NS1_11comp_targetILNS1_3genE2ELNS1_11target_archE906ELNS1_3gpuE6ELNS1_3repE0EEENS1_48merge_mergepath_partition_config_static_selectorELNS0_4arch9wavefront6targetE1EEEvSM_.uses_vcc, 0
	.set _ZN7rocprim17ROCPRIM_400000_NS6detail17trampoline_kernelINS0_14default_configENS1_38merge_sort_block_merge_config_selectorIN6thrust23THRUST_200600_302600_NS4pairIiiEENS0_10empty_typeEEEZZNS1_27merge_sort_block_merge_implIS3_NS6_6detail15normal_iteratorINS6_10device_ptrIS8_EEEEPS9_mNS6_4lessIS8_EEEE10hipError_tT0_T1_T2_jT3_P12ihipStream_tbPNSt15iterator_traitsISL_E10value_typeEPNSR_ISM_E10value_typeEPSN_NS1_7vsmem_tEENKUlT_SL_SM_SN_E_clISG_PS8_SH_SH_EESK_S10_SL_SM_SN_EUlS10_E_NS1_11comp_targetILNS1_3genE2ELNS1_11target_archE906ELNS1_3gpuE6ELNS1_3repE0EEENS1_48merge_mergepath_partition_config_static_selectorELNS0_4arch9wavefront6targetE1EEEvSM_.uses_flat_scratch, 0
	.set _ZN7rocprim17ROCPRIM_400000_NS6detail17trampoline_kernelINS0_14default_configENS1_38merge_sort_block_merge_config_selectorIN6thrust23THRUST_200600_302600_NS4pairIiiEENS0_10empty_typeEEEZZNS1_27merge_sort_block_merge_implIS3_NS6_6detail15normal_iteratorINS6_10device_ptrIS8_EEEEPS9_mNS6_4lessIS8_EEEE10hipError_tT0_T1_T2_jT3_P12ihipStream_tbPNSt15iterator_traitsISL_E10value_typeEPNSR_ISM_E10value_typeEPSN_NS1_7vsmem_tEENKUlT_SL_SM_SN_E_clISG_PS8_SH_SH_EESK_S10_SL_SM_SN_EUlS10_E_NS1_11comp_targetILNS1_3genE2ELNS1_11target_archE906ELNS1_3gpuE6ELNS1_3repE0EEENS1_48merge_mergepath_partition_config_static_selectorELNS0_4arch9wavefront6targetE1EEEvSM_.has_dyn_sized_stack, 0
	.set _ZN7rocprim17ROCPRIM_400000_NS6detail17trampoline_kernelINS0_14default_configENS1_38merge_sort_block_merge_config_selectorIN6thrust23THRUST_200600_302600_NS4pairIiiEENS0_10empty_typeEEEZZNS1_27merge_sort_block_merge_implIS3_NS6_6detail15normal_iteratorINS6_10device_ptrIS8_EEEEPS9_mNS6_4lessIS8_EEEE10hipError_tT0_T1_T2_jT3_P12ihipStream_tbPNSt15iterator_traitsISL_E10value_typeEPNSR_ISM_E10value_typeEPSN_NS1_7vsmem_tEENKUlT_SL_SM_SN_E_clISG_PS8_SH_SH_EESK_S10_SL_SM_SN_EUlS10_E_NS1_11comp_targetILNS1_3genE2ELNS1_11target_archE906ELNS1_3gpuE6ELNS1_3repE0EEENS1_48merge_mergepath_partition_config_static_selectorELNS0_4arch9wavefront6targetE1EEEvSM_.has_recursion, 0
	.set _ZN7rocprim17ROCPRIM_400000_NS6detail17trampoline_kernelINS0_14default_configENS1_38merge_sort_block_merge_config_selectorIN6thrust23THRUST_200600_302600_NS4pairIiiEENS0_10empty_typeEEEZZNS1_27merge_sort_block_merge_implIS3_NS6_6detail15normal_iteratorINS6_10device_ptrIS8_EEEEPS9_mNS6_4lessIS8_EEEE10hipError_tT0_T1_T2_jT3_P12ihipStream_tbPNSt15iterator_traitsISL_E10value_typeEPNSR_ISM_E10value_typeEPSN_NS1_7vsmem_tEENKUlT_SL_SM_SN_E_clISG_PS8_SH_SH_EESK_S10_SL_SM_SN_EUlS10_E_NS1_11comp_targetILNS1_3genE2ELNS1_11target_archE906ELNS1_3gpuE6ELNS1_3repE0EEENS1_48merge_mergepath_partition_config_static_selectorELNS0_4arch9wavefront6targetE1EEEvSM_.has_indirect_call, 0
	.section	.AMDGPU.csdata,"",@progbits
; Kernel info:
; codeLenInByte = 0
; TotalNumSgprs: 6
; NumVgprs: 0
; NumAgprs: 0
; TotalNumVgprs: 0
; ScratchSize: 0
; MemoryBound: 0
; FloatMode: 240
; IeeeMode: 1
; LDSByteSize: 0 bytes/workgroup (compile time only)
; SGPRBlocks: 0
; VGPRBlocks: 0
; NumSGPRsForWavesPerEU: 6
; NumVGPRsForWavesPerEU: 1
; AccumOffset: 4
; Occupancy: 8
; WaveLimiterHint : 0
; COMPUTE_PGM_RSRC2:SCRATCH_EN: 0
; COMPUTE_PGM_RSRC2:USER_SGPR: 2
; COMPUTE_PGM_RSRC2:TRAP_HANDLER: 0
; COMPUTE_PGM_RSRC2:TGID_X_EN: 1
; COMPUTE_PGM_RSRC2:TGID_Y_EN: 0
; COMPUTE_PGM_RSRC2:TGID_Z_EN: 0
; COMPUTE_PGM_RSRC2:TIDIG_COMP_CNT: 0
; COMPUTE_PGM_RSRC3_GFX90A:ACCUM_OFFSET: 0
; COMPUTE_PGM_RSRC3_GFX90A:TG_SPLIT: 0
	.section	.text._ZN7rocprim17ROCPRIM_400000_NS6detail17trampoline_kernelINS0_14default_configENS1_38merge_sort_block_merge_config_selectorIN6thrust23THRUST_200600_302600_NS4pairIiiEENS0_10empty_typeEEEZZNS1_27merge_sort_block_merge_implIS3_NS6_6detail15normal_iteratorINS6_10device_ptrIS8_EEEEPS9_mNS6_4lessIS8_EEEE10hipError_tT0_T1_T2_jT3_P12ihipStream_tbPNSt15iterator_traitsISL_E10value_typeEPNSR_ISM_E10value_typeEPSN_NS1_7vsmem_tEENKUlT_SL_SM_SN_E_clISG_PS8_SH_SH_EESK_S10_SL_SM_SN_EUlS10_E_NS1_11comp_targetILNS1_3genE9ELNS1_11target_archE1100ELNS1_3gpuE3ELNS1_3repE0EEENS1_48merge_mergepath_partition_config_static_selectorELNS0_4arch9wavefront6targetE1EEEvSM_,"axG",@progbits,_ZN7rocprim17ROCPRIM_400000_NS6detail17trampoline_kernelINS0_14default_configENS1_38merge_sort_block_merge_config_selectorIN6thrust23THRUST_200600_302600_NS4pairIiiEENS0_10empty_typeEEEZZNS1_27merge_sort_block_merge_implIS3_NS6_6detail15normal_iteratorINS6_10device_ptrIS8_EEEEPS9_mNS6_4lessIS8_EEEE10hipError_tT0_T1_T2_jT3_P12ihipStream_tbPNSt15iterator_traitsISL_E10value_typeEPNSR_ISM_E10value_typeEPSN_NS1_7vsmem_tEENKUlT_SL_SM_SN_E_clISG_PS8_SH_SH_EESK_S10_SL_SM_SN_EUlS10_E_NS1_11comp_targetILNS1_3genE9ELNS1_11target_archE1100ELNS1_3gpuE3ELNS1_3repE0EEENS1_48merge_mergepath_partition_config_static_selectorELNS0_4arch9wavefront6targetE1EEEvSM_,comdat
	.protected	_ZN7rocprim17ROCPRIM_400000_NS6detail17trampoline_kernelINS0_14default_configENS1_38merge_sort_block_merge_config_selectorIN6thrust23THRUST_200600_302600_NS4pairIiiEENS0_10empty_typeEEEZZNS1_27merge_sort_block_merge_implIS3_NS6_6detail15normal_iteratorINS6_10device_ptrIS8_EEEEPS9_mNS6_4lessIS8_EEEE10hipError_tT0_T1_T2_jT3_P12ihipStream_tbPNSt15iterator_traitsISL_E10value_typeEPNSR_ISM_E10value_typeEPSN_NS1_7vsmem_tEENKUlT_SL_SM_SN_E_clISG_PS8_SH_SH_EESK_S10_SL_SM_SN_EUlS10_E_NS1_11comp_targetILNS1_3genE9ELNS1_11target_archE1100ELNS1_3gpuE3ELNS1_3repE0EEENS1_48merge_mergepath_partition_config_static_selectorELNS0_4arch9wavefront6targetE1EEEvSM_ ; -- Begin function _ZN7rocprim17ROCPRIM_400000_NS6detail17trampoline_kernelINS0_14default_configENS1_38merge_sort_block_merge_config_selectorIN6thrust23THRUST_200600_302600_NS4pairIiiEENS0_10empty_typeEEEZZNS1_27merge_sort_block_merge_implIS3_NS6_6detail15normal_iteratorINS6_10device_ptrIS8_EEEEPS9_mNS6_4lessIS8_EEEE10hipError_tT0_T1_T2_jT3_P12ihipStream_tbPNSt15iterator_traitsISL_E10value_typeEPNSR_ISM_E10value_typeEPSN_NS1_7vsmem_tEENKUlT_SL_SM_SN_E_clISG_PS8_SH_SH_EESK_S10_SL_SM_SN_EUlS10_E_NS1_11comp_targetILNS1_3genE9ELNS1_11target_archE1100ELNS1_3gpuE3ELNS1_3repE0EEENS1_48merge_mergepath_partition_config_static_selectorELNS0_4arch9wavefront6targetE1EEEvSM_
	.globl	_ZN7rocprim17ROCPRIM_400000_NS6detail17trampoline_kernelINS0_14default_configENS1_38merge_sort_block_merge_config_selectorIN6thrust23THRUST_200600_302600_NS4pairIiiEENS0_10empty_typeEEEZZNS1_27merge_sort_block_merge_implIS3_NS6_6detail15normal_iteratorINS6_10device_ptrIS8_EEEEPS9_mNS6_4lessIS8_EEEE10hipError_tT0_T1_T2_jT3_P12ihipStream_tbPNSt15iterator_traitsISL_E10value_typeEPNSR_ISM_E10value_typeEPSN_NS1_7vsmem_tEENKUlT_SL_SM_SN_E_clISG_PS8_SH_SH_EESK_S10_SL_SM_SN_EUlS10_E_NS1_11comp_targetILNS1_3genE9ELNS1_11target_archE1100ELNS1_3gpuE3ELNS1_3repE0EEENS1_48merge_mergepath_partition_config_static_selectorELNS0_4arch9wavefront6targetE1EEEvSM_
	.p2align	8
	.type	_ZN7rocprim17ROCPRIM_400000_NS6detail17trampoline_kernelINS0_14default_configENS1_38merge_sort_block_merge_config_selectorIN6thrust23THRUST_200600_302600_NS4pairIiiEENS0_10empty_typeEEEZZNS1_27merge_sort_block_merge_implIS3_NS6_6detail15normal_iteratorINS6_10device_ptrIS8_EEEEPS9_mNS6_4lessIS8_EEEE10hipError_tT0_T1_T2_jT3_P12ihipStream_tbPNSt15iterator_traitsISL_E10value_typeEPNSR_ISM_E10value_typeEPSN_NS1_7vsmem_tEENKUlT_SL_SM_SN_E_clISG_PS8_SH_SH_EESK_S10_SL_SM_SN_EUlS10_E_NS1_11comp_targetILNS1_3genE9ELNS1_11target_archE1100ELNS1_3gpuE3ELNS1_3repE0EEENS1_48merge_mergepath_partition_config_static_selectorELNS0_4arch9wavefront6targetE1EEEvSM_,@function
_ZN7rocprim17ROCPRIM_400000_NS6detail17trampoline_kernelINS0_14default_configENS1_38merge_sort_block_merge_config_selectorIN6thrust23THRUST_200600_302600_NS4pairIiiEENS0_10empty_typeEEEZZNS1_27merge_sort_block_merge_implIS3_NS6_6detail15normal_iteratorINS6_10device_ptrIS8_EEEEPS9_mNS6_4lessIS8_EEEE10hipError_tT0_T1_T2_jT3_P12ihipStream_tbPNSt15iterator_traitsISL_E10value_typeEPNSR_ISM_E10value_typeEPSN_NS1_7vsmem_tEENKUlT_SL_SM_SN_E_clISG_PS8_SH_SH_EESK_S10_SL_SM_SN_EUlS10_E_NS1_11comp_targetILNS1_3genE9ELNS1_11target_archE1100ELNS1_3gpuE3ELNS1_3repE0EEENS1_48merge_mergepath_partition_config_static_selectorELNS0_4arch9wavefront6targetE1EEEvSM_: ; @_ZN7rocprim17ROCPRIM_400000_NS6detail17trampoline_kernelINS0_14default_configENS1_38merge_sort_block_merge_config_selectorIN6thrust23THRUST_200600_302600_NS4pairIiiEENS0_10empty_typeEEEZZNS1_27merge_sort_block_merge_implIS3_NS6_6detail15normal_iteratorINS6_10device_ptrIS8_EEEEPS9_mNS6_4lessIS8_EEEE10hipError_tT0_T1_T2_jT3_P12ihipStream_tbPNSt15iterator_traitsISL_E10value_typeEPNSR_ISM_E10value_typeEPSN_NS1_7vsmem_tEENKUlT_SL_SM_SN_E_clISG_PS8_SH_SH_EESK_S10_SL_SM_SN_EUlS10_E_NS1_11comp_targetILNS1_3genE9ELNS1_11target_archE1100ELNS1_3gpuE3ELNS1_3repE0EEENS1_48merge_mergepath_partition_config_static_selectorELNS0_4arch9wavefront6targetE1EEEvSM_
; %bb.0:
	.section	.rodata,"a",@progbits
	.p2align	6, 0x0
	.amdhsa_kernel _ZN7rocprim17ROCPRIM_400000_NS6detail17trampoline_kernelINS0_14default_configENS1_38merge_sort_block_merge_config_selectorIN6thrust23THRUST_200600_302600_NS4pairIiiEENS0_10empty_typeEEEZZNS1_27merge_sort_block_merge_implIS3_NS6_6detail15normal_iteratorINS6_10device_ptrIS8_EEEEPS9_mNS6_4lessIS8_EEEE10hipError_tT0_T1_T2_jT3_P12ihipStream_tbPNSt15iterator_traitsISL_E10value_typeEPNSR_ISM_E10value_typeEPSN_NS1_7vsmem_tEENKUlT_SL_SM_SN_E_clISG_PS8_SH_SH_EESK_S10_SL_SM_SN_EUlS10_E_NS1_11comp_targetILNS1_3genE9ELNS1_11target_archE1100ELNS1_3gpuE3ELNS1_3repE0EEENS1_48merge_mergepath_partition_config_static_selectorELNS0_4arch9wavefront6targetE1EEEvSM_
		.amdhsa_group_segment_fixed_size 0
		.amdhsa_private_segment_fixed_size 0
		.amdhsa_kernarg_size 48
		.amdhsa_user_sgpr_count 2
		.amdhsa_user_sgpr_dispatch_ptr 0
		.amdhsa_user_sgpr_queue_ptr 0
		.amdhsa_user_sgpr_kernarg_segment_ptr 1
		.amdhsa_user_sgpr_dispatch_id 0
		.amdhsa_user_sgpr_kernarg_preload_length 0
		.amdhsa_user_sgpr_kernarg_preload_offset 0
		.amdhsa_user_sgpr_private_segment_size 0
		.amdhsa_uses_dynamic_stack 0
		.amdhsa_enable_private_segment 0
		.amdhsa_system_sgpr_workgroup_id_x 1
		.amdhsa_system_sgpr_workgroup_id_y 0
		.amdhsa_system_sgpr_workgroup_id_z 0
		.amdhsa_system_sgpr_workgroup_info 0
		.amdhsa_system_vgpr_workitem_id 0
		.amdhsa_next_free_vgpr 1
		.amdhsa_next_free_sgpr 0
		.amdhsa_accum_offset 4
		.amdhsa_reserve_vcc 0
		.amdhsa_float_round_mode_32 0
		.amdhsa_float_round_mode_16_64 0
		.amdhsa_float_denorm_mode_32 3
		.amdhsa_float_denorm_mode_16_64 3
		.amdhsa_dx10_clamp 1
		.amdhsa_ieee_mode 1
		.amdhsa_fp16_overflow 0
		.amdhsa_tg_split 0
		.amdhsa_exception_fp_ieee_invalid_op 0
		.amdhsa_exception_fp_denorm_src 0
		.amdhsa_exception_fp_ieee_div_zero 0
		.amdhsa_exception_fp_ieee_overflow 0
		.amdhsa_exception_fp_ieee_underflow 0
		.amdhsa_exception_fp_ieee_inexact 0
		.amdhsa_exception_int_div_zero 0
	.end_amdhsa_kernel
	.section	.text._ZN7rocprim17ROCPRIM_400000_NS6detail17trampoline_kernelINS0_14default_configENS1_38merge_sort_block_merge_config_selectorIN6thrust23THRUST_200600_302600_NS4pairIiiEENS0_10empty_typeEEEZZNS1_27merge_sort_block_merge_implIS3_NS6_6detail15normal_iteratorINS6_10device_ptrIS8_EEEEPS9_mNS6_4lessIS8_EEEE10hipError_tT0_T1_T2_jT3_P12ihipStream_tbPNSt15iterator_traitsISL_E10value_typeEPNSR_ISM_E10value_typeEPSN_NS1_7vsmem_tEENKUlT_SL_SM_SN_E_clISG_PS8_SH_SH_EESK_S10_SL_SM_SN_EUlS10_E_NS1_11comp_targetILNS1_3genE9ELNS1_11target_archE1100ELNS1_3gpuE3ELNS1_3repE0EEENS1_48merge_mergepath_partition_config_static_selectorELNS0_4arch9wavefront6targetE1EEEvSM_,"axG",@progbits,_ZN7rocprim17ROCPRIM_400000_NS6detail17trampoline_kernelINS0_14default_configENS1_38merge_sort_block_merge_config_selectorIN6thrust23THRUST_200600_302600_NS4pairIiiEENS0_10empty_typeEEEZZNS1_27merge_sort_block_merge_implIS3_NS6_6detail15normal_iteratorINS6_10device_ptrIS8_EEEEPS9_mNS6_4lessIS8_EEEE10hipError_tT0_T1_T2_jT3_P12ihipStream_tbPNSt15iterator_traitsISL_E10value_typeEPNSR_ISM_E10value_typeEPSN_NS1_7vsmem_tEENKUlT_SL_SM_SN_E_clISG_PS8_SH_SH_EESK_S10_SL_SM_SN_EUlS10_E_NS1_11comp_targetILNS1_3genE9ELNS1_11target_archE1100ELNS1_3gpuE3ELNS1_3repE0EEENS1_48merge_mergepath_partition_config_static_selectorELNS0_4arch9wavefront6targetE1EEEvSM_,comdat
.Lfunc_end663:
	.size	_ZN7rocprim17ROCPRIM_400000_NS6detail17trampoline_kernelINS0_14default_configENS1_38merge_sort_block_merge_config_selectorIN6thrust23THRUST_200600_302600_NS4pairIiiEENS0_10empty_typeEEEZZNS1_27merge_sort_block_merge_implIS3_NS6_6detail15normal_iteratorINS6_10device_ptrIS8_EEEEPS9_mNS6_4lessIS8_EEEE10hipError_tT0_T1_T2_jT3_P12ihipStream_tbPNSt15iterator_traitsISL_E10value_typeEPNSR_ISM_E10value_typeEPSN_NS1_7vsmem_tEENKUlT_SL_SM_SN_E_clISG_PS8_SH_SH_EESK_S10_SL_SM_SN_EUlS10_E_NS1_11comp_targetILNS1_3genE9ELNS1_11target_archE1100ELNS1_3gpuE3ELNS1_3repE0EEENS1_48merge_mergepath_partition_config_static_selectorELNS0_4arch9wavefront6targetE1EEEvSM_, .Lfunc_end663-_ZN7rocprim17ROCPRIM_400000_NS6detail17trampoline_kernelINS0_14default_configENS1_38merge_sort_block_merge_config_selectorIN6thrust23THRUST_200600_302600_NS4pairIiiEENS0_10empty_typeEEEZZNS1_27merge_sort_block_merge_implIS3_NS6_6detail15normal_iteratorINS6_10device_ptrIS8_EEEEPS9_mNS6_4lessIS8_EEEE10hipError_tT0_T1_T2_jT3_P12ihipStream_tbPNSt15iterator_traitsISL_E10value_typeEPNSR_ISM_E10value_typeEPSN_NS1_7vsmem_tEENKUlT_SL_SM_SN_E_clISG_PS8_SH_SH_EESK_S10_SL_SM_SN_EUlS10_E_NS1_11comp_targetILNS1_3genE9ELNS1_11target_archE1100ELNS1_3gpuE3ELNS1_3repE0EEENS1_48merge_mergepath_partition_config_static_selectorELNS0_4arch9wavefront6targetE1EEEvSM_
                                        ; -- End function
	.set _ZN7rocprim17ROCPRIM_400000_NS6detail17trampoline_kernelINS0_14default_configENS1_38merge_sort_block_merge_config_selectorIN6thrust23THRUST_200600_302600_NS4pairIiiEENS0_10empty_typeEEEZZNS1_27merge_sort_block_merge_implIS3_NS6_6detail15normal_iteratorINS6_10device_ptrIS8_EEEEPS9_mNS6_4lessIS8_EEEE10hipError_tT0_T1_T2_jT3_P12ihipStream_tbPNSt15iterator_traitsISL_E10value_typeEPNSR_ISM_E10value_typeEPSN_NS1_7vsmem_tEENKUlT_SL_SM_SN_E_clISG_PS8_SH_SH_EESK_S10_SL_SM_SN_EUlS10_E_NS1_11comp_targetILNS1_3genE9ELNS1_11target_archE1100ELNS1_3gpuE3ELNS1_3repE0EEENS1_48merge_mergepath_partition_config_static_selectorELNS0_4arch9wavefront6targetE1EEEvSM_.num_vgpr, 0
	.set _ZN7rocprim17ROCPRIM_400000_NS6detail17trampoline_kernelINS0_14default_configENS1_38merge_sort_block_merge_config_selectorIN6thrust23THRUST_200600_302600_NS4pairIiiEENS0_10empty_typeEEEZZNS1_27merge_sort_block_merge_implIS3_NS6_6detail15normal_iteratorINS6_10device_ptrIS8_EEEEPS9_mNS6_4lessIS8_EEEE10hipError_tT0_T1_T2_jT3_P12ihipStream_tbPNSt15iterator_traitsISL_E10value_typeEPNSR_ISM_E10value_typeEPSN_NS1_7vsmem_tEENKUlT_SL_SM_SN_E_clISG_PS8_SH_SH_EESK_S10_SL_SM_SN_EUlS10_E_NS1_11comp_targetILNS1_3genE9ELNS1_11target_archE1100ELNS1_3gpuE3ELNS1_3repE0EEENS1_48merge_mergepath_partition_config_static_selectorELNS0_4arch9wavefront6targetE1EEEvSM_.num_agpr, 0
	.set _ZN7rocprim17ROCPRIM_400000_NS6detail17trampoline_kernelINS0_14default_configENS1_38merge_sort_block_merge_config_selectorIN6thrust23THRUST_200600_302600_NS4pairIiiEENS0_10empty_typeEEEZZNS1_27merge_sort_block_merge_implIS3_NS6_6detail15normal_iteratorINS6_10device_ptrIS8_EEEEPS9_mNS6_4lessIS8_EEEE10hipError_tT0_T1_T2_jT3_P12ihipStream_tbPNSt15iterator_traitsISL_E10value_typeEPNSR_ISM_E10value_typeEPSN_NS1_7vsmem_tEENKUlT_SL_SM_SN_E_clISG_PS8_SH_SH_EESK_S10_SL_SM_SN_EUlS10_E_NS1_11comp_targetILNS1_3genE9ELNS1_11target_archE1100ELNS1_3gpuE3ELNS1_3repE0EEENS1_48merge_mergepath_partition_config_static_selectorELNS0_4arch9wavefront6targetE1EEEvSM_.numbered_sgpr, 0
	.set _ZN7rocprim17ROCPRIM_400000_NS6detail17trampoline_kernelINS0_14default_configENS1_38merge_sort_block_merge_config_selectorIN6thrust23THRUST_200600_302600_NS4pairIiiEENS0_10empty_typeEEEZZNS1_27merge_sort_block_merge_implIS3_NS6_6detail15normal_iteratorINS6_10device_ptrIS8_EEEEPS9_mNS6_4lessIS8_EEEE10hipError_tT0_T1_T2_jT3_P12ihipStream_tbPNSt15iterator_traitsISL_E10value_typeEPNSR_ISM_E10value_typeEPSN_NS1_7vsmem_tEENKUlT_SL_SM_SN_E_clISG_PS8_SH_SH_EESK_S10_SL_SM_SN_EUlS10_E_NS1_11comp_targetILNS1_3genE9ELNS1_11target_archE1100ELNS1_3gpuE3ELNS1_3repE0EEENS1_48merge_mergepath_partition_config_static_selectorELNS0_4arch9wavefront6targetE1EEEvSM_.num_named_barrier, 0
	.set _ZN7rocprim17ROCPRIM_400000_NS6detail17trampoline_kernelINS0_14default_configENS1_38merge_sort_block_merge_config_selectorIN6thrust23THRUST_200600_302600_NS4pairIiiEENS0_10empty_typeEEEZZNS1_27merge_sort_block_merge_implIS3_NS6_6detail15normal_iteratorINS6_10device_ptrIS8_EEEEPS9_mNS6_4lessIS8_EEEE10hipError_tT0_T1_T2_jT3_P12ihipStream_tbPNSt15iterator_traitsISL_E10value_typeEPNSR_ISM_E10value_typeEPSN_NS1_7vsmem_tEENKUlT_SL_SM_SN_E_clISG_PS8_SH_SH_EESK_S10_SL_SM_SN_EUlS10_E_NS1_11comp_targetILNS1_3genE9ELNS1_11target_archE1100ELNS1_3gpuE3ELNS1_3repE0EEENS1_48merge_mergepath_partition_config_static_selectorELNS0_4arch9wavefront6targetE1EEEvSM_.private_seg_size, 0
	.set _ZN7rocprim17ROCPRIM_400000_NS6detail17trampoline_kernelINS0_14default_configENS1_38merge_sort_block_merge_config_selectorIN6thrust23THRUST_200600_302600_NS4pairIiiEENS0_10empty_typeEEEZZNS1_27merge_sort_block_merge_implIS3_NS6_6detail15normal_iteratorINS6_10device_ptrIS8_EEEEPS9_mNS6_4lessIS8_EEEE10hipError_tT0_T1_T2_jT3_P12ihipStream_tbPNSt15iterator_traitsISL_E10value_typeEPNSR_ISM_E10value_typeEPSN_NS1_7vsmem_tEENKUlT_SL_SM_SN_E_clISG_PS8_SH_SH_EESK_S10_SL_SM_SN_EUlS10_E_NS1_11comp_targetILNS1_3genE9ELNS1_11target_archE1100ELNS1_3gpuE3ELNS1_3repE0EEENS1_48merge_mergepath_partition_config_static_selectorELNS0_4arch9wavefront6targetE1EEEvSM_.uses_vcc, 0
	.set _ZN7rocprim17ROCPRIM_400000_NS6detail17trampoline_kernelINS0_14default_configENS1_38merge_sort_block_merge_config_selectorIN6thrust23THRUST_200600_302600_NS4pairIiiEENS0_10empty_typeEEEZZNS1_27merge_sort_block_merge_implIS3_NS6_6detail15normal_iteratorINS6_10device_ptrIS8_EEEEPS9_mNS6_4lessIS8_EEEE10hipError_tT0_T1_T2_jT3_P12ihipStream_tbPNSt15iterator_traitsISL_E10value_typeEPNSR_ISM_E10value_typeEPSN_NS1_7vsmem_tEENKUlT_SL_SM_SN_E_clISG_PS8_SH_SH_EESK_S10_SL_SM_SN_EUlS10_E_NS1_11comp_targetILNS1_3genE9ELNS1_11target_archE1100ELNS1_3gpuE3ELNS1_3repE0EEENS1_48merge_mergepath_partition_config_static_selectorELNS0_4arch9wavefront6targetE1EEEvSM_.uses_flat_scratch, 0
	.set _ZN7rocprim17ROCPRIM_400000_NS6detail17trampoline_kernelINS0_14default_configENS1_38merge_sort_block_merge_config_selectorIN6thrust23THRUST_200600_302600_NS4pairIiiEENS0_10empty_typeEEEZZNS1_27merge_sort_block_merge_implIS3_NS6_6detail15normal_iteratorINS6_10device_ptrIS8_EEEEPS9_mNS6_4lessIS8_EEEE10hipError_tT0_T1_T2_jT3_P12ihipStream_tbPNSt15iterator_traitsISL_E10value_typeEPNSR_ISM_E10value_typeEPSN_NS1_7vsmem_tEENKUlT_SL_SM_SN_E_clISG_PS8_SH_SH_EESK_S10_SL_SM_SN_EUlS10_E_NS1_11comp_targetILNS1_3genE9ELNS1_11target_archE1100ELNS1_3gpuE3ELNS1_3repE0EEENS1_48merge_mergepath_partition_config_static_selectorELNS0_4arch9wavefront6targetE1EEEvSM_.has_dyn_sized_stack, 0
	.set _ZN7rocprim17ROCPRIM_400000_NS6detail17trampoline_kernelINS0_14default_configENS1_38merge_sort_block_merge_config_selectorIN6thrust23THRUST_200600_302600_NS4pairIiiEENS0_10empty_typeEEEZZNS1_27merge_sort_block_merge_implIS3_NS6_6detail15normal_iteratorINS6_10device_ptrIS8_EEEEPS9_mNS6_4lessIS8_EEEE10hipError_tT0_T1_T2_jT3_P12ihipStream_tbPNSt15iterator_traitsISL_E10value_typeEPNSR_ISM_E10value_typeEPSN_NS1_7vsmem_tEENKUlT_SL_SM_SN_E_clISG_PS8_SH_SH_EESK_S10_SL_SM_SN_EUlS10_E_NS1_11comp_targetILNS1_3genE9ELNS1_11target_archE1100ELNS1_3gpuE3ELNS1_3repE0EEENS1_48merge_mergepath_partition_config_static_selectorELNS0_4arch9wavefront6targetE1EEEvSM_.has_recursion, 0
	.set _ZN7rocprim17ROCPRIM_400000_NS6detail17trampoline_kernelINS0_14default_configENS1_38merge_sort_block_merge_config_selectorIN6thrust23THRUST_200600_302600_NS4pairIiiEENS0_10empty_typeEEEZZNS1_27merge_sort_block_merge_implIS3_NS6_6detail15normal_iteratorINS6_10device_ptrIS8_EEEEPS9_mNS6_4lessIS8_EEEE10hipError_tT0_T1_T2_jT3_P12ihipStream_tbPNSt15iterator_traitsISL_E10value_typeEPNSR_ISM_E10value_typeEPSN_NS1_7vsmem_tEENKUlT_SL_SM_SN_E_clISG_PS8_SH_SH_EESK_S10_SL_SM_SN_EUlS10_E_NS1_11comp_targetILNS1_3genE9ELNS1_11target_archE1100ELNS1_3gpuE3ELNS1_3repE0EEENS1_48merge_mergepath_partition_config_static_selectorELNS0_4arch9wavefront6targetE1EEEvSM_.has_indirect_call, 0
	.section	.AMDGPU.csdata,"",@progbits
; Kernel info:
; codeLenInByte = 0
; TotalNumSgprs: 6
; NumVgprs: 0
; NumAgprs: 0
; TotalNumVgprs: 0
; ScratchSize: 0
; MemoryBound: 0
; FloatMode: 240
; IeeeMode: 1
; LDSByteSize: 0 bytes/workgroup (compile time only)
; SGPRBlocks: 0
; VGPRBlocks: 0
; NumSGPRsForWavesPerEU: 6
; NumVGPRsForWavesPerEU: 1
; AccumOffset: 4
; Occupancy: 8
; WaveLimiterHint : 0
; COMPUTE_PGM_RSRC2:SCRATCH_EN: 0
; COMPUTE_PGM_RSRC2:USER_SGPR: 2
; COMPUTE_PGM_RSRC2:TRAP_HANDLER: 0
; COMPUTE_PGM_RSRC2:TGID_X_EN: 1
; COMPUTE_PGM_RSRC2:TGID_Y_EN: 0
; COMPUTE_PGM_RSRC2:TGID_Z_EN: 0
; COMPUTE_PGM_RSRC2:TIDIG_COMP_CNT: 0
; COMPUTE_PGM_RSRC3_GFX90A:ACCUM_OFFSET: 0
; COMPUTE_PGM_RSRC3_GFX90A:TG_SPLIT: 0
	.section	.text._ZN7rocprim17ROCPRIM_400000_NS6detail17trampoline_kernelINS0_14default_configENS1_38merge_sort_block_merge_config_selectorIN6thrust23THRUST_200600_302600_NS4pairIiiEENS0_10empty_typeEEEZZNS1_27merge_sort_block_merge_implIS3_NS6_6detail15normal_iteratorINS6_10device_ptrIS8_EEEEPS9_mNS6_4lessIS8_EEEE10hipError_tT0_T1_T2_jT3_P12ihipStream_tbPNSt15iterator_traitsISL_E10value_typeEPNSR_ISM_E10value_typeEPSN_NS1_7vsmem_tEENKUlT_SL_SM_SN_E_clISG_PS8_SH_SH_EESK_S10_SL_SM_SN_EUlS10_E_NS1_11comp_targetILNS1_3genE8ELNS1_11target_archE1030ELNS1_3gpuE2ELNS1_3repE0EEENS1_48merge_mergepath_partition_config_static_selectorELNS0_4arch9wavefront6targetE1EEEvSM_,"axG",@progbits,_ZN7rocprim17ROCPRIM_400000_NS6detail17trampoline_kernelINS0_14default_configENS1_38merge_sort_block_merge_config_selectorIN6thrust23THRUST_200600_302600_NS4pairIiiEENS0_10empty_typeEEEZZNS1_27merge_sort_block_merge_implIS3_NS6_6detail15normal_iteratorINS6_10device_ptrIS8_EEEEPS9_mNS6_4lessIS8_EEEE10hipError_tT0_T1_T2_jT3_P12ihipStream_tbPNSt15iterator_traitsISL_E10value_typeEPNSR_ISM_E10value_typeEPSN_NS1_7vsmem_tEENKUlT_SL_SM_SN_E_clISG_PS8_SH_SH_EESK_S10_SL_SM_SN_EUlS10_E_NS1_11comp_targetILNS1_3genE8ELNS1_11target_archE1030ELNS1_3gpuE2ELNS1_3repE0EEENS1_48merge_mergepath_partition_config_static_selectorELNS0_4arch9wavefront6targetE1EEEvSM_,comdat
	.protected	_ZN7rocprim17ROCPRIM_400000_NS6detail17trampoline_kernelINS0_14default_configENS1_38merge_sort_block_merge_config_selectorIN6thrust23THRUST_200600_302600_NS4pairIiiEENS0_10empty_typeEEEZZNS1_27merge_sort_block_merge_implIS3_NS6_6detail15normal_iteratorINS6_10device_ptrIS8_EEEEPS9_mNS6_4lessIS8_EEEE10hipError_tT0_T1_T2_jT3_P12ihipStream_tbPNSt15iterator_traitsISL_E10value_typeEPNSR_ISM_E10value_typeEPSN_NS1_7vsmem_tEENKUlT_SL_SM_SN_E_clISG_PS8_SH_SH_EESK_S10_SL_SM_SN_EUlS10_E_NS1_11comp_targetILNS1_3genE8ELNS1_11target_archE1030ELNS1_3gpuE2ELNS1_3repE0EEENS1_48merge_mergepath_partition_config_static_selectorELNS0_4arch9wavefront6targetE1EEEvSM_ ; -- Begin function _ZN7rocprim17ROCPRIM_400000_NS6detail17trampoline_kernelINS0_14default_configENS1_38merge_sort_block_merge_config_selectorIN6thrust23THRUST_200600_302600_NS4pairIiiEENS0_10empty_typeEEEZZNS1_27merge_sort_block_merge_implIS3_NS6_6detail15normal_iteratorINS6_10device_ptrIS8_EEEEPS9_mNS6_4lessIS8_EEEE10hipError_tT0_T1_T2_jT3_P12ihipStream_tbPNSt15iterator_traitsISL_E10value_typeEPNSR_ISM_E10value_typeEPSN_NS1_7vsmem_tEENKUlT_SL_SM_SN_E_clISG_PS8_SH_SH_EESK_S10_SL_SM_SN_EUlS10_E_NS1_11comp_targetILNS1_3genE8ELNS1_11target_archE1030ELNS1_3gpuE2ELNS1_3repE0EEENS1_48merge_mergepath_partition_config_static_selectorELNS0_4arch9wavefront6targetE1EEEvSM_
	.globl	_ZN7rocprim17ROCPRIM_400000_NS6detail17trampoline_kernelINS0_14default_configENS1_38merge_sort_block_merge_config_selectorIN6thrust23THRUST_200600_302600_NS4pairIiiEENS0_10empty_typeEEEZZNS1_27merge_sort_block_merge_implIS3_NS6_6detail15normal_iteratorINS6_10device_ptrIS8_EEEEPS9_mNS6_4lessIS8_EEEE10hipError_tT0_T1_T2_jT3_P12ihipStream_tbPNSt15iterator_traitsISL_E10value_typeEPNSR_ISM_E10value_typeEPSN_NS1_7vsmem_tEENKUlT_SL_SM_SN_E_clISG_PS8_SH_SH_EESK_S10_SL_SM_SN_EUlS10_E_NS1_11comp_targetILNS1_3genE8ELNS1_11target_archE1030ELNS1_3gpuE2ELNS1_3repE0EEENS1_48merge_mergepath_partition_config_static_selectorELNS0_4arch9wavefront6targetE1EEEvSM_
	.p2align	8
	.type	_ZN7rocprim17ROCPRIM_400000_NS6detail17trampoline_kernelINS0_14default_configENS1_38merge_sort_block_merge_config_selectorIN6thrust23THRUST_200600_302600_NS4pairIiiEENS0_10empty_typeEEEZZNS1_27merge_sort_block_merge_implIS3_NS6_6detail15normal_iteratorINS6_10device_ptrIS8_EEEEPS9_mNS6_4lessIS8_EEEE10hipError_tT0_T1_T2_jT3_P12ihipStream_tbPNSt15iterator_traitsISL_E10value_typeEPNSR_ISM_E10value_typeEPSN_NS1_7vsmem_tEENKUlT_SL_SM_SN_E_clISG_PS8_SH_SH_EESK_S10_SL_SM_SN_EUlS10_E_NS1_11comp_targetILNS1_3genE8ELNS1_11target_archE1030ELNS1_3gpuE2ELNS1_3repE0EEENS1_48merge_mergepath_partition_config_static_selectorELNS0_4arch9wavefront6targetE1EEEvSM_,@function
_ZN7rocprim17ROCPRIM_400000_NS6detail17trampoline_kernelINS0_14default_configENS1_38merge_sort_block_merge_config_selectorIN6thrust23THRUST_200600_302600_NS4pairIiiEENS0_10empty_typeEEEZZNS1_27merge_sort_block_merge_implIS3_NS6_6detail15normal_iteratorINS6_10device_ptrIS8_EEEEPS9_mNS6_4lessIS8_EEEE10hipError_tT0_T1_T2_jT3_P12ihipStream_tbPNSt15iterator_traitsISL_E10value_typeEPNSR_ISM_E10value_typeEPSN_NS1_7vsmem_tEENKUlT_SL_SM_SN_E_clISG_PS8_SH_SH_EESK_S10_SL_SM_SN_EUlS10_E_NS1_11comp_targetILNS1_3genE8ELNS1_11target_archE1030ELNS1_3gpuE2ELNS1_3repE0EEENS1_48merge_mergepath_partition_config_static_selectorELNS0_4arch9wavefront6targetE1EEEvSM_: ; @_ZN7rocprim17ROCPRIM_400000_NS6detail17trampoline_kernelINS0_14default_configENS1_38merge_sort_block_merge_config_selectorIN6thrust23THRUST_200600_302600_NS4pairIiiEENS0_10empty_typeEEEZZNS1_27merge_sort_block_merge_implIS3_NS6_6detail15normal_iteratorINS6_10device_ptrIS8_EEEEPS9_mNS6_4lessIS8_EEEE10hipError_tT0_T1_T2_jT3_P12ihipStream_tbPNSt15iterator_traitsISL_E10value_typeEPNSR_ISM_E10value_typeEPSN_NS1_7vsmem_tEENKUlT_SL_SM_SN_E_clISG_PS8_SH_SH_EESK_S10_SL_SM_SN_EUlS10_E_NS1_11comp_targetILNS1_3genE8ELNS1_11target_archE1030ELNS1_3gpuE2ELNS1_3repE0EEENS1_48merge_mergepath_partition_config_static_selectorELNS0_4arch9wavefront6targetE1EEEvSM_
; %bb.0:
	.section	.rodata,"a",@progbits
	.p2align	6, 0x0
	.amdhsa_kernel _ZN7rocprim17ROCPRIM_400000_NS6detail17trampoline_kernelINS0_14default_configENS1_38merge_sort_block_merge_config_selectorIN6thrust23THRUST_200600_302600_NS4pairIiiEENS0_10empty_typeEEEZZNS1_27merge_sort_block_merge_implIS3_NS6_6detail15normal_iteratorINS6_10device_ptrIS8_EEEEPS9_mNS6_4lessIS8_EEEE10hipError_tT0_T1_T2_jT3_P12ihipStream_tbPNSt15iterator_traitsISL_E10value_typeEPNSR_ISM_E10value_typeEPSN_NS1_7vsmem_tEENKUlT_SL_SM_SN_E_clISG_PS8_SH_SH_EESK_S10_SL_SM_SN_EUlS10_E_NS1_11comp_targetILNS1_3genE8ELNS1_11target_archE1030ELNS1_3gpuE2ELNS1_3repE0EEENS1_48merge_mergepath_partition_config_static_selectorELNS0_4arch9wavefront6targetE1EEEvSM_
		.amdhsa_group_segment_fixed_size 0
		.amdhsa_private_segment_fixed_size 0
		.amdhsa_kernarg_size 48
		.amdhsa_user_sgpr_count 2
		.amdhsa_user_sgpr_dispatch_ptr 0
		.amdhsa_user_sgpr_queue_ptr 0
		.amdhsa_user_sgpr_kernarg_segment_ptr 1
		.amdhsa_user_sgpr_dispatch_id 0
		.amdhsa_user_sgpr_kernarg_preload_length 0
		.amdhsa_user_sgpr_kernarg_preload_offset 0
		.amdhsa_user_sgpr_private_segment_size 0
		.amdhsa_uses_dynamic_stack 0
		.amdhsa_enable_private_segment 0
		.amdhsa_system_sgpr_workgroup_id_x 1
		.amdhsa_system_sgpr_workgroup_id_y 0
		.amdhsa_system_sgpr_workgroup_id_z 0
		.amdhsa_system_sgpr_workgroup_info 0
		.amdhsa_system_vgpr_workitem_id 0
		.amdhsa_next_free_vgpr 1
		.amdhsa_next_free_sgpr 0
		.amdhsa_accum_offset 4
		.amdhsa_reserve_vcc 0
		.amdhsa_float_round_mode_32 0
		.amdhsa_float_round_mode_16_64 0
		.amdhsa_float_denorm_mode_32 3
		.amdhsa_float_denorm_mode_16_64 3
		.amdhsa_dx10_clamp 1
		.amdhsa_ieee_mode 1
		.amdhsa_fp16_overflow 0
		.amdhsa_tg_split 0
		.amdhsa_exception_fp_ieee_invalid_op 0
		.amdhsa_exception_fp_denorm_src 0
		.amdhsa_exception_fp_ieee_div_zero 0
		.amdhsa_exception_fp_ieee_overflow 0
		.amdhsa_exception_fp_ieee_underflow 0
		.amdhsa_exception_fp_ieee_inexact 0
		.amdhsa_exception_int_div_zero 0
	.end_amdhsa_kernel
	.section	.text._ZN7rocprim17ROCPRIM_400000_NS6detail17trampoline_kernelINS0_14default_configENS1_38merge_sort_block_merge_config_selectorIN6thrust23THRUST_200600_302600_NS4pairIiiEENS0_10empty_typeEEEZZNS1_27merge_sort_block_merge_implIS3_NS6_6detail15normal_iteratorINS6_10device_ptrIS8_EEEEPS9_mNS6_4lessIS8_EEEE10hipError_tT0_T1_T2_jT3_P12ihipStream_tbPNSt15iterator_traitsISL_E10value_typeEPNSR_ISM_E10value_typeEPSN_NS1_7vsmem_tEENKUlT_SL_SM_SN_E_clISG_PS8_SH_SH_EESK_S10_SL_SM_SN_EUlS10_E_NS1_11comp_targetILNS1_3genE8ELNS1_11target_archE1030ELNS1_3gpuE2ELNS1_3repE0EEENS1_48merge_mergepath_partition_config_static_selectorELNS0_4arch9wavefront6targetE1EEEvSM_,"axG",@progbits,_ZN7rocprim17ROCPRIM_400000_NS6detail17trampoline_kernelINS0_14default_configENS1_38merge_sort_block_merge_config_selectorIN6thrust23THRUST_200600_302600_NS4pairIiiEENS0_10empty_typeEEEZZNS1_27merge_sort_block_merge_implIS3_NS6_6detail15normal_iteratorINS6_10device_ptrIS8_EEEEPS9_mNS6_4lessIS8_EEEE10hipError_tT0_T1_T2_jT3_P12ihipStream_tbPNSt15iterator_traitsISL_E10value_typeEPNSR_ISM_E10value_typeEPSN_NS1_7vsmem_tEENKUlT_SL_SM_SN_E_clISG_PS8_SH_SH_EESK_S10_SL_SM_SN_EUlS10_E_NS1_11comp_targetILNS1_3genE8ELNS1_11target_archE1030ELNS1_3gpuE2ELNS1_3repE0EEENS1_48merge_mergepath_partition_config_static_selectorELNS0_4arch9wavefront6targetE1EEEvSM_,comdat
.Lfunc_end664:
	.size	_ZN7rocprim17ROCPRIM_400000_NS6detail17trampoline_kernelINS0_14default_configENS1_38merge_sort_block_merge_config_selectorIN6thrust23THRUST_200600_302600_NS4pairIiiEENS0_10empty_typeEEEZZNS1_27merge_sort_block_merge_implIS3_NS6_6detail15normal_iteratorINS6_10device_ptrIS8_EEEEPS9_mNS6_4lessIS8_EEEE10hipError_tT0_T1_T2_jT3_P12ihipStream_tbPNSt15iterator_traitsISL_E10value_typeEPNSR_ISM_E10value_typeEPSN_NS1_7vsmem_tEENKUlT_SL_SM_SN_E_clISG_PS8_SH_SH_EESK_S10_SL_SM_SN_EUlS10_E_NS1_11comp_targetILNS1_3genE8ELNS1_11target_archE1030ELNS1_3gpuE2ELNS1_3repE0EEENS1_48merge_mergepath_partition_config_static_selectorELNS0_4arch9wavefront6targetE1EEEvSM_, .Lfunc_end664-_ZN7rocprim17ROCPRIM_400000_NS6detail17trampoline_kernelINS0_14default_configENS1_38merge_sort_block_merge_config_selectorIN6thrust23THRUST_200600_302600_NS4pairIiiEENS0_10empty_typeEEEZZNS1_27merge_sort_block_merge_implIS3_NS6_6detail15normal_iteratorINS6_10device_ptrIS8_EEEEPS9_mNS6_4lessIS8_EEEE10hipError_tT0_T1_T2_jT3_P12ihipStream_tbPNSt15iterator_traitsISL_E10value_typeEPNSR_ISM_E10value_typeEPSN_NS1_7vsmem_tEENKUlT_SL_SM_SN_E_clISG_PS8_SH_SH_EESK_S10_SL_SM_SN_EUlS10_E_NS1_11comp_targetILNS1_3genE8ELNS1_11target_archE1030ELNS1_3gpuE2ELNS1_3repE0EEENS1_48merge_mergepath_partition_config_static_selectorELNS0_4arch9wavefront6targetE1EEEvSM_
                                        ; -- End function
	.set _ZN7rocprim17ROCPRIM_400000_NS6detail17trampoline_kernelINS0_14default_configENS1_38merge_sort_block_merge_config_selectorIN6thrust23THRUST_200600_302600_NS4pairIiiEENS0_10empty_typeEEEZZNS1_27merge_sort_block_merge_implIS3_NS6_6detail15normal_iteratorINS6_10device_ptrIS8_EEEEPS9_mNS6_4lessIS8_EEEE10hipError_tT0_T1_T2_jT3_P12ihipStream_tbPNSt15iterator_traitsISL_E10value_typeEPNSR_ISM_E10value_typeEPSN_NS1_7vsmem_tEENKUlT_SL_SM_SN_E_clISG_PS8_SH_SH_EESK_S10_SL_SM_SN_EUlS10_E_NS1_11comp_targetILNS1_3genE8ELNS1_11target_archE1030ELNS1_3gpuE2ELNS1_3repE0EEENS1_48merge_mergepath_partition_config_static_selectorELNS0_4arch9wavefront6targetE1EEEvSM_.num_vgpr, 0
	.set _ZN7rocprim17ROCPRIM_400000_NS6detail17trampoline_kernelINS0_14default_configENS1_38merge_sort_block_merge_config_selectorIN6thrust23THRUST_200600_302600_NS4pairIiiEENS0_10empty_typeEEEZZNS1_27merge_sort_block_merge_implIS3_NS6_6detail15normal_iteratorINS6_10device_ptrIS8_EEEEPS9_mNS6_4lessIS8_EEEE10hipError_tT0_T1_T2_jT3_P12ihipStream_tbPNSt15iterator_traitsISL_E10value_typeEPNSR_ISM_E10value_typeEPSN_NS1_7vsmem_tEENKUlT_SL_SM_SN_E_clISG_PS8_SH_SH_EESK_S10_SL_SM_SN_EUlS10_E_NS1_11comp_targetILNS1_3genE8ELNS1_11target_archE1030ELNS1_3gpuE2ELNS1_3repE0EEENS1_48merge_mergepath_partition_config_static_selectorELNS0_4arch9wavefront6targetE1EEEvSM_.num_agpr, 0
	.set _ZN7rocprim17ROCPRIM_400000_NS6detail17trampoline_kernelINS0_14default_configENS1_38merge_sort_block_merge_config_selectorIN6thrust23THRUST_200600_302600_NS4pairIiiEENS0_10empty_typeEEEZZNS1_27merge_sort_block_merge_implIS3_NS6_6detail15normal_iteratorINS6_10device_ptrIS8_EEEEPS9_mNS6_4lessIS8_EEEE10hipError_tT0_T1_T2_jT3_P12ihipStream_tbPNSt15iterator_traitsISL_E10value_typeEPNSR_ISM_E10value_typeEPSN_NS1_7vsmem_tEENKUlT_SL_SM_SN_E_clISG_PS8_SH_SH_EESK_S10_SL_SM_SN_EUlS10_E_NS1_11comp_targetILNS1_3genE8ELNS1_11target_archE1030ELNS1_3gpuE2ELNS1_3repE0EEENS1_48merge_mergepath_partition_config_static_selectorELNS0_4arch9wavefront6targetE1EEEvSM_.numbered_sgpr, 0
	.set _ZN7rocprim17ROCPRIM_400000_NS6detail17trampoline_kernelINS0_14default_configENS1_38merge_sort_block_merge_config_selectorIN6thrust23THRUST_200600_302600_NS4pairIiiEENS0_10empty_typeEEEZZNS1_27merge_sort_block_merge_implIS3_NS6_6detail15normal_iteratorINS6_10device_ptrIS8_EEEEPS9_mNS6_4lessIS8_EEEE10hipError_tT0_T1_T2_jT3_P12ihipStream_tbPNSt15iterator_traitsISL_E10value_typeEPNSR_ISM_E10value_typeEPSN_NS1_7vsmem_tEENKUlT_SL_SM_SN_E_clISG_PS8_SH_SH_EESK_S10_SL_SM_SN_EUlS10_E_NS1_11comp_targetILNS1_3genE8ELNS1_11target_archE1030ELNS1_3gpuE2ELNS1_3repE0EEENS1_48merge_mergepath_partition_config_static_selectorELNS0_4arch9wavefront6targetE1EEEvSM_.num_named_barrier, 0
	.set _ZN7rocprim17ROCPRIM_400000_NS6detail17trampoline_kernelINS0_14default_configENS1_38merge_sort_block_merge_config_selectorIN6thrust23THRUST_200600_302600_NS4pairIiiEENS0_10empty_typeEEEZZNS1_27merge_sort_block_merge_implIS3_NS6_6detail15normal_iteratorINS6_10device_ptrIS8_EEEEPS9_mNS6_4lessIS8_EEEE10hipError_tT0_T1_T2_jT3_P12ihipStream_tbPNSt15iterator_traitsISL_E10value_typeEPNSR_ISM_E10value_typeEPSN_NS1_7vsmem_tEENKUlT_SL_SM_SN_E_clISG_PS8_SH_SH_EESK_S10_SL_SM_SN_EUlS10_E_NS1_11comp_targetILNS1_3genE8ELNS1_11target_archE1030ELNS1_3gpuE2ELNS1_3repE0EEENS1_48merge_mergepath_partition_config_static_selectorELNS0_4arch9wavefront6targetE1EEEvSM_.private_seg_size, 0
	.set _ZN7rocprim17ROCPRIM_400000_NS6detail17trampoline_kernelINS0_14default_configENS1_38merge_sort_block_merge_config_selectorIN6thrust23THRUST_200600_302600_NS4pairIiiEENS0_10empty_typeEEEZZNS1_27merge_sort_block_merge_implIS3_NS6_6detail15normal_iteratorINS6_10device_ptrIS8_EEEEPS9_mNS6_4lessIS8_EEEE10hipError_tT0_T1_T2_jT3_P12ihipStream_tbPNSt15iterator_traitsISL_E10value_typeEPNSR_ISM_E10value_typeEPSN_NS1_7vsmem_tEENKUlT_SL_SM_SN_E_clISG_PS8_SH_SH_EESK_S10_SL_SM_SN_EUlS10_E_NS1_11comp_targetILNS1_3genE8ELNS1_11target_archE1030ELNS1_3gpuE2ELNS1_3repE0EEENS1_48merge_mergepath_partition_config_static_selectorELNS0_4arch9wavefront6targetE1EEEvSM_.uses_vcc, 0
	.set _ZN7rocprim17ROCPRIM_400000_NS6detail17trampoline_kernelINS0_14default_configENS1_38merge_sort_block_merge_config_selectorIN6thrust23THRUST_200600_302600_NS4pairIiiEENS0_10empty_typeEEEZZNS1_27merge_sort_block_merge_implIS3_NS6_6detail15normal_iteratorINS6_10device_ptrIS8_EEEEPS9_mNS6_4lessIS8_EEEE10hipError_tT0_T1_T2_jT3_P12ihipStream_tbPNSt15iterator_traitsISL_E10value_typeEPNSR_ISM_E10value_typeEPSN_NS1_7vsmem_tEENKUlT_SL_SM_SN_E_clISG_PS8_SH_SH_EESK_S10_SL_SM_SN_EUlS10_E_NS1_11comp_targetILNS1_3genE8ELNS1_11target_archE1030ELNS1_3gpuE2ELNS1_3repE0EEENS1_48merge_mergepath_partition_config_static_selectorELNS0_4arch9wavefront6targetE1EEEvSM_.uses_flat_scratch, 0
	.set _ZN7rocprim17ROCPRIM_400000_NS6detail17trampoline_kernelINS0_14default_configENS1_38merge_sort_block_merge_config_selectorIN6thrust23THRUST_200600_302600_NS4pairIiiEENS0_10empty_typeEEEZZNS1_27merge_sort_block_merge_implIS3_NS6_6detail15normal_iteratorINS6_10device_ptrIS8_EEEEPS9_mNS6_4lessIS8_EEEE10hipError_tT0_T1_T2_jT3_P12ihipStream_tbPNSt15iterator_traitsISL_E10value_typeEPNSR_ISM_E10value_typeEPSN_NS1_7vsmem_tEENKUlT_SL_SM_SN_E_clISG_PS8_SH_SH_EESK_S10_SL_SM_SN_EUlS10_E_NS1_11comp_targetILNS1_3genE8ELNS1_11target_archE1030ELNS1_3gpuE2ELNS1_3repE0EEENS1_48merge_mergepath_partition_config_static_selectorELNS0_4arch9wavefront6targetE1EEEvSM_.has_dyn_sized_stack, 0
	.set _ZN7rocprim17ROCPRIM_400000_NS6detail17trampoline_kernelINS0_14default_configENS1_38merge_sort_block_merge_config_selectorIN6thrust23THRUST_200600_302600_NS4pairIiiEENS0_10empty_typeEEEZZNS1_27merge_sort_block_merge_implIS3_NS6_6detail15normal_iteratorINS6_10device_ptrIS8_EEEEPS9_mNS6_4lessIS8_EEEE10hipError_tT0_T1_T2_jT3_P12ihipStream_tbPNSt15iterator_traitsISL_E10value_typeEPNSR_ISM_E10value_typeEPSN_NS1_7vsmem_tEENKUlT_SL_SM_SN_E_clISG_PS8_SH_SH_EESK_S10_SL_SM_SN_EUlS10_E_NS1_11comp_targetILNS1_3genE8ELNS1_11target_archE1030ELNS1_3gpuE2ELNS1_3repE0EEENS1_48merge_mergepath_partition_config_static_selectorELNS0_4arch9wavefront6targetE1EEEvSM_.has_recursion, 0
	.set _ZN7rocprim17ROCPRIM_400000_NS6detail17trampoline_kernelINS0_14default_configENS1_38merge_sort_block_merge_config_selectorIN6thrust23THRUST_200600_302600_NS4pairIiiEENS0_10empty_typeEEEZZNS1_27merge_sort_block_merge_implIS3_NS6_6detail15normal_iteratorINS6_10device_ptrIS8_EEEEPS9_mNS6_4lessIS8_EEEE10hipError_tT0_T1_T2_jT3_P12ihipStream_tbPNSt15iterator_traitsISL_E10value_typeEPNSR_ISM_E10value_typeEPSN_NS1_7vsmem_tEENKUlT_SL_SM_SN_E_clISG_PS8_SH_SH_EESK_S10_SL_SM_SN_EUlS10_E_NS1_11comp_targetILNS1_3genE8ELNS1_11target_archE1030ELNS1_3gpuE2ELNS1_3repE0EEENS1_48merge_mergepath_partition_config_static_selectorELNS0_4arch9wavefront6targetE1EEEvSM_.has_indirect_call, 0
	.section	.AMDGPU.csdata,"",@progbits
; Kernel info:
; codeLenInByte = 0
; TotalNumSgprs: 6
; NumVgprs: 0
; NumAgprs: 0
; TotalNumVgprs: 0
; ScratchSize: 0
; MemoryBound: 0
; FloatMode: 240
; IeeeMode: 1
; LDSByteSize: 0 bytes/workgroup (compile time only)
; SGPRBlocks: 0
; VGPRBlocks: 0
; NumSGPRsForWavesPerEU: 6
; NumVGPRsForWavesPerEU: 1
; AccumOffset: 4
; Occupancy: 8
; WaveLimiterHint : 0
; COMPUTE_PGM_RSRC2:SCRATCH_EN: 0
; COMPUTE_PGM_RSRC2:USER_SGPR: 2
; COMPUTE_PGM_RSRC2:TRAP_HANDLER: 0
; COMPUTE_PGM_RSRC2:TGID_X_EN: 1
; COMPUTE_PGM_RSRC2:TGID_Y_EN: 0
; COMPUTE_PGM_RSRC2:TGID_Z_EN: 0
; COMPUTE_PGM_RSRC2:TIDIG_COMP_CNT: 0
; COMPUTE_PGM_RSRC3_GFX90A:ACCUM_OFFSET: 0
; COMPUTE_PGM_RSRC3_GFX90A:TG_SPLIT: 0
	.section	.text._ZN7rocprim17ROCPRIM_400000_NS6detail17trampoline_kernelINS0_14default_configENS1_38merge_sort_block_merge_config_selectorIN6thrust23THRUST_200600_302600_NS4pairIiiEENS0_10empty_typeEEEZZNS1_27merge_sort_block_merge_implIS3_NS6_6detail15normal_iteratorINS6_10device_ptrIS8_EEEEPS9_mNS6_4lessIS8_EEEE10hipError_tT0_T1_T2_jT3_P12ihipStream_tbPNSt15iterator_traitsISL_E10value_typeEPNSR_ISM_E10value_typeEPSN_NS1_7vsmem_tEENKUlT_SL_SM_SN_E_clISG_PS8_SH_SH_EESK_S10_SL_SM_SN_EUlS10_E0_NS1_11comp_targetILNS1_3genE0ELNS1_11target_archE4294967295ELNS1_3gpuE0ELNS1_3repE0EEENS1_38merge_mergepath_config_static_selectorELNS0_4arch9wavefront6targetE1EEEvSM_,"axG",@progbits,_ZN7rocprim17ROCPRIM_400000_NS6detail17trampoline_kernelINS0_14default_configENS1_38merge_sort_block_merge_config_selectorIN6thrust23THRUST_200600_302600_NS4pairIiiEENS0_10empty_typeEEEZZNS1_27merge_sort_block_merge_implIS3_NS6_6detail15normal_iteratorINS6_10device_ptrIS8_EEEEPS9_mNS6_4lessIS8_EEEE10hipError_tT0_T1_T2_jT3_P12ihipStream_tbPNSt15iterator_traitsISL_E10value_typeEPNSR_ISM_E10value_typeEPSN_NS1_7vsmem_tEENKUlT_SL_SM_SN_E_clISG_PS8_SH_SH_EESK_S10_SL_SM_SN_EUlS10_E0_NS1_11comp_targetILNS1_3genE0ELNS1_11target_archE4294967295ELNS1_3gpuE0ELNS1_3repE0EEENS1_38merge_mergepath_config_static_selectorELNS0_4arch9wavefront6targetE1EEEvSM_,comdat
	.protected	_ZN7rocprim17ROCPRIM_400000_NS6detail17trampoline_kernelINS0_14default_configENS1_38merge_sort_block_merge_config_selectorIN6thrust23THRUST_200600_302600_NS4pairIiiEENS0_10empty_typeEEEZZNS1_27merge_sort_block_merge_implIS3_NS6_6detail15normal_iteratorINS6_10device_ptrIS8_EEEEPS9_mNS6_4lessIS8_EEEE10hipError_tT0_T1_T2_jT3_P12ihipStream_tbPNSt15iterator_traitsISL_E10value_typeEPNSR_ISM_E10value_typeEPSN_NS1_7vsmem_tEENKUlT_SL_SM_SN_E_clISG_PS8_SH_SH_EESK_S10_SL_SM_SN_EUlS10_E0_NS1_11comp_targetILNS1_3genE0ELNS1_11target_archE4294967295ELNS1_3gpuE0ELNS1_3repE0EEENS1_38merge_mergepath_config_static_selectorELNS0_4arch9wavefront6targetE1EEEvSM_ ; -- Begin function _ZN7rocprim17ROCPRIM_400000_NS6detail17trampoline_kernelINS0_14default_configENS1_38merge_sort_block_merge_config_selectorIN6thrust23THRUST_200600_302600_NS4pairIiiEENS0_10empty_typeEEEZZNS1_27merge_sort_block_merge_implIS3_NS6_6detail15normal_iteratorINS6_10device_ptrIS8_EEEEPS9_mNS6_4lessIS8_EEEE10hipError_tT0_T1_T2_jT3_P12ihipStream_tbPNSt15iterator_traitsISL_E10value_typeEPNSR_ISM_E10value_typeEPSN_NS1_7vsmem_tEENKUlT_SL_SM_SN_E_clISG_PS8_SH_SH_EESK_S10_SL_SM_SN_EUlS10_E0_NS1_11comp_targetILNS1_3genE0ELNS1_11target_archE4294967295ELNS1_3gpuE0ELNS1_3repE0EEENS1_38merge_mergepath_config_static_selectorELNS0_4arch9wavefront6targetE1EEEvSM_
	.globl	_ZN7rocprim17ROCPRIM_400000_NS6detail17trampoline_kernelINS0_14default_configENS1_38merge_sort_block_merge_config_selectorIN6thrust23THRUST_200600_302600_NS4pairIiiEENS0_10empty_typeEEEZZNS1_27merge_sort_block_merge_implIS3_NS6_6detail15normal_iteratorINS6_10device_ptrIS8_EEEEPS9_mNS6_4lessIS8_EEEE10hipError_tT0_T1_T2_jT3_P12ihipStream_tbPNSt15iterator_traitsISL_E10value_typeEPNSR_ISM_E10value_typeEPSN_NS1_7vsmem_tEENKUlT_SL_SM_SN_E_clISG_PS8_SH_SH_EESK_S10_SL_SM_SN_EUlS10_E0_NS1_11comp_targetILNS1_3genE0ELNS1_11target_archE4294967295ELNS1_3gpuE0ELNS1_3repE0EEENS1_38merge_mergepath_config_static_selectorELNS0_4arch9wavefront6targetE1EEEvSM_
	.p2align	8
	.type	_ZN7rocprim17ROCPRIM_400000_NS6detail17trampoline_kernelINS0_14default_configENS1_38merge_sort_block_merge_config_selectorIN6thrust23THRUST_200600_302600_NS4pairIiiEENS0_10empty_typeEEEZZNS1_27merge_sort_block_merge_implIS3_NS6_6detail15normal_iteratorINS6_10device_ptrIS8_EEEEPS9_mNS6_4lessIS8_EEEE10hipError_tT0_T1_T2_jT3_P12ihipStream_tbPNSt15iterator_traitsISL_E10value_typeEPNSR_ISM_E10value_typeEPSN_NS1_7vsmem_tEENKUlT_SL_SM_SN_E_clISG_PS8_SH_SH_EESK_S10_SL_SM_SN_EUlS10_E0_NS1_11comp_targetILNS1_3genE0ELNS1_11target_archE4294967295ELNS1_3gpuE0ELNS1_3repE0EEENS1_38merge_mergepath_config_static_selectorELNS0_4arch9wavefront6targetE1EEEvSM_,@function
_ZN7rocprim17ROCPRIM_400000_NS6detail17trampoline_kernelINS0_14default_configENS1_38merge_sort_block_merge_config_selectorIN6thrust23THRUST_200600_302600_NS4pairIiiEENS0_10empty_typeEEEZZNS1_27merge_sort_block_merge_implIS3_NS6_6detail15normal_iteratorINS6_10device_ptrIS8_EEEEPS9_mNS6_4lessIS8_EEEE10hipError_tT0_T1_T2_jT3_P12ihipStream_tbPNSt15iterator_traitsISL_E10value_typeEPNSR_ISM_E10value_typeEPSN_NS1_7vsmem_tEENKUlT_SL_SM_SN_E_clISG_PS8_SH_SH_EESK_S10_SL_SM_SN_EUlS10_E0_NS1_11comp_targetILNS1_3genE0ELNS1_11target_archE4294967295ELNS1_3gpuE0ELNS1_3repE0EEENS1_38merge_mergepath_config_static_selectorELNS0_4arch9wavefront6targetE1EEEvSM_: ; @_ZN7rocprim17ROCPRIM_400000_NS6detail17trampoline_kernelINS0_14default_configENS1_38merge_sort_block_merge_config_selectorIN6thrust23THRUST_200600_302600_NS4pairIiiEENS0_10empty_typeEEEZZNS1_27merge_sort_block_merge_implIS3_NS6_6detail15normal_iteratorINS6_10device_ptrIS8_EEEEPS9_mNS6_4lessIS8_EEEE10hipError_tT0_T1_T2_jT3_P12ihipStream_tbPNSt15iterator_traitsISL_E10value_typeEPNSR_ISM_E10value_typeEPSN_NS1_7vsmem_tEENKUlT_SL_SM_SN_E_clISG_PS8_SH_SH_EESK_S10_SL_SM_SN_EUlS10_E0_NS1_11comp_targetILNS1_3genE0ELNS1_11target_archE4294967295ELNS1_3gpuE0ELNS1_3repE0EEENS1_38merge_mergepath_config_static_selectorELNS0_4arch9wavefront6targetE1EEEvSM_
; %bb.0:
	s_load_dwordx2 s[22:23], s[0:1], 0x48
	s_load_dword s5, s[0:1], 0x38
	s_add_u32 s8, s0, 0x48
	s_addc_u32 s9, s1, 0
	s_waitcnt lgkmcnt(0)
	s_mul_i32 s4, s23, s4
	s_add_i32 s3, s4, s3
	s_mul_i32 s3, s3, s22
	s_add_i32 s10, s3, s2
	s_cmp_ge_u32 s10, s5
	s_cbranch_scc1 .LBB665_47
; %bb.1:
	s_load_dwordx2 s[4:5], s[0:1], 0x40
	s_load_dwordx4 s[12:15], s[0:1], 0x8
	s_load_dwordx4 s[16:19], s[0:1], 0x28
	s_mov_b32 s11, 0
	s_lshl_b64 s[0:1], s[10:11], 3
	s_waitcnt lgkmcnt(0)
	s_add_u32 s0, s4, s0
	s_addc_u32 s1, s5, s1
	s_load_dwordx4 s[4:7], s[0:1], 0x0
	s_lshr_b64 s[0:1], s[18:19], 9
	s_and_b32 s0, s0, -2
	s_sub_i32 s30, 0, s0
	s_and_b32 s24, s10, s30
	s_mov_b32 s25, s11
	s_lshl_b64 s[0:1], s[24:25], 10
	s_lshl_b64 s[20:21], s[10:11], 10
	s_sub_u32 s3, s20, s0
	s_subb_u32 s23, s21, s1
	s_lshl_b64 s[24:25], s[24:25], 11
	s_add_u32 s24, s24, s18
	s_addc_u32 s25, s25, s19
	s_add_u32 s3, s24, s3
	s_addc_u32 s23, s25, s23
	s_waitcnt lgkmcnt(0)
	s_sub_u32 s26, s3, s6
	s_subb_u32 s7, s23, s7
	s_add_u32 s26, s26, 0x400
	s_addc_u32 s27, s7, 0
	v_mov_b64_e32 v[2:3], s[26:27]
	v_cmp_lt_u64_e32 vcc, s[16:17], v[2:3]
	s_and_b64 s[28:29], vcc, exec
	s_cselect_b32 s7, s16, s26
	s_or_b32 s26, s10, s30
	s_cmp_lg_u32 s26, -1
	s_cbranch_scc1 .LBB665_3
; %bb.2:
	s_sub_u32 s0, s24, s0
	s_subb_u32 s1, s25, s1
	v_mov_b64_e32 v[2:3], s[0:1]
	v_cmp_lt_u64_e32 vcc, s[16:17], v[2:3]
	s_and_b64 s[6:7], vcc, exec
	s_cselect_b32 s6, s16, s0
	s_add_u32 s0, s0, s18
	s_addc_u32 s1, s1, s19
	v_mov_b64_e32 v[2:3], s[0:1]
	v_cmp_lt_u64_e32 vcc, s[16:17], v[2:3]
	s_and_b64 s[18:19], vcc, exec
	s_cselect_b32 s7, s16, s0
.LBB665_3:
	s_lshr_b64 s[24:25], s[16:17], 10
	s_cmp_lg_u64 s[24:25], s[10:11]
	s_cselect_b64 s[18:19], -1, 0
	s_sub_u32 s0, s3, s4
	s_subb_u32 s1, s23, s5
	v_mov_b64_e32 v[2:3], s[0:1]
	v_cmp_lt_u64_e32 vcc, s[16:17], v[2:3]
	s_and_b64 s[26:27], vcc, exec
	s_cselect_b32 s26, s16, s0
	s_cselect_b32 s27, s17, s1
	s_sub_i32 s17, s6, s4
	s_sub_i32 s23, s7, s26
	s_lshl_b64 s[0:1], s[4:5], 3
	s_add_u32 s0, s12, s0
	s_addc_u32 s1, s13, s1
	s_lshl_b64 s[4:5], s[26:27], 3
	s_add_u32 s4, s12, s4
	s_addc_u32 s5, s13, s5
	s_cmp_lt_u32 s2, s22
	v_mov_b32_e32 v17, 0
	s_cselect_b32 s2, 12, 18
	global_load_dword v1, v17, s[8:9] offset:14
	s_add_u32 s2, s8, s2
	s_addc_u32 s3, s9, 0
	global_load_ushort v2, v17, s[2:3]
	s_cmp_eq_u64 s[24:25], s[10:11]
	s_waitcnt vmcnt(1)
	v_lshrrev_b32_e32 v3, 16, v1
	v_and_b32_e32 v1, 0xffff, v1
	v_mul_lo_u32 v1, v1, v3
	s_waitcnt vmcnt(0)
	v_mul_lo_u32 v23, v1, v2
	v_add_u32_e32 v20, v23, v0
	v_lshlrev_b32_e32 v2, 3, v0
	v_add_u32_e32 v18, v20, v23
	s_cbranch_scc1 .LBB665_5
; %bb.4:
	v_mov_b32_e32 v3, v17
	v_subrev_co_u32_e32 v16, vcc, s17, v0
	v_lshl_add_u64 v[4:5], s[0:1], 0, v[2:3]
	v_lshl_add_u64 v[6:7], v[16:17], 3, s[4:5]
	v_cndmask_b32_e32 v5, v7, v5, vcc
	v_cndmask_b32_e32 v4, v6, v4, vcc
	v_mov_b32_e32 v21, v17
	v_subrev_co_u32_e32 v16, vcc, s17, v20
	v_lshl_add_u64 v[6:7], v[20:21], 3, s[0:1]
	v_lshl_add_u64 v[8:9], v[16:17], 3, s[4:5]
	v_cndmask_b32_e32 v7, v9, v7, vcc
	v_cndmask_b32_e32 v6, v8, v6, vcc
	v_mov_b32_e32 v19, v17
	v_subrev_co_u32_e32 v16, vcc, s17, v18
	v_lshl_add_u64 v[8:9], v[18:19], 3, s[0:1]
	v_lshl_add_u64 v[10:11], v[16:17], 3, s[4:5]
	v_add_u32_e32 v12, v18, v23
	v_cndmask_b32_e32 v9, v11, v9, vcc
	v_cndmask_b32_e32 v8, v10, v8, vcc
	v_mov_b32_e32 v13, v17
	v_subrev_co_u32_e32 v16, vcc, s17, v12
	v_lshl_add_u64 v[10:11], v[12:13], 3, s[0:1]
	v_lshl_add_u64 v[14:15], v[16:17], 3, s[4:5]
	v_cndmask_b32_e32 v10, v14, v10, vcc
	v_add_u32_e32 v14, v12, v23
	v_cndmask_b32_e32 v11, v15, v11, vcc
	v_mov_b32_e32 v15, v17
	v_subrev_co_u32_e32 v16, vcc, s17, v14
	v_lshl_add_u64 v[12:13], v[14:15], 3, s[0:1]
	v_lshl_add_u64 v[24:25], v[16:17], 3, s[4:5]
	v_cndmask_b32_e32 v12, v24, v12, vcc
	v_add_u32_e32 v24, v14, v23
	v_cndmask_b32_e32 v13, v25, v13, vcc
	v_mov_b32_e32 v25, v17
	v_subrev_co_u32_e32 v16, vcc, s17, v24
	v_lshl_add_u64 v[14:15], v[24:25], 3, s[0:1]
	v_lshl_add_u64 v[26:27], v[16:17], 3, s[4:5]
	v_add_u32_e32 v24, v24, v23
	v_cndmask_b32_e32 v15, v27, v15, vcc
	v_cndmask_b32_e32 v14, v26, v14, vcc
	v_subrev_co_u32_e32 v16, vcc, s17, v24
	v_lshl_add_u64 v[26:27], v[24:25], 3, s[0:1]
	v_lshl_add_u64 v[16:17], v[16:17], 3, s[4:5]
	v_cndmask_b32_e32 v17, v17, v27, vcc
	v_cndmask_b32_e32 v16, v16, v26, vcc
	global_load_dwordx2 v[4:5], v[4:5], off
	s_add_i32 s8, s17, s23
	global_load_dwordx2 v[6:7], v[6:7], off
	v_add_u32_e32 v22, v24, v23
	global_load_dwordx2 v[8:9], v[8:9], off
	s_nop 0
	global_load_dwordx2 v[10:11], v[10:11], off
	s_mov_b64 s[2:3], -1
	global_load_dwordx2 v[12:13], v[12:13], off
	v_mov_b32_e32 v1, s8
	global_load_dwordx2 v[14:15], v[14:15], off
	s_nop 0
	global_load_dwordx2 v[16:17], v[16:17], off
	s_cbranch_execz .LBB665_6
	s_branch .LBB665_21
.LBB665_5:
	s_mov_b64 s[2:3], 0
                                        ; implicit-def: $vgpr22
                                        ; implicit-def: $vgpr4_vgpr5
                                        ; implicit-def: $vgpr8_vgpr9
                                        ; implicit-def: $vgpr12_vgpr13
                                        ; implicit-def: $vgpr16_vgpr17
                                        ; implicit-def: $vgpr1
                                        ; implicit-def: $vgpr14_vgpr15
                                        ; implicit-def: $vgpr10_vgpr11
                                        ; implicit-def: $vgpr6_vgpr7
.LBB665_6:
	s_add_i32 s6, s17, s23
	v_cmp_gt_u32_e32 vcc, s6, v0
	s_waitcnt vmcnt(5)
	v_mov_b64_e32 v[6:7], 0
	v_mov_b64_e32 v[4:5], 0
	s_and_saveexec_b64 s[2:3], vcc
	s_cbranch_execz .LBB665_8
; %bb.7:
	v_mov_b32_e32 v3, 0
	s_waitcnt vmcnt(4)
	v_subrev_co_u32_e32 v8, vcc, s17, v0
	v_mov_b32_e32 v9, v3
	v_lshl_add_u64 v[4:5], s[0:1], 0, v[2:3]
	v_lshl_add_u64 v[8:9], v[8:9], 3, s[4:5]
	v_cndmask_b32_e32 v5, v9, v5, vcc
	v_cndmask_b32_e32 v4, v8, v4, vcc
	global_load_dwordx2 v[4:5], v[4:5], off
.LBB665_8:
	s_or_b64 exec, exec, s[2:3]
	v_cmp_gt_u32_e32 vcc, s6, v20
	s_and_saveexec_b64 s[2:3], vcc
	s_cbranch_execz .LBB665_10
; %bb.9:
	v_mov_b32_e32 v21, 0
	v_lshl_add_u64 v[6:7], v[20:21], 3, s[0:1]
	v_subrev_co_u32_e32 v20, vcc, s17, v20
	s_waitcnt vmcnt(4)
	v_lshl_add_u64 v[8:9], v[20:21], 3, s[4:5]
	v_cndmask_b32_e32 v7, v9, v7, vcc
	v_cndmask_b32_e32 v6, v8, v6, vcc
	global_load_dwordx2 v[6:7], v[6:7], off
.LBB665_10:
	s_or_b64 exec, exec, s[2:3]
	v_cmp_gt_u32_e32 vcc, s6, v18
	s_waitcnt vmcnt(3)
	v_mov_b64_e32 v[10:11], 0
	v_mov_b64_e32 v[8:9], 0
	s_and_saveexec_b64 s[2:3], vcc
	s_cbranch_execz .LBB665_12
; %bb.11:
	v_mov_b32_e32 v19, 0
	s_waitcnt vmcnt(2)
	v_subrev_co_u32_e32 v12, vcc, s17, v18
	v_mov_b32_e32 v13, v19
	v_lshl_add_u64 v[8:9], v[18:19], 3, s[0:1]
	v_lshl_add_u64 v[12:13], v[12:13], 3, s[4:5]
	v_cndmask_b32_e32 v9, v13, v9, vcc
	v_cndmask_b32_e32 v8, v12, v8, vcc
	global_load_dwordx2 v[8:9], v[8:9], off
.LBB665_12:
	s_or_b64 exec, exec, s[2:3]
	s_waitcnt vmcnt(2)
	v_add_u32_e32 v12, v18, v23
	v_cmp_gt_u32_e32 vcc, s6, v12
	s_and_saveexec_b64 s[2:3], vcc
	s_cbranch_execz .LBB665_14
; %bb.13:
	v_mov_b32_e32 v13, 0
	s_waitcnt vmcnt(1)
	v_subrev_co_u32_e32 v14, vcc, s17, v12
	v_mov_b32_e32 v15, v13
	v_lshl_add_u64 v[10:11], v[12:13], 3, s[0:1]
	v_lshl_add_u64 v[14:15], v[14:15], 3, s[4:5]
	v_cndmask_b32_e32 v11, v15, v11, vcc
	v_cndmask_b32_e32 v10, v14, v10, vcc
	global_load_dwordx2 v[10:11], v[10:11], off
.LBB665_14:
	s_or_b64 exec, exec, s[2:3]
	s_waitcnt vmcnt(0)
	v_add_u32_e32 v16, v12, v23
	v_cmp_gt_u32_e32 vcc, s6, v16
	v_mov_b64_e32 v[14:15], 0
	v_mov_b64_e32 v[12:13], 0
	s_and_saveexec_b64 s[2:3], vcc
	s_cbranch_execz .LBB665_16
; %bb.15:
	v_mov_b32_e32 v17, 0
	v_subrev_co_u32_e32 v18, vcc, s17, v16
	v_mov_b32_e32 v19, v17
	v_lshl_add_u64 v[12:13], v[16:17], 3, s[0:1]
	v_lshl_add_u64 v[18:19], v[18:19], 3, s[4:5]
	v_cndmask_b32_e32 v13, v19, v13, vcc
	v_cndmask_b32_e32 v12, v18, v12, vcc
	global_load_dwordx2 v[12:13], v[12:13], off
.LBB665_16:
	s_or_b64 exec, exec, s[2:3]
	v_add_u32_e32 v16, v16, v23
	v_cmp_gt_u32_e32 vcc, s6, v16
	s_and_saveexec_b64 s[2:3], vcc
	s_cbranch_execz .LBB665_18
; %bb.17:
	v_mov_b32_e32 v17, 0
	v_subrev_co_u32_e32 v18, vcc, s17, v16
	v_mov_b32_e32 v19, v17
	v_lshl_add_u64 v[14:15], v[16:17], 3, s[0:1]
	v_lshl_add_u64 v[18:19], v[18:19], 3, s[4:5]
	v_cndmask_b32_e32 v15, v19, v15, vcc
	v_cndmask_b32_e32 v14, v18, v14, vcc
	global_load_dwordx2 v[14:15], v[14:15], off
.LBB665_18:
	s_or_b64 exec, exec, s[2:3]
	v_add_u32_e32 v18, v16, v23
	v_cmp_gt_u32_e32 vcc, s6, v18
	v_mov_b64_e32 v[16:17], 0
	s_and_saveexec_b64 s[2:3], vcc
	s_cbranch_execz .LBB665_20
; %bb.19:
	v_mov_b32_e32 v19, 0
	v_subrev_co_u32_e32 v20, vcc, s17, v18
	v_mov_b32_e32 v21, v19
	v_lshl_add_u64 v[16:17], v[18:19], 3, s[0:1]
	v_lshl_add_u64 v[20:21], v[20:21], 3, s[4:5]
	v_cndmask_b32_e32 v17, v21, v17, vcc
	v_cndmask_b32_e32 v16, v20, v16, vcc
	global_load_dwordx2 v[16:17], v[16:17], off
.LBB665_20:
	s_or_b64 exec, exec, s[2:3]
	v_add_u32_e32 v22, v18, v23
	v_cmp_gt_u32_e64 s[2:3], s6, v22
	v_mov_b32_e32 v1, s6
.LBB665_21:
	v_mov_b64_e32 v[18:19], 0
	s_and_saveexec_b64 s[6:7], s[2:3]
	s_cbranch_execz .LBB665_23
; %bb.22:
	v_mov_b32_e32 v19, 0
	v_mov_b32_e32 v23, v19
	v_subrev_co_u32_e32 v18, vcc, s17, v22
	v_lshl_add_u64 v[20:21], v[22:23], 3, s[0:1]
	v_lshl_add_u64 v[18:19], v[18:19], 3, s[4:5]
	v_cndmask_b32_e32 v19, v19, v21, vcc
	v_cndmask_b32_e32 v18, v18, v20, vcc
	global_load_dwordx2 v[18:19], v[18:19], off
.LBB665_23:
	s_or_b64 exec, exec, s[6:7]
	v_min_u32_e32 v20, v1, v2
	v_sub_u32_e64 v3, v20, s23 clamp
	v_min_u32_e32 v21, s17, v20
	v_cmp_lt_u32_e32 vcc, v3, v21
	s_waitcnt vmcnt(5)
	ds_write2st64_b64 v2, v[4:5], v[6:7] offset1:2
	s_waitcnt vmcnt(3)
	ds_write2st64_b64 v2, v[8:9], v[10:11] offset0:4 offset1:6
	s_waitcnt vmcnt(0)
	ds_write2st64_b64 v2, v[12:13], v[14:15] offset0:8 offset1:10
	ds_write2st64_b64 v2, v[16:17], v[18:19] offset0:12 offset1:14
	s_waitcnt lgkmcnt(0)
	s_barrier
	s_and_saveexec_b64 s[4:5], vcc
	s_cbranch_execz .LBB665_27
; %bb.24:
	v_lshlrev_b32_e32 v22, 3, v20
	v_lshl_add_u32 v22, s17, 3, v22
	s_mov_b64 s[6:7], 0
.LBB665_25:                             ; =>This Inner Loop Header: Depth=1
	v_add_u32_e32 v23, v21, v3
	v_lshrrev_b32_e32 v23, 1, v23
	v_not_b32_e32 v24, v23
	v_lshlrev_b32_e32 v25, 3, v23
	v_lshl_add_u32 v26, v24, 3, v22
	ds_read_b64 v[24:25], v25
	ds_read_b64 v[26:27], v26
	v_add_u32_e32 v28, 1, v23
	s_waitcnt lgkmcnt(0)
	v_cmp_ge_i32_e64 s[0:1], v24, v26
	v_cmp_lt_i32_e64 s[2:3], v27, v25
	v_cmp_lt_i32_e32 vcc, v26, v24
	s_and_b64 s[0:1], s[0:1], s[2:3]
	s_or_b64 vcc, vcc, s[0:1]
	v_cndmask_b32_e32 v21, v21, v23, vcc
	v_cndmask_b32_e32 v3, v28, v3, vcc
	v_cmp_ge_u32_e32 vcc, v3, v21
	s_or_b64 s[6:7], vcc, s[6:7]
	s_andn2_b64 exec, exec, s[6:7]
	s_cbranch_execnz .LBB665_25
; %bb.26:
	s_or_b64 exec, exec, s[6:7]
.LBB665_27:
	s_or_b64 exec, exec, s[4:5]
	v_sub_u32_e32 v20, v20, v3
	v_add_u32_e32 v20, s17, v20
	v_cmp_ge_u32_e32 vcc, s17, v3
	v_cmp_le_u32_e64 s[0:1], v20, v1
	s_or_b64 s[0:1], vcc, s[0:1]
	s_and_saveexec_b64 s[22:23], s[0:1]
	s_cbranch_execz .LBB665_33
; %bb.28:
	v_cmp_gt_u32_e32 vcc, s17, v3
	v_mov_b32_e32 v4, 0
	v_mov_b32_e32 v6, 0
	;; [unrolled: 1-line block ×3, first 2 shown]
	s_and_saveexec_b64 s[0:1], vcc
; %bb.29:
	v_lshlrev_b32_e32 v5, 3, v3
	ds_read_b64 v[6:7], v5
; %bb.30:
	s_or_b64 exec, exec, s[0:1]
	v_cmp_ge_u32_e64 s[0:1], v20, v1
	v_cmp_lt_u32_e64 s[2:3], v20, v1
	v_mov_b32_e32 v5, 0
	s_and_saveexec_b64 s[4:5], s[2:3]
; %bb.31:
	v_lshlrev_b32_e32 v4, 3, v20
	ds_read_b64 v[4:5], v4
; %bb.32:
	s_or_b64 exec, exec, s[4:5]
	s_waitcnt lgkmcnt(0)
	v_cmp_ge_i32_e64 s[2:3], v4, v6
	v_cmp_lt_i32_e64 s[4:5], v6, v4
	v_cmp_ge_i32_e64 s[6:7], v5, v7
	s_or_b64 s[4:5], s[4:5], s[6:7]
	s_and_b64 s[2:3], vcc, s[2:3]
	s_and_b64 s[2:3], s[2:3], s[4:5]
	s_or_b64 vcc, s[0:1], s[2:3]
	v_mov_b32_e32 v16, s17
	v_cndmask_b32_e32 v8, v20, v3, vcc
	v_cndmask_b32_e32 v9, v1, v16, vcc
	v_add_u32_e32 v10, 1, v8
	v_add_u32_e32 v8, -1, v9
	v_min_u32_e32 v8, v10, v8
	v_lshlrev_b32_e32 v8, 3, v8
	ds_read_b64 v[8:9], v8
	v_cndmask_b32_e32 v3, v3, v10, vcc
	v_cmp_gt_u32_e64 s[2:3], s17, v3
	v_cndmask_b32_e32 v11, v10, v20, vcc
	v_cmp_ge_u32_e64 s[0:1], v11, v1
	s_waitcnt lgkmcnt(0)
	v_cndmask_b32_e32 v12, v8, v4, vcc
	v_cndmask_b32_e32 v13, v9, v5, vcc
	v_cndmask_b32_e32 v14, v6, v8, vcc
	v_cndmask_b32_e32 v15, v7, v9, vcc
	v_cmp_ge_i32_e64 s[4:5], v12, v14
	v_cmp_lt_i32_e64 s[6:7], v14, v12
	v_cmp_ge_i32_e64 s[8:9], v13, v15
	s_or_b64 s[6:7], s[6:7], s[8:9]
	s_and_b64 s[2:3], s[2:3], s[4:5]
	s_and_b64 s[2:3], s[2:3], s[6:7]
	s_or_b64 s[0:1], s[0:1], s[2:3]
	v_cndmask_b32_e64 v8, v11, v3, s[0:1]
	v_cndmask_b32_e64 v9, v1, v16, s[0:1]
	v_add_u32_e32 v10, 1, v8
	v_add_u32_e32 v8, -1, v9
	v_min_u32_e32 v8, v10, v8
	v_lshlrev_b32_e32 v8, 3, v8
	ds_read_b64 v[8:9], v8
	v_cndmask_b32_e64 v3, v3, v10, s[0:1]
	v_cmp_gt_u32_e64 s[4:5], s17, v3
	v_cndmask_b32_e64 v11, v10, v11, s[0:1]
	v_cmp_ge_u32_e64 s[2:3], v11, v1
	s_waitcnt lgkmcnt(0)
	v_cndmask_b32_e64 v17, v8, v12, s[0:1]
	v_cndmask_b32_e64 v18, v9, v13, s[0:1]
	;; [unrolled: 1-line block ×4, first 2 shown]
	v_cmp_ge_i32_e64 s[6:7], v17, v19
	v_cmp_lt_i32_e64 s[8:9], v19, v17
	v_cmp_ge_i32_e64 s[10:11], v18, v20
	s_or_b64 s[8:9], s[8:9], s[10:11]
	s_and_b64 s[4:5], s[4:5], s[6:7]
	s_and_b64 s[4:5], s[4:5], s[8:9]
	s_or_b64 s[2:3], s[2:3], s[4:5]
	v_cndmask_b32_e64 v8, v11, v3, s[2:3]
	v_cndmask_b32_e64 v9, v1, v16, s[2:3]
	v_add_u32_e32 v10, 1, v8
	v_add_u32_e32 v8, -1, v9
	v_min_u32_e32 v8, v10, v8
	v_lshlrev_b32_e32 v8, 3, v8
	ds_read_b64 v[8:9], v8
	v_cndmask_b32_e64 v3, v3, v10, s[2:3]
	v_cmp_gt_u32_e64 s[6:7], s17, v3
	v_cndmask_b32_e64 v11, v10, v11, s[2:3]
	v_cmp_ge_u32_e64 s[4:5], v11, v1
	s_waitcnt lgkmcnt(0)
	v_cndmask_b32_e64 v21, v8, v17, s[2:3]
	v_cndmask_b32_e64 v22, v9, v18, s[2:3]
	;; [unrolled: 1-line block ×4, first 2 shown]
	v_cmp_ge_i32_e64 s[8:9], v21, v23
	v_cmp_lt_i32_e64 s[10:11], v23, v21
	v_cmp_ge_i32_e64 s[12:13], v22, v24
	s_or_b64 s[10:11], s[10:11], s[12:13]
	s_and_b64 s[6:7], s[6:7], s[8:9]
	s_and_b64 s[6:7], s[6:7], s[10:11]
	s_or_b64 s[4:5], s[4:5], s[6:7]
	v_cndmask_b32_e64 v8, v11, v3, s[4:5]
	v_cndmask_b32_e64 v9, v1, v16, s[4:5]
	v_add_u32_e32 v10, 1, v8
	v_add_u32_e32 v8, -1, v9
	v_min_u32_e32 v8, v10, v8
	v_lshlrev_b32_e32 v8, 3, v8
	ds_read_b64 v[8:9], v8
	v_cndmask_b32_e64 v3, v3, v10, s[4:5]
	v_cmp_gt_u32_e64 s[6:7], s17, v3
	v_cndmask_b32_e64 v29, v10, v11, s[4:5]
	v_cndmask_b32_e32 v5, v5, v7, vcc
	s_waitcnt lgkmcnt(0)
	v_cndmask_b32_e64 v25, v8, v21, s[4:5]
	v_cndmask_b32_e64 v26, v9, v22, s[4:5]
	;; [unrolled: 1-line block ×4, first 2 shown]
	v_cmp_ge_i32_e64 s[8:9], v25, v27
	v_cmp_lt_i32_e64 s[10:11], v27, v25
	v_cmp_ge_i32_e64 s[12:13], v26, v28
	s_or_b64 s[10:11], s[10:11], s[12:13]
	s_and_b64 s[6:7], s[6:7], s[8:9]
	v_cndmask_b32_e32 v4, v4, v6, vcc
	v_cmp_ge_u32_e32 vcc, v29, v1
	s_and_b64 s[6:7], s[6:7], s[10:11]
	s_or_b64 vcc, vcc, s[6:7]
	v_cndmask_b32_e32 v6, v29, v3, vcc
	v_cndmask_b32_e32 v7, v1, v16, vcc
	v_add_u32_e32 v30, 1, v6
	v_add_u32_e32 v6, -1, v7
	v_min_u32_e32 v6, v30, v6
	v_lshlrev_b32_e32 v6, 3, v6
	ds_read_b64 v[10:11], v6
	v_cndmask_b32_e64 v9, v18, v20, s[2:3]
	v_cndmask_b32_e64 v8, v17, v19, s[2:3]
	v_cndmask_b32_e32 v3, v3, v30, vcc
	v_cmp_gt_u32_e64 s[2:3], s17, v3
	s_waitcnt lgkmcnt(0)
	v_cndmask_b32_e32 v17, v10, v25, vcc
	v_cndmask_b32_e32 v20, v11, v26, vcc
	;; [unrolled: 1-line block ×4, first 2 shown]
	v_cmp_ge_i32_e64 s[6:7], v17, v31
	v_cmp_lt_i32_e64 s[8:9], v31, v17
	v_cmp_ge_i32_e64 s[10:11], v20, v32
	v_cndmask_b32_e32 v18, v30, v29, vcc
	s_or_b64 s[8:9], s[8:9], s[10:11]
	s_and_b64 s[2:3], s[2:3], s[6:7]
	v_cndmask_b32_e64 v7, v13, v15, s[0:1]
	v_cndmask_b32_e64 v6, v12, v14, s[0:1]
	v_cmp_ge_u32_e64 s[0:1], v18, v1
	s_and_b64 s[2:3], s[2:3], s[8:9]
	s_or_b64 s[0:1], s[0:1], s[2:3]
	v_cndmask_b32_e64 v10, v18, v3, s[0:1]
	v_cndmask_b32_e64 v11, v1, v16, s[0:1]
	v_add_u32_e32 v19, 1, v10
	v_add_u32_e32 v10, -1, v11
	v_min_u32_e32 v10, v19, v10
	v_lshlrev_b32_e32 v10, 3, v10
	ds_read_b64 v[14:15], v10
	v_cndmask_b32_e64 v11, v22, v24, s[4:5]
	v_cndmask_b32_e64 v10, v21, v23, s[4:5]
	;; [unrolled: 1-line block ×3, first 2 shown]
	v_cmp_gt_u32_e64 s[2:3], s17, v3
	s_waitcnt lgkmcnt(0)
	v_cndmask_b32_e64 v21, v14, v17, s[0:1]
	v_cndmask_b32_e64 v22, v15, v20, s[0:1]
	v_cndmask_b32_e64 v23, v31, v14, s[0:1]
	v_cndmask_b32_e64 v24, v32, v15, s[0:1]
	v_cmp_ge_i32_e64 s[4:5], v21, v23
	v_cmp_lt_i32_e64 s[6:7], v23, v21
	v_cmp_ge_i32_e64 s[8:9], v22, v24
	v_cndmask_b32_e32 v12, v25, v27, vcc
	v_cndmask_b32_e64 v25, v19, v18, s[0:1]
	s_or_b64 s[6:7], s[6:7], s[8:9]
	s_and_b64 s[2:3], s[2:3], s[4:5]
	v_cndmask_b32_e32 v13, v26, v28, vcc
	v_cmp_ge_u32_e32 vcc, v25, v1
	s_and_b64 s[2:3], s[2:3], s[6:7]
	s_or_b64 vcc, vcc, s[2:3]
	v_cndmask_b32_e32 v14, v25, v3, vcc
	v_cndmask_b32_e32 v15, v1, v16, vcc
	v_add_u32_e32 v26, 1, v14
	v_add_u32_e32 v14, -1, v15
	v_min_u32_e32 v14, v26, v14
	v_lshlrev_b32_e32 v14, 3, v14
	ds_read_b64 v[18:19], v14
	v_cndmask_b32_e64 v15, v20, v32, s[0:1]
	v_cndmask_b32_e32 v16, v21, v23, vcc
	v_cndmask_b32_e32 v3, v3, v26, vcc
	v_cndmask_b32_e64 v14, v17, v31, s[0:1]
	s_waitcnt lgkmcnt(0)
	v_cndmask_b32_e32 v20, v18, v21, vcc
	v_cndmask_b32_e32 v21, v19, v22, vcc
	;; [unrolled: 1-line block ×4, first 2 shown]
	v_cmp_gt_u32_e64 s[0:1], s17, v3
	v_cmp_ge_i32_e64 s[2:3], v20, v18
	v_cmp_lt_i32_e64 s[4:5], v18, v20
	v_cmp_ge_i32_e64 s[6:7], v21, v19
	v_cndmask_b32_e32 v17, v22, v24, vcc
	v_cndmask_b32_e32 v22, v26, v25, vcc
	s_or_b64 s[4:5], s[4:5], s[6:7]
	s_and_b64 s[0:1], s[0:1], s[2:3]
	v_cmp_ge_u32_e32 vcc, v22, v1
	s_and_b64 s[0:1], s[0:1], s[4:5]
	s_or_b64 vcc, vcc, s[0:1]
	v_cndmask_b32_e32 v19, v21, v19, vcc
	v_cndmask_b32_e32 v18, v20, v18, vcc
.LBB665_33:
	s_or_b64 exec, exec, s[22:23]
	v_lshrrev_b32_e32 v1, 2, v0
	v_lshlrev_b32_e32 v3, 3, v2
	v_lshl_add_u32 v3, v1, 3, v3
	v_and_b32_e32 v1, 24, v1
	v_or_b32_e32 v21, 0x80, v0
	v_add_u32_e32 v22, v1, v2
	v_lshrrev_b32_e32 v1, 2, v21
	v_and_b32_e32 v1, 56, v1
	v_or_b32_e32 v20, 0x100, v0
	s_barrier
	s_barrier
	ds_write2_b64 v3, v[4:5], v[6:7] offset1:1
	ds_write2_b64 v3, v[8:9], v[10:11] offset0:2 offset1:3
	ds_write2_b64 v3, v[12:13], v[14:15] offset0:4 offset1:5
	;; [unrolled: 1-line block ×3, first 2 shown]
	v_add_u32_e32 v4, v1, v2
	v_lshrrev_b32_e32 v1, 2, v20
	v_and_b32_e32 v1, 0x58, v1
	v_or_b32_e32 v19, 0x180, v0
	v_add_u32_e32 v5, v1, v2
	v_lshrrev_b32_e32 v1, 2, v19
	v_and_b32_e32 v1, 0x78, v1
	v_or_b32_e32 v18, 0x200, v0
	;; [unrolled: 4-line block ×4, first 2 shown]
	v_add_u32_e32 v23, v1, v2
	v_lshrrev_b32_e32 v1, 2, v16
	v_and_b32_e32 v1, 0xd8, v1
	v_add_u32_e32 v24, v1, v2
	v_or_b32_e32 v1, 0x380, v0
	s_lshl_b64 s[0:1], s[20:21], 3
	v_lshrrev_b32_e32 v3, 2, v1
	s_add_u32 s0, s14, s0
	v_and_b32_e32 v3, 0xf8, v3
	s_addc_u32 s1, s15, s1
	v_add_u32_e32 v25, v3, v2
	v_mov_b32_e32 v3, 0
	v_lshl_add_u64 v[2:3], s[0:1], 0, v[2:3]
	s_and_b64 vcc, exec, s[18:19]
	s_waitcnt lgkmcnt(0)
	s_cbranch_vccz .LBB665_35
; %bb.34:
	s_barrier
	ds_read_b64 v[8:9], v22
	ds_read_b64 v[10:11], v4 offset:1024
	ds_read_b64 v[12:13], v5 offset:2048
	;; [unrolled: 1-line block ×7, first 2 shown]
	s_waitcnt lgkmcnt(7)
	global_store_dwordx2 v[2:3], v[8:9], off
	s_waitcnt lgkmcnt(6)
	global_store_dwordx2 v[2:3], v[10:11], off offset:1024
	s_waitcnt lgkmcnt(5)
	global_store_dwordx2 v[2:3], v[12:13], off offset:2048
	;; [unrolled: 2-line block ×3, first 2 shown]
	v_add_co_u32_e32 v8, vcc, 0x1000, v2
	s_nop 1
	v_addc_co_u32_e32 v9, vcc, 0, v3, vcc
	s_waitcnt lgkmcnt(3)
	global_store_dwordx2 v[8:9], v[28:29], off
	s_waitcnt lgkmcnt(2)
	global_store_dwordx2 v[8:9], v[30:31], off offset:1024
	s_waitcnt lgkmcnt(1)
	global_store_dwordx2 v[8:9], v[32:33], off offset:2048
	s_mov_b64 s[0:1], -1
	s_cbranch_execz .LBB665_36
	s_branch .LBB665_45
.LBB665_35:
	s_mov_b64 s[0:1], 0
                                        ; implicit-def: $vgpr26_vgpr27
.LBB665_36:
	s_barrier
	s_waitcnt lgkmcnt(0)
	ds_read_b64 v[14:15], v4 offset:1024
	ds_read_b64 v[12:13], v5 offset:2048
	;; [unrolled: 1-line block ×7, first 2 shown]
	s_sub_i32 s2, s16, s20
	v_cmp_gt_u32_e32 vcc, s2, v0
	s_and_saveexec_b64 s[0:1], vcc
	s_cbranch_execnz .LBB665_48
; %bb.37:
	s_or_b64 exec, exec, s[0:1]
	v_cmp_gt_u32_e32 vcc, s2, v21
	s_and_saveexec_b64 s[0:1], vcc
	s_cbranch_execnz .LBB665_49
.LBB665_38:
	s_or_b64 exec, exec, s[0:1]
	v_cmp_gt_u32_e32 vcc, s2, v20
	s_and_saveexec_b64 s[0:1], vcc
	s_cbranch_execnz .LBB665_50
.LBB665_39:
	s_or_b64 exec, exec, s[0:1]
	v_cmp_gt_u32_e32 vcc, s2, v19
	s_and_saveexec_b64 s[0:1], vcc
	s_cbranch_execnz .LBB665_51
.LBB665_40:
	s_or_b64 exec, exec, s[0:1]
	v_cmp_gt_u32_e32 vcc, s2, v18
	s_and_saveexec_b64 s[0:1], vcc
	s_cbranch_execnz .LBB665_52
.LBB665_41:
	s_or_b64 exec, exec, s[0:1]
	v_cmp_gt_u32_e32 vcc, s2, v17
	s_and_saveexec_b64 s[0:1], vcc
	s_cbranch_execnz .LBB665_53
.LBB665_42:
	s_or_b64 exec, exec, s[0:1]
	v_cmp_gt_u32_e32 vcc, s2, v16
	s_and_saveexec_b64 s[0:1], vcc
	s_cbranch_execz .LBB665_44
.LBB665_43:
	s_waitcnt lgkmcnt(2)
	v_add_co_u32_e32 v6, vcc, 0x1000, v2
	s_nop 1
	v_addc_co_u32_e32 v7, vcc, 0, v3, vcc
	s_waitcnt lgkmcnt(1)
	global_store_dwordx2 v[6:7], v[4:5], off offset:2048
.LBB665_44:
	s_or_b64 exec, exec, s[0:1]
	v_cmp_gt_u32_e64 s[0:1], s2, v1
.LBB665_45:
	s_and_saveexec_b64 s[2:3], s[0:1]
	s_cbranch_execz .LBB665_47
; %bb.46:
	v_add_co_u32_e32 v0, vcc, 0x1000, v2
	s_nop 1
	v_addc_co_u32_e32 v1, vcc, 0, v3, vcc
	s_waitcnt lgkmcnt(0)
	global_store_dwordx2 v[0:1], v[26:27], off offset:3072
.LBB665_47:
	s_endpgm
.LBB665_48:
	ds_read_b64 v[22:23], v22
	s_waitcnt lgkmcnt(0)
	global_store_dwordx2 v[2:3], v[22:23], off
	s_or_b64 exec, exec, s[0:1]
	v_cmp_gt_u32_e32 vcc, s2, v21
	s_and_saveexec_b64 s[0:1], vcc
	s_cbranch_execz .LBB665_38
.LBB665_49:
	s_waitcnt lgkmcnt(6)
	global_store_dwordx2 v[2:3], v[14:15], off offset:1024
	s_or_b64 exec, exec, s[0:1]
	v_cmp_gt_u32_e32 vcc, s2, v20
	s_and_saveexec_b64 s[0:1], vcc
	s_cbranch_execz .LBB665_39
.LBB665_50:
	s_waitcnt lgkmcnt(5)
	global_store_dwordx2 v[2:3], v[12:13], off offset:2048
	s_or_b64 exec, exec, s[0:1]
	v_cmp_gt_u32_e32 vcc, s2, v19
	s_and_saveexec_b64 s[0:1], vcc
	s_cbranch_execz .LBB665_40
.LBB665_51:
	s_waitcnt lgkmcnt(4)
	global_store_dwordx2 v[2:3], v[10:11], off offset:3072
	s_or_b64 exec, exec, s[0:1]
	v_cmp_gt_u32_e32 vcc, s2, v18
	s_and_saveexec_b64 s[0:1], vcc
	s_cbranch_execz .LBB665_41
.LBB665_52:
	s_waitcnt lgkmcnt(4)
	v_add_co_u32_e32 v10, vcc, 0x1000, v2
	s_nop 1
	v_addc_co_u32_e32 v11, vcc, 0, v3, vcc
	s_waitcnt lgkmcnt(3)
	global_store_dwordx2 v[10:11], v[8:9], off
	s_or_b64 exec, exec, s[0:1]
	v_cmp_gt_u32_e32 vcc, s2, v17
	s_and_saveexec_b64 s[0:1], vcc
	s_cbranch_execz .LBB665_42
.LBB665_53:
	s_waitcnt lgkmcnt(3)
	v_add_co_u32_e32 v8, vcc, 0x1000, v2
	s_nop 1
	v_addc_co_u32_e32 v9, vcc, 0, v3, vcc
	s_waitcnt lgkmcnt(2)
	global_store_dwordx2 v[8:9], v[6:7], off offset:1024
	s_or_b64 exec, exec, s[0:1]
	v_cmp_gt_u32_e32 vcc, s2, v16
	s_and_saveexec_b64 s[0:1], vcc
	s_cbranch_execnz .LBB665_43
	s_branch .LBB665_44
	.section	.rodata,"a",@progbits
	.p2align	6, 0x0
	.amdhsa_kernel _ZN7rocprim17ROCPRIM_400000_NS6detail17trampoline_kernelINS0_14default_configENS1_38merge_sort_block_merge_config_selectorIN6thrust23THRUST_200600_302600_NS4pairIiiEENS0_10empty_typeEEEZZNS1_27merge_sort_block_merge_implIS3_NS6_6detail15normal_iteratorINS6_10device_ptrIS8_EEEEPS9_mNS6_4lessIS8_EEEE10hipError_tT0_T1_T2_jT3_P12ihipStream_tbPNSt15iterator_traitsISL_E10value_typeEPNSR_ISM_E10value_typeEPSN_NS1_7vsmem_tEENKUlT_SL_SM_SN_E_clISG_PS8_SH_SH_EESK_S10_SL_SM_SN_EUlS10_E0_NS1_11comp_targetILNS1_3genE0ELNS1_11target_archE4294967295ELNS1_3gpuE0ELNS1_3repE0EEENS1_38merge_mergepath_config_static_selectorELNS0_4arch9wavefront6targetE1EEEvSM_
		.amdhsa_group_segment_fixed_size 8448
		.amdhsa_private_segment_fixed_size 0
		.amdhsa_kernarg_size 328
		.amdhsa_user_sgpr_count 2
		.amdhsa_user_sgpr_dispatch_ptr 0
		.amdhsa_user_sgpr_queue_ptr 0
		.amdhsa_user_sgpr_kernarg_segment_ptr 1
		.amdhsa_user_sgpr_dispatch_id 0
		.amdhsa_user_sgpr_kernarg_preload_length 0
		.amdhsa_user_sgpr_kernarg_preload_offset 0
		.amdhsa_user_sgpr_private_segment_size 0
		.amdhsa_uses_dynamic_stack 0
		.amdhsa_enable_private_segment 0
		.amdhsa_system_sgpr_workgroup_id_x 1
		.amdhsa_system_sgpr_workgroup_id_y 1
		.amdhsa_system_sgpr_workgroup_id_z 1
		.amdhsa_system_sgpr_workgroup_info 0
		.amdhsa_system_vgpr_workitem_id 0
		.amdhsa_next_free_vgpr 34
		.amdhsa_next_free_sgpr 31
		.amdhsa_accum_offset 36
		.amdhsa_reserve_vcc 1
		.amdhsa_float_round_mode_32 0
		.amdhsa_float_round_mode_16_64 0
		.amdhsa_float_denorm_mode_32 3
		.amdhsa_float_denorm_mode_16_64 3
		.amdhsa_dx10_clamp 1
		.amdhsa_ieee_mode 1
		.amdhsa_fp16_overflow 0
		.amdhsa_tg_split 0
		.amdhsa_exception_fp_ieee_invalid_op 0
		.amdhsa_exception_fp_denorm_src 0
		.amdhsa_exception_fp_ieee_div_zero 0
		.amdhsa_exception_fp_ieee_overflow 0
		.amdhsa_exception_fp_ieee_underflow 0
		.amdhsa_exception_fp_ieee_inexact 0
		.amdhsa_exception_int_div_zero 0
	.end_amdhsa_kernel
	.section	.text._ZN7rocprim17ROCPRIM_400000_NS6detail17trampoline_kernelINS0_14default_configENS1_38merge_sort_block_merge_config_selectorIN6thrust23THRUST_200600_302600_NS4pairIiiEENS0_10empty_typeEEEZZNS1_27merge_sort_block_merge_implIS3_NS6_6detail15normal_iteratorINS6_10device_ptrIS8_EEEEPS9_mNS6_4lessIS8_EEEE10hipError_tT0_T1_T2_jT3_P12ihipStream_tbPNSt15iterator_traitsISL_E10value_typeEPNSR_ISM_E10value_typeEPSN_NS1_7vsmem_tEENKUlT_SL_SM_SN_E_clISG_PS8_SH_SH_EESK_S10_SL_SM_SN_EUlS10_E0_NS1_11comp_targetILNS1_3genE0ELNS1_11target_archE4294967295ELNS1_3gpuE0ELNS1_3repE0EEENS1_38merge_mergepath_config_static_selectorELNS0_4arch9wavefront6targetE1EEEvSM_,"axG",@progbits,_ZN7rocprim17ROCPRIM_400000_NS6detail17trampoline_kernelINS0_14default_configENS1_38merge_sort_block_merge_config_selectorIN6thrust23THRUST_200600_302600_NS4pairIiiEENS0_10empty_typeEEEZZNS1_27merge_sort_block_merge_implIS3_NS6_6detail15normal_iteratorINS6_10device_ptrIS8_EEEEPS9_mNS6_4lessIS8_EEEE10hipError_tT0_T1_T2_jT3_P12ihipStream_tbPNSt15iterator_traitsISL_E10value_typeEPNSR_ISM_E10value_typeEPSN_NS1_7vsmem_tEENKUlT_SL_SM_SN_E_clISG_PS8_SH_SH_EESK_S10_SL_SM_SN_EUlS10_E0_NS1_11comp_targetILNS1_3genE0ELNS1_11target_archE4294967295ELNS1_3gpuE0ELNS1_3repE0EEENS1_38merge_mergepath_config_static_selectorELNS0_4arch9wavefront6targetE1EEEvSM_,comdat
.Lfunc_end665:
	.size	_ZN7rocprim17ROCPRIM_400000_NS6detail17trampoline_kernelINS0_14default_configENS1_38merge_sort_block_merge_config_selectorIN6thrust23THRUST_200600_302600_NS4pairIiiEENS0_10empty_typeEEEZZNS1_27merge_sort_block_merge_implIS3_NS6_6detail15normal_iteratorINS6_10device_ptrIS8_EEEEPS9_mNS6_4lessIS8_EEEE10hipError_tT0_T1_T2_jT3_P12ihipStream_tbPNSt15iterator_traitsISL_E10value_typeEPNSR_ISM_E10value_typeEPSN_NS1_7vsmem_tEENKUlT_SL_SM_SN_E_clISG_PS8_SH_SH_EESK_S10_SL_SM_SN_EUlS10_E0_NS1_11comp_targetILNS1_3genE0ELNS1_11target_archE4294967295ELNS1_3gpuE0ELNS1_3repE0EEENS1_38merge_mergepath_config_static_selectorELNS0_4arch9wavefront6targetE1EEEvSM_, .Lfunc_end665-_ZN7rocprim17ROCPRIM_400000_NS6detail17trampoline_kernelINS0_14default_configENS1_38merge_sort_block_merge_config_selectorIN6thrust23THRUST_200600_302600_NS4pairIiiEENS0_10empty_typeEEEZZNS1_27merge_sort_block_merge_implIS3_NS6_6detail15normal_iteratorINS6_10device_ptrIS8_EEEEPS9_mNS6_4lessIS8_EEEE10hipError_tT0_T1_T2_jT3_P12ihipStream_tbPNSt15iterator_traitsISL_E10value_typeEPNSR_ISM_E10value_typeEPSN_NS1_7vsmem_tEENKUlT_SL_SM_SN_E_clISG_PS8_SH_SH_EESK_S10_SL_SM_SN_EUlS10_E0_NS1_11comp_targetILNS1_3genE0ELNS1_11target_archE4294967295ELNS1_3gpuE0ELNS1_3repE0EEENS1_38merge_mergepath_config_static_selectorELNS0_4arch9wavefront6targetE1EEEvSM_
                                        ; -- End function
	.set _ZN7rocprim17ROCPRIM_400000_NS6detail17trampoline_kernelINS0_14default_configENS1_38merge_sort_block_merge_config_selectorIN6thrust23THRUST_200600_302600_NS4pairIiiEENS0_10empty_typeEEEZZNS1_27merge_sort_block_merge_implIS3_NS6_6detail15normal_iteratorINS6_10device_ptrIS8_EEEEPS9_mNS6_4lessIS8_EEEE10hipError_tT0_T1_T2_jT3_P12ihipStream_tbPNSt15iterator_traitsISL_E10value_typeEPNSR_ISM_E10value_typeEPSN_NS1_7vsmem_tEENKUlT_SL_SM_SN_E_clISG_PS8_SH_SH_EESK_S10_SL_SM_SN_EUlS10_E0_NS1_11comp_targetILNS1_3genE0ELNS1_11target_archE4294967295ELNS1_3gpuE0ELNS1_3repE0EEENS1_38merge_mergepath_config_static_selectorELNS0_4arch9wavefront6targetE1EEEvSM_.num_vgpr, 34
	.set _ZN7rocprim17ROCPRIM_400000_NS6detail17trampoline_kernelINS0_14default_configENS1_38merge_sort_block_merge_config_selectorIN6thrust23THRUST_200600_302600_NS4pairIiiEENS0_10empty_typeEEEZZNS1_27merge_sort_block_merge_implIS3_NS6_6detail15normal_iteratorINS6_10device_ptrIS8_EEEEPS9_mNS6_4lessIS8_EEEE10hipError_tT0_T1_T2_jT3_P12ihipStream_tbPNSt15iterator_traitsISL_E10value_typeEPNSR_ISM_E10value_typeEPSN_NS1_7vsmem_tEENKUlT_SL_SM_SN_E_clISG_PS8_SH_SH_EESK_S10_SL_SM_SN_EUlS10_E0_NS1_11comp_targetILNS1_3genE0ELNS1_11target_archE4294967295ELNS1_3gpuE0ELNS1_3repE0EEENS1_38merge_mergepath_config_static_selectorELNS0_4arch9wavefront6targetE1EEEvSM_.num_agpr, 0
	.set _ZN7rocprim17ROCPRIM_400000_NS6detail17trampoline_kernelINS0_14default_configENS1_38merge_sort_block_merge_config_selectorIN6thrust23THRUST_200600_302600_NS4pairIiiEENS0_10empty_typeEEEZZNS1_27merge_sort_block_merge_implIS3_NS6_6detail15normal_iteratorINS6_10device_ptrIS8_EEEEPS9_mNS6_4lessIS8_EEEE10hipError_tT0_T1_T2_jT3_P12ihipStream_tbPNSt15iterator_traitsISL_E10value_typeEPNSR_ISM_E10value_typeEPSN_NS1_7vsmem_tEENKUlT_SL_SM_SN_E_clISG_PS8_SH_SH_EESK_S10_SL_SM_SN_EUlS10_E0_NS1_11comp_targetILNS1_3genE0ELNS1_11target_archE4294967295ELNS1_3gpuE0ELNS1_3repE0EEENS1_38merge_mergepath_config_static_selectorELNS0_4arch9wavefront6targetE1EEEvSM_.numbered_sgpr, 31
	.set _ZN7rocprim17ROCPRIM_400000_NS6detail17trampoline_kernelINS0_14default_configENS1_38merge_sort_block_merge_config_selectorIN6thrust23THRUST_200600_302600_NS4pairIiiEENS0_10empty_typeEEEZZNS1_27merge_sort_block_merge_implIS3_NS6_6detail15normal_iteratorINS6_10device_ptrIS8_EEEEPS9_mNS6_4lessIS8_EEEE10hipError_tT0_T1_T2_jT3_P12ihipStream_tbPNSt15iterator_traitsISL_E10value_typeEPNSR_ISM_E10value_typeEPSN_NS1_7vsmem_tEENKUlT_SL_SM_SN_E_clISG_PS8_SH_SH_EESK_S10_SL_SM_SN_EUlS10_E0_NS1_11comp_targetILNS1_3genE0ELNS1_11target_archE4294967295ELNS1_3gpuE0ELNS1_3repE0EEENS1_38merge_mergepath_config_static_selectorELNS0_4arch9wavefront6targetE1EEEvSM_.num_named_barrier, 0
	.set _ZN7rocprim17ROCPRIM_400000_NS6detail17trampoline_kernelINS0_14default_configENS1_38merge_sort_block_merge_config_selectorIN6thrust23THRUST_200600_302600_NS4pairIiiEENS0_10empty_typeEEEZZNS1_27merge_sort_block_merge_implIS3_NS6_6detail15normal_iteratorINS6_10device_ptrIS8_EEEEPS9_mNS6_4lessIS8_EEEE10hipError_tT0_T1_T2_jT3_P12ihipStream_tbPNSt15iterator_traitsISL_E10value_typeEPNSR_ISM_E10value_typeEPSN_NS1_7vsmem_tEENKUlT_SL_SM_SN_E_clISG_PS8_SH_SH_EESK_S10_SL_SM_SN_EUlS10_E0_NS1_11comp_targetILNS1_3genE0ELNS1_11target_archE4294967295ELNS1_3gpuE0ELNS1_3repE0EEENS1_38merge_mergepath_config_static_selectorELNS0_4arch9wavefront6targetE1EEEvSM_.private_seg_size, 0
	.set _ZN7rocprim17ROCPRIM_400000_NS6detail17trampoline_kernelINS0_14default_configENS1_38merge_sort_block_merge_config_selectorIN6thrust23THRUST_200600_302600_NS4pairIiiEENS0_10empty_typeEEEZZNS1_27merge_sort_block_merge_implIS3_NS6_6detail15normal_iteratorINS6_10device_ptrIS8_EEEEPS9_mNS6_4lessIS8_EEEE10hipError_tT0_T1_T2_jT3_P12ihipStream_tbPNSt15iterator_traitsISL_E10value_typeEPNSR_ISM_E10value_typeEPSN_NS1_7vsmem_tEENKUlT_SL_SM_SN_E_clISG_PS8_SH_SH_EESK_S10_SL_SM_SN_EUlS10_E0_NS1_11comp_targetILNS1_3genE0ELNS1_11target_archE4294967295ELNS1_3gpuE0ELNS1_3repE0EEENS1_38merge_mergepath_config_static_selectorELNS0_4arch9wavefront6targetE1EEEvSM_.uses_vcc, 1
	.set _ZN7rocprim17ROCPRIM_400000_NS6detail17trampoline_kernelINS0_14default_configENS1_38merge_sort_block_merge_config_selectorIN6thrust23THRUST_200600_302600_NS4pairIiiEENS0_10empty_typeEEEZZNS1_27merge_sort_block_merge_implIS3_NS6_6detail15normal_iteratorINS6_10device_ptrIS8_EEEEPS9_mNS6_4lessIS8_EEEE10hipError_tT0_T1_T2_jT3_P12ihipStream_tbPNSt15iterator_traitsISL_E10value_typeEPNSR_ISM_E10value_typeEPSN_NS1_7vsmem_tEENKUlT_SL_SM_SN_E_clISG_PS8_SH_SH_EESK_S10_SL_SM_SN_EUlS10_E0_NS1_11comp_targetILNS1_3genE0ELNS1_11target_archE4294967295ELNS1_3gpuE0ELNS1_3repE0EEENS1_38merge_mergepath_config_static_selectorELNS0_4arch9wavefront6targetE1EEEvSM_.uses_flat_scratch, 0
	.set _ZN7rocprim17ROCPRIM_400000_NS6detail17trampoline_kernelINS0_14default_configENS1_38merge_sort_block_merge_config_selectorIN6thrust23THRUST_200600_302600_NS4pairIiiEENS0_10empty_typeEEEZZNS1_27merge_sort_block_merge_implIS3_NS6_6detail15normal_iteratorINS6_10device_ptrIS8_EEEEPS9_mNS6_4lessIS8_EEEE10hipError_tT0_T1_T2_jT3_P12ihipStream_tbPNSt15iterator_traitsISL_E10value_typeEPNSR_ISM_E10value_typeEPSN_NS1_7vsmem_tEENKUlT_SL_SM_SN_E_clISG_PS8_SH_SH_EESK_S10_SL_SM_SN_EUlS10_E0_NS1_11comp_targetILNS1_3genE0ELNS1_11target_archE4294967295ELNS1_3gpuE0ELNS1_3repE0EEENS1_38merge_mergepath_config_static_selectorELNS0_4arch9wavefront6targetE1EEEvSM_.has_dyn_sized_stack, 0
	.set _ZN7rocprim17ROCPRIM_400000_NS6detail17trampoline_kernelINS0_14default_configENS1_38merge_sort_block_merge_config_selectorIN6thrust23THRUST_200600_302600_NS4pairIiiEENS0_10empty_typeEEEZZNS1_27merge_sort_block_merge_implIS3_NS6_6detail15normal_iteratorINS6_10device_ptrIS8_EEEEPS9_mNS6_4lessIS8_EEEE10hipError_tT0_T1_T2_jT3_P12ihipStream_tbPNSt15iterator_traitsISL_E10value_typeEPNSR_ISM_E10value_typeEPSN_NS1_7vsmem_tEENKUlT_SL_SM_SN_E_clISG_PS8_SH_SH_EESK_S10_SL_SM_SN_EUlS10_E0_NS1_11comp_targetILNS1_3genE0ELNS1_11target_archE4294967295ELNS1_3gpuE0ELNS1_3repE0EEENS1_38merge_mergepath_config_static_selectorELNS0_4arch9wavefront6targetE1EEEvSM_.has_recursion, 0
	.set _ZN7rocprim17ROCPRIM_400000_NS6detail17trampoline_kernelINS0_14default_configENS1_38merge_sort_block_merge_config_selectorIN6thrust23THRUST_200600_302600_NS4pairIiiEENS0_10empty_typeEEEZZNS1_27merge_sort_block_merge_implIS3_NS6_6detail15normal_iteratorINS6_10device_ptrIS8_EEEEPS9_mNS6_4lessIS8_EEEE10hipError_tT0_T1_T2_jT3_P12ihipStream_tbPNSt15iterator_traitsISL_E10value_typeEPNSR_ISM_E10value_typeEPSN_NS1_7vsmem_tEENKUlT_SL_SM_SN_E_clISG_PS8_SH_SH_EESK_S10_SL_SM_SN_EUlS10_E0_NS1_11comp_targetILNS1_3genE0ELNS1_11target_archE4294967295ELNS1_3gpuE0ELNS1_3repE0EEENS1_38merge_mergepath_config_static_selectorELNS0_4arch9wavefront6targetE1EEEvSM_.has_indirect_call, 0
	.section	.AMDGPU.csdata,"",@progbits
; Kernel info:
; codeLenInByte = 3644
; TotalNumSgprs: 37
; NumVgprs: 34
; NumAgprs: 0
; TotalNumVgprs: 34
; ScratchSize: 0
; MemoryBound: 0
; FloatMode: 240
; IeeeMode: 1
; LDSByteSize: 8448 bytes/workgroup (compile time only)
; SGPRBlocks: 4
; VGPRBlocks: 4
; NumSGPRsForWavesPerEU: 37
; NumVGPRsForWavesPerEU: 34
; AccumOffset: 36
; Occupancy: 8
; WaveLimiterHint : 1
; COMPUTE_PGM_RSRC2:SCRATCH_EN: 0
; COMPUTE_PGM_RSRC2:USER_SGPR: 2
; COMPUTE_PGM_RSRC2:TRAP_HANDLER: 0
; COMPUTE_PGM_RSRC2:TGID_X_EN: 1
; COMPUTE_PGM_RSRC2:TGID_Y_EN: 1
; COMPUTE_PGM_RSRC2:TGID_Z_EN: 1
; COMPUTE_PGM_RSRC2:TIDIG_COMP_CNT: 0
; COMPUTE_PGM_RSRC3_GFX90A:ACCUM_OFFSET: 8
; COMPUTE_PGM_RSRC3_GFX90A:TG_SPLIT: 0
	.section	.text._ZN7rocprim17ROCPRIM_400000_NS6detail17trampoline_kernelINS0_14default_configENS1_38merge_sort_block_merge_config_selectorIN6thrust23THRUST_200600_302600_NS4pairIiiEENS0_10empty_typeEEEZZNS1_27merge_sort_block_merge_implIS3_NS6_6detail15normal_iteratorINS6_10device_ptrIS8_EEEEPS9_mNS6_4lessIS8_EEEE10hipError_tT0_T1_T2_jT3_P12ihipStream_tbPNSt15iterator_traitsISL_E10value_typeEPNSR_ISM_E10value_typeEPSN_NS1_7vsmem_tEENKUlT_SL_SM_SN_E_clISG_PS8_SH_SH_EESK_S10_SL_SM_SN_EUlS10_E0_NS1_11comp_targetILNS1_3genE10ELNS1_11target_archE1201ELNS1_3gpuE5ELNS1_3repE0EEENS1_38merge_mergepath_config_static_selectorELNS0_4arch9wavefront6targetE1EEEvSM_,"axG",@progbits,_ZN7rocprim17ROCPRIM_400000_NS6detail17trampoline_kernelINS0_14default_configENS1_38merge_sort_block_merge_config_selectorIN6thrust23THRUST_200600_302600_NS4pairIiiEENS0_10empty_typeEEEZZNS1_27merge_sort_block_merge_implIS3_NS6_6detail15normal_iteratorINS6_10device_ptrIS8_EEEEPS9_mNS6_4lessIS8_EEEE10hipError_tT0_T1_T2_jT3_P12ihipStream_tbPNSt15iterator_traitsISL_E10value_typeEPNSR_ISM_E10value_typeEPSN_NS1_7vsmem_tEENKUlT_SL_SM_SN_E_clISG_PS8_SH_SH_EESK_S10_SL_SM_SN_EUlS10_E0_NS1_11comp_targetILNS1_3genE10ELNS1_11target_archE1201ELNS1_3gpuE5ELNS1_3repE0EEENS1_38merge_mergepath_config_static_selectorELNS0_4arch9wavefront6targetE1EEEvSM_,comdat
	.protected	_ZN7rocprim17ROCPRIM_400000_NS6detail17trampoline_kernelINS0_14default_configENS1_38merge_sort_block_merge_config_selectorIN6thrust23THRUST_200600_302600_NS4pairIiiEENS0_10empty_typeEEEZZNS1_27merge_sort_block_merge_implIS3_NS6_6detail15normal_iteratorINS6_10device_ptrIS8_EEEEPS9_mNS6_4lessIS8_EEEE10hipError_tT0_T1_T2_jT3_P12ihipStream_tbPNSt15iterator_traitsISL_E10value_typeEPNSR_ISM_E10value_typeEPSN_NS1_7vsmem_tEENKUlT_SL_SM_SN_E_clISG_PS8_SH_SH_EESK_S10_SL_SM_SN_EUlS10_E0_NS1_11comp_targetILNS1_3genE10ELNS1_11target_archE1201ELNS1_3gpuE5ELNS1_3repE0EEENS1_38merge_mergepath_config_static_selectorELNS0_4arch9wavefront6targetE1EEEvSM_ ; -- Begin function _ZN7rocprim17ROCPRIM_400000_NS6detail17trampoline_kernelINS0_14default_configENS1_38merge_sort_block_merge_config_selectorIN6thrust23THRUST_200600_302600_NS4pairIiiEENS0_10empty_typeEEEZZNS1_27merge_sort_block_merge_implIS3_NS6_6detail15normal_iteratorINS6_10device_ptrIS8_EEEEPS9_mNS6_4lessIS8_EEEE10hipError_tT0_T1_T2_jT3_P12ihipStream_tbPNSt15iterator_traitsISL_E10value_typeEPNSR_ISM_E10value_typeEPSN_NS1_7vsmem_tEENKUlT_SL_SM_SN_E_clISG_PS8_SH_SH_EESK_S10_SL_SM_SN_EUlS10_E0_NS1_11comp_targetILNS1_3genE10ELNS1_11target_archE1201ELNS1_3gpuE5ELNS1_3repE0EEENS1_38merge_mergepath_config_static_selectorELNS0_4arch9wavefront6targetE1EEEvSM_
	.globl	_ZN7rocprim17ROCPRIM_400000_NS6detail17trampoline_kernelINS0_14default_configENS1_38merge_sort_block_merge_config_selectorIN6thrust23THRUST_200600_302600_NS4pairIiiEENS0_10empty_typeEEEZZNS1_27merge_sort_block_merge_implIS3_NS6_6detail15normal_iteratorINS6_10device_ptrIS8_EEEEPS9_mNS6_4lessIS8_EEEE10hipError_tT0_T1_T2_jT3_P12ihipStream_tbPNSt15iterator_traitsISL_E10value_typeEPNSR_ISM_E10value_typeEPSN_NS1_7vsmem_tEENKUlT_SL_SM_SN_E_clISG_PS8_SH_SH_EESK_S10_SL_SM_SN_EUlS10_E0_NS1_11comp_targetILNS1_3genE10ELNS1_11target_archE1201ELNS1_3gpuE5ELNS1_3repE0EEENS1_38merge_mergepath_config_static_selectorELNS0_4arch9wavefront6targetE1EEEvSM_
	.p2align	8
	.type	_ZN7rocprim17ROCPRIM_400000_NS6detail17trampoline_kernelINS0_14default_configENS1_38merge_sort_block_merge_config_selectorIN6thrust23THRUST_200600_302600_NS4pairIiiEENS0_10empty_typeEEEZZNS1_27merge_sort_block_merge_implIS3_NS6_6detail15normal_iteratorINS6_10device_ptrIS8_EEEEPS9_mNS6_4lessIS8_EEEE10hipError_tT0_T1_T2_jT3_P12ihipStream_tbPNSt15iterator_traitsISL_E10value_typeEPNSR_ISM_E10value_typeEPSN_NS1_7vsmem_tEENKUlT_SL_SM_SN_E_clISG_PS8_SH_SH_EESK_S10_SL_SM_SN_EUlS10_E0_NS1_11comp_targetILNS1_3genE10ELNS1_11target_archE1201ELNS1_3gpuE5ELNS1_3repE0EEENS1_38merge_mergepath_config_static_selectorELNS0_4arch9wavefront6targetE1EEEvSM_,@function
_ZN7rocprim17ROCPRIM_400000_NS6detail17trampoline_kernelINS0_14default_configENS1_38merge_sort_block_merge_config_selectorIN6thrust23THRUST_200600_302600_NS4pairIiiEENS0_10empty_typeEEEZZNS1_27merge_sort_block_merge_implIS3_NS6_6detail15normal_iteratorINS6_10device_ptrIS8_EEEEPS9_mNS6_4lessIS8_EEEE10hipError_tT0_T1_T2_jT3_P12ihipStream_tbPNSt15iterator_traitsISL_E10value_typeEPNSR_ISM_E10value_typeEPSN_NS1_7vsmem_tEENKUlT_SL_SM_SN_E_clISG_PS8_SH_SH_EESK_S10_SL_SM_SN_EUlS10_E0_NS1_11comp_targetILNS1_3genE10ELNS1_11target_archE1201ELNS1_3gpuE5ELNS1_3repE0EEENS1_38merge_mergepath_config_static_selectorELNS0_4arch9wavefront6targetE1EEEvSM_: ; @_ZN7rocprim17ROCPRIM_400000_NS6detail17trampoline_kernelINS0_14default_configENS1_38merge_sort_block_merge_config_selectorIN6thrust23THRUST_200600_302600_NS4pairIiiEENS0_10empty_typeEEEZZNS1_27merge_sort_block_merge_implIS3_NS6_6detail15normal_iteratorINS6_10device_ptrIS8_EEEEPS9_mNS6_4lessIS8_EEEE10hipError_tT0_T1_T2_jT3_P12ihipStream_tbPNSt15iterator_traitsISL_E10value_typeEPNSR_ISM_E10value_typeEPSN_NS1_7vsmem_tEENKUlT_SL_SM_SN_E_clISG_PS8_SH_SH_EESK_S10_SL_SM_SN_EUlS10_E0_NS1_11comp_targetILNS1_3genE10ELNS1_11target_archE1201ELNS1_3gpuE5ELNS1_3repE0EEENS1_38merge_mergepath_config_static_selectorELNS0_4arch9wavefront6targetE1EEEvSM_
; %bb.0:
	.section	.rodata,"a",@progbits
	.p2align	6, 0x0
	.amdhsa_kernel _ZN7rocprim17ROCPRIM_400000_NS6detail17trampoline_kernelINS0_14default_configENS1_38merge_sort_block_merge_config_selectorIN6thrust23THRUST_200600_302600_NS4pairIiiEENS0_10empty_typeEEEZZNS1_27merge_sort_block_merge_implIS3_NS6_6detail15normal_iteratorINS6_10device_ptrIS8_EEEEPS9_mNS6_4lessIS8_EEEE10hipError_tT0_T1_T2_jT3_P12ihipStream_tbPNSt15iterator_traitsISL_E10value_typeEPNSR_ISM_E10value_typeEPSN_NS1_7vsmem_tEENKUlT_SL_SM_SN_E_clISG_PS8_SH_SH_EESK_S10_SL_SM_SN_EUlS10_E0_NS1_11comp_targetILNS1_3genE10ELNS1_11target_archE1201ELNS1_3gpuE5ELNS1_3repE0EEENS1_38merge_mergepath_config_static_selectorELNS0_4arch9wavefront6targetE1EEEvSM_
		.amdhsa_group_segment_fixed_size 0
		.amdhsa_private_segment_fixed_size 0
		.amdhsa_kernarg_size 72
		.amdhsa_user_sgpr_count 2
		.amdhsa_user_sgpr_dispatch_ptr 0
		.amdhsa_user_sgpr_queue_ptr 0
		.amdhsa_user_sgpr_kernarg_segment_ptr 1
		.amdhsa_user_sgpr_dispatch_id 0
		.amdhsa_user_sgpr_kernarg_preload_length 0
		.amdhsa_user_sgpr_kernarg_preload_offset 0
		.amdhsa_user_sgpr_private_segment_size 0
		.amdhsa_uses_dynamic_stack 0
		.amdhsa_enable_private_segment 0
		.amdhsa_system_sgpr_workgroup_id_x 1
		.amdhsa_system_sgpr_workgroup_id_y 0
		.amdhsa_system_sgpr_workgroup_id_z 0
		.amdhsa_system_sgpr_workgroup_info 0
		.amdhsa_system_vgpr_workitem_id 0
		.amdhsa_next_free_vgpr 1
		.amdhsa_next_free_sgpr 0
		.amdhsa_accum_offset 4
		.amdhsa_reserve_vcc 0
		.amdhsa_float_round_mode_32 0
		.amdhsa_float_round_mode_16_64 0
		.amdhsa_float_denorm_mode_32 3
		.amdhsa_float_denorm_mode_16_64 3
		.amdhsa_dx10_clamp 1
		.amdhsa_ieee_mode 1
		.amdhsa_fp16_overflow 0
		.amdhsa_tg_split 0
		.amdhsa_exception_fp_ieee_invalid_op 0
		.amdhsa_exception_fp_denorm_src 0
		.amdhsa_exception_fp_ieee_div_zero 0
		.amdhsa_exception_fp_ieee_overflow 0
		.amdhsa_exception_fp_ieee_underflow 0
		.amdhsa_exception_fp_ieee_inexact 0
		.amdhsa_exception_int_div_zero 0
	.end_amdhsa_kernel
	.section	.text._ZN7rocprim17ROCPRIM_400000_NS6detail17trampoline_kernelINS0_14default_configENS1_38merge_sort_block_merge_config_selectorIN6thrust23THRUST_200600_302600_NS4pairIiiEENS0_10empty_typeEEEZZNS1_27merge_sort_block_merge_implIS3_NS6_6detail15normal_iteratorINS6_10device_ptrIS8_EEEEPS9_mNS6_4lessIS8_EEEE10hipError_tT0_T1_T2_jT3_P12ihipStream_tbPNSt15iterator_traitsISL_E10value_typeEPNSR_ISM_E10value_typeEPSN_NS1_7vsmem_tEENKUlT_SL_SM_SN_E_clISG_PS8_SH_SH_EESK_S10_SL_SM_SN_EUlS10_E0_NS1_11comp_targetILNS1_3genE10ELNS1_11target_archE1201ELNS1_3gpuE5ELNS1_3repE0EEENS1_38merge_mergepath_config_static_selectorELNS0_4arch9wavefront6targetE1EEEvSM_,"axG",@progbits,_ZN7rocprim17ROCPRIM_400000_NS6detail17trampoline_kernelINS0_14default_configENS1_38merge_sort_block_merge_config_selectorIN6thrust23THRUST_200600_302600_NS4pairIiiEENS0_10empty_typeEEEZZNS1_27merge_sort_block_merge_implIS3_NS6_6detail15normal_iteratorINS6_10device_ptrIS8_EEEEPS9_mNS6_4lessIS8_EEEE10hipError_tT0_T1_T2_jT3_P12ihipStream_tbPNSt15iterator_traitsISL_E10value_typeEPNSR_ISM_E10value_typeEPSN_NS1_7vsmem_tEENKUlT_SL_SM_SN_E_clISG_PS8_SH_SH_EESK_S10_SL_SM_SN_EUlS10_E0_NS1_11comp_targetILNS1_3genE10ELNS1_11target_archE1201ELNS1_3gpuE5ELNS1_3repE0EEENS1_38merge_mergepath_config_static_selectorELNS0_4arch9wavefront6targetE1EEEvSM_,comdat
.Lfunc_end666:
	.size	_ZN7rocprim17ROCPRIM_400000_NS6detail17trampoline_kernelINS0_14default_configENS1_38merge_sort_block_merge_config_selectorIN6thrust23THRUST_200600_302600_NS4pairIiiEENS0_10empty_typeEEEZZNS1_27merge_sort_block_merge_implIS3_NS6_6detail15normal_iteratorINS6_10device_ptrIS8_EEEEPS9_mNS6_4lessIS8_EEEE10hipError_tT0_T1_T2_jT3_P12ihipStream_tbPNSt15iterator_traitsISL_E10value_typeEPNSR_ISM_E10value_typeEPSN_NS1_7vsmem_tEENKUlT_SL_SM_SN_E_clISG_PS8_SH_SH_EESK_S10_SL_SM_SN_EUlS10_E0_NS1_11comp_targetILNS1_3genE10ELNS1_11target_archE1201ELNS1_3gpuE5ELNS1_3repE0EEENS1_38merge_mergepath_config_static_selectorELNS0_4arch9wavefront6targetE1EEEvSM_, .Lfunc_end666-_ZN7rocprim17ROCPRIM_400000_NS6detail17trampoline_kernelINS0_14default_configENS1_38merge_sort_block_merge_config_selectorIN6thrust23THRUST_200600_302600_NS4pairIiiEENS0_10empty_typeEEEZZNS1_27merge_sort_block_merge_implIS3_NS6_6detail15normal_iteratorINS6_10device_ptrIS8_EEEEPS9_mNS6_4lessIS8_EEEE10hipError_tT0_T1_T2_jT3_P12ihipStream_tbPNSt15iterator_traitsISL_E10value_typeEPNSR_ISM_E10value_typeEPSN_NS1_7vsmem_tEENKUlT_SL_SM_SN_E_clISG_PS8_SH_SH_EESK_S10_SL_SM_SN_EUlS10_E0_NS1_11comp_targetILNS1_3genE10ELNS1_11target_archE1201ELNS1_3gpuE5ELNS1_3repE0EEENS1_38merge_mergepath_config_static_selectorELNS0_4arch9wavefront6targetE1EEEvSM_
                                        ; -- End function
	.set _ZN7rocprim17ROCPRIM_400000_NS6detail17trampoline_kernelINS0_14default_configENS1_38merge_sort_block_merge_config_selectorIN6thrust23THRUST_200600_302600_NS4pairIiiEENS0_10empty_typeEEEZZNS1_27merge_sort_block_merge_implIS3_NS6_6detail15normal_iteratorINS6_10device_ptrIS8_EEEEPS9_mNS6_4lessIS8_EEEE10hipError_tT0_T1_T2_jT3_P12ihipStream_tbPNSt15iterator_traitsISL_E10value_typeEPNSR_ISM_E10value_typeEPSN_NS1_7vsmem_tEENKUlT_SL_SM_SN_E_clISG_PS8_SH_SH_EESK_S10_SL_SM_SN_EUlS10_E0_NS1_11comp_targetILNS1_3genE10ELNS1_11target_archE1201ELNS1_3gpuE5ELNS1_3repE0EEENS1_38merge_mergepath_config_static_selectorELNS0_4arch9wavefront6targetE1EEEvSM_.num_vgpr, 0
	.set _ZN7rocprim17ROCPRIM_400000_NS6detail17trampoline_kernelINS0_14default_configENS1_38merge_sort_block_merge_config_selectorIN6thrust23THRUST_200600_302600_NS4pairIiiEENS0_10empty_typeEEEZZNS1_27merge_sort_block_merge_implIS3_NS6_6detail15normal_iteratorINS6_10device_ptrIS8_EEEEPS9_mNS6_4lessIS8_EEEE10hipError_tT0_T1_T2_jT3_P12ihipStream_tbPNSt15iterator_traitsISL_E10value_typeEPNSR_ISM_E10value_typeEPSN_NS1_7vsmem_tEENKUlT_SL_SM_SN_E_clISG_PS8_SH_SH_EESK_S10_SL_SM_SN_EUlS10_E0_NS1_11comp_targetILNS1_3genE10ELNS1_11target_archE1201ELNS1_3gpuE5ELNS1_3repE0EEENS1_38merge_mergepath_config_static_selectorELNS0_4arch9wavefront6targetE1EEEvSM_.num_agpr, 0
	.set _ZN7rocprim17ROCPRIM_400000_NS6detail17trampoline_kernelINS0_14default_configENS1_38merge_sort_block_merge_config_selectorIN6thrust23THRUST_200600_302600_NS4pairIiiEENS0_10empty_typeEEEZZNS1_27merge_sort_block_merge_implIS3_NS6_6detail15normal_iteratorINS6_10device_ptrIS8_EEEEPS9_mNS6_4lessIS8_EEEE10hipError_tT0_T1_T2_jT3_P12ihipStream_tbPNSt15iterator_traitsISL_E10value_typeEPNSR_ISM_E10value_typeEPSN_NS1_7vsmem_tEENKUlT_SL_SM_SN_E_clISG_PS8_SH_SH_EESK_S10_SL_SM_SN_EUlS10_E0_NS1_11comp_targetILNS1_3genE10ELNS1_11target_archE1201ELNS1_3gpuE5ELNS1_3repE0EEENS1_38merge_mergepath_config_static_selectorELNS0_4arch9wavefront6targetE1EEEvSM_.numbered_sgpr, 0
	.set _ZN7rocprim17ROCPRIM_400000_NS6detail17trampoline_kernelINS0_14default_configENS1_38merge_sort_block_merge_config_selectorIN6thrust23THRUST_200600_302600_NS4pairIiiEENS0_10empty_typeEEEZZNS1_27merge_sort_block_merge_implIS3_NS6_6detail15normal_iteratorINS6_10device_ptrIS8_EEEEPS9_mNS6_4lessIS8_EEEE10hipError_tT0_T1_T2_jT3_P12ihipStream_tbPNSt15iterator_traitsISL_E10value_typeEPNSR_ISM_E10value_typeEPSN_NS1_7vsmem_tEENKUlT_SL_SM_SN_E_clISG_PS8_SH_SH_EESK_S10_SL_SM_SN_EUlS10_E0_NS1_11comp_targetILNS1_3genE10ELNS1_11target_archE1201ELNS1_3gpuE5ELNS1_3repE0EEENS1_38merge_mergepath_config_static_selectorELNS0_4arch9wavefront6targetE1EEEvSM_.num_named_barrier, 0
	.set _ZN7rocprim17ROCPRIM_400000_NS6detail17trampoline_kernelINS0_14default_configENS1_38merge_sort_block_merge_config_selectorIN6thrust23THRUST_200600_302600_NS4pairIiiEENS0_10empty_typeEEEZZNS1_27merge_sort_block_merge_implIS3_NS6_6detail15normal_iteratorINS6_10device_ptrIS8_EEEEPS9_mNS6_4lessIS8_EEEE10hipError_tT0_T1_T2_jT3_P12ihipStream_tbPNSt15iterator_traitsISL_E10value_typeEPNSR_ISM_E10value_typeEPSN_NS1_7vsmem_tEENKUlT_SL_SM_SN_E_clISG_PS8_SH_SH_EESK_S10_SL_SM_SN_EUlS10_E0_NS1_11comp_targetILNS1_3genE10ELNS1_11target_archE1201ELNS1_3gpuE5ELNS1_3repE0EEENS1_38merge_mergepath_config_static_selectorELNS0_4arch9wavefront6targetE1EEEvSM_.private_seg_size, 0
	.set _ZN7rocprim17ROCPRIM_400000_NS6detail17trampoline_kernelINS0_14default_configENS1_38merge_sort_block_merge_config_selectorIN6thrust23THRUST_200600_302600_NS4pairIiiEENS0_10empty_typeEEEZZNS1_27merge_sort_block_merge_implIS3_NS6_6detail15normal_iteratorINS6_10device_ptrIS8_EEEEPS9_mNS6_4lessIS8_EEEE10hipError_tT0_T1_T2_jT3_P12ihipStream_tbPNSt15iterator_traitsISL_E10value_typeEPNSR_ISM_E10value_typeEPSN_NS1_7vsmem_tEENKUlT_SL_SM_SN_E_clISG_PS8_SH_SH_EESK_S10_SL_SM_SN_EUlS10_E0_NS1_11comp_targetILNS1_3genE10ELNS1_11target_archE1201ELNS1_3gpuE5ELNS1_3repE0EEENS1_38merge_mergepath_config_static_selectorELNS0_4arch9wavefront6targetE1EEEvSM_.uses_vcc, 0
	.set _ZN7rocprim17ROCPRIM_400000_NS6detail17trampoline_kernelINS0_14default_configENS1_38merge_sort_block_merge_config_selectorIN6thrust23THRUST_200600_302600_NS4pairIiiEENS0_10empty_typeEEEZZNS1_27merge_sort_block_merge_implIS3_NS6_6detail15normal_iteratorINS6_10device_ptrIS8_EEEEPS9_mNS6_4lessIS8_EEEE10hipError_tT0_T1_T2_jT3_P12ihipStream_tbPNSt15iterator_traitsISL_E10value_typeEPNSR_ISM_E10value_typeEPSN_NS1_7vsmem_tEENKUlT_SL_SM_SN_E_clISG_PS8_SH_SH_EESK_S10_SL_SM_SN_EUlS10_E0_NS1_11comp_targetILNS1_3genE10ELNS1_11target_archE1201ELNS1_3gpuE5ELNS1_3repE0EEENS1_38merge_mergepath_config_static_selectorELNS0_4arch9wavefront6targetE1EEEvSM_.uses_flat_scratch, 0
	.set _ZN7rocprim17ROCPRIM_400000_NS6detail17trampoline_kernelINS0_14default_configENS1_38merge_sort_block_merge_config_selectorIN6thrust23THRUST_200600_302600_NS4pairIiiEENS0_10empty_typeEEEZZNS1_27merge_sort_block_merge_implIS3_NS6_6detail15normal_iteratorINS6_10device_ptrIS8_EEEEPS9_mNS6_4lessIS8_EEEE10hipError_tT0_T1_T2_jT3_P12ihipStream_tbPNSt15iterator_traitsISL_E10value_typeEPNSR_ISM_E10value_typeEPSN_NS1_7vsmem_tEENKUlT_SL_SM_SN_E_clISG_PS8_SH_SH_EESK_S10_SL_SM_SN_EUlS10_E0_NS1_11comp_targetILNS1_3genE10ELNS1_11target_archE1201ELNS1_3gpuE5ELNS1_3repE0EEENS1_38merge_mergepath_config_static_selectorELNS0_4arch9wavefront6targetE1EEEvSM_.has_dyn_sized_stack, 0
	.set _ZN7rocprim17ROCPRIM_400000_NS6detail17trampoline_kernelINS0_14default_configENS1_38merge_sort_block_merge_config_selectorIN6thrust23THRUST_200600_302600_NS4pairIiiEENS0_10empty_typeEEEZZNS1_27merge_sort_block_merge_implIS3_NS6_6detail15normal_iteratorINS6_10device_ptrIS8_EEEEPS9_mNS6_4lessIS8_EEEE10hipError_tT0_T1_T2_jT3_P12ihipStream_tbPNSt15iterator_traitsISL_E10value_typeEPNSR_ISM_E10value_typeEPSN_NS1_7vsmem_tEENKUlT_SL_SM_SN_E_clISG_PS8_SH_SH_EESK_S10_SL_SM_SN_EUlS10_E0_NS1_11comp_targetILNS1_3genE10ELNS1_11target_archE1201ELNS1_3gpuE5ELNS1_3repE0EEENS1_38merge_mergepath_config_static_selectorELNS0_4arch9wavefront6targetE1EEEvSM_.has_recursion, 0
	.set _ZN7rocprim17ROCPRIM_400000_NS6detail17trampoline_kernelINS0_14default_configENS1_38merge_sort_block_merge_config_selectorIN6thrust23THRUST_200600_302600_NS4pairIiiEENS0_10empty_typeEEEZZNS1_27merge_sort_block_merge_implIS3_NS6_6detail15normal_iteratorINS6_10device_ptrIS8_EEEEPS9_mNS6_4lessIS8_EEEE10hipError_tT0_T1_T2_jT3_P12ihipStream_tbPNSt15iterator_traitsISL_E10value_typeEPNSR_ISM_E10value_typeEPSN_NS1_7vsmem_tEENKUlT_SL_SM_SN_E_clISG_PS8_SH_SH_EESK_S10_SL_SM_SN_EUlS10_E0_NS1_11comp_targetILNS1_3genE10ELNS1_11target_archE1201ELNS1_3gpuE5ELNS1_3repE0EEENS1_38merge_mergepath_config_static_selectorELNS0_4arch9wavefront6targetE1EEEvSM_.has_indirect_call, 0
	.section	.AMDGPU.csdata,"",@progbits
; Kernel info:
; codeLenInByte = 0
; TotalNumSgprs: 6
; NumVgprs: 0
; NumAgprs: 0
; TotalNumVgprs: 0
; ScratchSize: 0
; MemoryBound: 0
; FloatMode: 240
; IeeeMode: 1
; LDSByteSize: 0 bytes/workgroup (compile time only)
; SGPRBlocks: 0
; VGPRBlocks: 0
; NumSGPRsForWavesPerEU: 6
; NumVGPRsForWavesPerEU: 1
; AccumOffset: 4
; Occupancy: 8
; WaveLimiterHint : 0
; COMPUTE_PGM_RSRC2:SCRATCH_EN: 0
; COMPUTE_PGM_RSRC2:USER_SGPR: 2
; COMPUTE_PGM_RSRC2:TRAP_HANDLER: 0
; COMPUTE_PGM_RSRC2:TGID_X_EN: 1
; COMPUTE_PGM_RSRC2:TGID_Y_EN: 0
; COMPUTE_PGM_RSRC2:TGID_Z_EN: 0
; COMPUTE_PGM_RSRC2:TIDIG_COMP_CNT: 0
; COMPUTE_PGM_RSRC3_GFX90A:ACCUM_OFFSET: 0
; COMPUTE_PGM_RSRC3_GFX90A:TG_SPLIT: 0
	.section	.text._ZN7rocprim17ROCPRIM_400000_NS6detail17trampoline_kernelINS0_14default_configENS1_38merge_sort_block_merge_config_selectorIN6thrust23THRUST_200600_302600_NS4pairIiiEENS0_10empty_typeEEEZZNS1_27merge_sort_block_merge_implIS3_NS6_6detail15normal_iteratorINS6_10device_ptrIS8_EEEEPS9_mNS6_4lessIS8_EEEE10hipError_tT0_T1_T2_jT3_P12ihipStream_tbPNSt15iterator_traitsISL_E10value_typeEPNSR_ISM_E10value_typeEPSN_NS1_7vsmem_tEENKUlT_SL_SM_SN_E_clISG_PS8_SH_SH_EESK_S10_SL_SM_SN_EUlS10_E0_NS1_11comp_targetILNS1_3genE5ELNS1_11target_archE942ELNS1_3gpuE9ELNS1_3repE0EEENS1_38merge_mergepath_config_static_selectorELNS0_4arch9wavefront6targetE1EEEvSM_,"axG",@progbits,_ZN7rocprim17ROCPRIM_400000_NS6detail17trampoline_kernelINS0_14default_configENS1_38merge_sort_block_merge_config_selectorIN6thrust23THRUST_200600_302600_NS4pairIiiEENS0_10empty_typeEEEZZNS1_27merge_sort_block_merge_implIS3_NS6_6detail15normal_iteratorINS6_10device_ptrIS8_EEEEPS9_mNS6_4lessIS8_EEEE10hipError_tT0_T1_T2_jT3_P12ihipStream_tbPNSt15iterator_traitsISL_E10value_typeEPNSR_ISM_E10value_typeEPSN_NS1_7vsmem_tEENKUlT_SL_SM_SN_E_clISG_PS8_SH_SH_EESK_S10_SL_SM_SN_EUlS10_E0_NS1_11comp_targetILNS1_3genE5ELNS1_11target_archE942ELNS1_3gpuE9ELNS1_3repE0EEENS1_38merge_mergepath_config_static_selectorELNS0_4arch9wavefront6targetE1EEEvSM_,comdat
	.protected	_ZN7rocprim17ROCPRIM_400000_NS6detail17trampoline_kernelINS0_14default_configENS1_38merge_sort_block_merge_config_selectorIN6thrust23THRUST_200600_302600_NS4pairIiiEENS0_10empty_typeEEEZZNS1_27merge_sort_block_merge_implIS3_NS6_6detail15normal_iteratorINS6_10device_ptrIS8_EEEEPS9_mNS6_4lessIS8_EEEE10hipError_tT0_T1_T2_jT3_P12ihipStream_tbPNSt15iterator_traitsISL_E10value_typeEPNSR_ISM_E10value_typeEPSN_NS1_7vsmem_tEENKUlT_SL_SM_SN_E_clISG_PS8_SH_SH_EESK_S10_SL_SM_SN_EUlS10_E0_NS1_11comp_targetILNS1_3genE5ELNS1_11target_archE942ELNS1_3gpuE9ELNS1_3repE0EEENS1_38merge_mergepath_config_static_selectorELNS0_4arch9wavefront6targetE1EEEvSM_ ; -- Begin function _ZN7rocprim17ROCPRIM_400000_NS6detail17trampoline_kernelINS0_14default_configENS1_38merge_sort_block_merge_config_selectorIN6thrust23THRUST_200600_302600_NS4pairIiiEENS0_10empty_typeEEEZZNS1_27merge_sort_block_merge_implIS3_NS6_6detail15normal_iteratorINS6_10device_ptrIS8_EEEEPS9_mNS6_4lessIS8_EEEE10hipError_tT0_T1_T2_jT3_P12ihipStream_tbPNSt15iterator_traitsISL_E10value_typeEPNSR_ISM_E10value_typeEPSN_NS1_7vsmem_tEENKUlT_SL_SM_SN_E_clISG_PS8_SH_SH_EESK_S10_SL_SM_SN_EUlS10_E0_NS1_11comp_targetILNS1_3genE5ELNS1_11target_archE942ELNS1_3gpuE9ELNS1_3repE0EEENS1_38merge_mergepath_config_static_selectorELNS0_4arch9wavefront6targetE1EEEvSM_
	.globl	_ZN7rocprim17ROCPRIM_400000_NS6detail17trampoline_kernelINS0_14default_configENS1_38merge_sort_block_merge_config_selectorIN6thrust23THRUST_200600_302600_NS4pairIiiEENS0_10empty_typeEEEZZNS1_27merge_sort_block_merge_implIS3_NS6_6detail15normal_iteratorINS6_10device_ptrIS8_EEEEPS9_mNS6_4lessIS8_EEEE10hipError_tT0_T1_T2_jT3_P12ihipStream_tbPNSt15iterator_traitsISL_E10value_typeEPNSR_ISM_E10value_typeEPSN_NS1_7vsmem_tEENKUlT_SL_SM_SN_E_clISG_PS8_SH_SH_EESK_S10_SL_SM_SN_EUlS10_E0_NS1_11comp_targetILNS1_3genE5ELNS1_11target_archE942ELNS1_3gpuE9ELNS1_3repE0EEENS1_38merge_mergepath_config_static_selectorELNS0_4arch9wavefront6targetE1EEEvSM_
	.p2align	8
	.type	_ZN7rocprim17ROCPRIM_400000_NS6detail17trampoline_kernelINS0_14default_configENS1_38merge_sort_block_merge_config_selectorIN6thrust23THRUST_200600_302600_NS4pairIiiEENS0_10empty_typeEEEZZNS1_27merge_sort_block_merge_implIS3_NS6_6detail15normal_iteratorINS6_10device_ptrIS8_EEEEPS9_mNS6_4lessIS8_EEEE10hipError_tT0_T1_T2_jT3_P12ihipStream_tbPNSt15iterator_traitsISL_E10value_typeEPNSR_ISM_E10value_typeEPSN_NS1_7vsmem_tEENKUlT_SL_SM_SN_E_clISG_PS8_SH_SH_EESK_S10_SL_SM_SN_EUlS10_E0_NS1_11comp_targetILNS1_3genE5ELNS1_11target_archE942ELNS1_3gpuE9ELNS1_3repE0EEENS1_38merge_mergepath_config_static_selectorELNS0_4arch9wavefront6targetE1EEEvSM_,@function
_ZN7rocprim17ROCPRIM_400000_NS6detail17trampoline_kernelINS0_14default_configENS1_38merge_sort_block_merge_config_selectorIN6thrust23THRUST_200600_302600_NS4pairIiiEENS0_10empty_typeEEEZZNS1_27merge_sort_block_merge_implIS3_NS6_6detail15normal_iteratorINS6_10device_ptrIS8_EEEEPS9_mNS6_4lessIS8_EEEE10hipError_tT0_T1_T2_jT3_P12ihipStream_tbPNSt15iterator_traitsISL_E10value_typeEPNSR_ISM_E10value_typeEPSN_NS1_7vsmem_tEENKUlT_SL_SM_SN_E_clISG_PS8_SH_SH_EESK_S10_SL_SM_SN_EUlS10_E0_NS1_11comp_targetILNS1_3genE5ELNS1_11target_archE942ELNS1_3gpuE9ELNS1_3repE0EEENS1_38merge_mergepath_config_static_selectorELNS0_4arch9wavefront6targetE1EEEvSM_: ; @_ZN7rocprim17ROCPRIM_400000_NS6detail17trampoline_kernelINS0_14default_configENS1_38merge_sort_block_merge_config_selectorIN6thrust23THRUST_200600_302600_NS4pairIiiEENS0_10empty_typeEEEZZNS1_27merge_sort_block_merge_implIS3_NS6_6detail15normal_iteratorINS6_10device_ptrIS8_EEEEPS9_mNS6_4lessIS8_EEEE10hipError_tT0_T1_T2_jT3_P12ihipStream_tbPNSt15iterator_traitsISL_E10value_typeEPNSR_ISM_E10value_typeEPSN_NS1_7vsmem_tEENKUlT_SL_SM_SN_E_clISG_PS8_SH_SH_EESK_S10_SL_SM_SN_EUlS10_E0_NS1_11comp_targetILNS1_3genE5ELNS1_11target_archE942ELNS1_3gpuE9ELNS1_3repE0EEENS1_38merge_mergepath_config_static_selectorELNS0_4arch9wavefront6targetE1EEEvSM_
; %bb.0:
	.section	.rodata,"a",@progbits
	.p2align	6, 0x0
	.amdhsa_kernel _ZN7rocprim17ROCPRIM_400000_NS6detail17trampoline_kernelINS0_14default_configENS1_38merge_sort_block_merge_config_selectorIN6thrust23THRUST_200600_302600_NS4pairIiiEENS0_10empty_typeEEEZZNS1_27merge_sort_block_merge_implIS3_NS6_6detail15normal_iteratorINS6_10device_ptrIS8_EEEEPS9_mNS6_4lessIS8_EEEE10hipError_tT0_T1_T2_jT3_P12ihipStream_tbPNSt15iterator_traitsISL_E10value_typeEPNSR_ISM_E10value_typeEPSN_NS1_7vsmem_tEENKUlT_SL_SM_SN_E_clISG_PS8_SH_SH_EESK_S10_SL_SM_SN_EUlS10_E0_NS1_11comp_targetILNS1_3genE5ELNS1_11target_archE942ELNS1_3gpuE9ELNS1_3repE0EEENS1_38merge_mergepath_config_static_selectorELNS0_4arch9wavefront6targetE1EEEvSM_
		.amdhsa_group_segment_fixed_size 0
		.amdhsa_private_segment_fixed_size 0
		.amdhsa_kernarg_size 72
		.amdhsa_user_sgpr_count 2
		.amdhsa_user_sgpr_dispatch_ptr 0
		.amdhsa_user_sgpr_queue_ptr 0
		.amdhsa_user_sgpr_kernarg_segment_ptr 1
		.amdhsa_user_sgpr_dispatch_id 0
		.amdhsa_user_sgpr_kernarg_preload_length 0
		.amdhsa_user_sgpr_kernarg_preload_offset 0
		.amdhsa_user_sgpr_private_segment_size 0
		.amdhsa_uses_dynamic_stack 0
		.amdhsa_enable_private_segment 0
		.amdhsa_system_sgpr_workgroup_id_x 1
		.amdhsa_system_sgpr_workgroup_id_y 0
		.amdhsa_system_sgpr_workgroup_id_z 0
		.amdhsa_system_sgpr_workgroup_info 0
		.amdhsa_system_vgpr_workitem_id 0
		.amdhsa_next_free_vgpr 1
		.amdhsa_next_free_sgpr 0
		.amdhsa_accum_offset 4
		.amdhsa_reserve_vcc 0
		.amdhsa_float_round_mode_32 0
		.amdhsa_float_round_mode_16_64 0
		.amdhsa_float_denorm_mode_32 3
		.amdhsa_float_denorm_mode_16_64 3
		.amdhsa_dx10_clamp 1
		.amdhsa_ieee_mode 1
		.amdhsa_fp16_overflow 0
		.amdhsa_tg_split 0
		.amdhsa_exception_fp_ieee_invalid_op 0
		.amdhsa_exception_fp_denorm_src 0
		.amdhsa_exception_fp_ieee_div_zero 0
		.amdhsa_exception_fp_ieee_overflow 0
		.amdhsa_exception_fp_ieee_underflow 0
		.amdhsa_exception_fp_ieee_inexact 0
		.amdhsa_exception_int_div_zero 0
	.end_amdhsa_kernel
	.section	.text._ZN7rocprim17ROCPRIM_400000_NS6detail17trampoline_kernelINS0_14default_configENS1_38merge_sort_block_merge_config_selectorIN6thrust23THRUST_200600_302600_NS4pairIiiEENS0_10empty_typeEEEZZNS1_27merge_sort_block_merge_implIS3_NS6_6detail15normal_iteratorINS6_10device_ptrIS8_EEEEPS9_mNS6_4lessIS8_EEEE10hipError_tT0_T1_T2_jT3_P12ihipStream_tbPNSt15iterator_traitsISL_E10value_typeEPNSR_ISM_E10value_typeEPSN_NS1_7vsmem_tEENKUlT_SL_SM_SN_E_clISG_PS8_SH_SH_EESK_S10_SL_SM_SN_EUlS10_E0_NS1_11comp_targetILNS1_3genE5ELNS1_11target_archE942ELNS1_3gpuE9ELNS1_3repE0EEENS1_38merge_mergepath_config_static_selectorELNS0_4arch9wavefront6targetE1EEEvSM_,"axG",@progbits,_ZN7rocprim17ROCPRIM_400000_NS6detail17trampoline_kernelINS0_14default_configENS1_38merge_sort_block_merge_config_selectorIN6thrust23THRUST_200600_302600_NS4pairIiiEENS0_10empty_typeEEEZZNS1_27merge_sort_block_merge_implIS3_NS6_6detail15normal_iteratorINS6_10device_ptrIS8_EEEEPS9_mNS6_4lessIS8_EEEE10hipError_tT0_T1_T2_jT3_P12ihipStream_tbPNSt15iterator_traitsISL_E10value_typeEPNSR_ISM_E10value_typeEPSN_NS1_7vsmem_tEENKUlT_SL_SM_SN_E_clISG_PS8_SH_SH_EESK_S10_SL_SM_SN_EUlS10_E0_NS1_11comp_targetILNS1_3genE5ELNS1_11target_archE942ELNS1_3gpuE9ELNS1_3repE0EEENS1_38merge_mergepath_config_static_selectorELNS0_4arch9wavefront6targetE1EEEvSM_,comdat
.Lfunc_end667:
	.size	_ZN7rocprim17ROCPRIM_400000_NS6detail17trampoline_kernelINS0_14default_configENS1_38merge_sort_block_merge_config_selectorIN6thrust23THRUST_200600_302600_NS4pairIiiEENS0_10empty_typeEEEZZNS1_27merge_sort_block_merge_implIS3_NS6_6detail15normal_iteratorINS6_10device_ptrIS8_EEEEPS9_mNS6_4lessIS8_EEEE10hipError_tT0_T1_T2_jT3_P12ihipStream_tbPNSt15iterator_traitsISL_E10value_typeEPNSR_ISM_E10value_typeEPSN_NS1_7vsmem_tEENKUlT_SL_SM_SN_E_clISG_PS8_SH_SH_EESK_S10_SL_SM_SN_EUlS10_E0_NS1_11comp_targetILNS1_3genE5ELNS1_11target_archE942ELNS1_3gpuE9ELNS1_3repE0EEENS1_38merge_mergepath_config_static_selectorELNS0_4arch9wavefront6targetE1EEEvSM_, .Lfunc_end667-_ZN7rocprim17ROCPRIM_400000_NS6detail17trampoline_kernelINS0_14default_configENS1_38merge_sort_block_merge_config_selectorIN6thrust23THRUST_200600_302600_NS4pairIiiEENS0_10empty_typeEEEZZNS1_27merge_sort_block_merge_implIS3_NS6_6detail15normal_iteratorINS6_10device_ptrIS8_EEEEPS9_mNS6_4lessIS8_EEEE10hipError_tT0_T1_T2_jT3_P12ihipStream_tbPNSt15iterator_traitsISL_E10value_typeEPNSR_ISM_E10value_typeEPSN_NS1_7vsmem_tEENKUlT_SL_SM_SN_E_clISG_PS8_SH_SH_EESK_S10_SL_SM_SN_EUlS10_E0_NS1_11comp_targetILNS1_3genE5ELNS1_11target_archE942ELNS1_3gpuE9ELNS1_3repE0EEENS1_38merge_mergepath_config_static_selectorELNS0_4arch9wavefront6targetE1EEEvSM_
                                        ; -- End function
	.set _ZN7rocprim17ROCPRIM_400000_NS6detail17trampoline_kernelINS0_14default_configENS1_38merge_sort_block_merge_config_selectorIN6thrust23THRUST_200600_302600_NS4pairIiiEENS0_10empty_typeEEEZZNS1_27merge_sort_block_merge_implIS3_NS6_6detail15normal_iteratorINS6_10device_ptrIS8_EEEEPS9_mNS6_4lessIS8_EEEE10hipError_tT0_T1_T2_jT3_P12ihipStream_tbPNSt15iterator_traitsISL_E10value_typeEPNSR_ISM_E10value_typeEPSN_NS1_7vsmem_tEENKUlT_SL_SM_SN_E_clISG_PS8_SH_SH_EESK_S10_SL_SM_SN_EUlS10_E0_NS1_11comp_targetILNS1_3genE5ELNS1_11target_archE942ELNS1_3gpuE9ELNS1_3repE0EEENS1_38merge_mergepath_config_static_selectorELNS0_4arch9wavefront6targetE1EEEvSM_.num_vgpr, 0
	.set _ZN7rocprim17ROCPRIM_400000_NS6detail17trampoline_kernelINS0_14default_configENS1_38merge_sort_block_merge_config_selectorIN6thrust23THRUST_200600_302600_NS4pairIiiEENS0_10empty_typeEEEZZNS1_27merge_sort_block_merge_implIS3_NS6_6detail15normal_iteratorINS6_10device_ptrIS8_EEEEPS9_mNS6_4lessIS8_EEEE10hipError_tT0_T1_T2_jT3_P12ihipStream_tbPNSt15iterator_traitsISL_E10value_typeEPNSR_ISM_E10value_typeEPSN_NS1_7vsmem_tEENKUlT_SL_SM_SN_E_clISG_PS8_SH_SH_EESK_S10_SL_SM_SN_EUlS10_E0_NS1_11comp_targetILNS1_3genE5ELNS1_11target_archE942ELNS1_3gpuE9ELNS1_3repE0EEENS1_38merge_mergepath_config_static_selectorELNS0_4arch9wavefront6targetE1EEEvSM_.num_agpr, 0
	.set _ZN7rocprim17ROCPRIM_400000_NS6detail17trampoline_kernelINS0_14default_configENS1_38merge_sort_block_merge_config_selectorIN6thrust23THRUST_200600_302600_NS4pairIiiEENS0_10empty_typeEEEZZNS1_27merge_sort_block_merge_implIS3_NS6_6detail15normal_iteratorINS6_10device_ptrIS8_EEEEPS9_mNS6_4lessIS8_EEEE10hipError_tT0_T1_T2_jT3_P12ihipStream_tbPNSt15iterator_traitsISL_E10value_typeEPNSR_ISM_E10value_typeEPSN_NS1_7vsmem_tEENKUlT_SL_SM_SN_E_clISG_PS8_SH_SH_EESK_S10_SL_SM_SN_EUlS10_E0_NS1_11comp_targetILNS1_3genE5ELNS1_11target_archE942ELNS1_3gpuE9ELNS1_3repE0EEENS1_38merge_mergepath_config_static_selectorELNS0_4arch9wavefront6targetE1EEEvSM_.numbered_sgpr, 0
	.set _ZN7rocprim17ROCPRIM_400000_NS6detail17trampoline_kernelINS0_14default_configENS1_38merge_sort_block_merge_config_selectorIN6thrust23THRUST_200600_302600_NS4pairIiiEENS0_10empty_typeEEEZZNS1_27merge_sort_block_merge_implIS3_NS6_6detail15normal_iteratorINS6_10device_ptrIS8_EEEEPS9_mNS6_4lessIS8_EEEE10hipError_tT0_T1_T2_jT3_P12ihipStream_tbPNSt15iterator_traitsISL_E10value_typeEPNSR_ISM_E10value_typeEPSN_NS1_7vsmem_tEENKUlT_SL_SM_SN_E_clISG_PS8_SH_SH_EESK_S10_SL_SM_SN_EUlS10_E0_NS1_11comp_targetILNS1_3genE5ELNS1_11target_archE942ELNS1_3gpuE9ELNS1_3repE0EEENS1_38merge_mergepath_config_static_selectorELNS0_4arch9wavefront6targetE1EEEvSM_.num_named_barrier, 0
	.set _ZN7rocprim17ROCPRIM_400000_NS6detail17trampoline_kernelINS0_14default_configENS1_38merge_sort_block_merge_config_selectorIN6thrust23THRUST_200600_302600_NS4pairIiiEENS0_10empty_typeEEEZZNS1_27merge_sort_block_merge_implIS3_NS6_6detail15normal_iteratorINS6_10device_ptrIS8_EEEEPS9_mNS6_4lessIS8_EEEE10hipError_tT0_T1_T2_jT3_P12ihipStream_tbPNSt15iterator_traitsISL_E10value_typeEPNSR_ISM_E10value_typeEPSN_NS1_7vsmem_tEENKUlT_SL_SM_SN_E_clISG_PS8_SH_SH_EESK_S10_SL_SM_SN_EUlS10_E0_NS1_11comp_targetILNS1_3genE5ELNS1_11target_archE942ELNS1_3gpuE9ELNS1_3repE0EEENS1_38merge_mergepath_config_static_selectorELNS0_4arch9wavefront6targetE1EEEvSM_.private_seg_size, 0
	.set _ZN7rocprim17ROCPRIM_400000_NS6detail17trampoline_kernelINS0_14default_configENS1_38merge_sort_block_merge_config_selectorIN6thrust23THRUST_200600_302600_NS4pairIiiEENS0_10empty_typeEEEZZNS1_27merge_sort_block_merge_implIS3_NS6_6detail15normal_iteratorINS6_10device_ptrIS8_EEEEPS9_mNS6_4lessIS8_EEEE10hipError_tT0_T1_T2_jT3_P12ihipStream_tbPNSt15iterator_traitsISL_E10value_typeEPNSR_ISM_E10value_typeEPSN_NS1_7vsmem_tEENKUlT_SL_SM_SN_E_clISG_PS8_SH_SH_EESK_S10_SL_SM_SN_EUlS10_E0_NS1_11comp_targetILNS1_3genE5ELNS1_11target_archE942ELNS1_3gpuE9ELNS1_3repE0EEENS1_38merge_mergepath_config_static_selectorELNS0_4arch9wavefront6targetE1EEEvSM_.uses_vcc, 0
	.set _ZN7rocprim17ROCPRIM_400000_NS6detail17trampoline_kernelINS0_14default_configENS1_38merge_sort_block_merge_config_selectorIN6thrust23THRUST_200600_302600_NS4pairIiiEENS0_10empty_typeEEEZZNS1_27merge_sort_block_merge_implIS3_NS6_6detail15normal_iteratorINS6_10device_ptrIS8_EEEEPS9_mNS6_4lessIS8_EEEE10hipError_tT0_T1_T2_jT3_P12ihipStream_tbPNSt15iterator_traitsISL_E10value_typeEPNSR_ISM_E10value_typeEPSN_NS1_7vsmem_tEENKUlT_SL_SM_SN_E_clISG_PS8_SH_SH_EESK_S10_SL_SM_SN_EUlS10_E0_NS1_11comp_targetILNS1_3genE5ELNS1_11target_archE942ELNS1_3gpuE9ELNS1_3repE0EEENS1_38merge_mergepath_config_static_selectorELNS0_4arch9wavefront6targetE1EEEvSM_.uses_flat_scratch, 0
	.set _ZN7rocprim17ROCPRIM_400000_NS6detail17trampoline_kernelINS0_14default_configENS1_38merge_sort_block_merge_config_selectorIN6thrust23THRUST_200600_302600_NS4pairIiiEENS0_10empty_typeEEEZZNS1_27merge_sort_block_merge_implIS3_NS6_6detail15normal_iteratorINS6_10device_ptrIS8_EEEEPS9_mNS6_4lessIS8_EEEE10hipError_tT0_T1_T2_jT3_P12ihipStream_tbPNSt15iterator_traitsISL_E10value_typeEPNSR_ISM_E10value_typeEPSN_NS1_7vsmem_tEENKUlT_SL_SM_SN_E_clISG_PS8_SH_SH_EESK_S10_SL_SM_SN_EUlS10_E0_NS1_11comp_targetILNS1_3genE5ELNS1_11target_archE942ELNS1_3gpuE9ELNS1_3repE0EEENS1_38merge_mergepath_config_static_selectorELNS0_4arch9wavefront6targetE1EEEvSM_.has_dyn_sized_stack, 0
	.set _ZN7rocprim17ROCPRIM_400000_NS6detail17trampoline_kernelINS0_14default_configENS1_38merge_sort_block_merge_config_selectorIN6thrust23THRUST_200600_302600_NS4pairIiiEENS0_10empty_typeEEEZZNS1_27merge_sort_block_merge_implIS3_NS6_6detail15normal_iteratorINS6_10device_ptrIS8_EEEEPS9_mNS6_4lessIS8_EEEE10hipError_tT0_T1_T2_jT3_P12ihipStream_tbPNSt15iterator_traitsISL_E10value_typeEPNSR_ISM_E10value_typeEPSN_NS1_7vsmem_tEENKUlT_SL_SM_SN_E_clISG_PS8_SH_SH_EESK_S10_SL_SM_SN_EUlS10_E0_NS1_11comp_targetILNS1_3genE5ELNS1_11target_archE942ELNS1_3gpuE9ELNS1_3repE0EEENS1_38merge_mergepath_config_static_selectorELNS0_4arch9wavefront6targetE1EEEvSM_.has_recursion, 0
	.set _ZN7rocprim17ROCPRIM_400000_NS6detail17trampoline_kernelINS0_14default_configENS1_38merge_sort_block_merge_config_selectorIN6thrust23THRUST_200600_302600_NS4pairIiiEENS0_10empty_typeEEEZZNS1_27merge_sort_block_merge_implIS3_NS6_6detail15normal_iteratorINS6_10device_ptrIS8_EEEEPS9_mNS6_4lessIS8_EEEE10hipError_tT0_T1_T2_jT3_P12ihipStream_tbPNSt15iterator_traitsISL_E10value_typeEPNSR_ISM_E10value_typeEPSN_NS1_7vsmem_tEENKUlT_SL_SM_SN_E_clISG_PS8_SH_SH_EESK_S10_SL_SM_SN_EUlS10_E0_NS1_11comp_targetILNS1_3genE5ELNS1_11target_archE942ELNS1_3gpuE9ELNS1_3repE0EEENS1_38merge_mergepath_config_static_selectorELNS0_4arch9wavefront6targetE1EEEvSM_.has_indirect_call, 0
	.section	.AMDGPU.csdata,"",@progbits
; Kernel info:
; codeLenInByte = 0
; TotalNumSgprs: 6
; NumVgprs: 0
; NumAgprs: 0
; TotalNumVgprs: 0
; ScratchSize: 0
; MemoryBound: 0
; FloatMode: 240
; IeeeMode: 1
; LDSByteSize: 0 bytes/workgroup (compile time only)
; SGPRBlocks: 0
; VGPRBlocks: 0
; NumSGPRsForWavesPerEU: 6
; NumVGPRsForWavesPerEU: 1
; AccumOffset: 4
; Occupancy: 8
; WaveLimiterHint : 0
; COMPUTE_PGM_RSRC2:SCRATCH_EN: 0
; COMPUTE_PGM_RSRC2:USER_SGPR: 2
; COMPUTE_PGM_RSRC2:TRAP_HANDLER: 0
; COMPUTE_PGM_RSRC2:TGID_X_EN: 1
; COMPUTE_PGM_RSRC2:TGID_Y_EN: 0
; COMPUTE_PGM_RSRC2:TGID_Z_EN: 0
; COMPUTE_PGM_RSRC2:TIDIG_COMP_CNT: 0
; COMPUTE_PGM_RSRC3_GFX90A:ACCUM_OFFSET: 0
; COMPUTE_PGM_RSRC3_GFX90A:TG_SPLIT: 0
	.section	.text._ZN7rocprim17ROCPRIM_400000_NS6detail17trampoline_kernelINS0_14default_configENS1_38merge_sort_block_merge_config_selectorIN6thrust23THRUST_200600_302600_NS4pairIiiEENS0_10empty_typeEEEZZNS1_27merge_sort_block_merge_implIS3_NS6_6detail15normal_iteratorINS6_10device_ptrIS8_EEEEPS9_mNS6_4lessIS8_EEEE10hipError_tT0_T1_T2_jT3_P12ihipStream_tbPNSt15iterator_traitsISL_E10value_typeEPNSR_ISM_E10value_typeEPSN_NS1_7vsmem_tEENKUlT_SL_SM_SN_E_clISG_PS8_SH_SH_EESK_S10_SL_SM_SN_EUlS10_E0_NS1_11comp_targetILNS1_3genE4ELNS1_11target_archE910ELNS1_3gpuE8ELNS1_3repE0EEENS1_38merge_mergepath_config_static_selectorELNS0_4arch9wavefront6targetE1EEEvSM_,"axG",@progbits,_ZN7rocprim17ROCPRIM_400000_NS6detail17trampoline_kernelINS0_14default_configENS1_38merge_sort_block_merge_config_selectorIN6thrust23THRUST_200600_302600_NS4pairIiiEENS0_10empty_typeEEEZZNS1_27merge_sort_block_merge_implIS3_NS6_6detail15normal_iteratorINS6_10device_ptrIS8_EEEEPS9_mNS6_4lessIS8_EEEE10hipError_tT0_T1_T2_jT3_P12ihipStream_tbPNSt15iterator_traitsISL_E10value_typeEPNSR_ISM_E10value_typeEPSN_NS1_7vsmem_tEENKUlT_SL_SM_SN_E_clISG_PS8_SH_SH_EESK_S10_SL_SM_SN_EUlS10_E0_NS1_11comp_targetILNS1_3genE4ELNS1_11target_archE910ELNS1_3gpuE8ELNS1_3repE0EEENS1_38merge_mergepath_config_static_selectorELNS0_4arch9wavefront6targetE1EEEvSM_,comdat
	.protected	_ZN7rocprim17ROCPRIM_400000_NS6detail17trampoline_kernelINS0_14default_configENS1_38merge_sort_block_merge_config_selectorIN6thrust23THRUST_200600_302600_NS4pairIiiEENS0_10empty_typeEEEZZNS1_27merge_sort_block_merge_implIS3_NS6_6detail15normal_iteratorINS6_10device_ptrIS8_EEEEPS9_mNS6_4lessIS8_EEEE10hipError_tT0_T1_T2_jT3_P12ihipStream_tbPNSt15iterator_traitsISL_E10value_typeEPNSR_ISM_E10value_typeEPSN_NS1_7vsmem_tEENKUlT_SL_SM_SN_E_clISG_PS8_SH_SH_EESK_S10_SL_SM_SN_EUlS10_E0_NS1_11comp_targetILNS1_3genE4ELNS1_11target_archE910ELNS1_3gpuE8ELNS1_3repE0EEENS1_38merge_mergepath_config_static_selectorELNS0_4arch9wavefront6targetE1EEEvSM_ ; -- Begin function _ZN7rocprim17ROCPRIM_400000_NS6detail17trampoline_kernelINS0_14default_configENS1_38merge_sort_block_merge_config_selectorIN6thrust23THRUST_200600_302600_NS4pairIiiEENS0_10empty_typeEEEZZNS1_27merge_sort_block_merge_implIS3_NS6_6detail15normal_iteratorINS6_10device_ptrIS8_EEEEPS9_mNS6_4lessIS8_EEEE10hipError_tT0_T1_T2_jT3_P12ihipStream_tbPNSt15iterator_traitsISL_E10value_typeEPNSR_ISM_E10value_typeEPSN_NS1_7vsmem_tEENKUlT_SL_SM_SN_E_clISG_PS8_SH_SH_EESK_S10_SL_SM_SN_EUlS10_E0_NS1_11comp_targetILNS1_3genE4ELNS1_11target_archE910ELNS1_3gpuE8ELNS1_3repE0EEENS1_38merge_mergepath_config_static_selectorELNS0_4arch9wavefront6targetE1EEEvSM_
	.globl	_ZN7rocprim17ROCPRIM_400000_NS6detail17trampoline_kernelINS0_14default_configENS1_38merge_sort_block_merge_config_selectorIN6thrust23THRUST_200600_302600_NS4pairIiiEENS0_10empty_typeEEEZZNS1_27merge_sort_block_merge_implIS3_NS6_6detail15normal_iteratorINS6_10device_ptrIS8_EEEEPS9_mNS6_4lessIS8_EEEE10hipError_tT0_T1_T2_jT3_P12ihipStream_tbPNSt15iterator_traitsISL_E10value_typeEPNSR_ISM_E10value_typeEPSN_NS1_7vsmem_tEENKUlT_SL_SM_SN_E_clISG_PS8_SH_SH_EESK_S10_SL_SM_SN_EUlS10_E0_NS1_11comp_targetILNS1_3genE4ELNS1_11target_archE910ELNS1_3gpuE8ELNS1_3repE0EEENS1_38merge_mergepath_config_static_selectorELNS0_4arch9wavefront6targetE1EEEvSM_
	.p2align	8
	.type	_ZN7rocprim17ROCPRIM_400000_NS6detail17trampoline_kernelINS0_14default_configENS1_38merge_sort_block_merge_config_selectorIN6thrust23THRUST_200600_302600_NS4pairIiiEENS0_10empty_typeEEEZZNS1_27merge_sort_block_merge_implIS3_NS6_6detail15normal_iteratorINS6_10device_ptrIS8_EEEEPS9_mNS6_4lessIS8_EEEE10hipError_tT0_T1_T2_jT3_P12ihipStream_tbPNSt15iterator_traitsISL_E10value_typeEPNSR_ISM_E10value_typeEPSN_NS1_7vsmem_tEENKUlT_SL_SM_SN_E_clISG_PS8_SH_SH_EESK_S10_SL_SM_SN_EUlS10_E0_NS1_11comp_targetILNS1_3genE4ELNS1_11target_archE910ELNS1_3gpuE8ELNS1_3repE0EEENS1_38merge_mergepath_config_static_selectorELNS0_4arch9wavefront6targetE1EEEvSM_,@function
_ZN7rocprim17ROCPRIM_400000_NS6detail17trampoline_kernelINS0_14default_configENS1_38merge_sort_block_merge_config_selectorIN6thrust23THRUST_200600_302600_NS4pairIiiEENS0_10empty_typeEEEZZNS1_27merge_sort_block_merge_implIS3_NS6_6detail15normal_iteratorINS6_10device_ptrIS8_EEEEPS9_mNS6_4lessIS8_EEEE10hipError_tT0_T1_T2_jT3_P12ihipStream_tbPNSt15iterator_traitsISL_E10value_typeEPNSR_ISM_E10value_typeEPSN_NS1_7vsmem_tEENKUlT_SL_SM_SN_E_clISG_PS8_SH_SH_EESK_S10_SL_SM_SN_EUlS10_E0_NS1_11comp_targetILNS1_3genE4ELNS1_11target_archE910ELNS1_3gpuE8ELNS1_3repE0EEENS1_38merge_mergepath_config_static_selectorELNS0_4arch9wavefront6targetE1EEEvSM_: ; @_ZN7rocprim17ROCPRIM_400000_NS6detail17trampoline_kernelINS0_14default_configENS1_38merge_sort_block_merge_config_selectorIN6thrust23THRUST_200600_302600_NS4pairIiiEENS0_10empty_typeEEEZZNS1_27merge_sort_block_merge_implIS3_NS6_6detail15normal_iteratorINS6_10device_ptrIS8_EEEEPS9_mNS6_4lessIS8_EEEE10hipError_tT0_T1_T2_jT3_P12ihipStream_tbPNSt15iterator_traitsISL_E10value_typeEPNSR_ISM_E10value_typeEPSN_NS1_7vsmem_tEENKUlT_SL_SM_SN_E_clISG_PS8_SH_SH_EESK_S10_SL_SM_SN_EUlS10_E0_NS1_11comp_targetILNS1_3genE4ELNS1_11target_archE910ELNS1_3gpuE8ELNS1_3repE0EEENS1_38merge_mergepath_config_static_selectorELNS0_4arch9wavefront6targetE1EEEvSM_
; %bb.0:
	.section	.rodata,"a",@progbits
	.p2align	6, 0x0
	.amdhsa_kernel _ZN7rocprim17ROCPRIM_400000_NS6detail17trampoline_kernelINS0_14default_configENS1_38merge_sort_block_merge_config_selectorIN6thrust23THRUST_200600_302600_NS4pairIiiEENS0_10empty_typeEEEZZNS1_27merge_sort_block_merge_implIS3_NS6_6detail15normal_iteratorINS6_10device_ptrIS8_EEEEPS9_mNS6_4lessIS8_EEEE10hipError_tT0_T1_T2_jT3_P12ihipStream_tbPNSt15iterator_traitsISL_E10value_typeEPNSR_ISM_E10value_typeEPSN_NS1_7vsmem_tEENKUlT_SL_SM_SN_E_clISG_PS8_SH_SH_EESK_S10_SL_SM_SN_EUlS10_E0_NS1_11comp_targetILNS1_3genE4ELNS1_11target_archE910ELNS1_3gpuE8ELNS1_3repE0EEENS1_38merge_mergepath_config_static_selectorELNS0_4arch9wavefront6targetE1EEEvSM_
		.amdhsa_group_segment_fixed_size 0
		.amdhsa_private_segment_fixed_size 0
		.amdhsa_kernarg_size 72
		.amdhsa_user_sgpr_count 2
		.amdhsa_user_sgpr_dispatch_ptr 0
		.amdhsa_user_sgpr_queue_ptr 0
		.amdhsa_user_sgpr_kernarg_segment_ptr 1
		.amdhsa_user_sgpr_dispatch_id 0
		.amdhsa_user_sgpr_kernarg_preload_length 0
		.amdhsa_user_sgpr_kernarg_preload_offset 0
		.amdhsa_user_sgpr_private_segment_size 0
		.amdhsa_uses_dynamic_stack 0
		.amdhsa_enable_private_segment 0
		.amdhsa_system_sgpr_workgroup_id_x 1
		.amdhsa_system_sgpr_workgroup_id_y 0
		.amdhsa_system_sgpr_workgroup_id_z 0
		.amdhsa_system_sgpr_workgroup_info 0
		.amdhsa_system_vgpr_workitem_id 0
		.amdhsa_next_free_vgpr 1
		.amdhsa_next_free_sgpr 0
		.amdhsa_accum_offset 4
		.amdhsa_reserve_vcc 0
		.amdhsa_float_round_mode_32 0
		.amdhsa_float_round_mode_16_64 0
		.amdhsa_float_denorm_mode_32 3
		.amdhsa_float_denorm_mode_16_64 3
		.amdhsa_dx10_clamp 1
		.amdhsa_ieee_mode 1
		.amdhsa_fp16_overflow 0
		.amdhsa_tg_split 0
		.amdhsa_exception_fp_ieee_invalid_op 0
		.amdhsa_exception_fp_denorm_src 0
		.amdhsa_exception_fp_ieee_div_zero 0
		.amdhsa_exception_fp_ieee_overflow 0
		.amdhsa_exception_fp_ieee_underflow 0
		.amdhsa_exception_fp_ieee_inexact 0
		.amdhsa_exception_int_div_zero 0
	.end_amdhsa_kernel
	.section	.text._ZN7rocprim17ROCPRIM_400000_NS6detail17trampoline_kernelINS0_14default_configENS1_38merge_sort_block_merge_config_selectorIN6thrust23THRUST_200600_302600_NS4pairIiiEENS0_10empty_typeEEEZZNS1_27merge_sort_block_merge_implIS3_NS6_6detail15normal_iteratorINS6_10device_ptrIS8_EEEEPS9_mNS6_4lessIS8_EEEE10hipError_tT0_T1_T2_jT3_P12ihipStream_tbPNSt15iterator_traitsISL_E10value_typeEPNSR_ISM_E10value_typeEPSN_NS1_7vsmem_tEENKUlT_SL_SM_SN_E_clISG_PS8_SH_SH_EESK_S10_SL_SM_SN_EUlS10_E0_NS1_11comp_targetILNS1_3genE4ELNS1_11target_archE910ELNS1_3gpuE8ELNS1_3repE0EEENS1_38merge_mergepath_config_static_selectorELNS0_4arch9wavefront6targetE1EEEvSM_,"axG",@progbits,_ZN7rocprim17ROCPRIM_400000_NS6detail17trampoline_kernelINS0_14default_configENS1_38merge_sort_block_merge_config_selectorIN6thrust23THRUST_200600_302600_NS4pairIiiEENS0_10empty_typeEEEZZNS1_27merge_sort_block_merge_implIS3_NS6_6detail15normal_iteratorINS6_10device_ptrIS8_EEEEPS9_mNS6_4lessIS8_EEEE10hipError_tT0_T1_T2_jT3_P12ihipStream_tbPNSt15iterator_traitsISL_E10value_typeEPNSR_ISM_E10value_typeEPSN_NS1_7vsmem_tEENKUlT_SL_SM_SN_E_clISG_PS8_SH_SH_EESK_S10_SL_SM_SN_EUlS10_E0_NS1_11comp_targetILNS1_3genE4ELNS1_11target_archE910ELNS1_3gpuE8ELNS1_3repE0EEENS1_38merge_mergepath_config_static_selectorELNS0_4arch9wavefront6targetE1EEEvSM_,comdat
.Lfunc_end668:
	.size	_ZN7rocprim17ROCPRIM_400000_NS6detail17trampoline_kernelINS0_14default_configENS1_38merge_sort_block_merge_config_selectorIN6thrust23THRUST_200600_302600_NS4pairIiiEENS0_10empty_typeEEEZZNS1_27merge_sort_block_merge_implIS3_NS6_6detail15normal_iteratorINS6_10device_ptrIS8_EEEEPS9_mNS6_4lessIS8_EEEE10hipError_tT0_T1_T2_jT3_P12ihipStream_tbPNSt15iterator_traitsISL_E10value_typeEPNSR_ISM_E10value_typeEPSN_NS1_7vsmem_tEENKUlT_SL_SM_SN_E_clISG_PS8_SH_SH_EESK_S10_SL_SM_SN_EUlS10_E0_NS1_11comp_targetILNS1_3genE4ELNS1_11target_archE910ELNS1_3gpuE8ELNS1_3repE0EEENS1_38merge_mergepath_config_static_selectorELNS0_4arch9wavefront6targetE1EEEvSM_, .Lfunc_end668-_ZN7rocprim17ROCPRIM_400000_NS6detail17trampoline_kernelINS0_14default_configENS1_38merge_sort_block_merge_config_selectorIN6thrust23THRUST_200600_302600_NS4pairIiiEENS0_10empty_typeEEEZZNS1_27merge_sort_block_merge_implIS3_NS6_6detail15normal_iteratorINS6_10device_ptrIS8_EEEEPS9_mNS6_4lessIS8_EEEE10hipError_tT0_T1_T2_jT3_P12ihipStream_tbPNSt15iterator_traitsISL_E10value_typeEPNSR_ISM_E10value_typeEPSN_NS1_7vsmem_tEENKUlT_SL_SM_SN_E_clISG_PS8_SH_SH_EESK_S10_SL_SM_SN_EUlS10_E0_NS1_11comp_targetILNS1_3genE4ELNS1_11target_archE910ELNS1_3gpuE8ELNS1_3repE0EEENS1_38merge_mergepath_config_static_selectorELNS0_4arch9wavefront6targetE1EEEvSM_
                                        ; -- End function
	.set _ZN7rocprim17ROCPRIM_400000_NS6detail17trampoline_kernelINS0_14default_configENS1_38merge_sort_block_merge_config_selectorIN6thrust23THRUST_200600_302600_NS4pairIiiEENS0_10empty_typeEEEZZNS1_27merge_sort_block_merge_implIS3_NS6_6detail15normal_iteratorINS6_10device_ptrIS8_EEEEPS9_mNS6_4lessIS8_EEEE10hipError_tT0_T1_T2_jT3_P12ihipStream_tbPNSt15iterator_traitsISL_E10value_typeEPNSR_ISM_E10value_typeEPSN_NS1_7vsmem_tEENKUlT_SL_SM_SN_E_clISG_PS8_SH_SH_EESK_S10_SL_SM_SN_EUlS10_E0_NS1_11comp_targetILNS1_3genE4ELNS1_11target_archE910ELNS1_3gpuE8ELNS1_3repE0EEENS1_38merge_mergepath_config_static_selectorELNS0_4arch9wavefront6targetE1EEEvSM_.num_vgpr, 0
	.set _ZN7rocprim17ROCPRIM_400000_NS6detail17trampoline_kernelINS0_14default_configENS1_38merge_sort_block_merge_config_selectorIN6thrust23THRUST_200600_302600_NS4pairIiiEENS0_10empty_typeEEEZZNS1_27merge_sort_block_merge_implIS3_NS6_6detail15normal_iteratorINS6_10device_ptrIS8_EEEEPS9_mNS6_4lessIS8_EEEE10hipError_tT0_T1_T2_jT3_P12ihipStream_tbPNSt15iterator_traitsISL_E10value_typeEPNSR_ISM_E10value_typeEPSN_NS1_7vsmem_tEENKUlT_SL_SM_SN_E_clISG_PS8_SH_SH_EESK_S10_SL_SM_SN_EUlS10_E0_NS1_11comp_targetILNS1_3genE4ELNS1_11target_archE910ELNS1_3gpuE8ELNS1_3repE0EEENS1_38merge_mergepath_config_static_selectorELNS0_4arch9wavefront6targetE1EEEvSM_.num_agpr, 0
	.set _ZN7rocprim17ROCPRIM_400000_NS6detail17trampoline_kernelINS0_14default_configENS1_38merge_sort_block_merge_config_selectorIN6thrust23THRUST_200600_302600_NS4pairIiiEENS0_10empty_typeEEEZZNS1_27merge_sort_block_merge_implIS3_NS6_6detail15normal_iteratorINS6_10device_ptrIS8_EEEEPS9_mNS6_4lessIS8_EEEE10hipError_tT0_T1_T2_jT3_P12ihipStream_tbPNSt15iterator_traitsISL_E10value_typeEPNSR_ISM_E10value_typeEPSN_NS1_7vsmem_tEENKUlT_SL_SM_SN_E_clISG_PS8_SH_SH_EESK_S10_SL_SM_SN_EUlS10_E0_NS1_11comp_targetILNS1_3genE4ELNS1_11target_archE910ELNS1_3gpuE8ELNS1_3repE0EEENS1_38merge_mergepath_config_static_selectorELNS0_4arch9wavefront6targetE1EEEvSM_.numbered_sgpr, 0
	.set _ZN7rocprim17ROCPRIM_400000_NS6detail17trampoline_kernelINS0_14default_configENS1_38merge_sort_block_merge_config_selectorIN6thrust23THRUST_200600_302600_NS4pairIiiEENS0_10empty_typeEEEZZNS1_27merge_sort_block_merge_implIS3_NS6_6detail15normal_iteratorINS6_10device_ptrIS8_EEEEPS9_mNS6_4lessIS8_EEEE10hipError_tT0_T1_T2_jT3_P12ihipStream_tbPNSt15iterator_traitsISL_E10value_typeEPNSR_ISM_E10value_typeEPSN_NS1_7vsmem_tEENKUlT_SL_SM_SN_E_clISG_PS8_SH_SH_EESK_S10_SL_SM_SN_EUlS10_E0_NS1_11comp_targetILNS1_3genE4ELNS1_11target_archE910ELNS1_3gpuE8ELNS1_3repE0EEENS1_38merge_mergepath_config_static_selectorELNS0_4arch9wavefront6targetE1EEEvSM_.num_named_barrier, 0
	.set _ZN7rocprim17ROCPRIM_400000_NS6detail17trampoline_kernelINS0_14default_configENS1_38merge_sort_block_merge_config_selectorIN6thrust23THRUST_200600_302600_NS4pairIiiEENS0_10empty_typeEEEZZNS1_27merge_sort_block_merge_implIS3_NS6_6detail15normal_iteratorINS6_10device_ptrIS8_EEEEPS9_mNS6_4lessIS8_EEEE10hipError_tT0_T1_T2_jT3_P12ihipStream_tbPNSt15iterator_traitsISL_E10value_typeEPNSR_ISM_E10value_typeEPSN_NS1_7vsmem_tEENKUlT_SL_SM_SN_E_clISG_PS8_SH_SH_EESK_S10_SL_SM_SN_EUlS10_E0_NS1_11comp_targetILNS1_3genE4ELNS1_11target_archE910ELNS1_3gpuE8ELNS1_3repE0EEENS1_38merge_mergepath_config_static_selectorELNS0_4arch9wavefront6targetE1EEEvSM_.private_seg_size, 0
	.set _ZN7rocprim17ROCPRIM_400000_NS6detail17trampoline_kernelINS0_14default_configENS1_38merge_sort_block_merge_config_selectorIN6thrust23THRUST_200600_302600_NS4pairIiiEENS0_10empty_typeEEEZZNS1_27merge_sort_block_merge_implIS3_NS6_6detail15normal_iteratorINS6_10device_ptrIS8_EEEEPS9_mNS6_4lessIS8_EEEE10hipError_tT0_T1_T2_jT3_P12ihipStream_tbPNSt15iterator_traitsISL_E10value_typeEPNSR_ISM_E10value_typeEPSN_NS1_7vsmem_tEENKUlT_SL_SM_SN_E_clISG_PS8_SH_SH_EESK_S10_SL_SM_SN_EUlS10_E0_NS1_11comp_targetILNS1_3genE4ELNS1_11target_archE910ELNS1_3gpuE8ELNS1_3repE0EEENS1_38merge_mergepath_config_static_selectorELNS0_4arch9wavefront6targetE1EEEvSM_.uses_vcc, 0
	.set _ZN7rocprim17ROCPRIM_400000_NS6detail17trampoline_kernelINS0_14default_configENS1_38merge_sort_block_merge_config_selectorIN6thrust23THRUST_200600_302600_NS4pairIiiEENS0_10empty_typeEEEZZNS1_27merge_sort_block_merge_implIS3_NS6_6detail15normal_iteratorINS6_10device_ptrIS8_EEEEPS9_mNS6_4lessIS8_EEEE10hipError_tT0_T1_T2_jT3_P12ihipStream_tbPNSt15iterator_traitsISL_E10value_typeEPNSR_ISM_E10value_typeEPSN_NS1_7vsmem_tEENKUlT_SL_SM_SN_E_clISG_PS8_SH_SH_EESK_S10_SL_SM_SN_EUlS10_E0_NS1_11comp_targetILNS1_3genE4ELNS1_11target_archE910ELNS1_3gpuE8ELNS1_3repE0EEENS1_38merge_mergepath_config_static_selectorELNS0_4arch9wavefront6targetE1EEEvSM_.uses_flat_scratch, 0
	.set _ZN7rocprim17ROCPRIM_400000_NS6detail17trampoline_kernelINS0_14default_configENS1_38merge_sort_block_merge_config_selectorIN6thrust23THRUST_200600_302600_NS4pairIiiEENS0_10empty_typeEEEZZNS1_27merge_sort_block_merge_implIS3_NS6_6detail15normal_iteratorINS6_10device_ptrIS8_EEEEPS9_mNS6_4lessIS8_EEEE10hipError_tT0_T1_T2_jT3_P12ihipStream_tbPNSt15iterator_traitsISL_E10value_typeEPNSR_ISM_E10value_typeEPSN_NS1_7vsmem_tEENKUlT_SL_SM_SN_E_clISG_PS8_SH_SH_EESK_S10_SL_SM_SN_EUlS10_E0_NS1_11comp_targetILNS1_3genE4ELNS1_11target_archE910ELNS1_3gpuE8ELNS1_3repE0EEENS1_38merge_mergepath_config_static_selectorELNS0_4arch9wavefront6targetE1EEEvSM_.has_dyn_sized_stack, 0
	.set _ZN7rocprim17ROCPRIM_400000_NS6detail17trampoline_kernelINS0_14default_configENS1_38merge_sort_block_merge_config_selectorIN6thrust23THRUST_200600_302600_NS4pairIiiEENS0_10empty_typeEEEZZNS1_27merge_sort_block_merge_implIS3_NS6_6detail15normal_iteratorINS6_10device_ptrIS8_EEEEPS9_mNS6_4lessIS8_EEEE10hipError_tT0_T1_T2_jT3_P12ihipStream_tbPNSt15iterator_traitsISL_E10value_typeEPNSR_ISM_E10value_typeEPSN_NS1_7vsmem_tEENKUlT_SL_SM_SN_E_clISG_PS8_SH_SH_EESK_S10_SL_SM_SN_EUlS10_E0_NS1_11comp_targetILNS1_3genE4ELNS1_11target_archE910ELNS1_3gpuE8ELNS1_3repE0EEENS1_38merge_mergepath_config_static_selectorELNS0_4arch9wavefront6targetE1EEEvSM_.has_recursion, 0
	.set _ZN7rocprim17ROCPRIM_400000_NS6detail17trampoline_kernelINS0_14default_configENS1_38merge_sort_block_merge_config_selectorIN6thrust23THRUST_200600_302600_NS4pairIiiEENS0_10empty_typeEEEZZNS1_27merge_sort_block_merge_implIS3_NS6_6detail15normal_iteratorINS6_10device_ptrIS8_EEEEPS9_mNS6_4lessIS8_EEEE10hipError_tT0_T1_T2_jT3_P12ihipStream_tbPNSt15iterator_traitsISL_E10value_typeEPNSR_ISM_E10value_typeEPSN_NS1_7vsmem_tEENKUlT_SL_SM_SN_E_clISG_PS8_SH_SH_EESK_S10_SL_SM_SN_EUlS10_E0_NS1_11comp_targetILNS1_3genE4ELNS1_11target_archE910ELNS1_3gpuE8ELNS1_3repE0EEENS1_38merge_mergepath_config_static_selectorELNS0_4arch9wavefront6targetE1EEEvSM_.has_indirect_call, 0
	.section	.AMDGPU.csdata,"",@progbits
; Kernel info:
; codeLenInByte = 0
; TotalNumSgprs: 6
; NumVgprs: 0
; NumAgprs: 0
; TotalNumVgprs: 0
; ScratchSize: 0
; MemoryBound: 0
; FloatMode: 240
; IeeeMode: 1
; LDSByteSize: 0 bytes/workgroup (compile time only)
; SGPRBlocks: 0
; VGPRBlocks: 0
; NumSGPRsForWavesPerEU: 6
; NumVGPRsForWavesPerEU: 1
; AccumOffset: 4
; Occupancy: 8
; WaveLimiterHint : 0
; COMPUTE_PGM_RSRC2:SCRATCH_EN: 0
; COMPUTE_PGM_RSRC2:USER_SGPR: 2
; COMPUTE_PGM_RSRC2:TRAP_HANDLER: 0
; COMPUTE_PGM_RSRC2:TGID_X_EN: 1
; COMPUTE_PGM_RSRC2:TGID_Y_EN: 0
; COMPUTE_PGM_RSRC2:TGID_Z_EN: 0
; COMPUTE_PGM_RSRC2:TIDIG_COMP_CNT: 0
; COMPUTE_PGM_RSRC3_GFX90A:ACCUM_OFFSET: 0
; COMPUTE_PGM_RSRC3_GFX90A:TG_SPLIT: 0
	.section	.text._ZN7rocprim17ROCPRIM_400000_NS6detail17trampoline_kernelINS0_14default_configENS1_38merge_sort_block_merge_config_selectorIN6thrust23THRUST_200600_302600_NS4pairIiiEENS0_10empty_typeEEEZZNS1_27merge_sort_block_merge_implIS3_NS6_6detail15normal_iteratorINS6_10device_ptrIS8_EEEEPS9_mNS6_4lessIS8_EEEE10hipError_tT0_T1_T2_jT3_P12ihipStream_tbPNSt15iterator_traitsISL_E10value_typeEPNSR_ISM_E10value_typeEPSN_NS1_7vsmem_tEENKUlT_SL_SM_SN_E_clISG_PS8_SH_SH_EESK_S10_SL_SM_SN_EUlS10_E0_NS1_11comp_targetILNS1_3genE3ELNS1_11target_archE908ELNS1_3gpuE7ELNS1_3repE0EEENS1_38merge_mergepath_config_static_selectorELNS0_4arch9wavefront6targetE1EEEvSM_,"axG",@progbits,_ZN7rocprim17ROCPRIM_400000_NS6detail17trampoline_kernelINS0_14default_configENS1_38merge_sort_block_merge_config_selectorIN6thrust23THRUST_200600_302600_NS4pairIiiEENS0_10empty_typeEEEZZNS1_27merge_sort_block_merge_implIS3_NS6_6detail15normal_iteratorINS6_10device_ptrIS8_EEEEPS9_mNS6_4lessIS8_EEEE10hipError_tT0_T1_T2_jT3_P12ihipStream_tbPNSt15iterator_traitsISL_E10value_typeEPNSR_ISM_E10value_typeEPSN_NS1_7vsmem_tEENKUlT_SL_SM_SN_E_clISG_PS8_SH_SH_EESK_S10_SL_SM_SN_EUlS10_E0_NS1_11comp_targetILNS1_3genE3ELNS1_11target_archE908ELNS1_3gpuE7ELNS1_3repE0EEENS1_38merge_mergepath_config_static_selectorELNS0_4arch9wavefront6targetE1EEEvSM_,comdat
	.protected	_ZN7rocprim17ROCPRIM_400000_NS6detail17trampoline_kernelINS0_14default_configENS1_38merge_sort_block_merge_config_selectorIN6thrust23THRUST_200600_302600_NS4pairIiiEENS0_10empty_typeEEEZZNS1_27merge_sort_block_merge_implIS3_NS6_6detail15normal_iteratorINS6_10device_ptrIS8_EEEEPS9_mNS6_4lessIS8_EEEE10hipError_tT0_T1_T2_jT3_P12ihipStream_tbPNSt15iterator_traitsISL_E10value_typeEPNSR_ISM_E10value_typeEPSN_NS1_7vsmem_tEENKUlT_SL_SM_SN_E_clISG_PS8_SH_SH_EESK_S10_SL_SM_SN_EUlS10_E0_NS1_11comp_targetILNS1_3genE3ELNS1_11target_archE908ELNS1_3gpuE7ELNS1_3repE0EEENS1_38merge_mergepath_config_static_selectorELNS0_4arch9wavefront6targetE1EEEvSM_ ; -- Begin function _ZN7rocprim17ROCPRIM_400000_NS6detail17trampoline_kernelINS0_14default_configENS1_38merge_sort_block_merge_config_selectorIN6thrust23THRUST_200600_302600_NS4pairIiiEENS0_10empty_typeEEEZZNS1_27merge_sort_block_merge_implIS3_NS6_6detail15normal_iteratorINS6_10device_ptrIS8_EEEEPS9_mNS6_4lessIS8_EEEE10hipError_tT0_T1_T2_jT3_P12ihipStream_tbPNSt15iterator_traitsISL_E10value_typeEPNSR_ISM_E10value_typeEPSN_NS1_7vsmem_tEENKUlT_SL_SM_SN_E_clISG_PS8_SH_SH_EESK_S10_SL_SM_SN_EUlS10_E0_NS1_11comp_targetILNS1_3genE3ELNS1_11target_archE908ELNS1_3gpuE7ELNS1_3repE0EEENS1_38merge_mergepath_config_static_selectorELNS0_4arch9wavefront6targetE1EEEvSM_
	.globl	_ZN7rocprim17ROCPRIM_400000_NS6detail17trampoline_kernelINS0_14default_configENS1_38merge_sort_block_merge_config_selectorIN6thrust23THRUST_200600_302600_NS4pairIiiEENS0_10empty_typeEEEZZNS1_27merge_sort_block_merge_implIS3_NS6_6detail15normal_iteratorINS6_10device_ptrIS8_EEEEPS9_mNS6_4lessIS8_EEEE10hipError_tT0_T1_T2_jT3_P12ihipStream_tbPNSt15iterator_traitsISL_E10value_typeEPNSR_ISM_E10value_typeEPSN_NS1_7vsmem_tEENKUlT_SL_SM_SN_E_clISG_PS8_SH_SH_EESK_S10_SL_SM_SN_EUlS10_E0_NS1_11comp_targetILNS1_3genE3ELNS1_11target_archE908ELNS1_3gpuE7ELNS1_3repE0EEENS1_38merge_mergepath_config_static_selectorELNS0_4arch9wavefront6targetE1EEEvSM_
	.p2align	8
	.type	_ZN7rocprim17ROCPRIM_400000_NS6detail17trampoline_kernelINS0_14default_configENS1_38merge_sort_block_merge_config_selectorIN6thrust23THRUST_200600_302600_NS4pairIiiEENS0_10empty_typeEEEZZNS1_27merge_sort_block_merge_implIS3_NS6_6detail15normal_iteratorINS6_10device_ptrIS8_EEEEPS9_mNS6_4lessIS8_EEEE10hipError_tT0_T1_T2_jT3_P12ihipStream_tbPNSt15iterator_traitsISL_E10value_typeEPNSR_ISM_E10value_typeEPSN_NS1_7vsmem_tEENKUlT_SL_SM_SN_E_clISG_PS8_SH_SH_EESK_S10_SL_SM_SN_EUlS10_E0_NS1_11comp_targetILNS1_3genE3ELNS1_11target_archE908ELNS1_3gpuE7ELNS1_3repE0EEENS1_38merge_mergepath_config_static_selectorELNS0_4arch9wavefront6targetE1EEEvSM_,@function
_ZN7rocprim17ROCPRIM_400000_NS6detail17trampoline_kernelINS0_14default_configENS1_38merge_sort_block_merge_config_selectorIN6thrust23THRUST_200600_302600_NS4pairIiiEENS0_10empty_typeEEEZZNS1_27merge_sort_block_merge_implIS3_NS6_6detail15normal_iteratorINS6_10device_ptrIS8_EEEEPS9_mNS6_4lessIS8_EEEE10hipError_tT0_T1_T2_jT3_P12ihipStream_tbPNSt15iterator_traitsISL_E10value_typeEPNSR_ISM_E10value_typeEPSN_NS1_7vsmem_tEENKUlT_SL_SM_SN_E_clISG_PS8_SH_SH_EESK_S10_SL_SM_SN_EUlS10_E0_NS1_11comp_targetILNS1_3genE3ELNS1_11target_archE908ELNS1_3gpuE7ELNS1_3repE0EEENS1_38merge_mergepath_config_static_selectorELNS0_4arch9wavefront6targetE1EEEvSM_: ; @_ZN7rocprim17ROCPRIM_400000_NS6detail17trampoline_kernelINS0_14default_configENS1_38merge_sort_block_merge_config_selectorIN6thrust23THRUST_200600_302600_NS4pairIiiEENS0_10empty_typeEEEZZNS1_27merge_sort_block_merge_implIS3_NS6_6detail15normal_iteratorINS6_10device_ptrIS8_EEEEPS9_mNS6_4lessIS8_EEEE10hipError_tT0_T1_T2_jT3_P12ihipStream_tbPNSt15iterator_traitsISL_E10value_typeEPNSR_ISM_E10value_typeEPSN_NS1_7vsmem_tEENKUlT_SL_SM_SN_E_clISG_PS8_SH_SH_EESK_S10_SL_SM_SN_EUlS10_E0_NS1_11comp_targetILNS1_3genE3ELNS1_11target_archE908ELNS1_3gpuE7ELNS1_3repE0EEENS1_38merge_mergepath_config_static_selectorELNS0_4arch9wavefront6targetE1EEEvSM_
; %bb.0:
	.section	.rodata,"a",@progbits
	.p2align	6, 0x0
	.amdhsa_kernel _ZN7rocprim17ROCPRIM_400000_NS6detail17trampoline_kernelINS0_14default_configENS1_38merge_sort_block_merge_config_selectorIN6thrust23THRUST_200600_302600_NS4pairIiiEENS0_10empty_typeEEEZZNS1_27merge_sort_block_merge_implIS3_NS6_6detail15normal_iteratorINS6_10device_ptrIS8_EEEEPS9_mNS6_4lessIS8_EEEE10hipError_tT0_T1_T2_jT3_P12ihipStream_tbPNSt15iterator_traitsISL_E10value_typeEPNSR_ISM_E10value_typeEPSN_NS1_7vsmem_tEENKUlT_SL_SM_SN_E_clISG_PS8_SH_SH_EESK_S10_SL_SM_SN_EUlS10_E0_NS1_11comp_targetILNS1_3genE3ELNS1_11target_archE908ELNS1_3gpuE7ELNS1_3repE0EEENS1_38merge_mergepath_config_static_selectorELNS0_4arch9wavefront6targetE1EEEvSM_
		.amdhsa_group_segment_fixed_size 0
		.amdhsa_private_segment_fixed_size 0
		.amdhsa_kernarg_size 72
		.amdhsa_user_sgpr_count 2
		.amdhsa_user_sgpr_dispatch_ptr 0
		.amdhsa_user_sgpr_queue_ptr 0
		.amdhsa_user_sgpr_kernarg_segment_ptr 1
		.amdhsa_user_sgpr_dispatch_id 0
		.amdhsa_user_sgpr_kernarg_preload_length 0
		.amdhsa_user_sgpr_kernarg_preload_offset 0
		.amdhsa_user_sgpr_private_segment_size 0
		.amdhsa_uses_dynamic_stack 0
		.amdhsa_enable_private_segment 0
		.amdhsa_system_sgpr_workgroup_id_x 1
		.amdhsa_system_sgpr_workgroup_id_y 0
		.amdhsa_system_sgpr_workgroup_id_z 0
		.amdhsa_system_sgpr_workgroup_info 0
		.amdhsa_system_vgpr_workitem_id 0
		.amdhsa_next_free_vgpr 1
		.amdhsa_next_free_sgpr 0
		.amdhsa_accum_offset 4
		.amdhsa_reserve_vcc 0
		.amdhsa_float_round_mode_32 0
		.amdhsa_float_round_mode_16_64 0
		.amdhsa_float_denorm_mode_32 3
		.amdhsa_float_denorm_mode_16_64 3
		.amdhsa_dx10_clamp 1
		.amdhsa_ieee_mode 1
		.amdhsa_fp16_overflow 0
		.amdhsa_tg_split 0
		.amdhsa_exception_fp_ieee_invalid_op 0
		.amdhsa_exception_fp_denorm_src 0
		.amdhsa_exception_fp_ieee_div_zero 0
		.amdhsa_exception_fp_ieee_overflow 0
		.amdhsa_exception_fp_ieee_underflow 0
		.amdhsa_exception_fp_ieee_inexact 0
		.amdhsa_exception_int_div_zero 0
	.end_amdhsa_kernel
	.section	.text._ZN7rocprim17ROCPRIM_400000_NS6detail17trampoline_kernelINS0_14default_configENS1_38merge_sort_block_merge_config_selectorIN6thrust23THRUST_200600_302600_NS4pairIiiEENS0_10empty_typeEEEZZNS1_27merge_sort_block_merge_implIS3_NS6_6detail15normal_iteratorINS6_10device_ptrIS8_EEEEPS9_mNS6_4lessIS8_EEEE10hipError_tT0_T1_T2_jT3_P12ihipStream_tbPNSt15iterator_traitsISL_E10value_typeEPNSR_ISM_E10value_typeEPSN_NS1_7vsmem_tEENKUlT_SL_SM_SN_E_clISG_PS8_SH_SH_EESK_S10_SL_SM_SN_EUlS10_E0_NS1_11comp_targetILNS1_3genE3ELNS1_11target_archE908ELNS1_3gpuE7ELNS1_3repE0EEENS1_38merge_mergepath_config_static_selectorELNS0_4arch9wavefront6targetE1EEEvSM_,"axG",@progbits,_ZN7rocprim17ROCPRIM_400000_NS6detail17trampoline_kernelINS0_14default_configENS1_38merge_sort_block_merge_config_selectorIN6thrust23THRUST_200600_302600_NS4pairIiiEENS0_10empty_typeEEEZZNS1_27merge_sort_block_merge_implIS3_NS6_6detail15normal_iteratorINS6_10device_ptrIS8_EEEEPS9_mNS6_4lessIS8_EEEE10hipError_tT0_T1_T2_jT3_P12ihipStream_tbPNSt15iterator_traitsISL_E10value_typeEPNSR_ISM_E10value_typeEPSN_NS1_7vsmem_tEENKUlT_SL_SM_SN_E_clISG_PS8_SH_SH_EESK_S10_SL_SM_SN_EUlS10_E0_NS1_11comp_targetILNS1_3genE3ELNS1_11target_archE908ELNS1_3gpuE7ELNS1_3repE0EEENS1_38merge_mergepath_config_static_selectorELNS0_4arch9wavefront6targetE1EEEvSM_,comdat
.Lfunc_end669:
	.size	_ZN7rocprim17ROCPRIM_400000_NS6detail17trampoline_kernelINS0_14default_configENS1_38merge_sort_block_merge_config_selectorIN6thrust23THRUST_200600_302600_NS4pairIiiEENS0_10empty_typeEEEZZNS1_27merge_sort_block_merge_implIS3_NS6_6detail15normal_iteratorINS6_10device_ptrIS8_EEEEPS9_mNS6_4lessIS8_EEEE10hipError_tT0_T1_T2_jT3_P12ihipStream_tbPNSt15iterator_traitsISL_E10value_typeEPNSR_ISM_E10value_typeEPSN_NS1_7vsmem_tEENKUlT_SL_SM_SN_E_clISG_PS8_SH_SH_EESK_S10_SL_SM_SN_EUlS10_E0_NS1_11comp_targetILNS1_3genE3ELNS1_11target_archE908ELNS1_3gpuE7ELNS1_3repE0EEENS1_38merge_mergepath_config_static_selectorELNS0_4arch9wavefront6targetE1EEEvSM_, .Lfunc_end669-_ZN7rocprim17ROCPRIM_400000_NS6detail17trampoline_kernelINS0_14default_configENS1_38merge_sort_block_merge_config_selectorIN6thrust23THRUST_200600_302600_NS4pairIiiEENS0_10empty_typeEEEZZNS1_27merge_sort_block_merge_implIS3_NS6_6detail15normal_iteratorINS6_10device_ptrIS8_EEEEPS9_mNS6_4lessIS8_EEEE10hipError_tT0_T1_T2_jT3_P12ihipStream_tbPNSt15iterator_traitsISL_E10value_typeEPNSR_ISM_E10value_typeEPSN_NS1_7vsmem_tEENKUlT_SL_SM_SN_E_clISG_PS8_SH_SH_EESK_S10_SL_SM_SN_EUlS10_E0_NS1_11comp_targetILNS1_3genE3ELNS1_11target_archE908ELNS1_3gpuE7ELNS1_3repE0EEENS1_38merge_mergepath_config_static_selectorELNS0_4arch9wavefront6targetE1EEEvSM_
                                        ; -- End function
	.set _ZN7rocprim17ROCPRIM_400000_NS6detail17trampoline_kernelINS0_14default_configENS1_38merge_sort_block_merge_config_selectorIN6thrust23THRUST_200600_302600_NS4pairIiiEENS0_10empty_typeEEEZZNS1_27merge_sort_block_merge_implIS3_NS6_6detail15normal_iteratorINS6_10device_ptrIS8_EEEEPS9_mNS6_4lessIS8_EEEE10hipError_tT0_T1_T2_jT3_P12ihipStream_tbPNSt15iterator_traitsISL_E10value_typeEPNSR_ISM_E10value_typeEPSN_NS1_7vsmem_tEENKUlT_SL_SM_SN_E_clISG_PS8_SH_SH_EESK_S10_SL_SM_SN_EUlS10_E0_NS1_11comp_targetILNS1_3genE3ELNS1_11target_archE908ELNS1_3gpuE7ELNS1_3repE0EEENS1_38merge_mergepath_config_static_selectorELNS0_4arch9wavefront6targetE1EEEvSM_.num_vgpr, 0
	.set _ZN7rocprim17ROCPRIM_400000_NS6detail17trampoline_kernelINS0_14default_configENS1_38merge_sort_block_merge_config_selectorIN6thrust23THRUST_200600_302600_NS4pairIiiEENS0_10empty_typeEEEZZNS1_27merge_sort_block_merge_implIS3_NS6_6detail15normal_iteratorINS6_10device_ptrIS8_EEEEPS9_mNS6_4lessIS8_EEEE10hipError_tT0_T1_T2_jT3_P12ihipStream_tbPNSt15iterator_traitsISL_E10value_typeEPNSR_ISM_E10value_typeEPSN_NS1_7vsmem_tEENKUlT_SL_SM_SN_E_clISG_PS8_SH_SH_EESK_S10_SL_SM_SN_EUlS10_E0_NS1_11comp_targetILNS1_3genE3ELNS1_11target_archE908ELNS1_3gpuE7ELNS1_3repE0EEENS1_38merge_mergepath_config_static_selectorELNS0_4arch9wavefront6targetE1EEEvSM_.num_agpr, 0
	.set _ZN7rocprim17ROCPRIM_400000_NS6detail17trampoline_kernelINS0_14default_configENS1_38merge_sort_block_merge_config_selectorIN6thrust23THRUST_200600_302600_NS4pairIiiEENS0_10empty_typeEEEZZNS1_27merge_sort_block_merge_implIS3_NS6_6detail15normal_iteratorINS6_10device_ptrIS8_EEEEPS9_mNS6_4lessIS8_EEEE10hipError_tT0_T1_T2_jT3_P12ihipStream_tbPNSt15iterator_traitsISL_E10value_typeEPNSR_ISM_E10value_typeEPSN_NS1_7vsmem_tEENKUlT_SL_SM_SN_E_clISG_PS8_SH_SH_EESK_S10_SL_SM_SN_EUlS10_E0_NS1_11comp_targetILNS1_3genE3ELNS1_11target_archE908ELNS1_3gpuE7ELNS1_3repE0EEENS1_38merge_mergepath_config_static_selectorELNS0_4arch9wavefront6targetE1EEEvSM_.numbered_sgpr, 0
	.set _ZN7rocprim17ROCPRIM_400000_NS6detail17trampoline_kernelINS0_14default_configENS1_38merge_sort_block_merge_config_selectorIN6thrust23THRUST_200600_302600_NS4pairIiiEENS0_10empty_typeEEEZZNS1_27merge_sort_block_merge_implIS3_NS6_6detail15normal_iteratorINS6_10device_ptrIS8_EEEEPS9_mNS6_4lessIS8_EEEE10hipError_tT0_T1_T2_jT3_P12ihipStream_tbPNSt15iterator_traitsISL_E10value_typeEPNSR_ISM_E10value_typeEPSN_NS1_7vsmem_tEENKUlT_SL_SM_SN_E_clISG_PS8_SH_SH_EESK_S10_SL_SM_SN_EUlS10_E0_NS1_11comp_targetILNS1_3genE3ELNS1_11target_archE908ELNS1_3gpuE7ELNS1_3repE0EEENS1_38merge_mergepath_config_static_selectorELNS0_4arch9wavefront6targetE1EEEvSM_.num_named_barrier, 0
	.set _ZN7rocprim17ROCPRIM_400000_NS6detail17trampoline_kernelINS0_14default_configENS1_38merge_sort_block_merge_config_selectorIN6thrust23THRUST_200600_302600_NS4pairIiiEENS0_10empty_typeEEEZZNS1_27merge_sort_block_merge_implIS3_NS6_6detail15normal_iteratorINS6_10device_ptrIS8_EEEEPS9_mNS6_4lessIS8_EEEE10hipError_tT0_T1_T2_jT3_P12ihipStream_tbPNSt15iterator_traitsISL_E10value_typeEPNSR_ISM_E10value_typeEPSN_NS1_7vsmem_tEENKUlT_SL_SM_SN_E_clISG_PS8_SH_SH_EESK_S10_SL_SM_SN_EUlS10_E0_NS1_11comp_targetILNS1_3genE3ELNS1_11target_archE908ELNS1_3gpuE7ELNS1_3repE0EEENS1_38merge_mergepath_config_static_selectorELNS0_4arch9wavefront6targetE1EEEvSM_.private_seg_size, 0
	.set _ZN7rocprim17ROCPRIM_400000_NS6detail17trampoline_kernelINS0_14default_configENS1_38merge_sort_block_merge_config_selectorIN6thrust23THRUST_200600_302600_NS4pairIiiEENS0_10empty_typeEEEZZNS1_27merge_sort_block_merge_implIS3_NS6_6detail15normal_iteratorINS6_10device_ptrIS8_EEEEPS9_mNS6_4lessIS8_EEEE10hipError_tT0_T1_T2_jT3_P12ihipStream_tbPNSt15iterator_traitsISL_E10value_typeEPNSR_ISM_E10value_typeEPSN_NS1_7vsmem_tEENKUlT_SL_SM_SN_E_clISG_PS8_SH_SH_EESK_S10_SL_SM_SN_EUlS10_E0_NS1_11comp_targetILNS1_3genE3ELNS1_11target_archE908ELNS1_3gpuE7ELNS1_3repE0EEENS1_38merge_mergepath_config_static_selectorELNS0_4arch9wavefront6targetE1EEEvSM_.uses_vcc, 0
	.set _ZN7rocprim17ROCPRIM_400000_NS6detail17trampoline_kernelINS0_14default_configENS1_38merge_sort_block_merge_config_selectorIN6thrust23THRUST_200600_302600_NS4pairIiiEENS0_10empty_typeEEEZZNS1_27merge_sort_block_merge_implIS3_NS6_6detail15normal_iteratorINS6_10device_ptrIS8_EEEEPS9_mNS6_4lessIS8_EEEE10hipError_tT0_T1_T2_jT3_P12ihipStream_tbPNSt15iterator_traitsISL_E10value_typeEPNSR_ISM_E10value_typeEPSN_NS1_7vsmem_tEENKUlT_SL_SM_SN_E_clISG_PS8_SH_SH_EESK_S10_SL_SM_SN_EUlS10_E0_NS1_11comp_targetILNS1_3genE3ELNS1_11target_archE908ELNS1_3gpuE7ELNS1_3repE0EEENS1_38merge_mergepath_config_static_selectorELNS0_4arch9wavefront6targetE1EEEvSM_.uses_flat_scratch, 0
	.set _ZN7rocprim17ROCPRIM_400000_NS6detail17trampoline_kernelINS0_14default_configENS1_38merge_sort_block_merge_config_selectorIN6thrust23THRUST_200600_302600_NS4pairIiiEENS0_10empty_typeEEEZZNS1_27merge_sort_block_merge_implIS3_NS6_6detail15normal_iteratorINS6_10device_ptrIS8_EEEEPS9_mNS6_4lessIS8_EEEE10hipError_tT0_T1_T2_jT3_P12ihipStream_tbPNSt15iterator_traitsISL_E10value_typeEPNSR_ISM_E10value_typeEPSN_NS1_7vsmem_tEENKUlT_SL_SM_SN_E_clISG_PS8_SH_SH_EESK_S10_SL_SM_SN_EUlS10_E0_NS1_11comp_targetILNS1_3genE3ELNS1_11target_archE908ELNS1_3gpuE7ELNS1_3repE0EEENS1_38merge_mergepath_config_static_selectorELNS0_4arch9wavefront6targetE1EEEvSM_.has_dyn_sized_stack, 0
	.set _ZN7rocprim17ROCPRIM_400000_NS6detail17trampoline_kernelINS0_14default_configENS1_38merge_sort_block_merge_config_selectorIN6thrust23THRUST_200600_302600_NS4pairIiiEENS0_10empty_typeEEEZZNS1_27merge_sort_block_merge_implIS3_NS6_6detail15normal_iteratorINS6_10device_ptrIS8_EEEEPS9_mNS6_4lessIS8_EEEE10hipError_tT0_T1_T2_jT3_P12ihipStream_tbPNSt15iterator_traitsISL_E10value_typeEPNSR_ISM_E10value_typeEPSN_NS1_7vsmem_tEENKUlT_SL_SM_SN_E_clISG_PS8_SH_SH_EESK_S10_SL_SM_SN_EUlS10_E0_NS1_11comp_targetILNS1_3genE3ELNS1_11target_archE908ELNS1_3gpuE7ELNS1_3repE0EEENS1_38merge_mergepath_config_static_selectorELNS0_4arch9wavefront6targetE1EEEvSM_.has_recursion, 0
	.set _ZN7rocprim17ROCPRIM_400000_NS6detail17trampoline_kernelINS0_14default_configENS1_38merge_sort_block_merge_config_selectorIN6thrust23THRUST_200600_302600_NS4pairIiiEENS0_10empty_typeEEEZZNS1_27merge_sort_block_merge_implIS3_NS6_6detail15normal_iteratorINS6_10device_ptrIS8_EEEEPS9_mNS6_4lessIS8_EEEE10hipError_tT0_T1_T2_jT3_P12ihipStream_tbPNSt15iterator_traitsISL_E10value_typeEPNSR_ISM_E10value_typeEPSN_NS1_7vsmem_tEENKUlT_SL_SM_SN_E_clISG_PS8_SH_SH_EESK_S10_SL_SM_SN_EUlS10_E0_NS1_11comp_targetILNS1_3genE3ELNS1_11target_archE908ELNS1_3gpuE7ELNS1_3repE0EEENS1_38merge_mergepath_config_static_selectorELNS0_4arch9wavefront6targetE1EEEvSM_.has_indirect_call, 0
	.section	.AMDGPU.csdata,"",@progbits
; Kernel info:
; codeLenInByte = 0
; TotalNumSgprs: 6
; NumVgprs: 0
; NumAgprs: 0
; TotalNumVgprs: 0
; ScratchSize: 0
; MemoryBound: 0
; FloatMode: 240
; IeeeMode: 1
; LDSByteSize: 0 bytes/workgroup (compile time only)
; SGPRBlocks: 0
; VGPRBlocks: 0
; NumSGPRsForWavesPerEU: 6
; NumVGPRsForWavesPerEU: 1
; AccumOffset: 4
; Occupancy: 8
; WaveLimiterHint : 0
; COMPUTE_PGM_RSRC2:SCRATCH_EN: 0
; COMPUTE_PGM_RSRC2:USER_SGPR: 2
; COMPUTE_PGM_RSRC2:TRAP_HANDLER: 0
; COMPUTE_PGM_RSRC2:TGID_X_EN: 1
; COMPUTE_PGM_RSRC2:TGID_Y_EN: 0
; COMPUTE_PGM_RSRC2:TGID_Z_EN: 0
; COMPUTE_PGM_RSRC2:TIDIG_COMP_CNT: 0
; COMPUTE_PGM_RSRC3_GFX90A:ACCUM_OFFSET: 0
; COMPUTE_PGM_RSRC3_GFX90A:TG_SPLIT: 0
	.section	.text._ZN7rocprim17ROCPRIM_400000_NS6detail17trampoline_kernelINS0_14default_configENS1_38merge_sort_block_merge_config_selectorIN6thrust23THRUST_200600_302600_NS4pairIiiEENS0_10empty_typeEEEZZNS1_27merge_sort_block_merge_implIS3_NS6_6detail15normal_iteratorINS6_10device_ptrIS8_EEEEPS9_mNS6_4lessIS8_EEEE10hipError_tT0_T1_T2_jT3_P12ihipStream_tbPNSt15iterator_traitsISL_E10value_typeEPNSR_ISM_E10value_typeEPSN_NS1_7vsmem_tEENKUlT_SL_SM_SN_E_clISG_PS8_SH_SH_EESK_S10_SL_SM_SN_EUlS10_E0_NS1_11comp_targetILNS1_3genE2ELNS1_11target_archE906ELNS1_3gpuE6ELNS1_3repE0EEENS1_38merge_mergepath_config_static_selectorELNS0_4arch9wavefront6targetE1EEEvSM_,"axG",@progbits,_ZN7rocprim17ROCPRIM_400000_NS6detail17trampoline_kernelINS0_14default_configENS1_38merge_sort_block_merge_config_selectorIN6thrust23THRUST_200600_302600_NS4pairIiiEENS0_10empty_typeEEEZZNS1_27merge_sort_block_merge_implIS3_NS6_6detail15normal_iteratorINS6_10device_ptrIS8_EEEEPS9_mNS6_4lessIS8_EEEE10hipError_tT0_T1_T2_jT3_P12ihipStream_tbPNSt15iterator_traitsISL_E10value_typeEPNSR_ISM_E10value_typeEPSN_NS1_7vsmem_tEENKUlT_SL_SM_SN_E_clISG_PS8_SH_SH_EESK_S10_SL_SM_SN_EUlS10_E0_NS1_11comp_targetILNS1_3genE2ELNS1_11target_archE906ELNS1_3gpuE6ELNS1_3repE0EEENS1_38merge_mergepath_config_static_selectorELNS0_4arch9wavefront6targetE1EEEvSM_,comdat
	.protected	_ZN7rocprim17ROCPRIM_400000_NS6detail17trampoline_kernelINS0_14default_configENS1_38merge_sort_block_merge_config_selectorIN6thrust23THRUST_200600_302600_NS4pairIiiEENS0_10empty_typeEEEZZNS1_27merge_sort_block_merge_implIS3_NS6_6detail15normal_iteratorINS6_10device_ptrIS8_EEEEPS9_mNS6_4lessIS8_EEEE10hipError_tT0_T1_T2_jT3_P12ihipStream_tbPNSt15iterator_traitsISL_E10value_typeEPNSR_ISM_E10value_typeEPSN_NS1_7vsmem_tEENKUlT_SL_SM_SN_E_clISG_PS8_SH_SH_EESK_S10_SL_SM_SN_EUlS10_E0_NS1_11comp_targetILNS1_3genE2ELNS1_11target_archE906ELNS1_3gpuE6ELNS1_3repE0EEENS1_38merge_mergepath_config_static_selectorELNS0_4arch9wavefront6targetE1EEEvSM_ ; -- Begin function _ZN7rocprim17ROCPRIM_400000_NS6detail17trampoline_kernelINS0_14default_configENS1_38merge_sort_block_merge_config_selectorIN6thrust23THRUST_200600_302600_NS4pairIiiEENS0_10empty_typeEEEZZNS1_27merge_sort_block_merge_implIS3_NS6_6detail15normal_iteratorINS6_10device_ptrIS8_EEEEPS9_mNS6_4lessIS8_EEEE10hipError_tT0_T1_T2_jT3_P12ihipStream_tbPNSt15iterator_traitsISL_E10value_typeEPNSR_ISM_E10value_typeEPSN_NS1_7vsmem_tEENKUlT_SL_SM_SN_E_clISG_PS8_SH_SH_EESK_S10_SL_SM_SN_EUlS10_E0_NS1_11comp_targetILNS1_3genE2ELNS1_11target_archE906ELNS1_3gpuE6ELNS1_3repE0EEENS1_38merge_mergepath_config_static_selectorELNS0_4arch9wavefront6targetE1EEEvSM_
	.globl	_ZN7rocprim17ROCPRIM_400000_NS6detail17trampoline_kernelINS0_14default_configENS1_38merge_sort_block_merge_config_selectorIN6thrust23THRUST_200600_302600_NS4pairIiiEENS0_10empty_typeEEEZZNS1_27merge_sort_block_merge_implIS3_NS6_6detail15normal_iteratorINS6_10device_ptrIS8_EEEEPS9_mNS6_4lessIS8_EEEE10hipError_tT0_T1_T2_jT3_P12ihipStream_tbPNSt15iterator_traitsISL_E10value_typeEPNSR_ISM_E10value_typeEPSN_NS1_7vsmem_tEENKUlT_SL_SM_SN_E_clISG_PS8_SH_SH_EESK_S10_SL_SM_SN_EUlS10_E0_NS1_11comp_targetILNS1_3genE2ELNS1_11target_archE906ELNS1_3gpuE6ELNS1_3repE0EEENS1_38merge_mergepath_config_static_selectorELNS0_4arch9wavefront6targetE1EEEvSM_
	.p2align	8
	.type	_ZN7rocprim17ROCPRIM_400000_NS6detail17trampoline_kernelINS0_14default_configENS1_38merge_sort_block_merge_config_selectorIN6thrust23THRUST_200600_302600_NS4pairIiiEENS0_10empty_typeEEEZZNS1_27merge_sort_block_merge_implIS3_NS6_6detail15normal_iteratorINS6_10device_ptrIS8_EEEEPS9_mNS6_4lessIS8_EEEE10hipError_tT0_T1_T2_jT3_P12ihipStream_tbPNSt15iterator_traitsISL_E10value_typeEPNSR_ISM_E10value_typeEPSN_NS1_7vsmem_tEENKUlT_SL_SM_SN_E_clISG_PS8_SH_SH_EESK_S10_SL_SM_SN_EUlS10_E0_NS1_11comp_targetILNS1_3genE2ELNS1_11target_archE906ELNS1_3gpuE6ELNS1_3repE0EEENS1_38merge_mergepath_config_static_selectorELNS0_4arch9wavefront6targetE1EEEvSM_,@function
_ZN7rocprim17ROCPRIM_400000_NS6detail17trampoline_kernelINS0_14default_configENS1_38merge_sort_block_merge_config_selectorIN6thrust23THRUST_200600_302600_NS4pairIiiEENS0_10empty_typeEEEZZNS1_27merge_sort_block_merge_implIS3_NS6_6detail15normal_iteratorINS6_10device_ptrIS8_EEEEPS9_mNS6_4lessIS8_EEEE10hipError_tT0_T1_T2_jT3_P12ihipStream_tbPNSt15iterator_traitsISL_E10value_typeEPNSR_ISM_E10value_typeEPSN_NS1_7vsmem_tEENKUlT_SL_SM_SN_E_clISG_PS8_SH_SH_EESK_S10_SL_SM_SN_EUlS10_E0_NS1_11comp_targetILNS1_3genE2ELNS1_11target_archE906ELNS1_3gpuE6ELNS1_3repE0EEENS1_38merge_mergepath_config_static_selectorELNS0_4arch9wavefront6targetE1EEEvSM_: ; @_ZN7rocprim17ROCPRIM_400000_NS6detail17trampoline_kernelINS0_14default_configENS1_38merge_sort_block_merge_config_selectorIN6thrust23THRUST_200600_302600_NS4pairIiiEENS0_10empty_typeEEEZZNS1_27merge_sort_block_merge_implIS3_NS6_6detail15normal_iteratorINS6_10device_ptrIS8_EEEEPS9_mNS6_4lessIS8_EEEE10hipError_tT0_T1_T2_jT3_P12ihipStream_tbPNSt15iterator_traitsISL_E10value_typeEPNSR_ISM_E10value_typeEPSN_NS1_7vsmem_tEENKUlT_SL_SM_SN_E_clISG_PS8_SH_SH_EESK_S10_SL_SM_SN_EUlS10_E0_NS1_11comp_targetILNS1_3genE2ELNS1_11target_archE906ELNS1_3gpuE6ELNS1_3repE0EEENS1_38merge_mergepath_config_static_selectorELNS0_4arch9wavefront6targetE1EEEvSM_
; %bb.0:
	.section	.rodata,"a",@progbits
	.p2align	6, 0x0
	.amdhsa_kernel _ZN7rocprim17ROCPRIM_400000_NS6detail17trampoline_kernelINS0_14default_configENS1_38merge_sort_block_merge_config_selectorIN6thrust23THRUST_200600_302600_NS4pairIiiEENS0_10empty_typeEEEZZNS1_27merge_sort_block_merge_implIS3_NS6_6detail15normal_iteratorINS6_10device_ptrIS8_EEEEPS9_mNS6_4lessIS8_EEEE10hipError_tT0_T1_T2_jT3_P12ihipStream_tbPNSt15iterator_traitsISL_E10value_typeEPNSR_ISM_E10value_typeEPSN_NS1_7vsmem_tEENKUlT_SL_SM_SN_E_clISG_PS8_SH_SH_EESK_S10_SL_SM_SN_EUlS10_E0_NS1_11comp_targetILNS1_3genE2ELNS1_11target_archE906ELNS1_3gpuE6ELNS1_3repE0EEENS1_38merge_mergepath_config_static_selectorELNS0_4arch9wavefront6targetE1EEEvSM_
		.amdhsa_group_segment_fixed_size 0
		.amdhsa_private_segment_fixed_size 0
		.amdhsa_kernarg_size 72
		.amdhsa_user_sgpr_count 2
		.amdhsa_user_sgpr_dispatch_ptr 0
		.amdhsa_user_sgpr_queue_ptr 0
		.amdhsa_user_sgpr_kernarg_segment_ptr 1
		.amdhsa_user_sgpr_dispatch_id 0
		.amdhsa_user_sgpr_kernarg_preload_length 0
		.amdhsa_user_sgpr_kernarg_preload_offset 0
		.amdhsa_user_sgpr_private_segment_size 0
		.amdhsa_uses_dynamic_stack 0
		.amdhsa_enable_private_segment 0
		.amdhsa_system_sgpr_workgroup_id_x 1
		.amdhsa_system_sgpr_workgroup_id_y 0
		.amdhsa_system_sgpr_workgroup_id_z 0
		.amdhsa_system_sgpr_workgroup_info 0
		.amdhsa_system_vgpr_workitem_id 0
		.amdhsa_next_free_vgpr 1
		.amdhsa_next_free_sgpr 0
		.amdhsa_accum_offset 4
		.amdhsa_reserve_vcc 0
		.amdhsa_float_round_mode_32 0
		.amdhsa_float_round_mode_16_64 0
		.amdhsa_float_denorm_mode_32 3
		.amdhsa_float_denorm_mode_16_64 3
		.amdhsa_dx10_clamp 1
		.amdhsa_ieee_mode 1
		.amdhsa_fp16_overflow 0
		.amdhsa_tg_split 0
		.amdhsa_exception_fp_ieee_invalid_op 0
		.amdhsa_exception_fp_denorm_src 0
		.amdhsa_exception_fp_ieee_div_zero 0
		.amdhsa_exception_fp_ieee_overflow 0
		.amdhsa_exception_fp_ieee_underflow 0
		.amdhsa_exception_fp_ieee_inexact 0
		.amdhsa_exception_int_div_zero 0
	.end_amdhsa_kernel
	.section	.text._ZN7rocprim17ROCPRIM_400000_NS6detail17trampoline_kernelINS0_14default_configENS1_38merge_sort_block_merge_config_selectorIN6thrust23THRUST_200600_302600_NS4pairIiiEENS0_10empty_typeEEEZZNS1_27merge_sort_block_merge_implIS3_NS6_6detail15normal_iteratorINS6_10device_ptrIS8_EEEEPS9_mNS6_4lessIS8_EEEE10hipError_tT0_T1_T2_jT3_P12ihipStream_tbPNSt15iterator_traitsISL_E10value_typeEPNSR_ISM_E10value_typeEPSN_NS1_7vsmem_tEENKUlT_SL_SM_SN_E_clISG_PS8_SH_SH_EESK_S10_SL_SM_SN_EUlS10_E0_NS1_11comp_targetILNS1_3genE2ELNS1_11target_archE906ELNS1_3gpuE6ELNS1_3repE0EEENS1_38merge_mergepath_config_static_selectorELNS0_4arch9wavefront6targetE1EEEvSM_,"axG",@progbits,_ZN7rocprim17ROCPRIM_400000_NS6detail17trampoline_kernelINS0_14default_configENS1_38merge_sort_block_merge_config_selectorIN6thrust23THRUST_200600_302600_NS4pairIiiEENS0_10empty_typeEEEZZNS1_27merge_sort_block_merge_implIS3_NS6_6detail15normal_iteratorINS6_10device_ptrIS8_EEEEPS9_mNS6_4lessIS8_EEEE10hipError_tT0_T1_T2_jT3_P12ihipStream_tbPNSt15iterator_traitsISL_E10value_typeEPNSR_ISM_E10value_typeEPSN_NS1_7vsmem_tEENKUlT_SL_SM_SN_E_clISG_PS8_SH_SH_EESK_S10_SL_SM_SN_EUlS10_E0_NS1_11comp_targetILNS1_3genE2ELNS1_11target_archE906ELNS1_3gpuE6ELNS1_3repE0EEENS1_38merge_mergepath_config_static_selectorELNS0_4arch9wavefront6targetE1EEEvSM_,comdat
.Lfunc_end670:
	.size	_ZN7rocprim17ROCPRIM_400000_NS6detail17trampoline_kernelINS0_14default_configENS1_38merge_sort_block_merge_config_selectorIN6thrust23THRUST_200600_302600_NS4pairIiiEENS0_10empty_typeEEEZZNS1_27merge_sort_block_merge_implIS3_NS6_6detail15normal_iteratorINS6_10device_ptrIS8_EEEEPS9_mNS6_4lessIS8_EEEE10hipError_tT0_T1_T2_jT3_P12ihipStream_tbPNSt15iterator_traitsISL_E10value_typeEPNSR_ISM_E10value_typeEPSN_NS1_7vsmem_tEENKUlT_SL_SM_SN_E_clISG_PS8_SH_SH_EESK_S10_SL_SM_SN_EUlS10_E0_NS1_11comp_targetILNS1_3genE2ELNS1_11target_archE906ELNS1_3gpuE6ELNS1_3repE0EEENS1_38merge_mergepath_config_static_selectorELNS0_4arch9wavefront6targetE1EEEvSM_, .Lfunc_end670-_ZN7rocprim17ROCPRIM_400000_NS6detail17trampoline_kernelINS0_14default_configENS1_38merge_sort_block_merge_config_selectorIN6thrust23THRUST_200600_302600_NS4pairIiiEENS0_10empty_typeEEEZZNS1_27merge_sort_block_merge_implIS3_NS6_6detail15normal_iteratorINS6_10device_ptrIS8_EEEEPS9_mNS6_4lessIS8_EEEE10hipError_tT0_T1_T2_jT3_P12ihipStream_tbPNSt15iterator_traitsISL_E10value_typeEPNSR_ISM_E10value_typeEPSN_NS1_7vsmem_tEENKUlT_SL_SM_SN_E_clISG_PS8_SH_SH_EESK_S10_SL_SM_SN_EUlS10_E0_NS1_11comp_targetILNS1_3genE2ELNS1_11target_archE906ELNS1_3gpuE6ELNS1_3repE0EEENS1_38merge_mergepath_config_static_selectorELNS0_4arch9wavefront6targetE1EEEvSM_
                                        ; -- End function
	.set _ZN7rocprim17ROCPRIM_400000_NS6detail17trampoline_kernelINS0_14default_configENS1_38merge_sort_block_merge_config_selectorIN6thrust23THRUST_200600_302600_NS4pairIiiEENS0_10empty_typeEEEZZNS1_27merge_sort_block_merge_implIS3_NS6_6detail15normal_iteratorINS6_10device_ptrIS8_EEEEPS9_mNS6_4lessIS8_EEEE10hipError_tT0_T1_T2_jT3_P12ihipStream_tbPNSt15iterator_traitsISL_E10value_typeEPNSR_ISM_E10value_typeEPSN_NS1_7vsmem_tEENKUlT_SL_SM_SN_E_clISG_PS8_SH_SH_EESK_S10_SL_SM_SN_EUlS10_E0_NS1_11comp_targetILNS1_3genE2ELNS1_11target_archE906ELNS1_3gpuE6ELNS1_3repE0EEENS1_38merge_mergepath_config_static_selectorELNS0_4arch9wavefront6targetE1EEEvSM_.num_vgpr, 0
	.set _ZN7rocprim17ROCPRIM_400000_NS6detail17trampoline_kernelINS0_14default_configENS1_38merge_sort_block_merge_config_selectorIN6thrust23THRUST_200600_302600_NS4pairIiiEENS0_10empty_typeEEEZZNS1_27merge_sort_block_merge_implIS3_NS6_6detail15normal_iteratorINS6_10device_ptrIS8_EEEEPS9_mNS6_4lessIS8_EEEE10hipError_tT0_T1_T2_jT3_P12ihipStream_tbPNSt15iterator_traitsISL_E10value_typeEPNSR_ISM_E10value_typeEPSN_NS1_7vsmem_tEENKUlT_SL_SM_SN_E_clISG_PS8_SH_SH_EESK_S10_SL_SM_SN_EUlS10_E0_NS1_11comp_targetILNS1_3genE2ELNS1_11target_archE906ELNS1_3gpuE6ELNS1_3repE0EEENS1_38merge_mergepath_config_static_selectorELNS0_4arch9wavefront6targetE1EEEvSM_.num_agpr, 0
	.set _ZN7rocprim17ROCPRIM_400000_NS6detail17trampoline_kernelINS0_14default_configENS1_38merge_sort_block_merge_config_selectorIN6thrust23THRUST_200600_302600_NS4pairIiiEENS0_10empty_typeEEEZZNS1_27merge_sort_block_merge_implIS3_NS6_6detail15normal_iteratorINS6_10device_ptrIS8_EEEEPS9_mNS6_4lessIS8_EEEE10hipError_tT0_T1_T2_jT3_P12ihipStream_tbPNSt15iterator_traitsISL_E10value_typeEPNSR_ISM_E10value_typeEPSN_NS1_7vsmem_tEENKUlT_SL_SM_SN_E_clISG_PS8_SH_SH_EESK_S10_SL_SM_SN_EUlS10_E0_NS1_11comp_targetILNS1_3genE2ELNS1_11target_archE906ELNS1_3gpuE6ELNS1_3repE0EEENS1_38merge_mergepath_config_static_selectorELNS0_4arch9wavefront6targetE1EEEvSM_.numbered_sgpr, 0
	.set _ZN7rocprim17ROCPRIM_400000_NS6detail17trampoline_kernelINS0_14default_configENS1_38merge_sort_block_merge_config_selectorIN6thrust23THRUST_200600_302600_NS4pairIiiEENS0_10empty_typeEEEZZNS1_27merge_sort_block_merge_implIS3_NS6_6detail15normal_iteratorINS6_10device_ptrIS8_EEEEPS9_mNS6_4lessIS8_EEEE10hipError_tT0_T1_T2_jT3_P12ihipStream_tbPNSt15iterator_traitsISL_E10value_typeEPNSR_ISM_E10value_typeEPSN_NS1_7vsmem_tEENKUlT_SL_SM_SN_E_clISG_PS8_SH_SH_EESK_S10_SL_SM_SN_EUlS10_E0_NS1_11comp_targetILNS1_3genE2ELNS1_11target_archE906ELNS1_3gpuE6ELNS1_3repE0EEENS1_38merge_mergepath_config_static_selectorELNS0_4arch9wavefront6targetE1EEEvSM_.num_named_barrier, 0
	.set _ZN7rocprim17ROCPRIM_400000_NS6detail17trampoline_kernelINS0_14default_configENS1_38merge_sort_block_merge_config_selectorIN6thrust23THRUST_200600_302600_NS4pairIiiEENS0_10empty_typeEEEZZNS1_27merge_sort_block_merge_implIS3_NS6_6detail15normal_iteratorINS6_10device_ptrIS8_EEEEPS9_mNS6_4lessIS8_EEEE10hipError_tT0_T1_T2_jT3_P12ihipStream_tbPNSt15iterator_traitsISL_E10value_typeEPNSR_ISM_E10value_typeEPSN_NS1_7vsmem_tEENKUlT_SL_SM_SN_E_clISG_PS8_SH_SH_EESK_S10_SL_SM_SN_EUlS10_E0_NS1_11comp_targetILNS1_3genE2ELNS1_11target_archE906ELNS1_3gpuE6ELNS1_3repE0EEENS1_38merge_mergepath_config_static_selectorELNS0_4arch9wavefront6targetE1EEEvSM_.private_seg_size, 0
	.set _ZN7rocprim17ROCPRIM_400000_NS6detail17trampoline_kernelINS0_14default_configENS1_38merge_sort_block_merge_config_selectorIN6thrust23THRUST_200600_302600_NS4pairIiiEENS0_10empty_typeEEEZZNS1_27merge_sort_block_merge_implIS3_NS6_6detail15normal_iteratorINS6_10device_ptrIS8_EEEEPS9_mNS6_4lessIS8_EEEE10hipError_tT0_T1_T2_jT3_P12ihipStream_tbPNSt15iterator_traitsISL_E10value_typeEPNSR_ISM_E10value_typeEPSN_NS1_7vsmem_tEENKUlT_SL_SM_SN_E_clISG_PS8_SH_SH_EESK_S10_SL_SM_SN_EUlS10_E0_NS1_11comp_targetILNS1_3genE2ELNS1_11target_archE906ELNS1_3gpuE6ELNS1_3repE0EEENS1_38merge_mergepath_config_static_selectorELNS0_4arch9wavefront6targetE1EEEvSM_.uses_vcc, 0
	.set _ZN7rocprim17ROCPRIM_400000_NS6detail17trampoline_kernelINS0_14default_configENS1_38merge_sort_block_merge_config_selectorIN6thrust23THRUST_200600_302600_NS4pairIiiEENS0_10empty_typeEEEZZNS1_27merge_sort_block_merge_implIS3_NS6_6detail15normal_iteratorINS6_10device_ptrIS8_EEEEPS9_mNS6_4lessIS8_EEEE10hipError_tT0_T1_T2_jT3_P12ihipStream_tbPNSt15iterator_traitsISL_E10value_typeEPNSR_ISM_E10value_typeEPSN_NS1_7vsmem_tEENKUlT_SL_SM_SN_E_clISG_PS8_SH_SH_EESK_S10_SL_SM_SN_EUlS10_E0_NS1_11comp_targetILNS1_3genE2ELNS1_11target_archE906ELNS1_3gpuE6ELNS1_3repE0EEENS1_38merge_mergepath_config_static_selectorELNS0_4arch9wavefront6targetE1EEEvSM_.uses_flat_scratch, 0
	.set _ZN7rocprim17ROCPRIM_400000_NS6detail17trampoline_kernelINS0_14default_configENS1_38merge_sort_block_merge_config_selectorIN6thrust23THRUST_200600_302600_NS4pairIiiEENS0_10empty_typeEEEZZNS1_27merge_sort_block_merge_implIS3_NS6_6detail15normal_iteratorINS6_10device_ptrIS8_EEEEPS9_mNS6_4lessIS8_EEEE10hipError_tT0_T1_T2_jT3_P12ihipStream_tbPNSt15iterator_traitsISL_E10value_typeEPNSR_ISM_E10value_typeEPSN_NS1_7vsmem_tEENKUlT_SL_SM_SN_E_clISG_PS8_SH_SH_EESK_S10_SL_SM_SN_EUlS10_E0_NS1_11comp_targetILNS1_3genE2ELNS1_11target_archE906ELNS1_3gpuE6ELNS1_3repE0EEENS1_38merge_mergepath_config_static_selectorELNS0_4arch9wavefront6targetE1EEEvSM_.has_dyn_sized_stack, 0
	.set _ZN7rocprim17ROCPRIM_400000_NS6detail17trampoline_kernelINS0_14default_configENS1_38merge_sort_block_merge_config_selectorIN6thrust23THRUST_200600_302600_NS4pairIiiEENS0_10empty_typeEEEZZNS1_27merge_sort_block_merge_implIS3_NS6_6detail15normal_iteratorINS6_10device_ptrIS8_EEEEPS9_mNS6_4lessIS8_EEEE10hipError_tT0_T1_T2_jT3_P12ihipStream_tbPNSt15iterator_traitsISL_E10value_typeEPNSR_ISM_E10value_typeEPSN_NS1_7vsmem_tEENKUlT_SL_SM_SN_E_clISG_PS8_SH_SH_EESK_S10_SL_SM_SN_EUlS10_E0_NS1_11comp_targetILNS1_3genE2ELNS1_11target_archE906ELNS1_3gpuE6ELNS1_3repE0EEENS1_38merge_mergepath_config_static_selectorELNS0_4arch9wavefront6targetE1EEEvSM_.has_recursion, 0
	.set _ZN7rocprim17ROCPRIM_400000_NS6detail17trampoline_kernelINS0_14default_configENS1_38merge_sort_block_merge_config_selectorIN6thrust23THRUST_200600_302600_NS4pairIiiEENS0_10empty_typeEEEZZNS1_27merge_sort_block_merge_implIS3_NS6_6detail15normal_iteratorINS6_10device_ptrIS8_EEEEPS9_mNS6_4lessIS8_EEEE10hipError_tT0_T1_T2_jT3_P12ihipStream_tbPNSt15iterator_traitsISL_E10value_typeEPNSR_ISM_E10value_typeEPSN_NS1_7vsmem_tEENKUlT_SL_SM_SN_E_clISG_PS8_SH_SH_EESK_S10_SL_SM_SN_EUlS10_E0_NS1_11comp_targetILNS1_3genE2ELNS1_11target_archE906ELNS1_3gpuE6ELNS1_3repE0EEENS1_38merge_mergepath_config_static_selectorELNS0_4arch9wavefront6targetE1EEEvSM_.has_indirect_call, 0
	.section	.AMDGPU.csdata,"",@progbits
; Kernel info:
; codeLenInByte = 0
; TotalNumSgprs: 6
; NumVgprs: 0
; NumAgprs: 0
; TotalNumVgprs: 0
; ScratchSize: 0
; MemoryBound: 0
; FloatMode: 240
; IeeeMode: 1
; LDSByteSize: 0 bytes/workgroup (compile time only)
; SGPRBlocks: 0
; VGPRBlocks: 0
; NumSGPRsForWavesPerEU: 6
; NumVGPRsForWavesPerEU: 1
; AccumOffset: 4
; Occupancy: 8
; WaveLimiterHint : 0
; COMPUTE_PGM_RSRC2:SCRATCH_EN: 0
; COMPUTE_PGM_RSRC2:USER_SGPR: 2
; COMPUTE_PGM_RSRC2:TRAP_HANDLER: 0
; COMPUTE_PGM_RSRC2:TGID_X_EN: 1
; COMPUTE_PGM_RSRC2:TGID_Y_EN: 0
; COMPUTE_PGM_RSRC2:TGID_Z_EN: 0
; COMPUTE_PGM_RSRC2:TIDIG_COMP_CNT: 0
; COMPUTE_PGM_RSRC3_GFX90A:ACCUM_OFFSET: 0
; COMPUTE_PGM_RSRC3_GFX90A:TG_SPLIT: 0
	.section	.text._ZN7rocprim17ROCPRIM_400000_NS6detail17trampoline_kernelINS0_14default_configENS1_38merge_sort_block_merge_config_selectorIN6thrust23THRUST_200600_302600_NS4pairIiiEENS0_10empty_typeEEEZZNS1_27merge_sort_block_merge_implIS3_NS6_6detail15normal_iteratorINS6_10device_ptrIS8_EEEEPS9_mNS6_4lessIS8_EEEE10hipError_tT0_T1_T2_jT3_P12ihipStream_tbPNSt15iterator_traitsISL_E10value_typeEPNSR_ISM_E10value_typeEPSN_NS1_7vsmem_tEENKUlT_SL_SM_SN_E_clISG_PS8_SH_SH_EESK_S10_SL_SM_SN_EUlS10_E0_NS1_11comp_targetILNS1_3genE9ELNS1_11target_archE1100ELNS1_3gpuE3ELNS1_3repE0EEENS1_38merge_mergepath_config_static_selectorELNS0_4arch9wavefront6targetE1EEEvSM_,"axG",@progbits,_ZN7rocprim17ROCPRIM_400000_NS6detail17trampoline_kernelINS0_14default_configENS1_38merge_sort_block_merge_config_selectorIN6thrust23THRUST_200600_302600_NS4pairIiiEENS0_10empty_typeEEEZZNS1_27merge_sort_block_merge_implIS3_NS6_6detail15normal_iteratorINS6_10device_ptrIS8_EEEEPS9_mNS6_4lessIS8_EEEE10hipError_tT0_T1_T2_jT3_P12ihipStream_tbPNSt15iterator_traitsISL_E10value_typeEPNSR_ISM_E10value_typeEPSN_NS1_7vsmem_tEENKUlT_SL_SM_SN_E_clISG_PS8_SH_SH_EESK_S10_SL_SM_SN_EUlS10_E0_NS1_11comp_targetILNS1_3genE9ELNS1_11target_archE1100ELNS1_3gpuE3ELNS1_3repE0EEENS1_38merge_mergepath_config_static_selectorELNS0_4arch9wavefront6targetE1EEEvSM_,comdat
	.protected	_ZN7rocprim17ROCPRIM_400000_NS6detail17trampoline_kernelINS0_14default_configENS1_38merge_sort_block_merge_config_selectorIN6thrust23THRUST_200600_302600_NS4pairIiiEENS0_10empty_typeEEEZZNS1_27merge_sort_block_merge_implIS3_NS6_6detail15normal_iteratorINS6_10device_ptrIS8_EEEEPS9_mNS6_4lessIS8_EEEE10hipError_tT0_T1_T2_jT3_P12ihipStream_tbPNSt15iterator_traitsISL_E10value_typeEPNSR_ISM_E10value_typeEPSN_NS1_7vsmem_tEENKUlT_SL_SM_SN_E_clISG_PS8_SH_SH_EESK_S10_SL_SM_SN_EUlS10_E0_NS1_11comp_targetILNS1_3genE9ELNS1_11target_archE1100ELNS1_3gpuE3ELNS1_3repE0EEENS1_38merge_mergepath_config_static_selectorELNS0_4arch9wavefront6targetE1EEEvSM_ ; -- Begin function _ZN7rocprim17ROCPRIM_400000_NS6detail17trampoline_kernelINS0_14default_configENS1_38merge_sort_block_merge_config_selectorIN6thrust23THRUST_200600_302600_NS4pairIiiEENS0_10empty_typeEEEZZNS1_27merge_sort_block_merge_implIS3_NS6_6detail15normal_iteratorINS6_10device_ptrIS8_EEEEPS9_mNS6_4lessIS8_EEEE10hipError_tT0_T1_T2_jT3_P12ihipStream_tbPNSt15iterator_traitsISL_E10value_typeEPNSR_ISM_E10value_typeEPSN_NS1_7vsmem_tEENKUlT_SL_SM_SN_E_clISG_PS8_SH_SH_EESK_S10_SL_SM_SN_EUlS10_E0_NS1_11comp_targetILNS1_3genE9ELNS1_11target_archE1100ELNS1_3gpuE3ELNS1_3repE0EEENS1_38merge_mergepath_config_static_selectorELNS0_4arch9wavefront6targetE1EEEvSM_
	.globl	_ZN7rocprim17ROCPRIM_400000_NS6detail17trampoline_kernelINS0_14default_configENS1_38merge_sort_block_merge_config_selectorIN6thrust23THRUST_200600_302600_NS4pairIiiEENS0_10empty_typeEEEZZNS1_27merge_sort_block_merge_implIS3_NS6_6detail15normal_iteratorINS6_10device_ptrIS8_EEEEPS9_mNS6_4lessIS8_EEEE10hipError_tT0_T1_T2_jT3_P12ihipStream_tbPNSt15iterator_traitsISL_E10value_typeEPNSR_ISM_E10value_typeEPSN_NS1_7vsmem_tEENKUlT_SL_SM_SN_E_clISG_PS8_SH_SH_EESK_S10_SL_SM_SN_EUlS10_E0_NS1_11comp_targetILNS1_3genE9ELNS1_11target_archE1100ELNS1_3gpuE3ELNS1_3repE0EEENS1_38merge_mergepath_config_static_selectorELNS0_4arch9wavefront6targetE1EEEvSM_
	.p2align	8
	.type	_ZN7rocprim17ROCPRIM_400000_NS6detail17trampoline_kernelINS0_14default_configENS1_38merge_sort_block_merge_config_selectorIN6thrust23THRUST_200600_302600_NS4pairIiiEENS0_10empty_typeEEEZZNS1_27merge_sort_block_merge_implIS3_NS6_6detail15normal_iteratorINS6_10device_ptrIS8_EEEEPS9_mNS6_4lessIS8_EEEE10hipError_tT0_T1_T2_jT3_P12ihipStream_tbPNSt15iterator_traitsISL_E10value_typeEPNSR_ISM_E10value_typeEPSN_NS1_7vsmem_tEENKUlT_SL_SM_SN_E_clISG_PS8_SH_SH_EESK_S10_SL_SM_SN_EUlS10_E0_NS1_11comp_targetILNS1_3genE9ELNS1_11target_archE1100ELNS1_3gpuE3ELNS1_3repE0EEENS1_38merge_mergepath_config_static_selectorELNS0_4arch9wavefront6targetE1EEEvSM_,@function
_ZN7rocprim17ROCPRIM_400000_NS6detail17trampoline_kernelINS0_14default_configENS1_38merge_sort_block_merge_config_selectorIN6thrust23THRUST_200600_302600_NS4pairIiiEENS0_10empty_typeEEEZZNS1_27merge_sort_block_merge_implIS3_NS6_6detail15normal_iteratorINS6_10device_ptrIS8_EEEEPS9_mNS6_4lessIS8_EEEE10hipError_tT0_T1_T2_jT3_P12ihipStream_tbPNSt15iterator_traitsISL_E10value_typeEPNSR_ISM_E10value_typeEPSN_NS1_7vsmem_tEENKUlT_SL_SM_SN_E_clISG_PS8_SH_SH_EESK_S10_SL_SM_SN_EUlS10_E0_NS1_11comp_targetILNS1_3genE9ELNS1_11target_archE1100ELNS1_3gpuE3ELNS1_3repE0EEENS1_38merge_mergepath_config_static_selectorELNS0_4arch9wavefront6targetE1EEEvSM_: ; @_ZN7rocprim17ROCPRIM_400000_NS6detail17trampoline_kernelINS0_14default_configENS1_38merge_sort_block_merge_config_selectorIN6thrust23THRUST_200600_302600_NS4pairIiiEENS0_10empty_typeEEEZZNS1_27merge_sort_block_merge_implIS3_NS6_6detail15normal_iteratorINS6_10device_ptrIS8_EEEEPS9_mNS6_4lessIS8_EEEE10hipError_tT0_T1_T2_jT3_P12ihipStream_tbPNSt15iterator_traitsISL_E10value_typeEPNSR_ISM_E10value_typeEPSN_NS1_7vsmem_tEENKUlT_SL_SM_SN_E_clISG_PS8_SH_SH_EESK_S10_SL_SM_SN_EUlS10_E0_NS1_11comp_targetILNS1_3genE9ELNS1_11target_archE1100ELNS1_3gpuE3ELNS1_3repE0EEENS1_38merge_mergepath_config_static_selectorELNS0_4arch9wavefront6targetE1EEEvSM_
; %bb.0:
	.section	.rodata,"a",@progbits
	.p2align	6, 0x0
	.amdhsa_kernel _ZN7rocprim17ROCPRIM_400000_NS6detail17trampoline_kernelINS0_14default_configENS1_38merge_sort_block_merge_config_selectorIN6thrust23THRUST_200600_302600_NS4pairIiiEENS0_10empty_typeEEEZZNS1_27merge_sort_block_merge_implIS3_NS6_6detail15normal_iteratorINS6_10device_ptrIS8_EEEEPS9_mNS6_4lessIS8_EEEE10hipError_tT0_T1_T2_jT3_P12ihipStream_tbPNSt15iterator_traitsISL_E10value_typeEPNSR_ISM_E10value_typeEPSN_NS1_7vsmem_tEENKUlT_SL_SM_SN_E_clISG_PS8_SH_SH_EESK_S10_SL_SM_SN_EUlS10_E0_NS1_11comp_targetILNS1_3genE9ELNS1_11target_archE1100ELNS1_3gpuE3ELNS1_3repE0EEENS1_38merge_mergepath_config_static_selectorELNS0_4arch9wavefront6targetE1EEEvSM_
		.amdhsa_group_segment_fixed_size 0
		.amdhsa_private_segment_fixed_size 0
		.amdhsa_kernarg_size 72
		.amdhsa_user_sgpr_count 2
		.amdhsa_user_sgpr_dispatch_ptr 0
		.amdhsa_user_sgpr_queue_ptr 0
		.amdhsa_user_sgpr_kernarg_segment_ptr 1
		.amdhsa_user_sgpr_dispatch_id 0
		.amdhsa_user_sgpr_kernarg_preload_length 0
		.amdhsa_user_sgpr_kernarg_preload_offset 0
		.amdhsa_user_sgpr_private_segment_size 0
		.amdhsa_uses_dynamic_stack 0
		.amdhsa_enable_private_segment 0
		.amdhsa_system_sgpr_workgroup_id_x 1
		.amdhsa_system_sgpr_workgroup_id_y 0
		.amdhsa_system_sgpr_workgroup_id_z 0
		.amdhsa_system_sgpr_workgroup_info 0
		.amdhsa_system_vgpr_workitem_id 0
		.amdhsa_next_free_vgpr 1
		.amdhsa_next_free_sgpr 0
		.amdhsa_accum_offset 4
		.amdhsa_reserve_vcc 0
		.amdhsa_float_round_mode_32 0
		.amdhsa_float_round_mode_16_64 0
		.amdhsa_float_denorm_mode_32 3
		.amdhsa_float_denorm_mode_16_64 3
		.amdhsa_dx10_clamp 1
		.amdhsa_ieee_mode 1
		.amdhsa_fp16_overflow 0
		.amdhsa_tg_split 0
		.amdhsa_exception_fp_ieee_invalid_op 0
		.amdhsa_exception_fp_denorm_src 0
		.amdhsa_exception_fp_ieee_div_zero 0
		.amdhsa_exception_fp_ieee_overflow 0
		.amdhsa_exception_fp_ieee_underflow 0
		.amdhsa_exception_fp_ieee_inexact 0
		.amdhsa_exception_int_div_zero 0
	.end_amdhsa_kernel
	.section	.text._ZN7rocprim17ROCPRIM_400000_NS6detail17trampoline_kernelINS0_14default_configENS1_38merge_sort_block_merge_config_selectorIN6thrust23THRUST_200600_302600_NS4pairIiiEENS0_10empty_typeEEEZZNS1_27merge_sort_block_merge_implIS3_NS6_6detail15normal_iteratorINS6_10device_ptrIS8_EEEEPS9_mNS6_4lessIS8_EEEE10hipError_tT0_T1_T2_jT3_P12ihipStream_tbPNSt15iterator_traitsISL_E10value_typeEPNSR_ISM_E10value_typeEPSN_NS1_7vsmem_tEENKUlT_SL_SM_SN_E_clISG_PS8_SH_SH_EESK_S10_SL_SM_SN_EUlS10_E0_NS1_11comp_targetILNS1_3genE9ELNS1_11target_archE1100ELNS1_3gpuE3ELNS1_3repE0EEENS1_38merge_mergepath_config_static_selectorELNS0_4arch9wavefront6targetE1EEEvSM_,"axG",@progbits,_ZN7rocprim17ROCPRIM_400000_NS6detail17trampoline_kernelINS0_14default_configENS1_38merge_sort_block_merge_config_selectorIN6thrust23THRUST_200600_302600_NS4pairIiiEENS0_10empty_typeEEEZZNS1_27merge_sort_block_merge_implIS3_NS6_6detail15normal_iteratorINS6_10device_ptrIS8_EEEEPS9_mNS6_4lessIS8_EEEE10hipError_tT0_T1_T2_jT3_P12ihipStream_tbPNSt15iterator_traitsISL_E10value_typeEPNSR_ISM_E10value_typeEPSN_NS1_7vsmem_tEENKUlT_SL_SM_SN_E_clISG_PS8_SH_SH_EESK_S10_SL_SM_SN_EUlS10_E0_NS1_11comp_targetILNS1_3genE9ELNS1_11target_archE1100ELNS1_3gpuE3ELNS1_3repE0EEENS1_38merge_mergepath_config_static_selectorELNS0_4arch9wavefront6targetE1EEEvSM_,comdat
.Lfunc_end671:
	.size	_ZN7rocprim17ROCPRIM_400000_NS6detail17trampoline_kernelINS0_14default_configENS1_38merge_sort_block_merge_config_selectorIN6thrust23THRUST_200600_302600_NS4pairIiiEENS0_10empty_typeEEEZZNS1_27merge_sort_block_merge_implIS3_NS6_6detail15normal_iteratorINS6_10device_ptrIS8_EEEEPS9_mNS6_4lessIS8_EEEE10hipError_tT0_T1_T2_jT3_P12ihipStream_tbPNSt15iterator_traitsISL_E10value_typeEPNSR_ISM_E10value_typeEPSN_NS1_7vsmem_tEENKUlT_SL_SM_SN_E_clISG_PS8_SH_SH_EESK_S10_SL_SM_SN_EUlS10_E0_NS1_11comp_targetILNS1_3genE9ELNS1_11target_archE1100ELNS1_3gpuE3ELNS1_3repE0EEENS1_38merge_mergepath_config_static_selectorELNS0_4arch9wavefront6targetE1EEEvSM_, .Lfunc_end671-_ZN7rocprim17ROCPRIM_400000_NS6detail17trampoline_kernelINS0_14default_configENS1_38merge_sort_block_merge_config_selectorIN6thrust23THRUST_200600_302600_NS4pairIiiEENS0_10empty_typeEEEZZNS1_27merge_sort_block_merge_implIS3_NS6_6detail15normal_iteratorINS6_10device_ptrIS8_EEEEPS9_mNS6_4lessIS8_EEEE10hipError_tT0_T1_T2_jT3_P12ihipStream_tbPNSt15iterator_traitsISL_E10value_typeEPNSR_ISM_E10value_typeEPSN_NS1_7vsmem_tEENKUlT_SL_SM_SN_E_clISG_PS8_SH_SH_EESK_S10_SL_SM_SN_EUlS10_E0_NS1_11comp_targetILNS1_3genE9ELNS1_11target_archE1100ELNS1_3gpuE3ELNS1_3repE0EEENS1_38merge_mergepath_config_static_selectorELNS0_4arch9wavefront6targetE1EEEvSM_
                                        ; -- End function
	.set _ZN7rocprim17ROCPRIM_400000_NS6detail17trampoline_kernelINS0_14default_configENS1_38merge_sort_block_merge_config_selectorIN6thrust23THRUST_200600_302600_NS4pairIiiEENS0_10empty_typeEEEZZNS1_27merge_sort_block_merge_implIS3_NS6_6detail15normal_iteratorINS6_10device_ptrIS8_EEEEPS9_mNS6_4lessIS8_EEEE10hipError_tT0_T1_T2_jT3_P12ihipStream_tbPNSt15iterator_traitsISL_E10value_typeEPNSR_ISM_E10value_typeEPSN_NS1_7vsmem_tEENKUlT_SL_SM_SN_E_clISG_PS8_SH_SH_EESK_S10_SL_SM_SN_EUlS10_E0_NS1_11comp_targetILNS1_3genE9ELNS1_11target_archE1100ELNS1_3gpuE3ELNS1_3repE0EEENS1_38merge_mergepath_config_static_selectorELNS0_4arch9wavefront6targetE1EEEvSM_.num_vgpr, 0
	.set _ZN7rocprim17ROCPRIM_400000_NS6detail17trampoline_kernelINS0_14default_configENS1_38merge_sort_block_merge_config_selectorIN6thrust23THRUST_200600_302600_NS4pairIiiEENS0_10empty_typeEEEZZNS1_27merge_sort_block_merge_implIS3_NS6_6detail15normal_iteratorINS6_10device_ptrIS8_EEEEPS9_mNS6_4lessIS8_EEEE10hipError_tT0_T1_T2_jT3_P12ihipStream_tbPNSt15iterator_traitsISL_E10value_typeEPNSR_ISM_E10value_typeEPSN_NS1_7vsmem_tEENKUlT_SL_SM_SN_E_clISG_PS8_SH_SH_EESK_S10_SL_SM_SN_EUlS10_E0_NS1_11comp_targetILNS1_3genE9ELNS1_11target_archE1100ELNS1_3gpuE3ELNS1_3repE0EEENS1_38merge_mergepath_config_static_selectorELNS0_4arch9wavefront6targetE1EEEvSM_.num_agpr, 0
	.set _ZN7rocprim17ROCPRIM_400000_NS6detail17trampoline_kernelINS0_14default_configENS1_38merge_sort_block_merge_config_selectorIN6thrust23THRUST_200600_302600_NS4pairIiiEENS0_10empty_typeEEEZZNS1_27merge_sort_block_merge_implIS3_NS6_6detail15normal_iteratorINS6_10device_ptrIS8_EEEEPS9_mNS6_4lessIS8_EEEE10hipError_tT0_T1_T2_jT3_P12ihipStream_tbPNSt15iterator_traitsISL_E10value_typeEPNSR_ISM_E10value_typeEPSN_NS1_7vsmem_tEENKUlT_SL_SM_SN_E_clISG_PS8_SH_SH_EESK_S10_SL_SM_SN_EUlS10_E0_NS1_11comp_targetILNS1_3genE9ELNS1_11target_archE1100ELNS1_3gpuE3ELNS1_3repE0EEENS1_38merge_mergepath_config_static_selectorELNS0_4arch9wavefront6targetE1EEEvSM_.numbered_sgpr, 0
	.set _ZN7rocprim17ROCPRIM_400000_NS6detail17trampoline_kernelINS0_14default_configENS1_38merge_sort_block_merge_config_selectorIN6thrust23THRUST_200600_302600_NS4pairIiiEENS0_10empty_typeEEEZZNS1_27merge_sort_block_merge_implIS3_NS6_6detail15normal_iteratorINS6_10device_ptrIS8_EEEEPS9_mNS6_4lessIS8_EEEE10hipError_tT0_T1_T2_jT3_P12ihipStream_tbPNSt15iterator_traitsISL_E10value_typeEPNSR_ISM_E10value_typeEPSN_NS1_7vsmem_tEENKUlT_SL_SM_SN_E_clISG_PS8_SH_SH_EESK_S10_SL_SM_SN_EUlS10_E0_NS1_11comp_targetILNS1_3genE9ELNS1_11target_archE1100ELNS1_3gpuE3ELNS1_3repE0EEENS1_38merge_mergepath_config_static_selectorELNS0_4arch9wavefront6targetE1EEEvSM_.num_named_barrier, 0
	.set _ZN7rocprim17ROCPRIM_400000_NS6detail17trampoline_kernelINS0_14default_configENS1_38merge_sort_block_merge_config_selectorIN6thrust23THRUST_200600_302600_NS4pairIiiEENS0_10empty_typeEEEZZNS1_27merge_sort_block_merge_implIS3_NS6_6detail15normal_iteratorINS6_10device_ptrIS8_EEEEPS9_mNS6_4lessIS8_EEEE10hipError_tT0_T1_T2_jT3_P12ihipStream_tbPNSt15iterator_traitsISL_E10value_typeEPNSR_ISM_E10value_typeEPSN_NS1_7vsmem_tEENKUlT_SL_SM_SN_E_clISG_PS8_SH_SH_EESK_S10_SL_SM_SN_EUlS10_E0_NS1_11comp_targetILNS1_3genE9ELNS1_11target_archE1100ELNS1_3gpuE3ELNS1_3repE0EEENS1_38merge_mergepath_config_static_selectorELNS0_4arch9wavefront6targetE1EEEvSM_.private_seg_size, 0
	.set _ZN7rocprim17ROCPRIM_400000_NS6detail17trampoline_kernelINS0_14default_configENS1_38merge_sort_block_merge_config_selectorIN6thrust23THRUST_200600_302600_NS4pairIiiEENS0_10empty_typeEEEZZNS1_27merge_sort_block_merge_implIS3_NS6_6detail15normal_iteratorINS6_10device_ptrIS8_EEEEPS9_mNS6_4lessIS8_EEEE10hipError_tT0_T1_T2_jT3_P12ihipStream_tbPNSt15iterator_traitsISL_E10value_typeEPNSR_ISM_E10value_typeEPSN_NS1_7vsmem_tEENKUlT_SL_SM_SN_E_clISG_PS8_SH_SH_EESK_S10_SL_SM_SN_EUlS10_E0_NS1_11comp_targetILNS1_3genE9ELNS1_11target_archE1100ELNS1_3gpuE3ELNS1_3repE0EEENS1_38merge_mergepath_config_static_selectorELNS0_4arch9wavefront6targetE1EEEvSM_.uses_vcc, 0
	.set _ZN7rocprim17ROCPRIM_400000_NS6detail17trampoline_kernelINS0_14default_configENS1_38merge_sort_block_merge_config_selectorIN6thrust23THRUST_200600_302600_NS4pairIiiEENS0_10empty_typeEEEZZNS1_27merge_sort_block_merge_implIS3_NS6_6detail15normal_iteratorINS6_10device_ptrIS8_EEEEPS9_mNS6_4lessIS8_EEEE10hipError_tT0_T1_T2_jT3_P12ihipStream_tbPNSt15iterator_traitsISL_E10value_typeEPNSR_ISM_E10value_typeEPSN_NS1_7vsmem_tEENKUlT_SL_SM_SN_E_clISG_PS8_SH_SH_EESK_S10_SL_SM_SN_EUlS10_E0_NS1_11comp_targetILNS1_3genE9ELNS1_11target_archE1100ELNS1_3gpuE3ELNS1_3repE0EEENS1_38merge_mergepath_config_static_selectorELNS0_4arch9wavefront6targetE1EEEvSM_.uses_flat_scratch, 0
	.set _ZN7rocprim17ROCPRIM_400000_NS6detail17trampoline_kernelINS0_14default_configENS1_38merge_sort_block_merge_config_selectorIN6thrust23THRUST_200600_302600_NS4pairIiiEENS0_10empty_typeEEEZZNS1_27merge_sort_block_merge_implIS3_NS6_6detail15normal_iteratorINS6_10device_ptrIS8_EEEEPS9_mNS6_4lessIS8_EEEE10hipError_tT0_T1_T2_jT3_P12ihipStream_tbPNSt15iterator_traitsISL_E10value_typeEPNSR_ISM_E10value_typeEPSN_NS1_7vsmem_tEENKUlT_SL_SM_SN_E_clISG_PS8_SH_SH_EESK_S10_SL_SM_SN_EUlS10_E0_NS1_11comp_targetILNS1_3genE9ELNS1_11target_archE1100ELNS1_3gpuE3ELNS1_3repE0EEENS1_38merge_mergepath_config_static_selectorELNS0_4arch9wavefront6targetE1EEEvSM_.has_dyn_sized_stack, 0
	.set _ZN7rocprim17ROCPRIM_400000_NS6detail17trampoline_kernelINS0_14default_configENS1_38merge_sort_block_merge_config_selectorIN6thrust23THRUST_200600_302600_NS4pairIiiEENS0_10empty_typeEEEZZNS1_27merge_sort_block_merge_implIS3_NS6_6detail15normal_iteratorINS6_10device_ptrIS8_EEEEPS9_mNS6_4lessIS8_EEEE10hipError_tT0_T1_T2_jT3_P12ihipStream_tbPNSt15iterator_traitsISL_E10value_typeEPNSR_ISM_E10value_typeEPSN_NS1_7vsmem_tEENKUlT_SL_SM_SN_E_clISG_PS8_SH_SH_EESK_S10_SL_SM_SN_EUlS10_E0_NS1_11comp_targetILNS1_3genE9ELNS1_11target_archE1100ELNS1_3gpuE3ELNS1_3repE0EEENS1_38merge_mergepath_config_static_selectorELNS0_4arch9wavefront6targetE1EEEvSM_.has_recursion, 0
	.set _ZN7rocprim17ROCPRIM_400000_NS6detail17trampoline_kernelINS0_14default_configENS1_38merge_sort_block_merge_config_selectorIN6thrust23THRUST_200600_302600_NS4pairIiiEENS0_10empty_typeEEEZZNS1_27merge_sort_block_merge_implIS3_NS6_6detail15normal_iteratorINS6_10device_ptrIS8_EEEEPS9_mNS6_4lessIS8_EEEE10hipError_tT0_T1_T2_jT3_P12ihipStream_tbPNSt15iterator_traitsISL_E10value_typeEPNSR_ISM_E10value_typeEPSN_NS1_7vsmem_tEENKUlT_SL_SM_SN_E_clISG_PS8_SH_SH_EESK_S10_SL_SM_SN_EUlS10_E0_NS1_11comp_targetILNS1_3genE9ELNS1_11target_archE1100ELNS1_3gpuE3ELNS1_3repE0EEENS1_38merge_mergepath_config_static_selectorELNS0_4arch9wavefront6targetE1EEEvSM_.has_indirect_call, 0
	.section	.AMDGPU.csdata,"",@progbits
; Kernel info:
; codeLenInByte = 0
; TotalNumSgprs: 6
; NumVgprs: 0
; NumAgprs: 0
; TotalNumVgprs: 0
; ScratchSize: 0
; MemoryBound: 0
; FloatMode: 240
; IeeeMode: 1
; LDSByteSize: 0 bytes/workgroup (compile time only)
; SGPRBlocks: 0
; VGPRBlocks: 0
; NumSGPRsForWavesPerEU: 6
; NumVGPRsForWavesPerEU: 1
; AccumOffset: 4
; Occupancy: 8
; WaveLimiterHint : 0
; COMPUTE_PGM_RSRC2:SCRATCH_EN: 0
; COMPUTE_PGM_RSRC2:USER_SGPR: 2
; COMPUTE_PGM_RSRC2:TRAP_HANDLER: 0
; COMPUTE_PGM_RSRC2:TGID_X_EN: 1
; COMPUTE_PGM_RSRC2:TGID_Y_EN: 0
; COMPUTE_PGM_RSRC2:TGID_Z_EN: 0
; COMPUTE_PGM_RSRC2:TIDIG_COMP_CNT: 0
; COMPUTE_PGM_RSRC3_GFX90A:ACCUM_OFFSET: 0
; COMPUTE_PGM_RSRC3_GFX90A:TG_SPLIT: 0
	.section	.text._ZN7rocprim17ROCPRIM_400000_NS6detail17trampoline_kernelINS0_14default_configENS1_38merge_sort_block_merge_config_selectorIN6thrust23THRUST_200600_302600_NS4pairIiiEENS0_10empty_typeEEEZZNS1_27merge_sort_block_merge_implIS3_NS6_6detail15normal_iteratorINS6_10device_ptrIS8_EEEEPS9_mNS6_4lessIS8_EEEE10hipError_tT0_T1_T2_jT3_P12ihipStream_tbPNSt15iterator_traitsISL_E10value_typeEPNSR_ISM_E10value_typeEPSN_NS1_7vsmem_tEENKUlT_SL_SM_SN_E_clISG_PS8_SH_SH_EESK_S10_SL_SM_SN_EUlS10_E0_NS1_11comp_targetILNS1_3genE8ELNS1_11target_archE1030ELNS1_3gpuE2ELNS1_3repE0EEENS1_38merge_mergepath_config_static_selectorELNS0_4arch9wavefront6targetE1EEEvSM_,"axG",@progbits,_ZN7rocprim17ROCPRIM_400000_NS6detail17trampoline_kernelINS0_14default_configENS1_38merge_sort_block_merge_config_selectorIN6thrust23THRUST_200600_302600_NS4pairIiiEENS0_10empty_typeEEEZZNS1_27merge_sort_block_merge_implIS3_NS6_6detail15normal_iteratorINS6_10device_ptrIS8_EEEEPS9_mNS6_4lessIS8_EEEE10hipError_tT0_T1_T2_jT3_P12ihipStream_tbPNSt15iterator_traitsISL_E10value_typeEPNSR_ISM_E10value_typeEPSN_NS1_7vsmem_tEENKUlT_SL_SM_SN_E_clISG_PS8_SH_SH_EESK_S10_SL_SM_SN_EUlS10_E0_NS1_11comp_targetILNS1_3genE8ELNS1_11target_archE1030ELNS1_3gpuE2ELNS1_3repE0EEENS1_38merge_mergepath_config_static_selectorELNS0_4arch9wavefront6targetE1EEEvSM_,comdat
	.protected	_ZN7rocprim17ROCPRIM_400000_NS6detail17trampoline_kernelINS0_14default_configENS1_38merge_sort_block_merge_config_selectorIN6thrust23THRUST_200600_302600_NS4pairIiiEENS0_10empty_typeEEEZZNS1_27merge_sort_block_merge_implIS3_NS6_6detail15normal_iteratorINS6_10device_ptrIS8_EEEEPS9_mNS6_4lessIS8_EEEE10hipError_tT0_T1_T2_jT3_P12ihipStream_tbPNSt15iterator_traitsISL_E10value_typeEPNSR_ISM_E10value_typeEPSN_NS1_7vsmem_tEENKUlT_SL_SM_SN_E_clISG_PS8_SH_SH_EESK_S10_SL_SM_SN_EUlS10_E0_NS1_11comp_targetILNS1_3genE8ELNS1_11target_archE1030ELNS1_3gpuE2ELNS1_3repE0EEENS1_38merge_mergepath_config_static_selectorELNS0_4arch9wavefront6targetE1EEEvSM_ ; -- Begin function _ZN7rocprim17ROCPRIM_400000_NS6detail17trampoline_kernelINS0_14default_configENS1_38merge_sort_block_merge_config_selectorIN6thrust23THRUST_200600_302600_NS4pairIiiEENS0_10empty_typeEEEZZNS1_27merge_sort_block_merge_implIS3_NS6_6detail15normal_iteratorINS6_10device_ptrIS8_EEEEPS9_mNS6_4lessIS8_EEEE10hipError_tT0_T1_T2_jT3_P12ihipStream_tbPNSt15iterator_traitsISL_E10value_typeEPNSR_ISM_E10value_typeEPSN_NS1_7vsmem_tEENKUlT_SL_SM_SN_E_clISG_PS8_SH_SH_EESK_S10_SL_SM_SN_EUlS10_E0_NS1_11comp_targetILNS1_3genE8ELNS1_11target_archE1030ELNS1_3gpuE2ELNS1_3repE0EEENS1_38merge_mergepath_config_static_selectorELNS0_4arch9wavefront6targetE1EEEvSM_
	.globl	_ZN7rocprim17ROCPRIM_400000_NS6detail17trampoline_kernelINS0_14default_configENS1_38merge_sort_block_merge_config_selectorIN6thrust23THRUST_200600_302600_NS4pairIiiEENS0_10empty_typeEEEZZNS1_27merge_sort_block_merge_implIS3_NS6_6detail15normal_iteratorINS6_10device_ptrIS8_EEEEPS9_mNS6_4lessIS8_EEEE10hipError_tT0_T1_T2_jT3_P12ihipStream_tbPNSt15iterator_traitsISL_E10value_typeEPNSR_ISM_E10value_typeEPSN_NS1_7vsmem_tEENKUlT_SL_SM_SN_E_clISG_PS8_SH_SH_EESK_S10_SL_SM_SN_EUlS10_E0_NS1_11comp_targetILNS1_3genE8ELNS1_11target_archE1030ELNS1_3gpuE2ELNS1_3repE0EEENS1_38merge_mergepath_config_static_selectorELNS0_4arch9wavefront6targetE1EEEvSM_
	.p2align	8
	.type	_ZN7rocprim17ROCPRIM_400000_NS6detail17trampoline_kernelINS0_14default_configENS1_38merge_sort_block_merge_config_selectorIN6thrust23THRUST_200600_302600_NS4pairIiiEENS0_10empty_typeEEEZZNS1_27merge_sort_block_merge_implIS3_NS6_6detail15normal_iteratorINS6_10device_ptrIS8_EEEEPS9_mNS6_4lessIS8_EEEE10hipError_tT0_T1_T2_jT3_P12ihipStream_tbPNSt15iterator_traitsISL_E10value_typeEPNSR_ISM_E10value_typeEPSN_NS1_7vsmem_tEENKUlT_SL_SM_SN_E_clISG_PS8_SH_SH_EESK_S10_SL_SM_SN_EUlS10_E0_NS1_11comp_targetILNS1_3genE8ELNS1_11target_archE1030ELNS1_3gpuE2ELNS1_3repE0EEENS1_38merge_mergepath_config_static_selectorELNS0_4arch9wavefront6targetE1EEEvSM_,@function
_ZN7rocprim17ROCPRIM_400000_NS6detail17trampoline_kernelINS0_14default_configENS1_38merge_sort_block_merge_config_selectorIN6thrust23THRUST_200600_302600_NS4pairIiiEENS0_10empty_typeEEEZZNS1_27merge_sort_block_merge_implIS3_NS6_6detail15normal_iteratorINS6_10device_ptrIS8_EEEEPS9_mNS6_4lessIS8_EEEE10hipError_tT0_T1_T2_jT3_P12ihipStream_tbPNSt15iterator_traitsISL_E10value_typeEPNSR_ISM_E10value_typeEPSN_NS1_7vsmem_tEENKUlT_SL_SM_SN_E_clISG_PS8_SH_SH_EESK_S10_SL_SM_SN_EUlS10_E0_NS1_11comp_targetILNS1_3genE8ELNS1_11target_archE1030ELNS1_3gpuE2ELNS1_3repE0EEENS1_38merge_mergepath_config_static_selectorELNS0_4arch9wavefront6targetE1EEEvSM_: ; @_ZN7rocprim17ROCPRIM_400000_NS6detail17trampoline_kernelINS0_14default_configENS1_38merge_sort_block_merge_config_selectorIN6thrust23THRUST_200600_302600_NS4pairIiiEENS0_10empty_typeEEEZZNS1_27merge_sort_block_merge_implIS3_NS6_6detail15normal_iteratorINS6_10device_ptrIS8_EEEEPS9_mNS6_4lessIS8_EEEE10hipError_tT0_T1_T2_jT3_P12ihipStream_tbPNSt15iterator_traitsISL_E10value_typeEPNSR_ISM_E10value_typeEPSN_NS1_7vsmem_tEENKUlT_SL_SM_SN_E_clISG_PS8_SH_SH_EESK_S10_SL_SM_SN_EUlS10_E0_NS1_11comp_targetILNS1_3genE8ELNS1_11target_archE1030ELNS1_3gpuE2ELNS1_3repE0EEENS1_38merge_mergepath_config_static_selectorELNS0_4arch9wavefront6targetE1EEEvSM_
; %bb.0:
	.section	.rodata,"a",@progbits
	.p2align	6, 0x0
	.amdhsa_kernel _ZN7rocprim17ROCPRIM_400000_NS6detail17trampoline_kernelINS0_14default_configENS1_38merge_sort_block_merge_config_selectorIN6thrust23THRUST_200600_302600_NS4pairIiiEENS0_10empty_typeEEEZZNS1_27merge_sort_block_merge_implIS3_NS6_6detail15normal_iteratorINS6_10device_ptrIS8_EEEEPS9_mNS6_4lessIS8_EEEE10hipError_tT0_T1_T2_jT3_P12ihipStream_tbPNSt15iterator_traitsISL_E10value_typeEPNSR_ISM_E10value_typeEPSN_NS1_7vsmem_tEENKUlT_SL_SM_SN_E_clISG_PS8_SH_SH_EESK_S10_SL_SM_SN_EUlS10_E0_NS1_11comp_targetILNS1_3genE8ELNS1_11target_archE1030ELNS1_3gpuE2ELNS1_3repE0EEENS1_38merge_mergepath_config_static_selectorELNS0_4arch9wavefront6targetE1EEEvSM_
		.amdhsa_group_segment_fixed_size 0
		.amdhsa_private_segment_fixed_size 0
		.amdhsa_kernarg_size 72
		.amdhsa_user_sgpr_count 2
		.amdhsa_user_sgpr_dispatch_ptr 0
		.amdhsa_user_sgpr_queue_ptr 0
		.amdhsa_user_sgpr_kernarg_segment_ptr 1
		.amdhsa_user_sgpr_dispatch_id 0
		.amdhsa_user_sgpr_kernarg_preload_length 0
		.amdhsa_user_sgpr_kernarg_preload_offset 0
		.amdhsa_user_sgpr_private_segment_size 0
		.amdhsa_uses_dynamic_stack 0
		.amdhsa_enable_private_segment 0
		.amdhsa_system_sgpr_workgroup_id_x 1
		.amdhsa_system_sgpr_workgroup_id_y 0
		.amdhsa_system_sgpr_workgroup_id_z 0
		.amdhsa_system_sgpr_workgroup_info 0
		.amdhsa_system_vgpr_workitem_id 0
		.amdhsa_next_free_vgpr 1
		.amdhsa_next_free_sgpr 0
		.amdhsa_accum_offset 4
		.amdhsa_reserve_vcc 0
		.amdhsa_float_round_mode_32 0
		.amdhsa_float_round_mode_16_64 0
		.amdhsa_float_denorm_mode_32 3
		.amdhsa_float_denorm_mode_16_64 3
		.amdhsa_dx10_clamp 1
		.amdhsa_ieee_mode 1
		.amdhsa_fp16_overflow 0
		.amdhsa_tg_split 0
		.amdhsa_exception_fp_ieee_invalid_op 0
		.amdhsa_exception_fp_denorm_src 0
		.amdhsa_exception_fp_ieee_div_zero 0
		.amdhsa_exception_fp_ieee_overflow 0
		.amdhsa_exception_fp_ieee_underflow 0
		.amdhsa_exception_fp_ieee_inexact 0
		.amdhsa_exception_int_div_zero 0
	.end_amdhsa_kernel
	.section	.text._ZN7rocprim17ROCPRIM_400000_NS6detail17trampoline_kernelINS0_14default_configENS1_38merge_sort_block_merge_config_selectorIN6thrust23THRUST_200600_302600_NS4pairIiiEENS0_10empty_typeEEEZZNS1_27merge_sort_block_merge_implIS3_NS6_6detail15normal_iteratorINS6_10device_ptrIS8_EEEEPS9_mNS6_4lessIS8_EEEE10hipError_tT0_T1_T2_jT3_P12ihipStream_tbPNSt15iterator_traitsISL_E10value_typeEPNSR_ISM_E10value_typeEPSN_NS1_7vsmem_tEENKUlT_SL_SM_SN_E_clISG_PS8_SH_SH_EESK_S10_SL_SM_SN_EUlS10_E0_NS1_11comp_targetILNS1_3genE8ELNS1_11target_archE1030ELNS1_3gpuE2ELNS1_3repE0EEENS1_38merge_mergepath_config_static_selectorELNS0_4arch9wavefront6targetE1EEEvSM_,"axG",@progbits,_ZN7rocprim17ROCPRIM_400000_NS6detail17trampoline_kernelINS0_14default_configENS1_38merge_sort_block_merge_config_selectorIN6thrust23THRUST_200600_302600_NS4pairIiiEENS0_10empty_typeEEEZZNS1_27merge_sort_block_merge_implIS3_NS6_6detail15normal_iteratorINS6_10device_ptrIS8_EEEEPS9_mNS6_4lessIS8_EEEE10hipError_tT0_T1_T2_jT3_P12ihipStream_tbPNSt15iterator_traitsISL_E10value_typeEPNSR_ISM_E10value_typeEPSN_NS1_7vsmem_tEENKUlT_SL_SM_SN_E_clISG_PS8_SH_SH_EESK_S10_SL_SM_SN_EUlS10_E0_NS1_11comp_targetILNS1_3genE8ELNS1_11target_archE1030ELNS1_3gpuE2ELNS1_3repE0EEENS1_38merge_mergepath_config_static_selectorELNS0_4arch9wavefront6targetE1EEEvSM_,comdat
.Lfunc_end672:
	.size	_ZN7rocprim17ROCPRIM_400000_NS6detail17trampoline_kernelINS0_14default_configENS1_38merge_sort_block_merge_config_selectorIN6thrust23THRUST_200600_302600_NS4pairIiiEENS0_10empty_typeEEEZZNS1_27merge_sort_block_merge_implIS3_NS6_6detail15normal_iteratorINS6_10device_ptrIS8_EEEEPS9_mNS6_4lessIS8_EEEE10hipError_tT0_T1_T2_jT3_P12ihipStream_tbPNSt15iterator_traitsISL_E10value_typeEPNSR_ISM_E10value_typeEPSN_NS1_7vsmem_tEENKUlT_SL_SM_SN_E_clISG_PS8_SH_SH_EESK_S10_SL_SM_SN_EUlS10_E0_NS1_11comp_targetILNS1_3genE8ELNS1_11target_archE1030ELNS1_3gpuE2ELNS1_3repE0EEENS1_38merge_mergepath_config_static_selectorELNS0_4arch9wavefront6targetE1EEEvSM_, .Lfunc_end672-_ZN7rocprim17ROCPRIM_400000_NS6detail17trampoline_kernelINS0_14default_configENS1_38merge_sort_block_merge_config_selectorIN6thrust23THRUST_200600_302600_NS4pairIiiEENS0_10empty_typeEEEZZNS1_27merge_sort_block_merge_implIS3_NS6_6detail15normal_iteratorINS6_10device_ptrIS8_EEEEPS9_mNS6_4lessIS8_EEEE10hipError_tT0_T1_T2_jT3_P12ihipStream_tbPNSt15iterator_traitsISL_E10value_typeEPNSR_ISM_E10value_typeEPSN_NS1_7vsmem_tEENKUlT_SL_SM_SN_E_clISG_PS8_SH_SH_EESK_S10_SL_SM_SN_EUlS10_E0_NS1_11comp_targetILNS1_3genE8ELNS1_11target_archE1030ELNS1_3gpuE2ELNS1_3repE0EEENS1_38merge_mergepath_config_static_selectorELNS0_4arch9wavefront6targetE1EEEvSM_
                                        ; -- End function
	.set _ZN7rocprim17ROCPRIM_400000_NS6detail17trampoline_kernelINS0_14default_configENS1_38merge_sort_block_merge_config_selectorIN6thrust23THRUST_200600_302600_NS4pairIiiEENS0_10empty_typeEEEZZNS1_27merge_sort_block_merge_implIS3_NS6_6detail15normal_iteratorINS6_10device_ptrIS8_EEEEPS9_mNS6_4lessIS8_EEEE10hipError_tT0_T1_T2_jT3_P12ihipStream_tbPNSt15iterator_traitsISL_E10value_typeEPNSR_ISM_E10value_typeEPSN_NS1_7vsmem_tEENKUlT_SL_SM_SN_E_clISG_PS8_SH_SH_EESK_S10_SL_SM_SN_EUlS10_E0_NS1_11comp_targetILNS1_3genE8ELNS1_11target_archE1030ELNS1_3gpuE2ELNS1_3repE0EEENS1_38merge_mergepath_config_static_selectorELNS0_4arch9wavefront6targetE1EEEvSM_.num_vgpr, 0
	.set _ZN7rocprim17ROCPRIM_400000_NS6detail17trampoline_kernelINS0_14default_configENS1_38merge_sort_block_merge_config_selectorIN6thrust23THRUST_200600_302600_NS4pairIiiEENS0_10empty_typeEEEZZNS1_27merge_sort_block_merge_implIS3_NS6_6detail15normal_iteratorINS6_10device_ptrIS8_EEEEPS9_mNS6_4lessIS8_EEEE10hipError_tT0_T1_T2_jT3_P12ihipStream_tbPNSt15iterator_traitsISL_E10value_typeEPNSR_ISM_E10value_typeEPSN_NS1_7vsmem_tEENKUlT_SL_SM_SN_E_clISG_PS8_SH_SH_EESK_S10_SL_SM_SN_EUlS10_E0_NS1_11comp_targetILNS1_3genE8ELNS1_11target_archE1030ELNS1_3gpuE2ELNS1_3repE0EEENS1_38merge_mergepath_config_static_selectorELNS0_4arch9wavefront6targetE1EEEvSM_.num_agpr, 0
	.set _ZN7rocprim17ROCPRIM_400000_NS6detail17trampoline_kernelINS0_14default_configENS1_38merge_sort_block_merge_config_selectorIN6thrust23THRUST_200600_302600_NS4pairIiiEENS0_10empty_typeEEEZZNS1_27merge_sort_block_merge_implIS3_NS6_6detail15normal_iteratorINS6_10device_ptrIS8_EEEEPS9_mNS6_4lessIS8_EEEE10hipError_tT0_T1_T2_jT3_P12ihipStream_tbPNSt15iterator_traitsISL_E10value_typeEPNSR_ISM_E10value_typeEPSN_NS1_7vsmem_tEENKUlT_SL_SM_SN_E_clISG_PS8_SH_SH_EESK_S10_SL_SM_SN_EUlS10_E0_NS1_11comp_targetILNS1_3genE8ELNS1_11target_archE1030ELNS1_3gpuE2ELNS1_3repE0EEENS1_38merge_mergepath_config_static_selectorELNS0_4arch9wavefront6targetE1EEEvSM_.numbered_sgpr, 0
	.set _ZN7rocprim17ROCPRIM_400000_NS6detail17trampoline_kernelINS0_14default_configENS1_38merge_sort_block_merge_config_selectorIN6thrust23THRUST_200600_302600_NS4pairIiiEENS0_10empty_typeEEEZZNS1_27merge_sort_block_merge_implIS3_NS6_6detail15normal_iteratorINS6_10device_ptrIS8_EEEEPS9_mNS6_4lessIS8_EEEE10hipError_tT0_T1_T2_jT3_P12ihipStream_tbPNSt15iterator_traitsISL_E10value_typeEPNSR_ISM_E10value_typeEPSN_NS1_7vsmem_tEENKUlT_SL_SM_SN_E_clISG_PS8_SH_SH_EESK_S10_SL_SM_SN_EUlS10_E0_NS1_11comp_targetILNS1_3genE8ELNS1_11target_archE1030ELNS1_3gpuE2ELNS1_3repE0EEENS1_38merge_mergepath_config_static_selectorELNS0_4arch9wavefront6targetE1EEEvSM_.num_named_barrier, 0
	.set _ZN7rocprim17ROCPRIM_400000_NS6detail17trampoline_kernelINS0_14default_configENS1_38merge_sort_block_merge_config_selectorIN6thrust23THRUST_200600_302600_NS4pairIiiEENS0_10empty_typeEEEZZNS1_27merge_sort_block_merge_implIS3_NS6_6detail15normal_iteratorINS6_10device_ptrIS8_EEEEPS9_mNS6_4lessIS8_EEEE10hipError_tT0_T1_T2_jT3_P12ihipStream_tbPNSt15iterator_traitsISL_E10value_typeEPNSR_ISM_E10value_typeEPSN_NS1_7vsmem_tEENKUlT_SL_SM_SN_E_clISG_PS8_SH_SH_EESK_S10_SL_SM_SN_EUlS10_E0_NS1_11comp_targetILNS1_3genE8ELNS1_11target_archE1030ELNS1_3gpuE2ELNS1_3repE0EEENS1_38merge_mergepath_config_static_selectorELNS0_4arch9wavefront6targetE1EEEvSM_.private_seg_size, 0
	.set _ZN7rocprim17ROCPRIM_400000_NS6detail17trampoline_kernelINS0_14default_configENS1_38merge_sort_block_merge_config_selectorIN6thrust23THRUST_200600_302600_NS4pairIiiEENS0_10empty_typeEEEZZNS1_27merge_sort_block_merge_implIS3_NS6_6detail15normal_iteratorINS6_10device_ptrIS8_EEEEPS9_mNS6_4lessIS8_EEEE10hipError_tT0_T1_T2_jT3_P12ihipStream_tbPNSt15iterator_traitsISL_E10value_typeEPNSR_ISM_E10value_typeEPSN_NS1_7vsmem_tEENKUlT_SL_SM_SN_E_clISG_PS8_SH_SH_EESK_S10_SL_SM_SN_EUlS10_E0_NS1_11comp_targetILNS1_3genE8ELNS1_11target_archE1030ELNS1_3gpuE2ELNS1_3repE0EEENS1_38merge_mergepath_config_static_selectorELNS0_4arch9wavefront6targetE1EEEvSM_.uses_vcc, 0
	.set _ZN7rocprim17ROCPRIM_400000_NS6detail17trampoline_kernelINS0_14default_configENS1_38merge_sort_block_merge_config_selectorIN6thrust23THRUST_200600_302600_NS4pairIiiEENS0_10empty_typeEEEZZNS1_27merge_sort_block_merge_implIS3_NS6_6detail15normal_iteratorINS6_10device_ptrIS8_EEEEPS9_mNS6_4lessIS8_EEEE10hipError_tT0_T1_T2_jT3_P12ihipStream_tbPNSt15iterator_traitsISL_E10value_typeEPNSR_ISM_E10value_typeEPSN_NS1_7vsmem_tEENKUlT_SL_SM_SN_E_clISG_PS8_SH_SH_EESK_S10_SL_SM_SN_EUlS10_E0_NS1_11comp_targetILNS1_3genE8ELNS1_11target_archE1030ELNS1_3gpuE2ELNS1_3repE0EEENS1_38merge_mergepath_config_static_selectorELNS0_4arch9wavefront6targetE1EEEvSM_.uses_flat_scratch, 0
	.set _ZN7rocprim17ROCPRIM_400000_NS6detail17trampoline_kernelINS0_14default_configENS1_38merge_sort_block_merge_config_selectorIN6thrust23THRUST_200600_302600_NS4pairIiiEENS0_10empty_typeEEEZZNS1_27merge_sort_block_merge_implIS3_NS6_6detail15normal_iteratorINS6_10device_ptrIS8_EEEEPS9_mNS6_4lessIS8_EEEE10hipError_tT0_T1_T2_jT3_P12ihipStream_tbPNSt15iterator_traitsISL_E10value_typeEPNSR_ISM_E10value_typeEPSN_NS1_7vsmem_tEENKUlT_SL_SM_SN_E_clISG_PS8_SH_SH_EESK_S10_SL_SM_SN_EUlS10_E0_NS1_11comp_targetILNS1_3genE8ELNS1_11target_archE1030ELNS1_3gpuE2ELNS1_3repE0EEENS1_38merge_mergepath_config_static_selectorELNS0_4arch9wavefront6targetE1EEEvSM_.has_dyn_sized_stack, 0
	.set _ZN7rocprim17ROCPRIM_400000_NS6detail17trampoline_kernelINS0_14default_configENS1_38merge_sort_block_merge_config_selectorIN6thrust23THRUST_200600_302600_NS4pairIiiEENS0_10empty_typeEEEZZNS1_27merge_sort_block_merge_implIS3_NS6_6detail15normal_iteratorINS6_10device_ptrIS8_EEEEPS9_mNS6_4lessIS8_EEEE10hipError_tT0_T1_T2_jT3_P12ihipStream_tbPNSt15iterator_traitsISL_E10value_typeEPNSR_ISM_E10value_typeEPSN_NS1_7vsmem_tEENKUlT_SL_SM_SN_E_clISG_PS8_SH_SH_EESK_S10_SL_SM_SN_EUlS10_E0_NS1_11comp_targetILNS1_3genE8ELNS1_11target_archE1030ELNS1_3gpuE2ELNS1_3repE0EEENS1_38merge_mergepath_config_static_selectorELNS0_4arch9wavefront6targetE1EEEvSM_.has_recursion, 0
	.set _ZN7rocprim17ROCPRIM_400000_NS6detail17trampoline_kernelINS0_14default_configENS1_38merge_sort_block_merge_config_selectorIN6thrust23THRUST_200600_302600_NS4pairIiiEENS0_10empty_typeEEEZZNS1_27merge_sort_block_merge_implIS3_NS6_6detail15normal_iteratorINS6_10device_ptrIS8_EEEEPS9_mNS6_4lessIS8_EEEE10hipError_tT0_T1_T2_jT3_P12ihipStream_tbPNSt15iterator_traitsISL_E10value_typeEPNSR_ISM_E10value_typeEPSN_NS1_7vsmem_tEENKUlT_SL_SM_SN_E_clISG_PS8_SH_SH_EESK_S10_SL_SM_SN_EUlS10_E0_NS1_11comp_targetILNS1_3genE8ELNS1_11target_archE1030ELNS1_3gpuE2ELNS1_3repE0EEENS1_38merge_mergepath_config_static_selectorELNS0_4arch9wavefront6targetE1EEEvSM_.has_indirect_call, 0
	.section	.AMDGPU.csdata,"",@progbits
; Kernel info:
; codeLenInByte = 0
; TotalNumSgprs: 6
; NumVgprs: 0
; NumAgprs: 0
; TotalNumVgprs: 0
; ScratchSize: 0
; MemoryBound: 0
; FloatMode: 240
; IeeeMode: 1
; LDSByteSize: 0 bytes/workgroup (compile time only)
; SGPRBlocks: 0
; VGPRBlocks: 0
; NumSGPRsForWavesPerEU: 6
; NumVGPRsForWavesPerEU: 1
; AccumOffset: 4
; Occupancy: 8
; WaveLimiterHint : 0
; COMPUTE_PGM_RSRC2:SCRATCH_EN: 0
; COMPUTE_PGM_RSRC2:USER_SGPR: 2
; COMPUTE_PGM_RSRC2:TRAP_HANDLER: 0
; COMPUTE_PGM_RSRC2:TGID_X_EN: 1
; COMPUTE_PGM_RSRC2:TGID_Y_EN: 0
; COMPUTE_PGM_RSRC2:TGID_Z_EN: 0
; COMPUTE_PGM_RSRC2:TIDIG_COMP_CNT: 0
; COMPUTE_PGM_RSRC3_GFX90A:ACCUM_OFFSET: 0
; COMPUTE_PGM_RSRC3_GFX90A:TG_SPLIT: 0
	.section	.text._ZN7rocprim17ROCPRIM_400000_NS6detail17trampoline_kernelINS0_14default_configENS1_38merge_sort_block_merge_config_selectorIN6thrust23THRUST_200600_302600_NS4pairIiiEENS0_10empty_typeEEEZZNS1_27merge_sort_block_merge_implIS3_NS6_6detail15normal_iteratorINS6_10device_ptrIS8_EEEEPS9_mNS6_4lessIS8_EEEE10hipError_tT0_T1_T2_jT3_P12ihipStream_tbPNSt15iterator_traitsISL_E10value_typeEPNSR_ISM_E10value_typeEPSN_NS1_7vsmem_tEENKUlT_SL_SM_SN_E_clISG_PS8_SH_SH_EESK_S10_SL_SM_SN_EUlS10_E1_NS1_11comp_targetILNS1_3genE0ELNS1_11target_archE4294967295ELNS1_3gpuE0ELNS1_3repE0EEENS1_36merge_oddeven_config_static_selectorELNS0_4arch9wavefront6targetE1EEEvSM_,"axG",@progbits,_ZN7rocprim17ROCPRIM_400000_NS6detail17trampoline_kernelINS0_14default_configENS1_38merge_sort_block_merge_config_selectorIN6thrust23THRUST_200600_302600_NS4pairIiiEENS0_10empty_typeEEEZZNS1_27merge_sort_block_merge_implIS3_NS6_6detail15normal_iteratorINS6_10device_ptrIS8_EEEEPS9_mNS6_4lessIS8_EEEE10hipError_tT0_T1_T2_jT3_P12ihipStream_tbPNSt15iterator_traitsISL_E10value_typeEPNSR_ISM_E10value_typeEPSN_NS1_7vsmem_tEENKUlT_SL_SM_SN_E_clISG_PS8_SH_SH_EESK_S10_SL_SM_SN_EUlS10_E1_NS1_11comp_targetILNS1_3genE0ELNS1_11target_archE4294967295ELNS1_3gpuE0ELNS1_3repE0EEENS1_36merge_oddeven_config_static_selectorELNS0_4arch9wavefront6targetE1EEEvSM_,comdat
	.protected	_ZN7rocprim17ROCPRIM_400000_NS6detail17trampoline_kernelINS0_14default_configENS1_38merge_sort_block_merge_config_selectorIN6thrust23THRUST_200600_302600_NS4pairIiiEENS0_10empty_typeEEEZZNS1_27merge_sort_block_merge_implIS3_NS6_6detail15normal_iteratorINS6_10device_ptrIS8_EEEEPS9_mNS6_4lessIS8_EEEE10hipError_tT0_T1_T2_jT3_P12ihipStream_tbPNSt15iterator_traitsISL_E10value_typeEPNSR_ISM_E10value_typeEPSN_NS1_7vsmem_tEENKUlT_SL_SM_SN_E_clISG_PS8_SH_SH_EESK_S10_SL_SM_SN_EUlS10_E1_NS1_11comp_targetILNS1_3genE0ELNS1_11target_archE4294967295ELNS1_3gpuE0ELNS1_3repE0EEENS1_36merge_oddeven_config_static_selectorELNS0_4arch9wavefront6targetE1EEEvSM_ ; -- Begin function _ZN7rocprim17ROCPRIM_400000_NS6detail17trampoline_kernelINS0_14default_configENS1_38merge_sort_block_merge_config_selectorIN6thrust23THRUST_200600_302600_NS4pairIiiEENS0_10empty_typeEEEZZNS1_27merge_sort_block_merge_implIS3_NS6_6detail15normal_iteratorINS6_10device_ptrIS8_EEEEPS9_mNS6_4lessIS8_EEEE10hipError_tT0_T1_T2_jT3_P12ihipStream_tbPNSt15iterator_traitsISL_E10value_typeEPNSR_ISM_E10value_typeEPSN_NS1_7vsmem_tEENKUlT_SL_SM_SN_E_clISG_PS8_SH_SH_EESK_S10_SL_SM_SN_EUlS10_E1_NS1_11comp_targetILNS1_3genE0ELNS1_11target_archE4294967295ELNS1_3gpuE0ELNS1_3repE0EEENS1_36merge_oddeven_config_static_selectorELNS0_4arch9wavefront6targetE1EEEvSM_
	.globl	_ZN7rocprim17ROCPRIM_400000_NS6detail17trampoline_kernelINS0_14default_configENS1_38merge_sort_block_merge_config_selectorIN6thrust23THRUST_200600_302600_NS4pairIiiEENS0_10empty_typeEEEZZNS1_27merge_sort_block_merge_implIS3_NS6_6detail15normal_iteratorINS6_10device_ptrIS8_EEEEPS9_mNS6_4lessIS8_EEEE10hipError_tT0_T1_T2_jT3_P12ihipStream_tbPNSt15iterator_traitsISL_E10value_typeEPNSR_ISM_E10value_typeEPSN_NS1_7vsmem_tEENKUlT_SL_SM_SN_E_clISG_PS8_SH_SH_EESK_S10_SL_SM_SN_EUlS10_E1_NS1_11comp_targetILNS1_3genE0ELNS1_11target_archE4294967295ELNS1_3gpuE0ELNS1_3repE0EEENS1_36merge_oddeven_config_static_selectorELNS0_4arch9wavefront6targetE1EEEvSM_
	.p2align	8
	.type	_ZN7rocprim17ROCPRIM_400000_NS6detail17trampoline_kernelINS0_14default_configENS1_38merge_sort_block_merge_config_selectorIN6thrust23THRUST_200600_302600_NS4pairIiiEENS0_10empty_typeEEEZZNS1_27merge_sort_block_merge_implIS3_NS6_6detail15normal_iteratorINS6_10device_ptrIS8_EEEEPS9_mNS6_4lessIS8_EEEE10hipError_tT0_T1_T2_jT3_P12ihipStream_tbPNSt15iterator_traitsISL_E10value_typeEPNSR_ISM_E10value_typeEPSN_NS1_7vsmem_tEENKUlT_SL_SM_SN_E_clISG_PS8_SH_SH_EESK_S10_SL_SM_SN_EUlS10_E1_NS1_11comp_targetILNS1_3genE0ELNS1_11target_archE4294967295ELNS1_3gpuE0ELNS1_3repE0EEENS1_36merge_oddeven_config_static_selectorELNS0_4arch9wavefront6targetE1EEEvSM_,@function
_ZN7rocprim17ROCPRIM_400000_NS6detail17trampoline_kernelINS0_14default_configENS1_38merge_sort_block_merge_config_selectorIN6thrust23THRUST_200600_302600_NS4pairIiiEENS0_10empty_typeEEEZZNS1_27merge_sort_block_merge_implIS3_NS6_6detail15normal_iteratorINS6_10device_ptrIS8_EEEEPS9_mNS6_4lessIS8_EEEE10hipError_tT0_T1_T2_jT3_P12ihipStream_tbPNSt15iterator_traitsISL_E10value_typeEPNSR_ISM_E10value_typeEPSN_NS1_7vsmem_tEENKUlT_SL_SM_SN_E_clISG_PS8_SH_SH_EESK_S10_SL_SM_SN_EUlS10_E1_NS1_11comp_targetILNS1_3genE0ELNS1_11target_archE4294967295ELNS1_3gpuE0ELNS1_3repE0EEENS1_36merge_oddeven_config_static_selectorELNS0_4arch9wavefront6targetE1EEEvSM_: ; @_ZN7rocprim17ROCPRIM_400000_NS6detail17trampoline_kernelINS0_14default_configENS1_38merge_sort_block_merge_config_selectorIN6thrust23THRUST_200600_302600_NS4pairIiiEENS0_10empty_typeEEEZZNS1_27merge_sort_block_merge_implIS3_NS6_6detail15normal_iteratorINS6_10device_ptrIS8_EEEEPS9_mNS6_4lessIS8_EEEE10hipError_tT0_T1_T2_jT3_P12ihipStream_tbPNSt15iterator_traitsISL_E10value_typeEPNSR_ISM_E10value_typeEPSN_NS1_7vsmem_tEENKUlT_SL_SM_SN_E_clISG_PS8_SH_SH_EESK_S10_SL_SM_SN_EUlS10_E1_NS1_11comp_targetILNS1_3genE0ELNS1_11target_archE4294967295ELNS1_3gpuE0ELNS1_3repE0EEENS1_36merge_oddeven_config_static_selectorELNS0_4arch9wavefront6targetE1EEEvSM_
; %bb.0:
	s_load_dword s3, s[0:1], 0x20
	s_lshl_b32 s16, s2, 8
	s_waitcnt lgkmcnt(0)
	s_lshr_b32 s4, s3, 8
	s_cmp_lg_u32 s2, s4
	s_cselect_b64 s[12:13], -1, 0
	s_cmp_eq_u32 s2, s4
	s_cselect_b64 s[14:15], -1, 0
	s_sub_i32 s4, s3, s16
	v_cmp_gt_u32_e64 s[4:5], s4, v0
	s_or_b64 s[6:7], s[12:13], s[4:5]
	s_and_saveexec_b64 s[8:9], s[6:7]
	s_cbranch_execz .LBB673_28
; %bb.1:
	s_load_dwordx4 s[8:11], s[0:1], 0x0
	s_load_dword s18, s[0:1], 0x28
	s_mov_b32 s17, 0
	s_lshl_b64 s[0:1], s[16:17], 3
	v_lshlrev_b32_e32 v1, 3, v0
	s_waitcnt lgkmcnt(0)
	s_add_u32 s0, s8, s0
	s_addc_u32 s1, s9, s1
	global_load_dwordx2 v[2:3], v1, s[0:1]
	s_lshr_b32 s0, s18, 8
	s_sub_i32 s1, 0, s0
	s_and_b32 s1, s2, s1
	s_and_b32 s0, s1, s0
	s_cmp_lg_u32 s0, 0
	s_cselect_b64 s[6:7], -1, 0
	s_lshl_b32 s2, s1, 8
	s_sub_i32 s1, 0, s18
	s_cmp_eq_u32 s0, 0
	s_cselect_b32 s22, s18, s1
	s_add_i32 s22, s22, s2
	s_cmp_lt_u32 s22, s3
	v_add_u32_e32 v0, s16, v0
	s_cbranch_scc1 .LBB673_3
; %bb.2:
	v_cmp_gt_u32_e32 vcc, s3, v0
	s_or_b64 s[12:13], vcc, s[12:13]
	s_and_b64 s[12:13], s[12:13], exec
	s_cbranch_execz .LBB673_4
	s_branch .LBB673_26
.LBB673_3:
	s_mov_b64 s[12:13], 0
.LBB673_4:
	s_min_u32 s23, s22, s3
	s_add_i32 s0, s23, s18
	s_min_u32 s24, s0, s3
	s_min_u32 s0, s2, s23
	s_add_i32 s2, s2, s23
	v_subrev_u32_e32 v0, s2, v0
	v_add_u32_e32 v6, s0, v0
	s_and_b64 vcc, exec, s[14:15]
	s_cbranch_vccz .LBB673_13
; %bb.5:
                                        ; implicit-def: $vgpr0
	s_and_saveexec_b64 s[14:15], s[4:5]
	s_cbranch_execz .LBB673_16
; %bb.6:
	s_cmp_ge_u32 s22, s24
	v_mov_b32_e32 v7, s23
	s_cbranch_scc1 .LBB673_15
; %bb.7:
	v_cndmask_b32_e64 v0, 0, 1, s[6:7]
	s_mov_b64 s[16:17], 0
	v_mov_b32_e32 v8, s24
	v_mov_b32_e32 v7, s23
	;; [unrolled: 1-line block ×3, first 2 shown]
	v_cmp_ne_u32_e64 s[0:1], 1, v0
	s_branch .LBB673_9
.LBB673_8:                              ;   in Loop: Header=BB673_9 Depth=1
	v_add_u32_e32 v4, 1, v0
	v_cndmask_b32_e64 v8, v0, v8, s[18:19]
	v_cndmask_b32_e64 v7, v7, v4, s[18:19]
	v_cmp_ge_u32_e32 vcc, v7, v8
	s_or_b64 s[16:17], vcc, s[16:17]
	s_andn2_b64 exec, exec, s[16:17]
	s_cbranch_execz .LBB673_14
.LBB673_9:                              ; =>This Inner Loop Header: Depth=1
	v_add_u32_e32 v0, v7, v8
	v_lshrrev_b32_e32 v0, 1, v0
	v_lshl_add_u64 v[4:5], v[0:1], 3, s[8:9]
	global_load_dwordx2 v[4:5], v[4:5], off
	s_mov_b64 s[20:21], -1
	s_and_b64 vcc, exec, s[0:1]
                                        ; implicit-def: $sgpr18_sgpr19
	s_waitcnt vmcnt(0)
	v_cmp_le_i32_e64 s[2:3], v4, v2
	v_cmp_lt_i32_e64 s[4:5], v4, v2
	s_cbranch_vccnz .LBB673_11
; %bb.10:                               ;   in Loop: Header=BB673_9 Depth=1
	v_cmp_le_i32_e32 vcc, v5, v3
	s_or_b64 s[4:5], s[4:5], vcc
	s_and_b64 s[18:19], s[2:3], s[4:5]
	s_mov_b64 s[20:21], 0
.LBB673_11:                             ;   in Loop: Header=BB673_9 Depth=1
	s_andn2_b64 vcc, exec, s[20:21]
	s_cbranch_vccnz .LBB673_8
; %bb.12:                               ;   in Loop: Header=BB673_9 Depth=1
	v_cmp_le_i32_e64 s[2:3], v4, v2
	v_cmp_lt_i32_e64 s[4:5], v5, v3
	v_cmp_lt_i32_e32 vcc, v4, v2
	s_and_b64 s[2:3], s[2:3], s[4:5]
	s_or_b64 s[2:3], vcc, s[2:3]
	s_andn2_b64 s[4:5], s[18:19], exec
	s_and_b64 s[2:3], s[2:3], exec
	s_or_b64 s[18:19], s[4:5], s[2:3]
	s_branch .LBB673_8
.LBB673_13:
                                        ; implicit-def: $vgpr0
	s_cbranch_execnz .LBB673_17
	s_branch .LBB673_26
.LBB673_14:
	s_or_b64 exec, exec, s[16:17]
.LBB673_15:
	v_add_u32_e32 v0, v7, v6
	s_or_b64 s[12:13], s[12:13], exec
.LBB673_16:
	s_or_b64 exec, exec, s[14:15]
	s_branch .LBB673_26
.LBB673_17:
	s_cmp_ge_u32 s22, s24
	v_mov_b32_e32 v7, s23
	s_cbranch_scc1 .LBB673_25
; %bb.18:
	v_cndmask_b32_e64 v0, 0, 1, s[6:7]
	s_mov_b64 s[12:13], 0
	v_mov_b32_e32 v8, s24
	v_mov_b32_e32 v7, s23
	;; [unrolled: 1-line block ×3, first 2 shown]
	v_cmp_ne_u32_e64 s[0:1], 1, v0
	s_branch .LBB673_20
.LBB673_19:                             ;   in Loop: Header=BB673_20 Depth=1
	v_add_u32_e32 v4, 1, v0
	v_cndmask_b32_e64 v8, v0, v8, s[6:7]
	v_cndmask_b32_e64 v7, v7, v4, s[6:7]
	v_cmp_ge_u32_e32 vcc, v7, v8
	s_or_b64 s[12:13], vcc, s[12:13]
	s_andn2_b64 exec, exec, s[12:13]
	s_cbranch_execz .LBB673_24
.LBB673_20:                             ; =>This Inner Loop Header: Depth=1
	v_add_u32_e32 v0, v7, v8
	v_lshrrev_b32_e32 v0, 1, v0
	v_lshl_add_u64 v[4:5], v[0:1], 3, s[8:9]
	global_load_dwordx2 v[4:5], v[4:5], off
	s_mov_b64 s[14:15], -1
	s_and_b64 vcc, exec, s[0:1]
                                        ; implicit-def: $sgpr6_sgpr7
	s_waitcnt vmcnt(0)
	v_cmp_le_i32_e64 s[2:3], v4, v2
	v_cmp_lt_i32_e64 s[4:5], v4, v2
	s_cbranch_vccnz .LBB673_22
; %bb.21:                               ;   in Loop: Header=BB673_20 Depth=1
	v_cmp_le_i32_e32 vcc, v5, v3
	s_or_b64 s[4:5], s[4:5], vcc
	s_and_b64 s[6:7], s[2:3], s[4:5]
	s_mov_b64 s[14:15], 0
.LBB673_22:                             ;   in Loop: Header=BB673_20 Depth=1
	s_andn2_b64 vcc, exec, s[14:15]
	s_cbranch_vccnz .LBB673_19
; %bb.23:                               ;   in Loop: Header=BB673_20 Depth=1
	v_cmp_le_i32_e64 s[2:3], v4, v2
	v_cmp_lt_i32_e64 s[4:5], v5, v3
	v_cmp_lt_i32_e32 vcc, v4, v2
	s_and_b64 s[2:3], s[2:3], s[4:5]
	s_or_b64 s[2:3], vcc, s[2:3]
	s_andn2_b64 s[4:5], s[6:7], exec
	s_and_b64 s[2:3], s[2:3], exec
	s_or_b64 s[6:7], s[4:5], s[2:3]
	s_branch .LBB673_19
.LBB673_24:
	s_or_b64 exec, exec, s[12:13]
.LBB673_25:
	v_add_u32_e32 v0, v7, v6
	s_mov_b64 s[12:13], -1
.LBB673_26:
	s_and_b64 exec, exec, s[12:13]
	s_cbranch_execz .LBB673_28
; %bb.27:
	v_mov_b32_e32 v4, s10
	v_mov_b32_e32 v5, s11
	;; [unrolled: 1-line block ×3, first 2 shown]
	v_lshl_add_u64 v[0:1], v[0:1], 3, v[4:5]
	s_waitcnt vmcnt(0)
	global_store_dwordx2 v[0:1], v[2:3], off
.LBB673_28:
	s_endpgm
	.section	.rodata,"a",@progbits
	.p2align	6, 0x0
	.amdhsa_kernel _ZN7rocprim17ROCPRIM_400000_NS6detail17trampoline_kernelINS0_14default_configENS1_38merge_sort_block_merge_config_selectorIN6thrust23THRUST_200600_302600_NS4pairIiiEENS0_10empty_typeEEEZZNS1_27merge_sort_block_merge_implIS3_NS6_6detail15normal_iteratorINS6_10device_ptrIS8_EEEEPS9_mNS6_4lessIS8_EEEE10hipError_tT0_T1_T2_jT3_P12ihipStream_tbPNSt15iterator_traitsISL_E10value_typeEPNSR_ISM_E10value_typeEPSN_NS1_7vsmem_tEENKUlT_SL_SM_SN_E_clISG_PS8_SH_SH_EESK_S10_SL_SM_SN_EUlS10_E1_NS1_11comp_targetILNS1_3genE0ELNS1_11target_archE4294967295ELNS1_3gpuE0ELNS1_3repE0EEENS1_36merge_oddeven_config_static_selectorELNS0_4arch9wavefront6targetE1EEEvSM_
		.amdhsa_group_segment_fixed_size 0
		.amdhsa_private_segment_fixed_size 0
		.amdhsa_kernarg_size 56
		.amdhsa_user_sgpr_count 2
		.amdhsa_user_sgpr_dispatch_ptr 0
		.amdhsa_user_sgpr_queue_ptr 0
		.amdhsa_user_sgpr_kernarg_segment_ptr 1
		.amdhsa_user_sgpr_dispatch_id 0
		.amdhsa_user_sgpr_kernarg_preload_length 0
		.amdhsa_user_sgpr_kernarg_preload_offset 0
		.amdhsa_user_sgpr_private_segment_size 0
		.amdhsa_uses_dynamic_stack 0
		.amdhsa_enable_private_segment 0
		.amdhsa_system_sgpr_workgroup_id_x 1
		.amdhsa_system_sgpr_workgroup_id_y 0
		.amdhsa_system_sgpr_workgroup_id_z 0
		.amdhsa_system_sgpr_workgroup_info 0
		.amdhsa_system_vgpr_workitem_id 0
		.amdhsa_next_free_vgpr 9
		.amdhsa_next_free_sgpr 25
		.amdhsa_accum_offset 12
		.amdhsa_reserve_vcc 1
		.amdhsa_float_round_mode_32 0
		.amdhsa_float_round_mode_16_64 0
		.amdhsa_float_denorm_mode_32 3
		.amdhsa_float_denorm_mode_16_64 3
		.amdhsa_dx10_clamp 1
		.amdhsa_ieee_mode 1
		.amdhsa_fp16_overflow 0
		.amdhsa_tg_split 0
		.amdhsa_exception_fp_ieee_invalid_op 0
		.amdhsa_exception_fp_denorm_src 0
		.amdhsa_exception_fp_ieee_div_zero 0
		.amdhsa_exception_fp_ieee_overflow 0
		.amdhsa_exception_fp_ieee_underflow 0
		.amdhsa_exception_fp_ieee_inexact 0
		.amdhsa_exception_int_div_zero 0
	.end_amdhsa_kernel
	.section	.text._ZN7rocprim17ROCPRIM_400000_NS6detail17trampoline_kernelINS0_14default_configENS1_38merge_sort_block_merge_config_selectorIN6thrust23THRUST_200600_302600_NS4pairIiiEENS0_10empty_typeEEEZZNS1_27merge_sort_block_merge_implIS3_NS6_6detail15normal_iteratorINS6_10device_ptrIS8_EEEEPS9_mNS6_4lessIS8_EEEE10hipError_tT0_T1_T2_jT3_P12ihipStream_tbPNSt15iterator_traitsISL_E10value_typeEPNSR_ISM_E10value_typeEPSN_NS1_7vsmem_tEENKUlT_SL_SM_SN_E_clISG_PS8_SH_SH_EESK_S10_SL_SM_SN_EUlS10_E1_NS1_11comp_targetILNS1_3genE0ELNS1_11target_archE4294967295ELNS1_3gpuE0ELNS1_3repE0EEENS1_36merge_oddeven_config_static_selectorELNS0_4arch9wavefront6targetE1EEEvSM_,"axG",@progbits,_ZN7rocprim17ROCPRIM_400000_NS6detail17trampoline_kernelINS0_14default_configENS1_38merge_sort_block_merge_config_selectorIN6thrust23THRUST_200600_302600_NS4pairIiiEENS0_10empty_typeEEEZZNS1_27merge_sort_block_merge_implIS3_NS6_6detail15normal_iteratorINS6_10device_ptrIS8_EEEEPS9_mNS6_4lessIS8_EEEE10hipError_tT0_T1_T2_jT3_P12ihipStream_tbPNSt15iterator_traitsISL_E10value_typeEPNSR_ISM_E10value_typeEPSN_NS1_7vsmem_tEENKUlT_SL_SM_SN_E_clISG_PS8_SH_SH_EESK_S10_SL_SM_SN_EUlS10_E1_NS1_11comp_targetILNS1_3genE0ELNS1_11target_archE4294967295ELNS1_3gpuE0ELNS1_3repE0EEENS1_36merge_oddeven_config_static_selectorELNS0_4arch9wavefront6targetE1EEEvSM_,comdat
.Lfunc_end673:
	.size	_ZN7rocprim17ROCPRIM_400000_NS6detail17trampoline_kernelINS0_14default_configENS1_38merge_sort_block_merge_config_selectorIN6thrust23THRUST_200600_302600_NS4pairIiiEENS0_10empty_typeEEEZZNS1_27merge_sort_block_merge_implIS3_NS6_6detail15normal_iteratorINS6_10device_ptrIS8_EEEEPS9_mNS6_4lessIS8_EEEE10hipError_tT0_T1_T2_jT3_P12ihipStream_tbPNSt15iterator_traitsISL_E10value_typeEPNSR_ISM_E10value_typeEPSN_NS1_7vsmem_tEENKUlT_SL_SM_SN_E_clISG_PS8_SH_SH_EESK_S10_SL_SM_SN_EUlS10_E1_NS1_11comp_targetILNS1_3genE0ELNS1_11target_archE4294967295ELNS1_3gpuE0ELNS1_3repE0EEENS1_36merge_oddeven_config_static_selectorELNS0_4arch9wavefront6targetE1EEEvSM_, .Lfunc_end673-_ZN7rocprim17ROCPRIM_400000_NS6detail17trampoline_kernelINS0_14default_configENS1_38merge_sort_block_merge_config_selectorIN6thrust23THRUST_200600_302600_NS4pairIiiEENS0_10empty_typeEEEZZNS1_27merge_sort_block_merge_implIS3_NS6_6detail15normal_iteratorINS6_10device_ptrIS8_EEEEPS9_mNS6_4lessIS8_EEEE10hipError_tT0_T1_T2_jT3_P12ihipStream_tbPNSt15iterator_traitsISL_E10value_typeEPNSR_ISM_E10value_typeEPSN_NS1_7vsmem_tEENKUlT_SL_SM_SN_E_clISG_PS8_SH_SH_EESK_S10_SL_SM_SN_EUlS10_E1_NS1_11comp_targetILNS1_3genE0ELNS1_11target_archE4294967295ELNS1_3gpuE0ELNS1_3repE0EEENS1_36merge_oddeven_config_static_selectorELNS0_4arch9wavefront6targetE1EEEvSM_
                                        ; -- End function
	.set _ZN7rocprim17ROCPRIM_400000_NS6detail17trampoline_kernelINS0_14default_configENS1_38merge_sort_block_merge_config_selectorIN6thrust23THRUST_200600_302600_NS4pairIiiEENS0_10empty_typeEEEZZNS1_27merge_sort_block_merge_implIS3_NS6_6detail15normal_iteratorINS6_10device_ptrIS8_EEEEPS9_mNS6_4lessIS8_EEEE10hipError_tT0_T1_T2_jT3_P12ihipStream_tbPNSt15iterator_traitsISL_E10value_typeEPNSR_ISM_E10value_typeEPSN_NS1_7vsmem_tEENKUlT_SL_SM_SN_E_clISG_PS8_SH_SH_EESK_S10_SL_SM_SN_EUlS10_E1_NS1_11comp_targetILNS1_3genE0ELNS1_11target_archE4294967295ELNS1_3gpuE0ELNS1_3repE0EEENS1_36merge_oddeven_config_static_selectorELNS0_4arch9wavefront6targetE1EEEvSM_.num_vgpr, 9
	.set _ZN7rocprim17ROCPRIM_400000_NS6detail17trampoline_kernelINS0_14default_configENS1_38merge_sort_block_merge_config_selectorIN6thrust23THRUST_200600_302600_NS4pairIiiEENS0_10empty_typeEEEZZNS1_27merge_sort_block_merge_implIS3_NS6_6detail15normal_iteratorINS6_10device_ptrIS8_EEEEPS9_mNS6_4lessIS8_EEEE10hipError_tT0_T1_T2_jT3_P12ihipStream_tbPNSt15iterator_traitsISL_E10value_typeEPNSR_ISM_E10value_typeEPSN_NS1_7vsmem_tEENKUlT_SL_SM_SN_E_clISG_PS8_SH_SH_EESK_S10_SL_SM_SN_EUlS10_E1_NS1_11comp_targetILNS1_3genE0ELNS1_11target_archE4294967295ELNS1_3gpuE0ELNS1_3repE0EEENS1_36merge_oddeven_config_static_selectorELNS0_4arch9wavefront6targetE1EEEvSM_.num_agpr, 0
	.set _ZN7rocprim17ROCPRIM_400000_NS6detail17trampoline_kernelINS0_14default_configENS1_38merge_sort_block_merge_config_selectorIN6thrust23THRUST_200600_302600_NS4pairIiiEENS0_10empty_typeEEEZZNS1_27merge_sort_block_merge_implIS3_NS6_6detail15normal_iteratorINS6_10device_ptrIS8_EEEEPS9_mNS6_4lessIS8_EEEE10hipError_tT0_T1_T2_jT3_P12ihipStream_tbPNSt15iterator_traitsISL_E10value_typeEPNSR_ISM_E10value_typeEPSN_NS1_7vsmem_tEENKUlT_SL_SM_SN_E_clISG_PS8_SH_SH_EESK_S10_SL_SM_SN_EUlS10_E1_NS1_11comp_targetILNS1_3genE0ELNS1_11target_archE4294967295ELNS1_3gpuE0ELNS1_3repE0EEENS1_36merge_oddeven_config_static_selectorELNS0_4arch9wavefront6targetE1EEEvSM_.numbered_sgpr, 25
	.set _ZN7rocprim17ROCPRIM_400000_NS6detail17trampoline_kernelINS0_14default_configENS1_38merge_sort_block_merge_config_selectorIN6thrust23THRUST_200600_302600_NS4pairIiiEENS0_10empty_typeEEEZZNS1_27merge_sort_block_merge_implIS3_NS6_6detail15normal_iteratorINS6_10device_ptrIS8_EEEEPS9_mNS6_4lessIS8_EEEE10hipError_tT0_T1_T2_jT3_P12ihipStream_tbPNSt15iterator_traitsISL_E10value_typeEPNSR_ISM_E10value_typeEPSN_NS1_7vsmem_tEENKUlT_SL_SM_SN_E_clISG_PS8_SH_SH_EESK_S10_SL_SM_SN_EUlS10_E1_NS1_11comp_targetILNS1_3genE0ELNS1_11target_archE4294967295ELNS1_3gpuE0ELNS1_3repE0EEENS1_36merge_oddeven_config_static_selectorELNS0_4arch9wavefront6targetE1EEEvSM_.num_named_barrier, 0
	.set _ZN7rocprim17ROCPRIM_400000_NS6detail17trampoline_kernelINS0_14default_configENS1_38merge_sort_block_merge_config_selectorIN6thrust23THRUST_200600_302600_NS4pairIiiEENS0_10empty_typeEEEZZNS1_27merge_sort_block_merge_implIS3_NS6_6detail15normal_iteratorINS6_10device_ptrIS8_EEEEPS9_mNS6_4lessIS8_EEEE10hipError_tT0_T1_T2_jT3_P12ihipStream_tbPNSt15iterator_traitsISL_E10value_typeEPNSR_ISM_E10value_typeEPSN_NS1_7vsmem_tEENKUlT_SL_SM_SN_E_clISG_PS8_SH_SH_EESK_S10_SL_SM_SN_EUlS10_E1_NS1_11comp_targetILNS1_3genE0ELNS1_11target_archE4294967295ELNS1_3gpuE0ELNS1_3repE0EEENS1_36merge_oddeven_config_static_selectorELNS0_4arch9wavefront6targetE1EEEvSM_.private_seg_size, 0
	.set _ZN7rocprim17ROCPRIM_400000_NS6detail17trampoline_kernelINS0_14default_configENS1_38merge_sort_block_merge_config_selectorIN6thrust23THRUST_200600_302600_NS4pairIiiEENS0_10empty_typeEEEZZNS1_27merge_sort_block_merge_implIS3_NS6_6detail15normal_iteratorINS6_10device_ptrIS8_EEEEPS9_mNS6_4lessIS8_EEEE10hipError_tT0_T1_T2_jT3_P12ihipStream_tbPNSt15iterator_traitsISL_E10value_typeEPNSR_ISM_E10value_typeEPSN_NS1_7vsmem_tEENKUlT_SL_SM_SN_E_clISG_PS8_SH_SH_EESK_S10_SL_SM_SN_EUlS10_E1_NS1_11comp_targetILNS1_3genE0ELNS1_11target_archE4294967295ELNS1_3gpuE0ELNS1_3repE0EEENS1_36merge_oddeven_config_static_selectorELNS0_4arch9wavefront6targetE1EEEvSM_.uses_vcc, 1
	.set _ZN7rocprim17ROCPRIM_400000_NS6detail17trampoline_kernelINS0_14default_configENS1_38merge_sort_block_merge_config_selectorIN6thrust23THRUST_200600_302600_NS4pairIiiEENS0_10empty_typeEEEZZNS1_27merge_sort_block_merge_implIS3_NS6_6detail15normal_iteratorINS6_10device_ptrIS8_EEEEPS9_mNS6_4lessIS8_EEEE10hipError_tT0_T1_T2_jT3_P12ihipStream_tbPNSt15iterator_traitsISL_E10value_typeEPNSR_ISM_E10value_typeEPSN_NS1_7vsmem_tEENKUlT_SL_SM_SN_E_clISG_PS8_SH_SH_EESK_S10_SL_SM_SN_EUlS10_E1_NS1_11comp_targetILNS1_3genE0ELNS1_11target_archE4294967295ELNS1_3gpuE0ELNS1_3repE0EEENS1_36merge_oddeven_config_static_selectorELNS0_4arch9wavefront6targetE1EEEvSM_.uses_flat_scratch, 0
	.set _ZN7rocprim17ROCPRIM_400000_NS6detail17trampoline_kernelINS0_14default_configENS1_38merge_sort_block_merge_config_selectorIN6thrust23THRUST_200600_302600_NS4pairIiiEENS0_10empty_typeEEEZZNS1_27merge_sort_block_merge_implIS3_NS6_6detail15normal_iteratorINS6_10device_ptrIS8_EEEEPS9_mNS6_4lessIS8_EEEE10hipError_tT0_T1_T2_jT3_P12ihipStream_tbPNSt15iterator_traitsISL_E10value_typeEPNSR_ISM_E10value_typeEPSN_NS1_7vsmem_tEENKUlT_SL_SM_SN_E_clISG_PS8_SH_SH_EESK_S10_SL_SM_SN_EUlS10_E1_NS1_11comp_targetILNS1_3genE0ELNS1_11target_archE4294967295ELNS1_3gpuE0ELNS1_3repE0EEENS1_36merge_oddeven_config_static_selectorELNS0_4arch9wavefront6targetE1EEEvSM_.has_dyn_sized_stack, 0
	.set _ZN7rocprim17ROCPRIM_400000_NS6detail17trampoline_kernelINS0_14default_configENS1_38merge_sort_block_merge_config_selectorIN6thrust23THRUST_200600_302600_NS4pairIiiEENS0_10empty_typeEEEZZNS1_27merge_sort_block_merge_implIS3_NS6_6detail15normal_iteratorINS6_10device_ptrIS8_EEEEPS9_mNS6_4lessIS8_EEEE10hipError_tT0_T1_T2_jT3_P12ihipStream_tbPNSt15iterator_traitsISL_E10value_typeEPNSR_ISM_E10value_typeEPSN_NS1_7vsmem_tEENKUlT_SL_SM_SN_E_clISG_PS8_SH_SH_EESK_S10_SL_SM_SN_EUlS10_E1_NS1_11comp_targetILNS1_3genE0ELNS1_11target_archE4294967295ELNS1_3gpuE0ELNS1_3repE0EEENS1_36merge_oddeven_config_static_selectorELNS0_4arch9wavefront6targetE1EEEvSM_.has_recursion, 0
	.set _ZN7rocprim17ROCPRIM_400000_NS6detail17trampoline_kernelINS0_14default_configENS1_38merge_sort_block_merge_config_selectorIN6thrust23THRUST_200600_302600_NS4pairIiiEENS0_10empty_typeEEEZZNS1_27merge_sort_block_merge_implIS3_NS6_6detail15normal_iteratorINS6_10device_ptrIS8_EEEEPS9_mNS6_4lessIS8_EEEE10hipError_tT0_T1_T2_jT3_P12ihipStream_tbPNSt15iterator_traitsISL_E10value_typeEPNSR_ISM_E10value_typeEPSN_NS1_7vsmem_tEENKUlT_SL_SM_SN_E_clISG_PS8_SH_SH_EESK_S10_SL_SM_SN_EUlS10_E1_NS1_11comp_targetILNS1_3genE0ELNS1_11target_archE4294967295ELNS1_3gpuE0ELNS1_3repE0EEENS1_36merge_oddeven_config_static_selectorELNS0_4arch9wavefront6targetE1EEEvSM_.has_indirect_call, 0
	.section	.AMDGPU.csdata,"",@progbits
; Kernel info:
; codeLenInByte = 732
; TotalNumSgprs: 31
; NumVgprs: 9
; NumAgprs: 0
; TotalNumVgprs: 9
; ScratchSize: 0
; MemoryBound: 0
; FloatMode: 240
; IeeeMode: 1
; LDSByteSize: 0 bytes/workgroup (compile time only)
; SGPRBlocks: 3
; VGPRBlocks: 1
; NumSGPRsForWavesPerEU: 31
; NumVGPRsForWavesPerEU: 9
; AccumOffset: 12
; Occupancy: 8
; WaveLimiterHint : 0
; COMPUTE_PGM_RSRC2:SCRATCH_EN: 0
; COMPUTE_PGM_RSRC2:USER_SGPR: 2
; COMPUTE_PGM_RSRC2:TRAP_HANDLER: 0
; COMPUTE_PGM_RSRC2:TGID_X_EN: 1
; COMPUTE_PGM_RSRC2:TGID_Y_EN: 0
; COMPUTE_PGM_RSRC2:TGID_Z_EN: 0
; COMPUTE_PGM_RSRC2:TIDIG_COMP_CNT: 0
; COMPUTE_PGM_RSRC3_GFX90A:ACCUM_OFFSET: 2
; COMPUTE_PGM_RSRC3_GFX90A:TG_SPLIT: 0
	.section	.text._ZN7rocprim17ROCPRIM_400000_NS6detail17trampoline_kernelINS0_14default_configENS1_38merge_sort_block_merge_config_selectorIN6thrust23THRUST_200600_302600_NS4pairIiiEENS0_10empty_typeEEEZZNS1_27merge_sort_block_merge_implIS3_NS6_6detail15normal_iteratorINS6_10device_ptrIS8_EEEEPS9_mNS6_4lessIS8_EEEE10hipError_tT0_T1_T2_jT3_P12ihipStream_tbPNSt15iterator_traitsISL_E10value_typeEPNSR_ISM_E10value_typeEPSN_NS1_7vsmem_tEENKUlT_SL_SM_SN_E_clISG_PS8_SH_SH_EESK_S10_SL_SM_SN_EUlS10_E1_NS1_11comp_targetILNS1_3genE10ELNS1_11target_archE1201ELNS1_3gpuE5ELNS1_3repE0EEENS1_36merge_oddeven_config_static_selectorELNS0_4arch9wavefront6targetE1EEEvSM_,"axG",@progbits,_ZN7rocprim17ROCPRIM_400000_NS6detail17trampoline_kernelINS0_14default_configENS1_38merge_sort_block_merge_config_selectorIN6thrust23THRUST_200600_302600_NS4pairIiiEENS0_10empty_typeEEEZZNS1_27merge_sort_block_merge_implIS3_NS6_6detail15normal_iteratorINS6_10device_ptrIS8_EEEEPS9_mNS6_4lessIS8_EEEE10hipError_tT0_T1_T2_jT3_P12ihipStream_tbPNSt15iterator_traitsISL_E10value_typeEPNSR_ISM_E10value_typeEPSN_NS1_7vsmem_tEENKUlT_SL_SM_SN_E_clISG_PS8_SH_SH_EESK_S10_SL_SM_SN_EUlS10_E1_NS1_11comp_targetILNS1_3genE10ELNS1_11target_archE1201ELNS1_3gpuE5ELNS1_3repE0EEENS1_36merge_oddeven_config_static_selectorELNS0_4arch9wavefront6targetE1EEEvSM_,comdat
	.protected	_ZN7rocprim17ROCPRIM_400000_NS6detail17trampoline_kernelINS0_14default_configENS1_38merge_sort_block_merge_config_selectorIN6thrust23THRUST_200600_302600_NS4pairIiiEENS0_10empty_typeEEEZZNS1_27merge_sort_block_merge_implIS3_NS6_6detail15normal_iteratorINS6_10device_ptrIS8_EEEEPS9_mNS6_4lessIS8_EEEE10hipError_tT0_T1_T2_jT3_P12ihipStream_tbPNSt15iterator_traitsISL_E10value_typeEPNSR_ISM_E10value_typeEPSN_NS1_7vsmem_tEENKUlT_SL_SM_SN_E_clISG_PS8_SH_SH_EESK_S10_SL_SM_SN_EUlS10_E1_NS1_11comp_targetILNS1_3genE10ELNS1_11target_archE1201ELNS1_3gpuE5ELNS1_3repE0EEENS1_36merge_oddeven_config_static_selectorELNS0_4arch9wavefront6targetE1EEEvSM_ ; -- Begin function _ZN7rocprim17ROCPRIM_400000_NS6detail17trampoline_kernelINS0_14default_configENS1_38merge_sort_block_merge_config_selectorIN6thrust23THRUST_200600_302600_NS4pairIiiEENS0_10empty_typeEEEZZNS1_27merge_sort_block_merge_implIS3_NS6_6detail15normal_iteratorINS6_10device_ptrIS8_EEEEPS9_mNS6_4lessIS8_EEEE10hipError_tT0_T1_T2_jT3_P12ihipStream_tbPNSt15iterator_traitsISL_E10value_typeEPNSR_ISM_E10value_typeEPSN_NS1_7vsmem_tEENKUlT_SL_SM_SN_E_clISG_PS8_SH_SH_EESK_S10_SL_SM_SN_EUlS10_E1_NS1_11comp_targetILNS1_3genE10ELNS1_11target_archE1201ELNS1_3gpuE5ELNS1_3repE0EEENS1_36merge_oddeven_config_static_selectorELNS0_4arch9wavefront6targetE1EEEvSM_
	.globl	_ZN7rocprim17ROCPRIM_400000_NS6detail17trampoline_kernelINS0_14default_configENS1_38merge_sort_block_merge_config_selectorIN6thrust23THRUST_200600_302600_NS4pairIiiEENS0_10empty_typeEEEZZNS1_27merge_sort_block_merge_implIS3_NS6_6detail15normal_iteratorINS6_10device_ptrIS8_EEEEPS9_mNS6_4lessIS8_EEEE10hipError_tT0_T1_T2_jT3_P12ihipStream_tbPNSt15iterator_traitsISL_E10value_typeEPNSR_ISM_E10value_typeEPSN_NS1_7vsmem_tEENKUlT_SL_SM_SN_E_clISG_PS8_SH_SH_EESK_S10_SL_SM_SN_EUlS10_E1_NS1_11comp_targetILNS1_3genE10ELNS1_11target_archE1201ELNS1_3gpuE5ELNS1_3repE0EEENS1_36merge_oddeven_config_static_selectorELNS0_4arch9wavefront6targetE1EEEvSM_
	.p2align	8
	.type	_ZN7rocprim17ROCPRIM_400000_NS6detail17trampoline_kernelINS0_14default_configENS1_38merge_sort_block_merge_config_selectorIN6thrust23THRUST_200600_302600_NS4pairIiiEENS0_10empty_typeEEEZZNS1_27merge_sort_block_merge_implIS3_NS6_6detail15normal_iteratorINS6_10device_ptrIS8_EEEEPS9_mNS6_4lessIS8_EEEE10hipError_tT0_T1_T2_jT3_P12ihipStream_tbPNSt15iterator_traitsISL_E10value_typeEPNSR_ISM_E10value_typeEPSN_NS1_7vsmem_tEENKUlT_SL_SM_SN_E_clISG_PS8_SH_SH_EESK_S10_SL_SM_SN_EUlS10_E1_NS1_11comp_targetILNS1_3genE10ELNS1_11target_archE1201ELNS1_3gpuE5ELNS1_3repE0EEENS1_36merge_oddeven_config_static_selectorELNS0_4arch9wavefront6targetE1EEEvSM_,@function
_ZN7rocprim17ROCPRIM_400000_NS6detail17trampoline_kernelINS0_14default_configENS1_38merge_sort_block_merge_config_selectorIN6thrust23THRUST_200600_302600_NS4pairIiiEENS0_10empty_typeEEEZZNS1_27merge_sort_block_merge_implIS3_NS6_6detail15normal_iteratorINS6_10device_ptrIS8_EEEEPS9_mNS6_4lessIS8_EEEE10hipError_tT0_T1_T2_jT3_P12ihipStream_tbPNSt15iterator_traitsISL_E10value_typeEPNSR_ISM_E10value_typeEPSN_NS1_7vsmem_tEENKUlT_SL_SM_SN_E_clISG_PS8_SH_SH_EESK_S10_SL_SM_SN_EUlS10_E1_NS1_11comp_targetILNS1_3genE10ELNS1_11target_archE1201ELNS1_3gpuE5ELNS1_3repE0EEENS1_36merge_oddeven_config_static_selectorELNS0_4arch9wavefront6targetE1EEEvSM_: ; @_ZN7rocprim17ROCPRIM_400000_NS6detail17trampoline_kernelINS0_14default_configENS1_38merge_sort_block_merge_config_selectorIN6thrust23THRUST_200600_302600_NS4pairIiiEENS0_10empty_typeEEEZZNS1_27merge_sort_block_merge_implIS3_NS6_6detail15normal_iteratorINS6_10device_ptrIS8_EEEEPS9_mNS6_4lessIS8_EEEE10hipError_tT0_T1_T2_jT3_P12ihipStream_tbPNSt15iterator_traitsISL_E10value_typeEPNSR_ISM_E10value_typeEPSN_NS1_7vsmem_tEENKUlT_SL_SM_SN_E_clISG_PS8_SH_SH_EESK_S10_SL_SM_SN_EUlS10_E1_NS1_11comp_targetILNS1_3genE10ELNS1_11target_archE1201ELNS1_3gpuE5ELNS1_3repE0EEENS1_36merge_oddeven_config_static_selectorELNS0_4arch9wavefront6targetE1EEEvSM_
; %bb.0:
	.section	.rodata,"a",@progbits
	.p2align	6, 0x0
	.amdhsa_kernel _ZN7rocprim17ROCPRIM_400000_NS6detail17trampoline_kernelINS0_14default_configENS1_38merge_sort_block_merge_config_selectorIN6thrust23THRUST_200600_302600_NS4pairIiiEENS0_10empty_typeEEEZZNS1_27merge_sort_block_merge_implIS3_NS6_6detail15normal_iteratorINS6_10device_ptrIS8_EEEEPS9_mNS6_4lessIS8_EEEE10hipError_tT0_T1_T2_jT3_P12ihipStream_tbPNSt15iterator_traitsISL_E10value_typeEPNSR_ISM_E10value_typeEPSN_NS1_7vsmem_tEENKUlT_SL_SM_SN_E_clISG_PS8_SH_SH_EESK_S10_SL_SM_SN_EUlS10_E1_NS1_11comp_targetILNS1_3genE10ELNS1_11target_archE1201ELNS1_3gpuE5ELNS1_3repE0EEENS1_36merge_oddeven_config_static_selectorELNS0_4arch9wavefront6targetE1EEEvSM_
		.amdhsa_group_segment_fixed_size 0
		.amdhsa_private_segment_fixed_size 0
		.amdhsa_kernarg_size 56
		.amdhsa_user_sgpr_count 2
		.amdhsa_user_sgpr_dispatch_ptr 0
		.amdhsa_user_sgpr_queue_ptr 0
		.amdhsa_user_sgpr_kernarg_segment_ptr 1
		.amdhsa_user_sgpr_dispatch_id 0
		.amdhsa_user_sgpr_kernarg_preload_length 0
		.amdhsa_user_sgpr_kernarg_preload_offset 0
		.amdhsa_user_sgpr_private_segment_size 0
		.amdhsa_uses_dynamic_stack 0
		.amdhsa_enable_private_segment 0
		.amdhsa_system_sgpr_workgroup_id_x 1
		.amdhsa_system_sgpr_workgroup_id_y 0
		.amdhsa_system_sgpr_workgroup_id_z 0
		.amdhsa_system_sgpr_workgroup_info 0
		.amdhsa_system_vgpr_workitem_id 0
		.amdhsa_next_free_vgpr 1
		.amdhsa_next_free_sgpr 0
		.amdhsa_accum_offset 4
		.amdhsa_reserve_vcc 0
		.amdhsa_float_round_mode_32 0
		.amdhsa_float_round_mode_16_64 0
		.amdhsa_float_denorm_mode_32 3
		.amdhsa_float_denorm_mode_16_64 3
		.amdhsa_dx10_clamp 1
		.amdhsa_ieee_mode 1
		.amdhsa_fp16_overflow 0
		.amdhsa_tg_split 0
		.amdhsa_exception_fp_ieee_invalid_op 0
		.amdhsa_exception_fp_denorm_src 0
		.amdhsa_exception_fp_ieee_div_zero 0
		.amdhsa_exception_fp_ieee_overflow 0
		.amdhsa_exception_fp_ieee_underflow 0
		.amdhsa_exception_fp_ieee_inexact 0
		.amdhsa_exception_int_div_zero 0
	.end_amdhsa_kernel
	.section	.text._ZN7rocprim17ROCPRIM_400000_NS6detail17trampoline_kernelINS0_14default_configENS1_38merge_sort_block_merge_config_selectorIN6thrust23THRUST_200600_302600_NS4pairIiiEENS0_10empty_typeEEEZZNS1_27merge_sort_block_merge_implIS3_NS6_6detail15normal_iteratorINS6_10device_ptrIS8_EEEEPS9_mNS6_4lessIS8_EEEE10hipError_tT0_T1_T2_jT3_P12ihipStream_tbPNSt15iterator_traitsISL_E10value_typeEPNSR_ISM_E10value_typeEPSN_NS1_7vsmem_tEENKUlT_SL_SM_SN_E_clISG_PS8_SH_SH_EESK_S10_SL_SM_SN_EUlS10_E1_NS1_11comp_targetILNS1_3genE10ELNS1_11target_archE1201ELNS1_3gpuE5ELNS1_3repE0EEENS1_36merge_oddeven_config_static_selectorELNS0_4arch9wavefront6targetE1EEEvSM_,"axG",@progbits,_ZN7rocprim17ROCPRIM_400000_NS6detail17trampoline_kernelINS0_14default_configENS1_38merge_sort_block_merge_config_selectorIN6thrust23THRUST_200600_302600_NS4pairIiiEENS0_10empty_typeEEEZZNS1_27merge_sort_block_merge_implIS3_NS6_6detail15normal_iteratorINS6_10device_ptrIS8_EEEEPS9_mNS6_4lessIS8_EEEE10hipError_tT0_T1_T2_jT3_P12ihipStream_tbPNSt15iterator_traitsISL_E10value_typeEPNSR_ISM_E10value_typeEPSN_NS1_7vsmem_tEENKUlT_SL_SM_SN_E_clISG_PS8_SH_SH_EESK_S10_SL_SM_SN_EUlS10_E1_NS1_11comp_targetILNS1_3genE10ELNS1_11target_archE1201ELNS1_3gpuE5ELNS1_3repE0EEENS1_36merge_oddeven_config_static_selectorELNS0_4arch9wavefront6targetE1EEEvSM_,comdat
.Lfunc_end674:
	.size	_ZN7rocprim17ROCPRIM_400000_NS6detail17trampoline_kernelINS0_14default_configENS1_38merge_sort_block_merge_config_selectorIN6thrust23THRUST_200600_302600_NS4pairIiiEENS0_10empty_typeEEEZZNS1_27merge_sort_block_merge_implIS3_NS6_6detail15normal_iteratorINS6_10device_ptrIS8_EEEEPS9_mNS6_4lessIS8_EEEE10hipError_tT0_T1_T2_jT3_P12ihipStream_tbPNSt15iterator_traitsISL_E10value_typeEPNSR_ISM_E10value_typeEPSN_NS1_7vsmem_tEENKUlT_SL_SM_SN_E_clISG_PS8_SH_SH_EESK_S10_SL_SM_SN_EUlS10_E1_NS1_11comp_targetILNS1_3genE10ELNS1_11target_archE1201ELNS1_3gpuE5ELNS1_3repE0EEENS1_36merge_oddeven_config_static_selectorELNS0_4arch9wavefront6targetE1EEEvSM_, .Lfunc_end674-_ZN7rocprim17ROCPRIM_400000_NS6detail17trampoline_kernelINS0_14default_configENS1_38merge_sort_block_merge_config_selectorIN6thrust23THRUST_200600_302600_NS4pairIiiEENS0_10empty_typeEEEZZNS1_27merge_sort_block_merge_implIS3_NS6_6detail15normal_iteratorINS6_10device_ptrIS8_EEEEPS9_mNS6_4lessIS8_EEEE10hipError_tT0_T1_T2_jT3_P12ihipStream_tbPNSt15iterator_traitsISL_E10value_typeEPNSR_ISM_E10value_typeEPSN_NS1_7vsmem_tEENKUlT_SL_SM_SN_E_clISG_PS8_SH_SH_EESK_S10_SL_SM_SN_EUlS10_E1_NS1_11comp_targetILNS1_3genE10ELNS1_11target_archE1201ELNS1_3gpuE5ELNS1_3repE0EEENS1_36merge_oddeven_config_static_selectorELNS0_4arch9wavefront6targetE1EEEvSM_
                                        ; -- End function
	.set _ZN7rocprim17ROCPRIM_400000_NS6detail17trampoline_kernelINS0_14default_configENS1_38merge_sort_block_merge_config_selectorIN6thrust23THRUST_200600_302600_NS4pairIiiEENS0_10empty_typeEEEZZNS1_27merge_sort_block_merge_implIS3_NS6_6detail15normal_iteratorINS6_10device_ptrIS8_EEEEPS9_mNS6_4lessIS8_EEEE10hipError_tT0_T1_T2_jT3_P12ihipStream_tbPNSt15iterator_traitsISL_E10value_typeEPNSR_ISM_E10value_typeEPSN_NS1_7vsmem_tEENKUlT_SL_SM_SN_E_clISG_PS8_SH_SH_EESK_S10_SL_SM_SN_EUlS10_E1_NS1_11comp_targetILNS1_3genE10ELNS1_11target_archE1201ELNS1_3gpuE5ELNS1_3repE0EEENS1_36merge_oddeven_config_static_selectorELNS0_4arch9wavefront6targetE1EEEvSM_.num_vgpr, 0
	.set _ZN7rocprim17ROCPRIM_400000_NS6detail17trampoline_kernelINS0_14default_configENS1_38merge_sort_block_merge_config_selectorIN6thrust23THRUST_200600_302600_NS4pairIiiEENS0_10empty_typeEEEZZNS1_27merge_sort_block_merge_implIS3_NS6_6detail15normal_iteratorINS6_10device_ptrIS8_EEEEPS9_mNS6_4lessIS8_EEEE10hipError_tT0_T1_T2_jT3_P12ihipStream_tbPNSt15iterator_traitsISL_E10value_typeEPNSR_ISM_E10value_typeEPSN_NS1_7vsmem_tEENKUlT_SL_SM_SN_E_clISG_PS8_SH_SH_EESK_S10_SL_SM_SN_EUlS10_E1_NS1_11comp_targetILNS1_3genE10ELNS1_11target_archE1201ELNS1_3gpuE5ELNS1_3repE0EEENS1_36merge_oddeven_config_static_selectorELNS0_4arch9wavefront6targetE1EEEvSM_.num_agpr, 0
	.set _ZN7rocprim17ROCPRIM_400000_NS6detail17trampoline_kernelINS0_14default_configENS1_38merge_sort_block_merge_config_selectorIN6thrust23THRUST_200600_302600_NS4pairIiiEENS0_10empty_typeEEEZZNS1_27merge_sort_block_merge_implIS3_NS6_6detail15normal_iteratorINS6_10device_ptrIS8_EEEEPS9_mNS6_4lessIS8_EEEE10hipError_tT0_T1_T2_jT3_P12ihipStream_tbPNSt15iterator_traitsISL_E10value_typeEPNSR_ISM_E10value_typeEPSN_NS1_7vsmem_tEENKUlT_SL_SM_SN_E_clISG_PS8_SH_SH_EESK_S10_SL_SM_SN_EUlS10_E1_NS1_11comp_targetILNS1_3genE10ELNS1_11target_archE1201ELNS1_3gpuE5ELNS1_3repE0EEENS1_36merge_oddeven_config_static_selectorELNS0_4arch9wavefront6targetE1EEEvSM_.numbered_sgpr, 0
	.set _ZN7rocprim17ROCPRIM_400000_NS6detail17trampoline_kernelINS0_14default_configENS1_38merge_sort_block_merge_config_selectorIN6thrust23THRUST_200600_302600_NS4pairIiiEENS0_10empty_typeEEEZZNS1_27merge_sort_block_merge_implIS3_NS6_6detail15normal_iteratorINS6_10device_ptrIS8_EEEEPS9_mNS6_4lessIS8_EEEE10hipError_tT0_T1_T2_jT3_P12ihipStream_tbPNSt15iterator_traitsISL_E10value_typeEPNSR_ISM_E10value_typeEPSN_NS1_7vsmem_tEENKUlT_SL_SM_SN_E_clISG_PS8_SH_SH_EESK_S10_SL_SM_SN_EUlS10_E1_NS1_11comp_targetILNS1_3genE10ELNS1_11target_archE1201ELNS1_3gpuE5ELNS1_3repE0EEENS1_36merge_oddeven_config_static_selectorELNS0_4arch9wavefront6targetE1EEEvSM_.num_named_barrier, 0
	.set _ZN7rocprim17ROCPRIM_400000_NS6detail17trampoline_kernelINS0_14default_configENS1_38merge_sort_block_merge_config_selectorIN6thrust23THRUST_200600_302600_NS4pairIiiEENS0_10empty_typeEEEZZNS1_27merge_sort_block_merge_implIS3_NS6_6detail15normal_iteratorINS6_10device_ptrIS8_EEEEPS9_mNS6_4lessIS8_EEEE10hipError_tT0_T1_T2_jT3_P12ihipStream_tbPNSt15iterator_traitsISL_E10value_typeEPNSR_ISM_E10value_typeEPSN_NS1_7vsmem_tEENKUlT_SL_SM_SN_E_clISG_PS8_SH_SH_EESK_S10_SL_SM_SN_EUlS10_E1_NS1_11comp_targetILNS1_3genE10ELNS1_11target_archE1201ELNS1_3gpuE5ELNS1_3repE0EEENS1_36merge_oddeven_config_static_selectorELNS0_4arch9wavefront6targetE1EEEvSM_.private_seg_size, 0
	.set _ZN7rocprim17ROCPRIM_400000_NS6detail17trampoline_kernelINS0_14default_configENS1_38merge_sort_block_merge_config_selectorIN6thrust23THRUST_200600_302600_NS4pairIiiEENS0_10empty_typeEEEZZNS1_27merge_sort_block_merge_implIS3_NS6_6detail15normal_iteratorINS6_10device_ptrIS8_EEEEPS9_mNS6_4lessIS8_EEEE10hipError_tT0_T1_T2_jT3_P12ihipStream_tbPNSt15iterator_traitsISL_E10value_typeEPNSR_ISM_E10value_typeEPSN_NS1_7vsmem_tEENKUlT_SL_SM_SN_E_clISG_PS8_SH_SH_EESK_S10_SL_SM_SN_EUlS10_E1_NS1_11comp_targetILNS1_3genE10ELNS1_11target_archE1201ELNS1_3gpuE5ELNS1_3repE0EEENS1_36merge_oddeven_config_static_selectorELNS0_4arch9wavefront6targetE1EEEvSM_.uses_vcc, 0
	.set _ZN7rocprim17ROCPRIM_400000_NS6detail17trampoline_kernelINS0_14default_configENS1_38merge_sort_block_merge_config_selectorIN6thrust23THRUST_200600_302600_NS4pairIiiEENS0_10empty_typeEEEZZNS1_27merge_sort_block_merge_implIS3_NS6_6detail15normal_iteratorINS6_10device_ptrIS8_EEEEPS9_mNS6_4lessIS8_EEEE10hipError_tT0_T1_T2_jT3_P12ihipStream_tbPNSt15iterator_traitsISL_E10value_typeEPNSR_ISM_E10value_typeEPSN_NS1_7vsmem_tEENKUlT_SL_SM_SN_E_clISG_PS8_SH_SH_EESK_S10_SL_SM_SN_EUlS10_E1_NS1_11comp_targetILNS1_3genE10ELNS1_11target_archE1201ELNS1_3gpuE5ELNS1_3repE0EEENS1_36merge_oddeven_config_static_selectorELNS0_4arch9wavefront6targetE1EEEvSM_.uses_flat_scratch, 0
	.set _ZN7rocprim17ROCPRIM_400000_NS6detail17trampoline_kernelINS0_14default_configENS1_38merge_sort_block_merge_config_selectorIN6thrust23THRUST_200600_302600_NS4pairIiiEENS0_10empty_typeEEEZZNS1_27merge_sort_block_merge_implIS3_NS6_6detail15normal_iteratorINS6_10device_ptrIS8_EEEEPS9_mNS6_4lessIS8_EEEE10hipError_tT0_T1_T2_jT3_P12ihipStream_tbPNSt15iterator_traitsISL_E10value_typeEPNSR_ISM_E10value_typeEPSN_NS1_7vsmem_tEENKUlT_SL_SM_SN_E_clISG_PS8_SH_SH_EESK_S10_SL_SM_SN_EUlS10_E1_NS1_11comp_targetILNS1_3genE10ELNS1_11target_archE1201ELNS1_3gpuE5ELNS1_3repE0EEENS1_36merge_oddeven_config_static_selectorELNS0_4arch9wavefront6targetE1EEEvSM_.has_dyn_sized_stack, 0
	.set _ZN7rocprim17ROCPRIM_400000_NS6detail17trampoline_kernelINS0_14default_configENS1_38merge_sort_block_merge_config_selectorIN6thrust23THRUST_200600_302600_NS4pairIiiEENS0_10empty_typeEEEZZNS1_27merge_sort_block_merge_implIS3_NS6_6detail15normal_iteratorINS6_10device_ptrIS8_EEEEPS9_mNS6_4lessIS8_EEEE10hipError_tT0_T1_T2_jT3_P12ihipStream_tbPNSt15iterator_traitsISL_E10value_typeEPNSR_ISM_E10value_typeEPSN_NS1_7vsmem_tEENKUlT_SL_SM_SN_E_clISG_PS8_SH_SH_EESK_S10_SL_SM_SN_EUlS10_E1_NS1_11comp_targetILNS1_3genE10ELNS1_11target_archE1201ELNS1_3gpuE5ELNS1_3repE0EEENS1_36merge_oddeven_config_static_selectorELNS0_4arch9wavefront6targetE1EEEvSM_.has_recursion, 0
	.set _ZN7rocprim17ROCPRIM_400000_NS6detail17trampoline_kernelINS0_14default_configENS1_38merge_sort_block_merge_config_selectorIN6thrust23THRUST_200600_302600_NS4pairIiiEENS0_10empty_typeEEEZZNS1_27merge_sort_block_merge_implIS3_NS6_6detail15normal_iteratorINS6_10device_ptrIS8_EEEEPS9_mNS6_4lessIS8_EEEE10hipError_tT0_T1_T2_jT3_P12ihipStream_tbPNSt15iterator_traitsISL_E10value_typeEPNSR_ISM_E10value_typeEPSN_NS1_7vsmem_tEENKUlT_SL_SM_SN_E_clISG_PS8_SH_SH_EESK_S10_SL_SM_SN_EUlS10_E1_NS1_11comp_targetILNS1_3genE10ELNS1_11target_archE1201ELNS1_3gpuE5ELNS1_3repE0EEENS1_36merge_oddeven_config_static_selectorELNS0_4arch9wavefront6targetE1EEEvSM_.has_indirect_call, 0
	.section	.AMDGPU.csdata,"",@progbits
; Kernel info:
; codeLenInByte = 0
; TotalNumSgprs: 6
; NumVgprs: 0
; NumAgprs: 0
; TotalNumVgprs: 0
; ScratchSize: 0
; MemoryBound: 0
; FloatMode: 240
; IeeeMode: 1
; LDSByteSize: 0 bytes/workgroup (compile time only)
; SGPRBlocks: 0
; VGPRBlocks: 0
; NumSGPRsForWavesPerEU: 6
; NumVGPRsForWavesPerEU: 1
; AccumOffset: 4
; Occupancy: 8
; WaveLimiterHint : 0
; COMPUTE_PGM_RSRC2:SCRATCH_EN: 0
; COMPUTE_PGM_RSRC2:USER_SGPR: 2
; COMPUTE_PGM_RSRC2:TRAP_HANDLER: 0
; COMPUTE_PGM_RSRC2:TGID_X_EN: 1
; COMPUTE_PGM_RSRC2:TGID_Y_EN: 0
; COMPUTE_PGM_RSRC2:TGID_Z_EN: 0
; COMPUTE_PGM_RSRC2:TIDIG_COMP_CNT: 0
; COMPUTE_PGM_RSRC3_GFX90A:ACCUM_OFFSET: 0
; COMPUTE_PGM_RSRC3_GFX90A:TG_SPLIT: 0
	.section	.text._ZN7rocprim17ROCPRIM_400000_NS6detail17trampoline_kernelINS0_14default_configENS1_38merge_sort_block_merge_config_selectorIN6thrust23THRUST_200600_302600_NS4pairIiiEENS0_10empty_typeEEEZZNS1_27merge_sort_block_merge_implIS3_NS6_6detail15normal_iteratorINS6_10device_ptrIS8_EEEEPS9_mNS6_4lessIS8_EEEE10hipError_tT0_T1_T2_jT3_P12ihipStream_tbPNSt15iterator_traitsISL_E10value_typeEPNSR_ISM_E10value_typeEPSN_NS1_7vsmem_tEENKUlT_SL_SM_SN_E_clISG_PS8_SH_SH_EESK_S10_SL_SM_SN_EUlS10_E1_NS1_11comp_targetILNS1_3genE5ELNS1_11target_archE942ELNS1_3gpuE9ELNS1_3repE0EEENS1_36merge_oddeven_config_static_selectorELNS0_4arch9wavefront6targetE1EEEvSM_,"axG",@progbits,_ZN7rocprim17ROCPRIM_400000_NS6detail17trampoline_kernelINS0_14default_configENS1_38merge_sort_block_merge_config_selectorIN6thrust23THRUST_200600_302600_NS4pairIiiEENS0_10empty_typeEEEZZNS1_27merge_sort_block_merge_implIS3_NS6_6detail15normal_iteratorINS6_10device_ptrIS8_EEEEPS9_mNS6_4lessIS8_EEEE10hipError_tT0_T1_T2_jT3_P12ihipStream_tbPNSt15iterator_traitsISL_E10value_typeEPNSR_ISM_E10value_typeEPSN_NS1_7vsmem_tEENKUlT_SL_SM_SN_E_clISG_PS8_SH_SH_EESK_S10_SL_SM_SN_EUlS10_E1_NS1_11comp_targetILNS1_3genE5ELNS1_11target_archE942ELNS1_3gpuE9ELNS1_3repE0EEENS1_36merge_oddeven_config_static_selectorELNS0_4arch9wavefront6targetE1EEEvSM_,comdat
	.protected	_ZN7rocprim17ROCPRIM_400000_NS6detail17trampoline_kernelINS0_14default_configENS1_38merge_sort_block_merge_config_selectorIN6thrust23THRUST_200600_302600_NS4pairIiiEENS0_10empty_typeEEEZZNS1_27merge_sort_block_merge_implIS3_NS6_6detail15normal_iteratorINS6_10device_ptrIS8_EEEEPS9_mNS6_4lessIS8_EEEE10hipError_tT0_T1_T2_jT3_P12ihipStream_tbPNSt15iterator_traitsISL_E10value_typeEPNSR_ISM_E10value_typeEPSN_NS1_7vsmem_tEENKUlT_SL_SM_SN_E_clISG_PS8_SH_SH_EESK_S10_SL_SM_SN_EUlS10_E1_NS1_11comp_targetILNS1_3genE5ELNS1_11target_archE942ELNS1_3gpuE9ELNS1_3repE0EEENS1_36merge_oddeven_config_static_selectorELNS0_4arch9wavefront6targetE1EEEvSM_ ; -- Begin function _ZN7rocprim17ROCPRIM_400000_NS6detail17trampoline_kernelINS0_14default_configENS1_38merge_sort_block_merge_config_selectorIN6thrust23THRUST_200600_302600_NS4pairIiiEENS0_10empty_typeEEEZZNS1_27merge_sort_block_merge_implIS3_NS6_6detail15normal_iteratorINS6_10device_ptrIS8_EEEEPS9_mNS6_4lessIS8_EEEE10hipError_tT0_T1_T2_jT3_P12ihipStream_tbPNSt15iterator_traitsISL_E10value_typeEPNSR_ISM_E10value_typeEPSN_NS1_7vsmem_tEENKUlT_SL_SM_SN_E_clISG_PS8_SH_SH_EESK_S10_SL_SM_SN_EUlS10_E1_NS1_11comp_targetILNS1_3genE5ELNS1_11target_archE942ELNS1_3gpuE9ELNS1_3repE0EEENS1_36merge_oddeven_config_static_selectorELNS0_4arch9wavefront6targetE1EEEvSM_
	.globl	_ZN7rocprim17ROCPRIM_400000_NS6detail17trampoline_kernelINS0_14default_configENS1_38merge_sort_block_merge_config_selectorIN6thrust23THRUST_200600_302600_NS4pairIiiEENS0_10empty_typeEEEZZNS1_27merge_sort_block_merge_implIS3_NS6_6detail15normal_iteratorINS6_10device_ptrIS8_EEEEPS9_mNS6_4lessIS8_EEEE10hipError_tT0_T1_T2_jT3_P12ihipStream_tbPNSt15iterator_traitsISL_E10value_typeEPNSR_ISM_E10value_typeEPSN_NS1_7vsmem_tEENKUlT_SL_SM_SN_E_clISG_PS8_SH_SH_EESK_S10_SL_SM_SN_EUlS10_E1_NS1_11comp_targetILNS1_3genE5ELNS1_11target_archE942ELNS1_3gpuE9ELNS1_3repE0EEENS1_36merge_oddeven_config_static_selectorELNS0_4arch9wavefront6targetE1EEEvSM_
	.p2align	8
	.type	_ZN7rocprim17ROCPRIM_400000_NS6detail17trampoline_kernelINS0_14default_configENS1_38merge_sort_block_merge_config_selectorIN6thrust23THRUST_200600_302600_NS4pairIiiEENS0_10empty_typeEEEZZNS1_27merge_sort_block_merge_implIS3_NS6_6detail15normal_iteratorINS6_10device_ptrIS8_EEEEPS9_mNS6_4lessIS8_EEEE10hipError_tT0_T1_T2_jT3_P12ihipStream_tbPNSt15iterator_traitsISL_E10value_typeEPNSR_ISM_E10value_typeEPSN_NS1_7vsmem_tEENKUlT_SL_SM_SN_E_clISG_PS8_SH_SH_EESK_S10_SL_SM_SN_EUlS10_E1_NS1_11comp_targetILNS1_3genE5ELNS1_11target_archE942ELNS1_3gpuE9ELNS1_3repE0EEENS1_36merge_oddeven_config_static_selectorELNS0_4arch9wavefront6targetE1EEEvSM_,@function
_ZN7rocprim17ROCPRIM_400000_NS6detail17trampoline_kernelINS0_14default_configENS1_38merge_sort_block_merge_config_selectorIN6thrust23THRUST_200600_302600_NS4pairIiiEENS0_10empty_typeEEEZZNS1_27merge_sort_block_merge_implIS3_NS6_6detail15normal_iteratorINS6_10device_ptrIS8_EEEEPS9_mNS6_4lessIS8_EEEE10hipError_tT0_T1_T2_jT3_P12ihipStream_tbPNSt15iterator_traitsISL_E10value_typeEPNSR_ISM_E10value_typeEPSN_NS1_7vsmem_tEENKUlT_SL_SM_SN_E_clISG_PS8_SH_SH_EESK_S10_SL_SM_SN_EUlS10_E1_NS1_11comp_targetILNS1_3genE5ELNS1_11target_archE942ELNS1_3gpuE9ELNS1_3repE0EEENS1_36merge_oddeven_config_static_selectorELNS0_4arch9wavefront6targetE1EEEvSM_: ; @_ZN7rocprim17ROCPRIM_400000_NS6detail17trampoline_kernelINS0_14default_configENS1_38merge_sort_block_merge_config_selectorIN6thrust23THRUST_200600_302600_NS4pairIiiEENS0_10empty_typeEEEZZNS1_27merge_sort_block_merge_implIS3_NS6_6detail15normal_iteratorINS6_10device_ptrIS8_EEEEPS9_mNS6_4lessIS8_EEEE10hipError_tT0_T1_T2_jT3_P12ihipStream_tbPNSt15iterator_traitsISL_E10value_typeEPNSR_ISM_E10value_typeEPSN_NS1_7vsmem_tEENKUlT_SL_SM_SN_E_clISG_PS8_SH_SH_EESK_S10_SL_SM_SN_EUlS10_E1_NS1_11comp_targetILNS1_3genE5ELNS1_11target_archE942ELNS1_3gpuE9ELNS1_3repE0EEENS1_36merge_oddeven_config_static_selectorELNS0_4arch9wavefront6targetE1EEEvSM_
; %bb.0:
	.section	.rodata,"a",@progbits
	.p2align	6, 0x0
	.amdhsa_kernel _ZN7rocprim17ROCPRIM_400000_NS6detail17trampoline_kernelINS0_14default_configENS1_38merge_sort_block_merge_config_selectorIN6thrust23THRUST_200600_302600_NS4pairIiiEENS0_10empty_typeEEEZZNS1_27merge_sort_block_merge_implIS3_NS6_6detail15normal_iteratorINS6_10device_ptrIS8_EEEEPS9_mNS6_4lessIS8_EEEE10hipError_tT0_T1_T2_jT3_P12ihipStream_tbPNSt15iterator_traitsISL_E10value_typeEPNSR_ISM_E10value_typeEPSN_NS1_7vsmem_tEENKUlT_SL_SM_SN_E_clISG_PS8_SH_SH_EESK_S10_SL_SM_SN_EUlS10_E1_NS1_11comp_targetILNS1_3genE5ELNS1_11target_archE942ELNS1_3gpuE9ELNS1_3repE0EEENS1_36merge_oddeven_config_static_selectorELNS0_4arch9wavefront6targetE1EEEvSM_
		.amdhsa_group_segment_fixed_size 0
		.amdhsa_private_segment_fixed_size 0
		.amdhsa_kernarg_size 56
		.amdhsa_user_sgpr_count 2
		.amdhsa_user_sgpr_dispatch_ptr 0
		.amdhsa_user_sgpr_queue_ptr 0
		.amdhsa_user_sgpr_kernarg_segment_ptr 1
		.amdhsa_user_sgpr_dispatch_id 0
		.amdhsa_user_sgpr_kernarg_preload_length 0
		.amdhsa_user_sgpr_kernarg_preload_offset 0
		.amdhsa_user_sgpr_private_segment_size 0
		.amdhsa_uses_dynamic_stack 0
		.amdhsa_enable_private_segment 0
		.amdhsa_system_sgpr_workgroup_id_x 1
		.amdhsa_system_sgpr_workgroup_id_y 0
		.amdhsa_system_sgpr_workgroup_id_z 0
		.amdhsa_system_sgpr_workgroup_info 0
		.amdhsa_system_vgpr_workitem_id 0
		.amdhsa_next_free_vgpr 1
		.amdhsa_next_free_sgpr 0
		.amdhsa_accum_offset 4
		.amdhsa_reserve_vcc 0
		.amdhsa_float_round_mode_32 0
		.amdhsa_float_round_mode_16_64 0
		.amdhsa_float_denorm_mode_32 3
		.amdhsa_float_denorm_mode_16_64 3
		.amdhsa_dx10_clamp 1
		.amdhsa_ieee_mode 1
		.amdhsa_fp16_overflow 0
		.amdhsa_tg_split 0
		.amdhsa_exception_fp_ieee_invalid_op 0
		.amdhsa_exception_fp_denorm_src 0
		.amdhsa_exception_fp_ieee_div_zero 0
		.amdhsa_exception_fp_ieee_overflow 0
		.amdhsa_exception_fp_ieee_underflow 0
		.amdhsa_exception_fp_ieee_inexact 0
		.amdhsa_exception_int_div_zero 0
	.end_amdhsa_kernel
	.section	.text._ZN7rocprim17ROCPRIM_400000_NS6detail17trampoline_kernelINS0_14default_configENS1_38merge_sort_block_merge_config_selectorIN6thrust23THRUST_200600_302600_NS4pairIiiEENS0_10empty_typeEEEZZNS1_27merge_sort_block_merge_implIS3_NS6_6detail15normal_iteratorINS6_10device_ptrIS8_EEEEPS9_mNS6_4lessIS8_EEEE10hipError_tT0_T1_T2_jT3_P12ihipStream_tbPNSt15iterator_traitsISL_E10value_typeEPNSR_ISM_E10value_typeEPSN_NS1_7vsmem_tEENKUlT_SL_SM_SN_E_clISG_PS8_SH_SH_EESK_S10_SL_SM_SN_EUlS10_E1_NS1_11comp_targetILNS1_3genE5ELNS1_11target_archE942ELNS1_3gpuE9ELNS1_3repE0EEENS1_36merge_oddeven_config_static_selectorELNS0_4arch9wavefront6targetE1EEEvSM_,"axG",@progbits,_ZN7rocprim17ROCPRIM_400000_NS6detail17trampoline_kernelINS0_14default_configENS1_38merge_sort_block_merge_config_selectorIN6thrust23THRUST_200600_302600_NS4pairIiiEENS0_10empty_typeEEEZZNS1_27merge_sort_block_merge_implIS3_NS6_6detail15normal_iteratorINS6_10device_ptrIS8_EEEEPS9_mNS6_4lessIS8_EEEE10hipError_tT0_T1_T2_jT3_P12ihipStream_tbPNSt15iterator_traitsISL_E10value_typeEPNSR_ISM_E10value_typeEPSN_NS1_7vsmem_tEENKUlT_SL_SM_SN_E_clISG_PS8_SH_SH_EESK_S10_SL_SM_SN_EUlS10_E1_NS1_11comp_targetILNS1_3genE5ELNS1_11target_archE942ELNS1_3gpuE9ELNS1_3repE0EEENS1_36merge_oddeven_config_static_selectorELNS0_4arch9wavefront6targetE1EEEvSM_,comdat
.Lfunc_end675:
	.size	_ZN7rocprim17ROCPRIM_400000_NS6detail17trampoline_kernelINS0_14default_configENS1_38merge_sort_block_merge_config_selectorIN6thrust23THRUST_200600_302600_NS4pairIiiEENS0_10empty_typeEEEZZNS1_27merge_sort_block_merge_implIS3_NS6_6detail15normal_iteratorINS6_10device_ptrIS8_EEEEPS9_mNS6_4lessIS8_EEEE10hipError_tT0_T1_T2_jT3_P12ihipStream_tbPNSt15iterator_traitsISL_E10value_typeEPNSR_ISM_E10value_typeEPSN_NS1_7vsmem_tEENKUlT_SL_SM_SN_E_clISG_PS8_SH_SH_EESK_S10_SL_SM_SN_EUlS10_E1_NS1_11comp_targetILNS1_3genE5ELNS1_11target_archE942ELNS1_3gpuE9ELNS1_3repE0EEENS1_36merge_oddeven_config_static_selectorELNS0_4arch9wavefront6targetE1EEEvSM_, .Lfunc_end675-_ZN7rocprim17ROCPRIM_400000_NS6detail17trampoline_kernelINS0_14default_configENS1_38merge_sort_block_merge_config_selectorIN6thrust23THRUST_200600_302600_NS4pairIiiEENS0_10empty_typeEEEZZNS1_27merge_sort_block_merge_implIS3_NS6_6detail15normal_iteratorINS6_10device_ptrIS8_EEEEPS9_mNS6_4lessIS8_EEEE10hipError_tT0_T1_T2_jT3_P12ihipStream_tbPNSt15iterator_traitsISL_E10value_typeEPNSR_ISM_E10value_typeEPSN_NS1_7vsmem_tEENKUlT_SL_SM_SN_E_clISG_PS8_SH_SH_EESK_S10_SL_SM_SN_EUlS10_E1_NS1_11comp_targetILNS1_3genE5ELNS1_11target_archE942ELNS1_3gpuE9ELNS1_3repE0EEENS1_36merge_oddeven_config_static_selectorELNS0_4arch9wavefront6targetE1EEEvSM_
                                        ; -- End function
	.set _ZN7rocprim17ROCPRIM_400000_NS6detail17trampoline_kernelINS0_14default_configENS1_38merge_sort_block_merge_config_selectorIN6thrust23THRUST_200600_302600_NS4pairIiiEENS0_10empty_typeEEEZZNS1_27merge_sort_block_merge_implIS3_NS6_6detail15normal_iteratorINS6_10device_ptrIS8_EEEEPS9_mNS6_4lessIS8_EEEE10hipError_tT0_T1_T2_jT3_P12ihipStream_tbPNSt15iterator_traitsISL_E10value_typeEPNSR_ISM_E10value_typeEPSN_NS1_7vsmem_tEENKUlT_SL_SM_SN_E_clISG_PS8_SH_SH_EESK_S10_SL_SM_SN_EUlS10_E1_NS1_11comp_targetILNS1_3genE5ELNS1_11target_archE942ELNS1_3gpuE9ELNS1_3repE0EEENS1_36merge_oddeven_config_static_selectorELNS0_4arch9wavefront6targetE1EEEvSM_.num_vgpr, 0
	.set _ZN7rocprim17ROCPRIM_400000_NS6detail17trampoline_kernelINS0_14default_configENS1_38merge_sort_block_merge_config_selectorIN6thrust23THRUST_200600_302600_NS4pairIiiEENS0_10empty_typeEEEZZNS1_27merge_sort_block_merge_implIS3_NS6_6detail15normal_iteratorINS6_10device_ptrIS8_EEEEPS9_mNS6_4lessIS8_EEEE10hipError_tT0_T1_T2_jT3_P12ihipStream_tbPNSt15iterator_traitsISL_E10value_typeEPNSR_ISM_E10value_typeEPSN_NS1_7vsmem_tEENKUlT_SL_SM_SN_E_clISG_PS8_SH_SH_EESK_S10_SL_SM_SN_EUlS10_E1_NS1_11comp_targetILNS1_3genE5ELNS1_11target_archE942ELNS1_3gpuE9ELNS1_3repE0EEENS1_36merge_oddeven_config_static_selectorELNS0_4arch9wavefront6targetE1EEEvSM_.num_agpr, 0
	.set _ZN7rocprim17ROCPRIM_400000_NS6detail17trampoline_kernelINS0_14default_configENS1_38merge_sort_block_merge_config_selectorIN6thrust23THRUST_200600_302600_NS4pairIiiEENS0_10empty_typeEEEZZNS1_27merge_sort_block_merge_implIS3_NS6_6detail15normal_iteratorINS6_10device_ptrIS8_EEEEPS9_mNS6_4lessIS8_EEEE10hipError_tT0_T1_T2_jT3_P12ihipStream_tbPNSt15iterator_traitsISL_E10value_typeEPNSR_ISM_E10value_typeEPSN_NS1_7vsmem_tEENKUlT_SL_SM_SN_E_clISG_PS8_SH_SH_EESK_S10_SL_SM_SN_EUlS10_E1_NS1_11comp_targetILNS1_3genE5ELNS1_11target_archE942ELNS1_3gpuE9ELNS1_3repE0EEENS1_36merge_oddeven_config_static_selectorELNS0_4arch9wavefront6targetE1EEEvSM_.numbered_sgpr, 0
	.set _ZN7rocprim17ROCPRIM_400000_NS6detail17trampoline_kernelINS0_14default_configENS1_38merge_sort_block_merge_config_selectorIN6thrust23THRUST_200600_302600_NS4pairIiiEENS0_10empty_typeEEEZZNS1_27merge_sort_block_merge_implIS3_NS6_6detail15normal_iteratorINS6_10device_ptrIS8_EEEEPS9_mNS6_4lessIS8_EEEE10hipError_tT0_T1_T2_jT3_P12ihipStream_tbPNSt15iterator_traitsISL_E10value_typeEPNSR_ISM_E10value_typeEPSN_NS1_7vsmem_tEENKUlT_SL_SM_SN_E_clISG_PS8_SH_SH_EESK_S10_SL_SM_SN_EUlS10_E1_NS1_11comp_targetILNS1_3genE5ELNS1_11target_archE942ELNS1_3gpuE9ELNS1_3repE0EEENS1_36merge_oddeven_config_static_selectorELNS0_4arch9wavefront6targetE1EEEvSM_.num_named_barrier, 0
	.set _ZN7rocprim17ROCPRIM_400000_NS6detail17trampoline_kernelINS0_14default_configENS1_38merge_sort_block_merge_config_selectorIN6thrust23THRUST_200600_302600_NS4pairIiiEENS0_10empty_typeEEEZZNS1_27merge_sort_block_merge_implIS3_NS6_6detail15normal_iteratorINS6_10device_ptrIS8_EEEEPS9_mNS6_4lessIS8_EEEE10hipError_tT0_T1_T2_jT3_P12ihipStream_tbPNSt15iterator_traitsISL_E10value_typeEPNSR_ISM_E10value_typeEPSN_NS1_7vsmem_tEENKUlT_SL_SM_SN_E_clISG_PS8_SH_SH_EESK_S10_SL_SM_SN_EUlS10_E1_NS1_11comp_targetILNS1_3genE5ELNS1_11target_archE942ELNS1_3gpuE9ELNS1_3repE0EEENS1_36merge_oddeven_config_static_selectorELNS0_4arch9wavefront6targetE1EEEvSM_.private_seg_size, 0
	.set _ZN7rocprim17ROCPRIM_400000_NS6detail17trampoline_kernelINS0_14default_configENS1_38merge_sort_block_merge_config_selectorIN6thrust23THRUST_200600_302600_NS4pairIiiEENS0_10empty_typeEEEZZNS1_27merge_sort_block_merge_implIS3_NS6_6detail15normal_iteratorINS6_10device_ptrIS8_EEEEPS9_mNS6_4lessIS8_EEEE10hipError_tT0_T1_T2_jT3_P12ihipStream_tbPNSt15iterator_traitsISL_E10value_typeEPNSR_ISM_E10value_typeEPSN_NS1_7vsmem_tEENKUlT_SL_SM_SN_E_clISG_PS8_SH_SH_EESK_S10_SL_SM_SN_EUlS10_E1_NS1_11comp_targetILNS1_3genE5ELNS1_11target_archE942ELNS1_3gpuE9ELNS1_3repE0EEENS1_36merge_oddeven_config_static_selectorELNS0_4arch9wavefront6targetE1EEEvSM_.uses_vcc, 0
	.set _ZN7rocprim17ROCPRIM_400000_NS6detail17trampoline_kernelINS0_14default_configENS1_38merge_sort_block_merge_config_selectorIN6thrust23THRUST_200600_302600_NS4pairIiiEENS0_10empty_typeEEEZZNS1_27merge_sort_block_merge_implIS3_NS6_6detail15normal_iteratorINS6_10device_ptrIS8_EEEEPS9_mNS6_4lessIS8_EEEE10hipError_tT0_T1_T2_jT3_P12ihipStream_tbPNSt15iterator_traitsISL_E10value_typeEPNSR_ISM_E10value_typeEPSN_NS1_7vsmem_tEENKUlT_SL_SM_SN_E_clISG_PS8_SH_SH_EESK_S10_SL_SM_SN_EUlS10_E1_NS1_11comp_targetILNS1_3genE5ELNS1_11target_archE942ELNS1_3gpuE9ELNS1_3repE0EEENS1_36merge_oddeven_config_static_selectorELNS0_4arch9wavefront6targetE1EEEvSM_.uses_flat_scratch, 0
	.set _ZN7rocprim17ROCPRIM_400000_NS6detail17trampoline_kernelINS0_14default_configENS1_38merge_sort_block_merge_config_selectorIN6thrust23THRUST_200600_302600_NS4pairIiiEENS0_10empty_typeEEEZZNS1_27merge_sort_block_merge_implIS3_NS6_6detail15normal_iteratorINS6_10device_ptrIS8_EEEEPS9_mNS6_4lessIS8_EEEE10hipError_tT0_T1_T2_jT3_P12ihipStream_tbPNSt15iterator_traitsISL_E10value_typeEPNSR_ISM_E10value_typeEPSN_NS1_7vsmem_tEENKUlT_SL_SM_SN_E_clISG_PS8_SH_SH_EESK_S10_SL_SM_SN_EUlS10_E1_NS1_11comp_targetILNS1_3genE5ELNS1_11target_archE942ELNS1_3gpuE9ELNS1_3repE0EEENS1_36merge_oddeven_config_static_selectorELNS0_4arch9wavefront6targetE1EEEvSM_.has_dyn_sized_stack, 0
	.set _ZN7rocprim17ROCPRIM_400000_NS6detail17trampoline_kernelINS0_14default_configENS1_38merge_sort_block_merge_config_selectorIN6thrust23THRUST_200600_302600_NS4pairIiiEENS0_10empty_typeEEEZZNS1_27merge_sort_block_merge_implIS3_NS6_6detail15normal_iteratorINS6_10device_ptrIS8_EEEEPS9_mNS6_4lessIS8_EEEE10hipError_tT0_T1_T2_jT3_P12ihipStream_tbPNSt15iterator_traitsISL_E10value_typeEPNSR_ISM_E10value_typeEPSN_NS1_7vsmem_tEENKUlT_SL_SM_SN_E_clISG_PS8_SH_SH_EESK_S10_SL_SM_SN_EUlS10_E1_NS1_11comp_targetILNS1_3genE5ELNS1_11target_archE942ELNS1_3gpuE9ELNS1_3repE0EEENS1_36merge_oddeven_config_static_selectorELNS0_4arch9wavefront6targetE1EEEvSM_.has_recursion, 0
	.set _ZN7rocprim17ROCPRIM_400000_NS6detail17trampoline_kernelINS0_14default_configENS1_38merge_sort_block_merge_config_selectorIN6thrust23THRUST_200600_302600_NS4pairIiiEENS0_10empty_typeEEEZZNS1_27merge_sort_block_merge_implIS3_NS6_6detail15normal_iteratorINS6_10device_ptrIS8_EEEEPS9_mNS6_4lessIS8_EEEE10hipError_tT0_T1_T2_jT3_P12ihipStream_tbPNSt15iterator_traitsISL_E10value_typeEPNSR_ISM_E10value_typeEPSN_NS1_7vsmem_tEENKUlT_SL_SM_SN_E_clISG_PS8_SH_SH_EESK_S10_SL_SM_SN_EUlS10_E1_NS1_11comp_targetILNS1_3genE5ELNS1_11target_archE942ELNS1_3gpuE9ELNS1_3repE0EEENS1_36merge_oddeven_config_static_selectorELNS0_4arch9wavefront6targetE1EEEvSM_.has_indirect_call, 0
	.section	.AMDGPU.csdata,"",@progbits
; Kernel info:
; codeLenInByte = 0
; TotalNumSgprs: 6
; NumVgprs: 0
; NumAgprs: 0
; TotalNumVgprs: 0
; ScratchSize: 0
; MemoryBound: 0
; FloatMode: 240
; IeeeMode: 1
; LDSByteSize: 0 bytes/workgroup (compile time only)
; SGPRBlocks: 0
; VGPRBlocks: 0
; NumSGPRsForWavesPerEU: 6
; NumVGPRsForWavesPerEU: 1
; AccumOffset: 4
; Occupancy: 8
; WaveLimiterHint : 0
; COMPUTE_PGM_RSRC2:SCRATCH_EN: 0
; COMPUTE_PGM_RSRC2:USER_SGPR: 2
; COMPUTE_PGM_RSRC2:TRAP_HANDLER: 0
; COMPUTE_PGM_RSRC2:TGID_X_EN: 1
; COMPUTE_PGM_RSRC2:TGID_Y_EN: 0
; COMPUTE_PGM_RSRC2:TGID_Z_EN: 0
; COMPUTE_PGM_RSRC2:TIDIG_COMP_CNT: 0
; COMPUTE_PGM_RSRC3_GFX90A:ACCUM_OFFSET: 0
; COMPUTE_PGM_RSRC3_GFX90A:TG_SPLIT: 0
	.section	.text._ZN7rocprim17ROCPRIM_400000_NS6detail17trampoline_kernelINS0_14default_configENS1_38merge_sort_block_merge_config_selectorIN6thrust23THRUST_200600_302600_NS4pairIiiEENS0_10empty_typeEEEZZNS1_27merge_sort_block_merge_implIS3_NS6_6detail15normal_iteratorINS6_10device_ptrIS8_EEEEPS9_mNS6_4lessIS8_EEEE10hipError_tT0_T1_T2_jT3_P12ihipStream_tbPNSt15iterator_traitsISL_E10value_typeEPNSR_ISM_E10value_typeEPSN_NS1_7vsmem_tEENKUlT_SL_SM_SN_E_clISG_PS8_SH_SH_EESK_S10_SL_SM_SN_EUlS10_E1_NS1_11comp_targetILNS1_3genE4ELNS1_11target_archE910ELNS1_3gpuE8ELNS1_3repE0EEENS1_36merge_oddeven_config_static_selectorELNS0_4arch9wavefront6targetE1EEEvSM_,"axG",@progbits,_ZN7rocprim17ROCPRIM_400000_NS6detail17trampoline_kernelINS0_14default_configENS1_38merge_sort_block_merge_config_selectorIN6thrust23THRUST_200600_302600_NS4pairIiiEENS0_10empty_typeEEEZZNS1_27merge_sort_block_merge_implIS3_NS6_6detail15normal_iteratorINS6_10device_ptrIS8_EEEEPS9_mNS6_4lessIS8_EEEE10hipError_tT0_T1_T2_jT3_P12ihipStream_tbPNSt15iterator_traitsISL_E10value_typeEPNSR_ISM_E10value_typeEPSN_NS1_7vsmem_tEENKUlT_SL_SM_SN_E_clISG_PS8_SH_SH_EESK_S10_SL_SM_SN_EUlS10_E1_NS1_11comp_targetILNS1_3genE4ELNS1_11target_archE910ELNS1_3gpuE8ELNS1_3repE0EEENS1_36merge_oddeven_config_static_selectorELNS0_4arch9wavefront6targetE1EEEvSM_,comdat
	.protected	_ZN7rocprim17ROCPRIM_400000_NS6detail17trampoline_kernelINS0_14default_configENS1_38merge_sort_block_merge_config_selectorIN6thrust23THRUST_200600_302600_NS4pairIiiEENS0_10empty_typeEEEZZNS1_27merge_sort_block_merge_implIS3_NS6_6detail15normal_iteratorINS6_10device_ptrIS8_EEEEPS9_mNS6_4lessIS8_EEEE10hipError_tT0_T1_T2_jT3_P12ihipStream_tbPNSt15iterator_traitsISL_E10value_typeEPNSR_ISM_E10value_typeEPSN_NS1_7vsmem_tEENKUlT_SL_SM_SN_E_clISG_PS8_SH_SH_EESK_S10_SL_SM_SN_EUlS10_E1_NS1_11comp_targetILNS1_3genE4ELNS1_11target_archE910ELNS1_3gpuE8ELNS1_3repE0EEENS1_36merge_oddeven_config_static_selectorELNS0_4arch9wavefront6targetE1EEEvSM_ ; -- Begin function _ZN7rocprim17ROCPRIM_400000_NS6detail17trampoline_kernelINS0_14default_configENS1_38merge_sort_block_merge_config_selectorIN6thrust23THRUST_200600_302600_NS4pairIiiEENS0_10empty_typeEEEZZNS1_27merge_sort_block_merge_implIS3_NS6_6detail15normal_iteratorINS6_10device_ptrIS8_EEEEPS9_mNS6_4lessIS8_EEEE10hipError_tT0_T1_T2_jT3_P12ihipStream_tbPNSt15iterator_traitsISL_E10value_typeEPNSR_ISM_E10value_typeEPSN_NS1_7vsmem_tEENKUlT_SL_SM_SN_E_clISG_PS8_SH_SH_EESK_S10_SL_SM_SN_EUlS10_E1_NS1_11comp_targetILNS1_3genE4ELNS1_11target_archE910ELNS1_3gpuE8ELNS1_3repE0EEENS1_36merge_oddeven_config_static_selectorELNS0_4arch9wavefront6targetE1EEEvSM_
	.globl	_ZN7rocprim17ROCPRIM_400000_NS6detail17trampoline_kernelINS0_14default_configENS1_38merge_sort_block_merge_config_selectorIN6thrust23THRUST_200600_302600_NS4pairIiiEENS0_10empty_typeEEEZZNS1_27merge_sort_block_merge_implIS3_NS6_6detail15normal_iteratorINS6_10device_ptrIS8_EEEEPS9_mNS6_4lessIS8_EEEE10hipError_tT0_T1_T2_jT3_P12ihipStream_tbPNSt15iterator_traitsISL_E10value_typeEPNSR_ISM_E10value_typeEPSN_NS1_7vsmem_tEENKUlT_SL_SM_SN_E_clISG_PS8_SH_SH_EESK_S10_SL_SM_SN_EUlS10_E1_NS1_11comp_targetILNS1_3genE4ELNS1_11target_archE910ELNS1_3gpuE8ELNS1_3repE0EEENS1_36merge_oddeven_config_static_selectorELNS0_4arch9wavefront6targetE1EEEvSM_
	.p2align	8
	.type	_ZN7rocprim17ROCPRIM_400000_NS6detail17trampoline_kernelINS0_14default_configENS1_38merge_sort_block_merge_config_selectorIN6thrust23THRUST_200600_302600_NS4pairIiiEENS0_10empty_typeEEEZZNS1_27merge_sort_block_merge_implIS3_NS6_6detail15normal_iteratorINS6_10device_ptrIS8_EEEEPS9_mNS6_4lessIS8_EEEE10hipError_tT0_T1_T2_jT3_P12ihipStream_tbPNSt15iterator_traitsISL_E10value_typeEPNSR_ISM_E10value_typeEPSN_NS1_7vsmem_tEENKUlT_SL_SM_SN_E_clISG_PS8_SH_SH_EESK_S10_SL_SM_SN_EUlS10_E1_NS1_11comp_targetILNS1_3genE4ELNS1_11target_archE910ELNS1_3gpuE8ELNS1_3repE0EEENS1_36merge_oddeven_config_static_selectorELNS0_4arch9wavefront6targetE1EEEvSM_,@function
_ZN7rocprim17ROCPRIM_400000_NS6detail17trampoline_kernelINS0_14default_configENS1_38merge_sort_block_merge_config_selectorIN6thrust23THRUST_200600_302600_NS4pairIiiEENS0_10empty_typeEEEZZNS1_27merge_sort_block_merge_implIS3_NS6_6detail15normal_iteratorINS6_10device_ptrIS8_EEEEPS9_mNS6_4lessIS8_EEEE10hipError_tT0_T1_T2_jT3_P12ihipStream_tbPNSt15iterator_traitsISL_E10value_typeEPNSR_ISM_E10value_typeEPSN_NS1_7vsmem_tEENKUlT_SL_SM_SN_E_clISG_PS8_SH_SH_EESK_S10_SL_SM_SN_EUlS10_E1_NS1_11comp_targetILNS1_3genE4ELNS1_11target_archE910ELNS1_3gpuE8ELNS1_3repE0EEENS1_36merge_oddeven_config_static_selectorELNS0_4arch9wavefront6targetE1EEEvSM_: ; @_ZN7rocprim17ROCPRIM_400000_NS6detail17trampoline_kernelINS0_14default_configENS1_38merge_sort_block_merge_config_selectorIN6thrust23THRUST_200600_302600_NS4pairIiiEENS0_10empty_typeEEEZZNS1_27merge_sort_block_merge_implIS3_NS6_6detail15normal_iteratorINS6_10device_ptrIS8_EEEEPS9_mNS6_4lessIS8_EEEE10hipError_tT0_T1_T2_jT3_P12ihipStream_tbPNSt15iterator_traitsISL_E10value_typeEPNSR_ISM_E10value_typeEPSN_NS1_7vsmem_tEENKUlT_SL_SM_SN_E_clISG_PS8_SH_SH_EESK_S10_SL_SM_SN_EUlS10_E1_NS1_11comp_targetILNS1_3genE4ELNS1_11target_archE910ELNS1_3gpuE8ELNS1_3repE0EEENS1_36merge_oddeven_config_static_selectorELNS0_4arch9wavefront6targetE1EEEvSM_
; %bb.0:
	.section	.rodata,"a",@progbits
	.p2align	6, 0x0
	.amdhsa_kernel _ZN7rocprim17ROCPRIM_400000_NS6detail17trampoline_kernelINS0_14default_configENS1_38merge_sort_block_merge_config_selectorIN6thrust23THRUST_200600_302600_NS4pairIiiEENS0_10empty_typeEEEZZNS1_27merge_sort_block_merge_implIS3_NS6_6detail15normal_iteratorINS6_10device_ptrIS8_EEEEPS9_mNS6_4lessIS8_EEEE10hipError_tT0_T1_T2_jT3_P12ihipStream_tbPNSt15iterator_traitsISL_E10value_typeEPNSR_ISM_E10value_typeEPSN_NS1_7vsmem_tEENKUlT_SL_SM_SN_E_clISG_PS8_SH_SH_EESK_S10_SL_SM_SN_EUlS10_E1_NS1_11comp_targetILNS1_3genE4ELNS1_11target_archE910ELNS1_3gpuE8ELNS1_3repE0EEENS1_36merge_oddeven_config_static_selectorELNS0_4arch9wavefront6targetE1EEEvSM_
		.amdhsa_group_segment_fixed_size 0
		.amdhsa_private_segment_fixed_size 0
		.amdhsa_kernarg_size 56
		.amdhsa_user_sgpr_count 2
		.amdhsa_user_sgpr_dispatch_ptr 0
		.amdhsa_user_sgpr_queue_ptr 0
		.amdhsa_user_sgpr_kernarg_segment_ptr 1
		.amdhsa_user_sgpr_dispatch_id 0
		.amdhsa_user_sgpr_kernarg_preload_length 0
		.amdhsa_user_sgpr_kernarg_preload_offset 0
		.amdhsa_user_sgpr_private_segment_size 0
		.amdhsa_uses_dynamic_stack 0
		.amdhsa_enable_private_segment 0
		.amdhsa_system_sgpr_workgroup_id_x 1
		.amdhsa_system_sgpr_workgroup_id_y 0
		.amdhsa_system_sgpr_workgroup_id_z 0
		.amdhsa_system_sgpr_workgroup_info 0
		.amdhsa_system_vgpr_workitem_id 0
		.amdhsa_next_free_vgpr 1
		.amdhsa_next_free_sgpr 0
		.amdhsa_accum_offset 4
		.amdhsa_reserve_vcc 0
		.amdhsa_float_round_mode_32 0
		.amdhsa_float_round_mode_16_64 0
		.amdhsa_float_denorm_mode_32 3
		.amdhsa_float_denorm_mode_16_64 3
		.amdhsa_dx10_clamp 1
		.amdhsa_ieee_mode 1
		.amdhsa_fp16_overflow 0
		.amdhsa_tg_split 0
		.amdhsa_exception_fp_ieee_invalid_op 0
		.amdhsa_exception_fp_denorm_src 0
		.amdhsa_exception_fp_ieee_div_zero 0
		.amdhsa_exception_fp_ieee_overflow 0
		.amdhsa_exception_fp_ieee_underflow 0
		.amdhsa_exception_fp_ieee_inexact 0
		.amdhsa_exception_int_div_zero 0
	.end_amdhsa_kernel
	.section	.text._ZN7rocprim17ROCPRIM_400000_NS6detail17trampoline_kernelINS0_14default_configENS1_38merge_sort_block_merge_config_selectorIN6thrust23THRUST_200600_302600_NS4pairIiiEENS0_10empty_typeEEEZZNS1_27merge_sort_block_merge_implIS3_NS6_6detail15normal_iteratorINS6_10device_ptrIS8_EEEEPS9_mNS6_4lessIS8_EEEE10hipError_tT0_T1_T2_jT3_P12ihipStream_tbPNSt15iterator_traitsISL_E10value_typeEPNSR_ISM_E10value_typeEPSN_NS1_7vsmem_tEENKUlT_SL_SM_SN_E_clISG_PS8_SH_SH_EESK_S10_SL_SM_SN_EUlS10_E1_NS1_11comp_targetILNS1_3genE4ELNS1_11target_archE910ELNS1_3gpuE8ELNS1_3repE0EEENS1_36merge_oddeven_config_static_selectorELNS0_4arch9wavefront6targetE1EEEvSM_,"axG",@progbits,_ZN7rocprim17ROCPRIM_400000_NS6detail17trampoline_kernelINS0_14default_configENS1_38merge_sort_block_merge_config_selectorIN6thrust23THRUST_200600_302600_NS4pairIiiEENS0_10empty_typeEEEZZNS1_27merge_sort_block_merge_implIS3_NS6_6detail15normal_iteratorINS6_10device_ptrIS8_EEEEPS9_mNS6_4lessIS8_EEEE10hipError_tT0_T1_T2_jT3_P12ihipStream_tbPNSt15iterator_traitsISL_E10value_typeEPNSR_ISM_E10value_typeEPSN_NS1_7vsmem_tEENKUlT_SL_SM_SN_E_clISG_PS8_SH_SH_EESK_S10_SL_SM_SN_EUlS10_E1_NS1_11comp_targetILNS1_3genE4ELNS1_11target_archE910ELNS1_3gpuE8ELNS1_3repE0EEENS1_36merge_oddeven_config_static_selectorELNS0_4arch9wavefront6targetE1EEEvSM_,comdat
.Lfunc_end676:
	.size	_ZN7rocprim17ROCPRIM_400000_NS6detail17trampoline_kernelINS0_14default_configENS1_38merge_sort_block_merge_config_selectorIN6thrust23THRUST_200600_302600_NS4pairIiiEENS0_10empty_typeEEEZZNS1_27merge_sort_block_merge_implIS3_NS6_6detail15normal_iteratorINS6_10device_ptrIS8_EEEEPS9_mNS6_4lessIS8_EEEE10hipError_tT0_T1_T2_jT3_P12ihipStream_tbPNSt15iterator_traitsISL_E10value_typeEPNSR_ISM_E10value_typeEPSN_NS1_7vsmem_tEENKUlT_SL_SM_SN_E_clISG_PS8_SH_SH_EESK_S10_SL_SM_SN_EUlS10_E1_NS1_11comp_targetILNS1_3genE4ELNS1_11target_archE910ELNS1_3gpuE8ELNS1_3repE0EEENS1_36merge_oddeven_config_static_selectorELNS0_4arch9wavefront6targetE1EEEvSM_, .Lfunc_end676-_ZN7rocprim17ROCPRIM_400000_NS6detail17trampoline_kernelINS0_14default_configENS1_38merge_sort_block_merge_config_selectorIN6thrust23THRUST_200600_302600_NS4pairIiiEENS0_10empty_typeEEEZZNS1_27merge_sort_block_merge_implIS3_NS6_6detail15normal_iteratorINS6_10device_ptrIS8_EEEEPS9_mNS6_4lessIS8_EEEE10hipError_tT0_T1_T2_jT3_P12ihipStream_tbPNSt15iterator_traitsISL_E10value_typeEPNSR_ISM_E10value_typeEPSN_NS1_7vsmem_tEENKUlT_SL_SM_SN_E_clISG_PS8_SH_SH_EESK_S10_SL_SM_SN_EUlS10_E1_NS1_11comp_targetILNS1_3genE4ELNS1_11target_archE910ELNS1_3gpuE8ELNS1_3repE0EEENS1_36merge_oddeven_config_static_selectorELNS0_4arch9wavefront6targetE1EEEvSM_
                                        ; -- End function
	.set _ZN7rocprim17ROCPRIM_400000_NS6detail17trampoline_kernelINS0_14default_configENS1_38merge_sort_block_merge_config_selectorIN6thrust23THRUST_200600_302600_NS4pairIiiEENS0_10empty_typeEEEZZNS1_27merge_sort_block_merge_implIS3_NS6_6detail15normal_iteratorINS6_10device_ptrIS8_EEEEPS9_mNS6_4lessIS8_EEEE10hipError_tT0_T1_T2_jT3_P12ihipStream_tbPNSt15iterator_traitsISL_E10value_typeEPNSR_ISM_E10value_typeEPSN_NS1_7vsmem_tEENKUlT_SL_SM_SN_E_clISG_PS8_SH_SH_EESK_S10_SL_SM_SN_EUlS10_E1_NS1_11comp_targetILNS1_3genE4ELNS1_11target_archE910ELNS1_3gpuE8ELNS1_3repE0EEENS1_36merge_oddeven_config_static_selectorELNS0_4arch9wavefront6targetE1EEEvSM_.num_vgpr, 0
	.set _ZN7rocprim17ROCPRIM_400000_NS6detail17trampoline_kernelINS0_14default_configENS1_38merge_sort_block_merge_config_selectorIN6thrust23THRUST_200600_302600_NS4pairIiiEENS0_10empty_typeEEEZZNS1_27merge_sort_block_merge_implIS3_NS6_6detail15normal_iteratorINS6_10device_ptrIS8_EEEEPS9_mNS6_4lessIS8_EEEE10hipError_tT0_T1_T2_jT3_P12ihipStream_tbPNSt15iterator_traitsISL_E10value_typeEPNSR_ISM_E10value_typeEPSN_NS1_7vsmem_tEENKUlT_SL_SM_SN_E_clISG_PS8_SH_SH_EESK_S10_SL_SM_SN_EUlS10_E1_NS1_11comp_targetILNS1_3genE4ELNS1_11target_archE910ELNS1_3gpuE8ELNS1_3repE0EEENS1_36merge_oddeven_config_static_selectorELNS0_4arch9wavefront6targetE1EEEvSM_.num_agpr, 0
	.set _ZN7rocprim17ROCPRIM_400000_NS6detail17trampoline_kernelINS0_14default_configENS1_38merge_sort_block_merge_config_selectorIN6thrust23THRUST_200600_302600_NS4pairIiiEENS0_10empty_typeEEEZZNS1_27merge_sort_block_merge_implIS3_NS6_6detail15normal_iteratorINS6_10device_ptrIS8_EEEEPS9_mNS6_4lessIS8_EEEE10hipError_tT0_T1_T2_jT3_P12ihipStream_tbPNSt15iterator_traitsISL_E10value_typeEPNSR_ISM_E10value_typeEPSN_NS1_7vsmem_tEENKUlT_SL_SM_SN_E_clISG_PS8_SH_SH_EESK_S10_SL_SM_SN_EUlS10_E1_NS1_11comp_targetILNS1_3genE4ELNS1_11target_archE910ELNS1_3gpuE8ELNS1_3repE0EEENS1_36merge_oddeven_config_static_selectorELNS0_4arch9wavefront6targetE1EEEvSM_.numbered_sgpr, 0
	.set _ZN7rocprim17ROCPRIM_400000_NS6detail17trampoline_kernelINS0_14default_configENS1_38merge_sort_block_merge_config_selectorIN6thrust23THRUST_200600_302600_NS4pairIiiEENS0_10empty_typeEEEZZNS1_27merge_sort_block_merge_implIS3_NS6_6detail15normal_iteratorINS6_10device_ptrIS8_EEEEPS9_mNS6_4lessIS8_EEEE10hipError_tT0_T1_T2_jT3_P12ihipStream_tbPNSt15iterator_traitsISL_E10value_typeEPNSR_ISM_E10value_typeEPSN_NS1_7vsmem_tEENKUlT_SL_SM_SN_E_clISG_PS8_SH_SH_EESK_S10_SL_SM_SN_EUlS10_E1_NS1_11comp_targetILNS1_3genE4ELNS1_11target_archE910ELNS1_3gpuE8ELNS1_3repE0EEENS1_36merge_oddeven_config_static_selectorELNS0_4arch9wavefront6targetE1EEEvSM_.num_named_barrier, 0
	.set _ZN7rocprim17ROCPRIM_400000_NS6detail17trampoline_kernelINS0_14default_configENS1_38merge_sort_block_merge_config_selectorIN6thrust23THRUST_200600_302600_NS4pairIiiEENS0_10empty_typeEEEZZNS1_27merge_sort_block_merge_implIS3_NS6_6detail15normal_iteratorINS6_10device_ptrIS8_EEEEPS9_mNS6_4lessIS8_EEEE10hipError_tT0_T1_T2_jT3_P12ihipStream_tbPNSt15iterator_traitsISL_E10value_typeEPNSR_ISM_E10value_typeEPSN_NS1_7vsmem_tEENKUlT_SL_SM_SN_E_clISG_PS8_SH_SH_EESK_S10_SL_SM_SN_EUlS10_E1_NS1_11comp_targetILNS1_3genE4ELNS1_11target_archE910ELNS1_3gpuE8ELNS1_3repE0EEENS1_36merge_oddeven_config_static_selectorELNS0_4arch9wavefront6targetE1EEEvSM_.private_seg_size, 0
	.set _ZN7rocprim17ROCPRIM_400000_NS6detail17trampoline_kernelINS0_14default_configENS1_38merge_sort_block_merge_config_selectorIN6thrust23THRUST_200600_302600_NS4pairIiiEENS0_10empty_typeEEEZZNS1_27merge_sort_block_merge_implIS3_NS6_6detail15normal_iteratorINS6_10device_ptrIS8_EEEEPS9_mNS6_4lessIS8_EEEE10hipError_tT0_T1_T2_jT3_P12ihipStream_tbPNSt15iterator_traitsISL_E10value_typeEPNSR_ISM_E10value_typeEPSN_NS1_7vsmem_tEENKUlT_SL_SM_SN_E_clISG_PS8_SH_SH_EESK_S10_SL_SM_SN_EUlS10_E1_NS1_11comp_targetILNS1_3genE4ELNS1_11target_archE910ELNS1_3gpuE8ELNS1_3repE0EEENS1_36merge_oddeven_config_static_selectorELNS0_4arch9wavefront6targetE1EEEvSM_.uses_vcc, 0
	.set _ZN7rocprim17ROCPRIM_400000_NS6detail17trampoline_kernelINS0_14default_configENS1_38merge_sort_block_merge_config_selectorIN6thrust23THRUST_200600_302600_NS4pairIiiEENS0_10empty_typeEEEZZNS1_27merge_sort_block_merge_implIS3_NS6_6detail15normal_iteratorINS6_10device_ptrIS8_EEEEPS9_mNS6_4lessIS8_EEEE10hipError_tT0_T1_T2_jT3_P12ihipStream_tbPNSt15iterator_traitsISL_E10value_typeEPNSR_ISM_E10value_typeEPSN_NS1_7vsmem_tEENKUlT_SL_SM_SN_E_clISG_PS8_SH_SH_EESK_S10_SL_SM_SN_EUlS10_E1_NS1_11comp_targetILNS1_3genE4ELNS1_11target_archE910ELNS1_3gpuE8ELNS1_3repE0EEENS1_36merge_oddeven_config_static_selectorELNS0_4arch9wavefront6targetE1EEEvSM_.uses_flat_scratch, 0
	.set _ZN7rocprim17ROCPRIM_400000_NS6detail17trampoline_kernelINS0_14default_configENS1_38merge_sort_block_merge_config_selectorIN6thrust23THRUST_200600_302600_NS4pairIiiEENS0_10empty_typeEEEZZNS1_27merge_sort_block_merge_implIS3_NS6_6detail15normal_iteratorINS6_10device_ptrIS8_EEEEPS9_mNS6_4lessIS8_EEEE10hipError_tT0_T1_T2_jT3_P12ihipStream_tbPNSt15iterator_traitsISL_E10value_typeEPNSR_ISM_E10value_typeEPSN_NS1_7vsmem_tEENKUlT_SL_SM_SN_E_clISG_PS8_SH_SH_EESK_S10_SL_SM_SN_EUlS10_E1_NS1_11comp_targetILNS1_3genE4ELNS1_11target_archE910ELNS1_3gpuE8ELNS1_3repE0EEENS1_36merge_oddeven_config_static_selectorELNS0_4arch9wavefront6targetE1EEEvSM_.has_dyn_sized_stack, 0
	.set _ZN7rocprim17ROCPRIM_400000_NS6detail17trampoline_kernelINS0_14default_configENS1_38merge_sort_block_merge_config_selectorIN6thrust23THRUST_200600_302600_NS4pairIiiEENS0_10empty_typeEEEZZNS1_27merge_sort_block_merge_implIS3_NS6_6detail15normal_iteratorINS6_10device_ptrIS8_EEEEPS9_mNS6_4lessIS8_EEEE10hipError_tT0_T1_T2_jT3_P12ihipStream_tbPNSt15iterator_traitsISL_E10value_typeEPNSR_ISM_E10value_typeEPSN_NS1_7vsmem_tEENKUlT_SL_SM_SN_E_clISG_PS8_SH_SH_EESK_S10_SL_SM_SN_EUlS10_E1_NS1_11comp_targetILNS1_3genE4ELNS1_11target_archE910ELNS1_3gpuE8ELNS1_3repE0EEENS1_36merge_oddeven_config_static_selectorELNS0_4arch9wavefront6targetE1EEEvSM_.has_recursion, 0
	.set _ZN7rocprim17ROCPRIM_400000_NS6detail17trampoline_kernelINS0_14default_configENS1_38merge_sort_block_merge_config_selectorIN6thrust23THRUST_200600_302600_NS4pairIiiEENS0_10empty_typeEEEZZNS1_27merge_sort_block_merge_implIS3_NS6_6detail15normal_iteratorINS6_10device_ptrIS8_EEEEPS9_mNS6_4lessIS8_EEEE10hipError_tT0_T1_T2_jT3_P12ihipStream_tbPNSt15iterator_traitsISL_E10value_typeEPNSR_ISM_E10value_typeEPSN_NS1_7vsmem_tEENKUlT_SL_SM_SN_E_clISG_PS8_SH_SH_EESK_S10_SL_SM_SN_EUlS10_E1_NS1_11comp_targetILNS1_3genE4ELNS1_11target_archE910ELNS1_3gpuE8ELNS1_3repE0EEENS1_36merge_oddeven_config_static_selectorELNS0_4arch9wavefront6targetE1EEEvSM_.has_indirect_call, 0
	.section	.AMDGPU.csdata,"",@progbits
; Kernel info:
; codeLenInByte = 0
; TotalNumSgprs: 6
; NumVgprs: 0
; NumAgprs: 0
; TotalNumVgprs: 0
; ScratchSize: 0
; MemoryBound: 0
; FloatMode: 240
; IeeeMode: 1
; LDSByteSize: 0 bytes/workgroup (compile time only)
; SGPRBlocks: 0
; VGPRBlocks: 0
; NumSGPRsForWavesPerEU: 6
; NumVGPRsForWavesPerEU: 1
; AccumOffset: 4
; Occupancy: 8
; WaveLimiterHint : 0
; COMPUTE_PGM_RSRC2:SCRATCH_EN: 0
; COMPUTE_PGM_RSRC2:USER_SGPR: 2
; COMPUTE_PGM_RSRC2:TRAP_HANDLER: 0
; COMPUTE_PGM_RSRC2:TGID_X_EN: 1
; COMPUTE_PGM_RSRC2:TGID_Y_EN: 0
; COMPUTE_PGM_RSRC2:TGID_Z_EN: 0
; COMPUTE_PGM_RSRC2:TIDIG_COMP_CNT: 0
; COMPUTE_PGM_RSRC3_GFX90A:ACCUM_OFFSET: 0
; COMPUTE_PGM_RSRC3_GFX90A:TG_SPLIT: 0
	.section	.text._ZN7rocprim17ROCPRIM_400000_NS6detail17trampoline_kernelINS0_14default_configENS1_38merge_sort_block_merge_config_selectorIN6thrust23THRUST_200600_302600_NS4pairIiiEENS0_10empty_typeEEEZZNS1_27merge_sort_block_merge_implIS3_NS6_6detail15normal_iteratorINS6_10device_ptrIS8_EEEEPS9_mNS6_4lessIS8_EEEE10hipError_tT0_T1_T2_jT3_P12ihipStream_tbPNSt15iterator_traitsISL_E10value_typeEPNSR_ISM_E10value_typeEPSN_NS1_7vsmem_tEENKUlT_SL_SM_SN_E_clISG_PS8_SH_SH_EESK_S10_SL_SM_SN_EUlS10_E1_NS1_11comp_targetILNS1_3genE3ELNS1_11target_archE908ELNS1_3gpuE7ELNS1_3repE0EEENS1_36merge_oddeven_config_static_selectorELNS0_4arch9wavefront6targetE1EEEvSM_,"axG",@progbits,_ZN7rocprim17ROCPRIM_400000_NS6detail17trampoline_kernelINS0_14default_configENS1_38merge_sort_block_merge_config_selectorIN6thrust23THRUST_200600_302600_NS4pairIiiEENS0_10empty_typeEEEZZNS1_27merge_sort_block_merge_implIS3_NS6_6detail15normal_iteratorINS6_10device_ptrIS8_EEEEPS9_mNS6_4lessIS8_EEEE10hipError_tT0_T1_T2_jT3_P12ihipStream_tbPNSt15iterator_traitsISL_E10value_typeEPNSR_ISM_E10value_typeEPSN_NS1_7vsmem_tEENKUlT_SL_SM_SN_E_clISG_PS8_SH_SH_EESK_S10_SL_SM_SN_EUlS10_E1_NS1_11comp_targetILNS1_3genE3ELNS1_11target_archE908ELNS1_3gpuE7ELNS1_3repE0EEENS1_36merge_oddeven_config_static_selectorELNS0_4arch9wavefront6targetE1EEEvSM_,comdat
	.protected	_ZN7rocprim17ROCPRIM_400000_NS6detail17trampoline_kernelINS0_14default_configENS1_38merge_sort_block_merge_config_selectorIN6thrust23THRUST_200600_302600_NS4pairIiiEENS0_10empty_typeEEEZZNS1_27merge_sort_block_merge_implIS3_NS6_6detail15normal_iteratorINS6_10device_ptrIS8_EEEEPS9_mNS6_4lessIS8_EEEE10hipError_tT0_T1_T2_jT3_P12ihipStream_tbPNSt15iterator_traitsISL_E10value_typeEPNSR_ISM_E10value_typeEPSN_NS1_7vsmem_tEENKUlT_SL_SM_SN_E_clISG_PS8_SH_SH_EESK_S10_SL_SM_SN_EUlS10_E1_NS1_11comp_targetILNS1_3genE3ELNS1_11target_archE908ELNS1_3gpuE7ELNS1_3repE0EEENS1_36merge_oddeven_config_static_selectorELNS0_4arch9wavefront6targetE1EEEvSM_ ; -- Begin function _ZN7rocprim17ROCPRIM_400000_NS6detail17trampoline_kernelINS0_14default_configENS1_38merge_sort_block_merge_config_selectorIN6thrust23THRUST_200600_302600_NS4pairIiiEENS0_10empty_typeEEEZZNS1_27merge_sort_block_merge_implIS3_NS6_6detail15normal_iteratorINS6_10device_ptrIS8_EEEEPS9_mNS6_4lessIS8_EEEE10hipError_tT0_T1_T2_jT3_P12ihipStream_tbPNSt15iterator_traitsISL_E10value_typeEPNSR_ISM_E10value_typeEPSN_NS1_7vsmem_tEENKUlT_SL_SM_SN_E_clISG_PS8_SH_SH_EESK_S10_SL_SM_SN_EUlS10_E1_NS1_11comp_targetILNS1_3genE3ELNS1_11target_archE908ELNS1_3gpuE7ELNS1_3repE0EEENS1_36merge_oddeven_config_static_selectorELNS0_4arch9wavefront6targetE1EEEvSM_
	.globl	_ZN7rocprim17ROCPRIM_400000_NS6detail17trampoline_kernelINS0_14default_configENS1_38merge_sort_block_merge_config_selectorIN6thrust23THRUST_200600_302600_NS4pairIiiEENS0_10empty_typeEEEZZNS1_27merge_sort_block_merge_implIS3_NS6_6detail15normal_iteratorINS6_10device_ptrIS8_EEEEPS9_mNS6_4lessIS8_EEEE10hipError_tT0_T1_T2_jT3_P12ihipStream_tbPNSt15iterator_traitsISL_E10value_typeEPNSR_ISM_E10value_typeEPSN_NS1_7vsmem_tEENKUlT_SL_SM_SN_E_clISG_PS8_SH_SH_EESK_S10_SL_SM_SN_EUlS10_E1_NS1_11comp_targetILNS1_3genE3ELNS1_11target_archE908ELNS1_3gpuE7ELNS1_3repE0EEENS1_36merge_oddeven_config_static_selectorELNS0_4arch9wavefront6targetE1EEEvSM_
	.p2align	8
	.type	_ZN7rocprim17ROCPRIM_400000_NS6detail17trampoline_kernelINS0_14default_configENS1_38merge_sort_block_merge_config_selectorIN6thrust23THRUST_200600_302600_NS4pairIiiEENS0_10empty_typeEEEZZNS1_27merge_sort_block_merge_implIS3_NS6_6detail15normal_iteratorINS6_10device_ptrIS8_EEEEPS9_mNS6_4lessIS8_EEEE10hipError_tT0_T1_T2_jT3_P12ihipStream_tbPNSt15iterator_traitsISL_E10value_typeEPNSR_ISM_E10value_typeEPSN_NS1_7vsmem_tEENKUlT_SL_SM_SN_E_clISG_PS8_SH_SH_EESK_S10_SL_SM_SN_EUlS10_E1_NS1_11comp_targetILNS1_3genE3ELNS1_11target_archE908ELNS1_3gpuE7ELNS1_3repE0EEENS1_36merge_oddeven_config_static_selectorELNS0_4arch9wavefront6targetE1EEEvSM_,@function
_ZN7rocprim17ROCPRIM_400000_NS6detail17trampoline_kernelINS0_14default_configENS1_38merge_sort_block_merge_config_selectorIN6thrust23THRUST_200600_302600_NS4pairIiiEENS0_10empty_typeEEEZZNS1_27merge_sort_block_merge_implIS3_NS6_6detail15normal_iteratorINS6_10device_ptrIS8_EEEEPS9_mNS6_4lessIS8_EEEE10hipError_tT0_T1_T2_jT3_P12ihipStream_tbPNSt15iterator_traitsISL_E10value_typeEPNSR_ISM_E10value_typeEPSN_NS1_7vsmem_tEENKUlT_SL_SM_SN_E_clISG_PS8_SH_SH_EESK_S10_SL_SM_SN_EUlS10_E1_NS1_11comp_targetILNS1_3genE3ELNS1_11target_archE908ELNS1_3gpuE7ELNS1_3repE0EEENS1_36merge_oddeven_config_static_selectorELNS0_4arch9wavefront6targetE1EEEvSM_: ; @_ZN7rocprim17ROCPRIM_400000_NS6detail17trampoline_kernelINS0_14default_configENS1_38merge_sort_block_merge_config_selectorIN6thrust23THRUST_200600_302600_NS4pairIiiEENS0_10empty_typeEEEZZNS1_27merge_sort_block_merge_implIS3_NS6_6detail15normal_iteratorINS6_10device_ptrIS8_EEEEPS9_mNS6_4lessIS8_EEEE10hipError_tT0_T1_T2_jT3_P12ihipStream_tbPNSt15iterator_traitsISL_E10value_typeEPNSR_ISM_E10value_typeEPSN_NS1_7vsmem_tEENKUlT_SL_SM_SN_E_clISG_PS8_SH_SH_EESK_S10_SL_SM_SN_EUlS10_E1_NS1_11comp_targetILNS1_3genE3ELNS1_11target_archE908ELNS1_3gpuE7ELNS1_3repE0EEENS1_36merge_oddeven_config_static_selectorELNS0_4arch9wavefront6targetE1EEEvSM_
; %bb.0:
	.section	.rodata,"a",@progbits
	.p2align	6, 0x0
	.amdhsa_kernel _ZN7rocprim17ROCPRIM_400000_NS6detail17trampoline_kernelINS0_14default_configENS1_38merge_sort_block_merge_config_selectorIN6thrust23THRUST_200600_302600_NS4pairIiiEENS0_10empty_typeEEEZZNS1_27merge_sort_block_merge_implIS3_NS6_6detail15normal_iteratorINS6_10device_ptrIS8_EEEEPS9_mNS6_4lessIS8_EEEE10hipError_tT0_T1_T2_jT3_P12ihipStream_tbPNSt15iterator_traitsISL_E10value_typeEPNSR_ISM_E10value_typeEPSN_NS1_7vsmem_tEENKUlT_SL_SM_SN_E_clISG_PS8_SH_SH_EESK_S10_SL_SM_SN_EUlS10_E1_NS1_11comp_targetILNS1_3genE3ELNS1_11target_archE908ELNS1_3gpuE7ELNS1_3repE0EEENS1_36merge_oddeven_config_static_selectorELNS0_4arch9wavefront6targetE1EEEvSM_
		.amdhsa_group_segment_fixed_size 0
		.amdhsa_private_segment_fixed_size 0
		.amdhsa_kernarg_size 56
		.amdhsa_user_sgpr_count 2
		.amdhsa_user_sgpr_dispatch_ptr 0
		.amdhsa_user_sgpr_queue_ptr 0
		.amdhsa_user_sgpr_kernarg_segment_ptr 1
		.amdhsa_user_sgpr_dispatch_id 0
		.amdhsa_user_sgpr_kernarg_preload_length 0
		.amdhsa_user_sgpr_kernarg_preload_offset 0
		.amdhsa_user_sgpr_private_segment_size 0
		.amdhsa_uses_dynamic_stack 0
		.amdhsa_enable_private_segment 0
		.amdhsa_system_sgpr_workgroup_id_x 1
		.amdhsa_system_sgpr_workgroup_id_y 0
		.amdhsa_system_sgpr_workgroup_id_z 0
		.amdhsa_system_sgpr_workgroup_info 0
		.amdhsa_system_vgpr_workitem_id 0
		.amdhsa_next_free_vgpr 1
		.amdhsa_next_free_sgpr 0
		.amdhsa_accum_offset 4
		.amdhsa_reserve_vcc 0
		.amdhsa_float_round_mode_32 0
		.amdhsa_float_round_mode_16_64 0
		.amdhsa_float_denorm_mode_32 3
		.amdhsa_float_denorm_mode_16_64 3
		.amdhsa_dx10_clamp 1
		.amdhsa_ieee_mode 1
		.amdhsa_fp16_overflow 0
		.amdhsa_tg_split 0
		.amdhsa_exception_fp_ieee_invalid_op 0
		.amdhsa_exception_fp_denorm_src 0
		.amdhsa_exception_fp_ieee_div_zero 0
		.amdhsa_exception_fp_ieee_overflow 0
		.amdhsa_exception_fp_ieee_underflow 0
		.amdhsa_exception_fp_ieee_inexact 0
		.amdhsa_exception_int_div_zero 0
	.end_amdhsa_kernel
	.section	.text._ZN7rocprim17ROCPRIM_400000_NS6detail17trampoline_kernelINS0_14default_configENS1_38merge_sort_block_merge_config_selectorIN6thrust23THRUST_200600_302600_NS4pairIiiEENS0_10empty_typeEEEZZNS1_27merge_sort_block_merge_implIS3_NS6_6detail15normal_iteratorINS6_10device_ptrIS8_EEEEPS9_mNS6_4lessIS8_EEEE10hipError_tT0_T1_T2_jT3_P12ihipStream_tbPNSt15iterator_traitsISL_E10value_typeEPNSR_ISM_E10value_typeEPSN_NS1_7vsmem_tEENKUlT_SL_SM_SN_E_clISG_PS8_SH_SH_EESK_S10_SL_SM_SN_EUlS10_E1_NS1_11comp_targetILNS1_3genE3ELNS1_11target_archE908ELNS1_3gpuE7ELNS1_3repE0EEENS1_36merge_oddeven_config_static_selectorELNS0_4arch9wavefront6targetE1EEEvSM_,"axG",@progbits,_ZN7rocprim17ROCPRIM_400000_NS6detail17trampoline_kernelINS0_14default_configENS1_38merge_sort_block_merge_config_selectorIN6thrust23THRUST_200600_302600_NS4pairIiiEENS0_10empty_typeEEEZZNS1_27merge_sort_block_merge_implIS3_NS6_6detail15normal_iteratorINS6_10device_ptrIS8_EEEEPS9_mNS6_4lessIS8_EEEE10hipError_tT0_T1_T2_jT3_P12ihipStream_tbPNSt15iterator_traitsISL_E10value_typeEPNSR_ISM_E10value_typeEPSN_NS1_7vsmem_tEENKUlT_SL_SM_SN_E_clISG_PS8_SH_SH_EESK_S10_SL_SM_SN_EUlS10_E1_NS1_11comp_targetILNS1_3genE3ELNS1_11target_archE908ELNS1_3gpuE7ELNS1_3repE0EEENS1_36merge_oddeven_config_static_selectorELNS0_4arch9wavefront6targetE1EEEvSM_,comdat
.Lfunc_end677:
	.size	_ZN7rocprim17ROCPRIM_400000_NS6detail17trampoline_kernelINS0_14default_configENS1_38merge_sort_block_merge_config_selectorIN6thrust23THRUST_200600_302600_NS4pairIiiEENS0_10empty_typeEEEZZNS1_27merge_sort_block_merge_implIS3_NS6_6detail15normal_iteratorINS6_10device_ptrIS8_EEEEPS9_mNS6_4lessIS8_EEEE10hipError_tT0_T1_T2_jT3_P12ihipStream_tbPNSt15iterator_traitsISL_E10value_typeEPNSR_ISM_E10value_typeEPSN_NS1_7vsmem_tEENKUlT_SL_SM_SN_E_clISG_PS8_SH_SH_EESK_S10_SL_SM_SN_EUlS10_E1_NS1_11comp_targetILNS1_3genE3ELNS1_11target_archE908ELNS1_3gpuE7ELNS1_3repE0EEENS1_36merge_oddeven_config_static_selectorELNS0_4arch9wavefront6targetE1EEEvSM_, .Lfunc_end677-_ZN7rocprim17ROCPRIM_400000_NS6detail17trampoline_kernelINS0_14default_configENS1_38merge_sort_block_merge_config_selectorIN6thrust23THRUST_200600_302600_NS4pairIiiEENS0_10empty_typeEEEZZNS1_27merge_sort_block_merge_implIS3_NS6_6detail15normal_iteratorINS6_10device_ptrIS8_EEEEPS9_mNS6_4lessIS8_EEEE10hipError_tT0_T1_T2_jT3_P12ihipStream_tbPNSt15iterator_traitsISL_E10value_typeEPNSR_ISM_E10value_typeEPSN_NS1_7vsmem_tEENKUlT_SL_SM_SN_E_clISG_PS8_SH_SH_EESK_S10_SL_SM_SN_EUlS10_E1_NS1_11comp_targetILNS1_3genE3ELNS1_11target_archE908ELNS1_3gpuE7ELNS1_3repE0EEENS1_36merge_oddeven_config_static_selectorELNS0_4arch9wavefront6targetE1EEEvSM_
                                        ; -- End function
	.set _ZN7rocprim17ROCPRIM_400000_NS6detail17trampoline_kernelINS0_14default_configENS1_38merge_sort_block_merge_config_selectorIN6thrust23THRUST_200600_302600_NS4pairIiiEENS0_10empty_typeEEEZZNS1_27merge_sort_block_merge_implIS3_NS6_6detail15normal_iteratorINS6_10device_ptrIS8_EEEEPS9_mNS6_4lessIS8_EEEE10hipError_tT0_T1_T2_jT3_P12ihipStream_tbPNSt15iterator_traitsISL_E10value_typeEPNSR_ISM_E10value_typeEPSN_NS1_7vsmem_tEENKUlT_SL_SM_SN_E_clISG_PS8_SH_SH_EESK_S10_SL_SM_SN_EUlS10_E1_NS1_11comp_targetILNS1_3genE3ELNS1_11target_archE908ELNS1_3gpuE7ELNS1_3repE0EEENS1_36merge_oddeven_config_static_selectorELNS0_4arch9wavefront6targetE1EEEvSM_.num_vgpr, 0
	.set _ZN7rocprim17ROCPRIM_400000_NS6detail17trampoline_kernelINS0_14default_configENS1_38merge_sort_block_merge_config_selectorIN6thrust23THRUST_200600_302600_NS4pairIiiEENS0_10empty_typeEEEZZNS1_27merge_sort_block_merge_implIS3_NS6_6detail15normal_iteratorINS6_10device_ptrIS8_EEEEPS9_mNS6_4lessIS8_EEEE10hipError_tT0_T1_T2_jT3_P12ihipStream_tbPNSt15iterator_traitsISL_E10value_typeEPNSR_ISM_E10value_typeEPSN_NS1_7vsmem_tEENKUlT_SL_SM_SN_E_clISG_PS8_SH_SH_EESK_S10_SL_SM_SN_EUlS10_E1_NS1_11comp_targetILNS1_3genE3ELNS1_11target_archE908ELNS1_3gpuE7ELNS1_3repE0EEENS1_36merge_oddeven_config_static_selectorELNS0_4arch9wavefront6targetE1EEEvSM_.num_agpr, 0
	.set _ZN7rocprim17ROCPRIM_400000_NS6detail17trampoline_kernelINS0_14default_configENS1_38merge_sort_block_merge_config_selectorIN6thrust23THRUST_200600_302600_NS4pairIiiEENS0_10empty_typeEEEZZNS1_27merge_sort_block_merge_implIS3_NS6_6detail15normal_iteratorINS6_10device_ptrIS8_EEEEPS9_mNS6_4lessIS8_EEEE10hipError_tT0_T1_T2_jT3_P12ihipStream_tbPNSt15iterator_traitsISL_E10value_typeEPNSR_ISM_E10value_typeEPSN_NS1_7vsmem_tEENKUlT_SL_SM_SN_E_clISG_PS8_SH_SH_EESK_S10_SL_SM_SN_EUlS10_E1_NS1_11comp_targetILNS1_3genE3ELNS1_11target_archE908ELNS1_3gpuE7ELNS1_3repE0EEENS1_36merge_oddeven_config_static_selectorELNS0_4arch9wavefront6targetE1EEEvSM_.numbered_sgpr, 0
	.set _ZN7rocprim17ROCPRIM_400000_NS6detail17trampoline_kernelINS0_14default_configENS1_38merge_sort_block_merge_config_selectorIN6thrust23THRUST_200600_302600_NS4pairIiiEENS0_10empty_typeEEEZZNS1_27merge_sort_block_merge_implIS3_NS6_6detail15normal_iteratorINS6_10device_ptrIS8_EEEEPS9_mNS6_4lessIS8_EEEE10hipError_tT0_T1_T2_jT3_P12ihipStream_tbPNSt15iterator_traitsISL_E10value_typeEPNSR_ISM_E10value_typeEPSN_NS1_7vsmem_tEENKUlT_SL_SM_SN_E_clISG_PS8_SH_SH_EESK_S10_SL_SM_SN_EUlS10_E1_NS1_11comp_targetILNS1_3genE3ELNS1_11target_archE908ELNS1_3gpuE7ELNS1_3repE0EEENS1_36merge_oddeven_config_static_selectorELNS0_4arch9wavefront6targetE1EEEvSM_.num_named_barrier, 0
	.set _ZN7rocprim17ROCPRIM_400000_NS6detail17trampoline_kernelINS0_14default_configENS1_38merge_sort_block_merge_config_selectorIN6thrust23THRUST_200600_302600_NS4pairIiiEENS0_10empty_typeEEEZZNS1_27merge_sort_block_merge_implIS3_NS6_6detail15normal_iteratorINS6_10device_ptrIS8_EEEEPS9_mNS6_4lessIS8_EEEE10hipError_tT0_T1_T2_jT3_P12ihipStream_tbPNSt15iterator_traitsISL_E10value_typeEPNSR_ISM_E10value_typeEPSN_NS1_7vsmem_tEENKUlT_SL_SM_SN_E_clISG_PS8_SH_SH_EESK_S10_SL_SM_SN_EUlS10_E1_NS1_11comp_targetILNS1_3genE3ELNS1_11target_archE908ELNS1_3gpuE7ELNS1_3repE0EEENS1_36merge_oddeven_config_static_selectorELNS0_4arch9wavefront6targetE1EEEvSM_.private_seg_size, 0
	.set _ZN7rocprim17ROCPRIM_400000_NS6detail17trampoline_kernelINS0_14default_configENS1_38merge_sort_block_merge_config_selectorIN6thrust23THRUST_200600_302600_NS4pairIiiEENS0_10empty_typeEEEZZNS1_27merge_sort_block_merge_implIS3_NS6_6detail15normal_iteratorINS6_10device_ptrIS8_EEEEPS9_mNS6_4lessIS8_EEEE10hipError_tT0_T1_T2_jT3_P12ihipStream_tbPNSt15iterator_traitsISL_E10value_typeEPNSR_ISM_E10value_typeEPSN_NS1_7vsmem_tEENKUlT_SL_SM_SN_E_clISG_PS8_SH_SH_EESK_S10_SL_SM_SN_EUlS10_E1_NS1_11comp_targetILNS1_3genE3ELNS1_11target_archE908ELNS1_3gpuE7ELNS1_3repE0EEENS1_36merge_oddeven_config_static_selectorELNS0_4arch9wavefront6targetE1EEEvSM_.uses_vcc, 0
	.set _ZN7rocprim17ROCPRIM_400000_NS6detail17trampoline_kernelINS0_14default_configENS1_38merge_sort_block_merge_config_selectorIN6thrust23THRUST_200600_302600_NS4pairIiiEENS0_10empty_typeEEEZZNS1_27merge_sort_block_merge_implIS3_NS6_6detail15normal_iteratorINS6_10device_ptrIS8_EEEEPS9_mNS6_4lessIS8_EEEE10hipError_tT0_T1_T2_jT3_P12ihipStream_tbPNSt15iterator_traitsISL_E10value_typeEPNSR_ISM_E10value_typeEPSN_NS1_7vsmem_tEENKUlT_SL_SM_SN_E_clISG_PS8_SH_SH_EESK_S10_SL_SM_SN_EUlS10_E1_NS1_11comp_targetILNS1_3genE3ELNS1_11target_archE908ELNS1_3gpuE7ELNS1_3repE0EEENS1_36merge_oddeven_config_static_selectorELNS0_4arch9wavefront6targetE1EEEvSM_.uses_flat_scratch, 0
	.set _ZN7rocprim17ROCPRIM_400000_NS6detail17trampoline_kernelINS0_14default_configENS1_38merge_sort_block_merge_config_selectorIN6thrust23THRUST_200600_302600_NS4pairIiiEENS0_10empty_typeEEEZZNS1_27merge_sort_block_merge_implIS3_NS6_6detail15normal_iteratorINS6_10device_ptrIS8_EEEEPS9_mNS6_4lessIS8_EEEE10hipError_tT0_T1_T2_jT3_P12ihipStream_tbPNSt15iterator_traitsISL_E10value_typeEPNSR_ISM_E10value_typeEPSN_NS1_7vsmem_tEENKUlT_SL_SM_SN_E_clISG_PS8_SH_SH_EESK_S10_SL_SM_SN_EUlS10_E1_NS1_11comp_targetILNS1_3genE3ELNS1_11target_archE908ELNS1_3gpuE7ELNS1_3repE0EEENS1_36merge_oddeven_config_static_selectorELNS0_4arch9wavefront6targetE1EEEvSM_.has_dyn_sized_stack, 0
	.set _ZN7rocprim17ROCPRIM_400000_NS6detail17trampoline_kernelINS0_14default_configENS1_38merge_sort_block_merge_config_selectorIN6thrust23THRUST_200600_302600_NS4pairIiiEENS0_10empty_typeEEEZZNS1_27merge_sort_block_merge_implIS3_NS6_6detail15normal_iteratorINS6_10device_ptrIS8_EEEEPS9_mNS6_4lessIS8_EEEE10hipError_tT0_T1_T2_jT3_P12ihipStream_tbPNSt15iterator_traitsISL_E10value_typeEPNSR_ISM_E10value_typeEPSN_NS1_7vsmem_tEENKUlT_SL_SM_SN_E_clISG_PS8_SH_SH_EESK_S10_SL_SM_SN_EUlS10_E1_NS1_11comp_targetILNS1_3genE3ELNS1_11target_archE908ELNS1_3gpuE7ELNS1_3repE0EEENS1_36merge_oddeven_config_static_selectorELNS0_4arch9wavefront6targetE1EEEvSM_.has_recursion, 0
	.set _ZN7rocprim17ROCPRIM_400000_NS6detail17trampoline_kernelINS0_14default_configENS1_38merge_sort_block_merge_config_selectorIN6thrust23THRUST_200600_302600_NS4pairIiiEENS0_10empty_typeEEEZZNS1_27merge_sort_block_merge_implIS3_NS6_6detail15normal_iteratorINS6_10device_ptrIS8_EEEEPS9_mNS6_4lessIS8_EEEE10hipError_tT0_T1_T2_jT3_P12ihipStream_tbPNSt15iterator_traitsISL_E10value_typeEPNSR_ISM_E10value_typeEPSN_NS1_7vsmem_tEENKUlT_SL_SM_SN_E_clISG_PS8_SH_SH_EESK_S10_SL_SM_SN_EUlS10_E1_NS1_11comp_targetILNS1_3genE3ELNS1_11target_archE908ELNS1_3gpuE7ELNS1_3repE0EEENS1_36merge_oddeven_config_static_selectorELNS0_4arch9wavefront6targetE1EEEvSM_.has_indirect_call, 0
	.section	.AMDGPU.csdata,"",@progbits
; Kernel info:
; codeLenInByte = 0
; TotalNumSgprs: 6
; NumVgprs: 0
; NumAgprs: 0
; TotalNumVgprs: 0
; ScratchSize: 0
; MemoryBound: 0
; FloatMode: 240
; IeeeMode: 1
; LDSByteSize: 0 bytes/workgroup (compile time only)
; SGPRBlocks: 0
; VGPRBlocks: 0
; NumSGPRsForWavesPerEU: 6
; NumVGPRsForWavesPerEU: 1
; AccumOffset: 4
; Occupancy: 8
; WaveLimiterHint : 0
; COMPUTE_PGM_RSRC2:SCRATCH_EN: 0
; COMPUTE_PGM_RSRC2:USER_SGPR: 2
; COMPUTE_PGM_RSRC2:TRAP_HANDLER: 0
; COMPUTE_PGM_RSRC2:TGID_X_EN: 1
; COMPUTE_PGM_RSRC2:TGID_Y_EN: 0
; COMPUTE_PGM_RSRC2:TGID_Z_EN: 0
; COMPUTE_PGM_RSRC2:TIDIG_COMP_CNT: 0
; COMPUTE_PGM_RSRC3_GFX90A:ACCUM_OFFSET: 0
; COMPUTE_PGM_RSRC3_GFX90A:TG_SPLIT: 0
	.section	.text._ZN7rocprim17ROCPRIM_400000_NS6detail17trampoline_kernelINS0_14default_configENS1_38merge_sort_block_merge_config_selectorIN6thrust23THRUST_200600_302600_NS4pairIiiEENS0_10empty_typeEEEZZNS1_27merge_sort_block_merge_implIS3_NS6_6detail15normal_iteratorINS6_10device_ptrIS8_EEEEPS9_mNS6_4lessIS8_EEEE10hipError_tT0_T1_T2_jT3_P12ihipStream_tbPNSt15iterator_traitsISL_E10value_typeEPNSR_ISM_E10value_typeEPSN_NS1_7vsmem_tEENKUlT_SL_SM_SN_E_clISG_PS8_SH_SH_EESK_S10_SL_SM_SN_EUlS10_E1_NS1_11comp_targetILNS1_3genE2ELNS1_11target_archE906ELNS1_3gpuE6ELNS1_3repE0EEENS1_36merge_oddeven_config_static_selectorELNS0_4arch9wavefront6targetE1EEEvSM_,"axG",@progbits,_ZN7rocprim17ROCPRIM_400000_NS6detail17trampoline_kernelINS0_14default_configENS1_38merge_sort_block_merge_config_selectorIN6thrust23THRUST_200600_302600_NS4pairIiiEENS0_10empty_typeEEEZZNS1_27merge_sort_block_merge_implIS3_NS6_6detail15normal_iteratorINS6_10device_ptrIS8_EEEEPS9_mNS6_4lessIS8_EEEE10hipError_tT0_T1_T2_jT3_P12ihipStream_tbPNSt15iterator_traitsISL_E10value_typeEPNSR_ISM_E10value_typeEPSN_NS1_7vsmem_tEENKUlT_SL_SM_SN_E_clISG_PS8_SH_SH_EESK_S10_SL_SM_SN_EUlS10_E1_NS1_11comp_targetILNS1_3genE2ELNS1_11target_archE906ELNS1_3gpuE6ELNS1_3repE0EEENS1_36merge_oddeven_config_static_selectorELNS0_4arch9wavefront6targetE1EEEvSM_,comdat
	.protected	_ZN7rocprim17ROCPRIM_400000_NS6detail17trampoline_kernelINS0_14default_configENS1_38merge_sort_block_merge_config_selectorIN6thrust23THRUST_200600_302600_NS4pairIiiEENS0_10empty_typeEEEZZNS1_27merge_sort_block_merge_implIS3_NS6_6detail15normal_iteratorINS6_10device_ptrIS8_EEEEPS9_mNS6_4lessIS8_EEEE10hipError_tT0_T1_T2_jT3_P12ihipStream_tbPNSt15iterator_traitsISL_E10value_typeEPNSR_ISM_E10value_typeEPSN_NS1_7vsmem_tEENKUlT_SL_SM_SN_E_clISG_PS8_SH_SH_EESK_S10_SL_SM_SN_EUlS10_E1_NS1_11comp_targetILNS1_3genE2ELNS1_11target_archE906ELNS1_3gpuE6ELNS1_3repE0EEENS1_36merge_oddeven_config_static_selectorELNS0_4arch9wavefront6targetE1EEEvSM_ ; -- Begin function _ZN7rocprim17ROCPRIM_400000_NS6detail17trampoline_kernelINS0_14default_configENS1_38merge_sort_block_merge_config_selectorIN6thrust23THRUST_200600_302600_NS4pairIiiEENS0_10empty_typeEEEZZNS1_27merge_sort_block_merge_implIS3_NS6_6detail15normal_iteratorINS6_10device_ptrIS8_EEEEPS9_mNS6_4lessIS8_EEEE10hipError_tT0_T1_T2_jT3_P12ihipStream_tbPNSt15iterator_traitsISL_E10value_typeEPNSR_ISM_E10value_typeEPSN_NS1_7vsmem_tEENKUlT_SL_SM_SN_E_clISG_PS8_SH_SH_EESK_S10_SL_SM_SN_EUlS10_E1_NS1_11comp_targetILNS1_3genE2ELNS1_11target_archE906ELNS1_3gpuE6ELNS1_3repE0EEENS1_36merge_oddeven_config_static_selectorELNS0_4arch9wavefront6targetE1EEEvSM_
	.globl	_ZN7rocprim17ROCPRIM_400000_NS6detail17trampoline_kernelINS0_14default_configENS1_38merge_sort_block_merge_config_selectorIN6thrust23THRUST_200600_302600_NS4pairIiiEENS0_10empty_typeEEEZZNS1_27merge_sort_block_merge_implIS3_NS6_6detail15normal_iteratorINS6_10device_ptrIS8_EEEEPS9_mNS6_4lessIS8_EEEE10hipError_tT0_T1_T2_jT3_P12ihipStream_tbPNSt15iterator_traitsISL_E10value_typeEPNSR_ISM_E10value_typeEPSN_NS1_7vsmem_tEENKUlT_SL_SM_SN_E_clISG_PS8_SH_SH_EESK_S10_SL_SM_SN_EUlS10_E1_NS1_11comp_targetILNS1_3genE2ELNS1_11target_archE906ELNS1_3gpuE6ELNS1_3repE0EEENS1_36merge_oddeven_config_static_selectorELNS0_4arch9wavefront6targetE1EEEvSM_
	.p2align	8
	.type	_ZN7rocprim17ROCPRIM_400000_NS6detail17trampoline_kernelINS0_14default_configENS1_38merge_sort_block_merge_config_selectorIN6thrust23THRUST_200600_302600_NS4pairIiiEENS0_10empty_typeEEEZZNS1_27merge_sort_block_merge_implIS3_NS6_6detail15normal_iteratorINS6_10device_ptrIS8_EEEEPS9_mNS6_4lessIS8_EEEE10hipError_tT0_T1_T2_jT3_P12ihipStream_tbPNSt15iterator_traitsISL_E10value_typeEPNSR_ISM_E10value_typeEPSN_NS1_7vsmem_tEENKUlT_SL_SM_SN_E_clISG_PS8_SH_SH_EESK_S10_SL_SM_SN_EUlS10_E1_NS1_11comp_targetILNS1_3genE2ELNS1_11target_archE906ELNS1_3gpuE6ELNS1_3repE0EEENS1_36merge_oddeven_config_static_selectorELNS0_4arch9wavefront6targetE1EEEvSM_,@function
_ZN7rocprim17ROCPRIM_400000_NS6detail17trampoline_kernelINS0_14default_configENS1_38merge_sort_block_merge_config_selectorIN6thrust23THRUST_200600_302600_NS4pairIiiEENS0_10empty_typeEEEZZNS1_27merge_sort_block_merge_implIS3_NS6_6detail15normal_iteratorINS6_10device_ptrIS8_EEEEPS9_mNS6_4lessIS8_EEEE10hipError_tT0_T1_T2_jT3_P12ihipStream_tbPNSt15iterator_traitsISL_E10value_typeEPNSR_ISM_E10value_typeEPSN_NS1_7vsmem_tEENKUlT_SL_SM_SN_E_clISG_PS8_SH_SH_EESK_S10_SL_SM_SN_EUlS10_E1_NS1_11comp_targetILNS1_3genE2ELNS1_11target_archE906ELNS1_3gpuE6ELNS1_3repE0EEENS1_36merge_oddeven_config_static_selectorELNS0_4arch9wavefront6targetE1EEEvSM_: ; @_ZN7rocprim17ROCPRIM_400000_NS6detail17trampoline_kernelINS0_14default_configENS1_38merge_sort_block_merge_config_selectorIN6thrust23THRUST_200600_302600_NS4pairIiiEENS0_10empty_typeEEEZZNS1_27merge_sort_block_merge_implIS3_NS6_6detail15normal_iteratorINS6_10device_ptrIS8_EEEEPS9_mNS6_4lessIS8_EEEE10hipError_tT0_T1_T2_jT3_P12ihipStream_tbPNSt15iterator_traitsISL_E10value_typeEPNSR_ISM_E10value_typeEPSN_NS1_7vsmem_tEENKUlT_SL_SM_SN_E_clISG_PS8_SH_SH_EESK_S10_SL_SM_SN_EUlS10_E1_NS1_11comp_targetILNS1_3genE2ELNS1_11target_archE906ELNS1_3gpuE6ELNS1_3repE0EEENS1_36merge_oddeven_config_static_selectorELNS0_4arch9wavefront6targetE1EEEvSM_
; %bb.0:
	.section	.rodata,"a",@progbits
	.p2align	6, 0x0
	.amdhsa_kernel _ZN7rocprim17ROCPRIM_400000_NS6detail17trampoline_kernelINS0_14default_configENS1_38merge_sort_block_merge_config_selectorIN6thrust23THRUST_200600_302600_NS4pairIiiEENS0_10empty_typeEEEZZNS1_27merge_sort_block_merge_implIS3_NS6_6detail15normal_iteratorINS6_10device_ptrIS8_EEEEPS9_mNS6_4lessIS8_EEEE10hipError_tT0_T1_T2_jT3_P12ihipStream_tbPNSt15iterator_traitsISL_E10value_typeEPNSR_ISM_E10value_typeEPSN_NS1_7vsmem_tEENKUlT_SL_SM_SN_E_clISG_PS8_SH_SH_EESK_S10_SL_SM_SN_EUlS10_E1_NS1_11comp_targetILNS1_3genE2ELNS1_11target_archE906ELNS1_3gpuE6ELNS1_3repE0EEENS1_36merge_oddeven_config_static_selectorELNS0_4arch9wavefront6targetE1EEEvSM_
		.amdhsa_group_segment_fixed_size 0
		.amdhsa_private_segment_fixed_size 0
		.amdhsa_kernarg_size 56
		.amdhsa_user_sgpr_count 2
		.amdhsa_user_sgpr_dispatch_ptr 0
		.amdhsa_user_sgpr_queue_ptr 0
		.amdhsa_user_sgpr_kernarg_segment_ptr 1
		.amdhsa_user_sgpr_dispatch_id 0
		.amdhsa_user_sgpr_kernarg_preload_length 0
		.amdhsa_user_sgpr_kernarg_preload_offset 0
		.amdhsa_user_sgpr_private_segment_size 0
		.amdhsa_uses_dynamic_stack 0
		.amdhsa_enable_private_segment 0
		.amdhsa_system_sgpr_workgroup_id_x 1
		.amdhsa_system_sgpr_workgroup_id_y 0
		.amdhsa_system_sgpr_workgroup_id_z 0
		.amdhsa_system_sgpr_workgroup_info 0
		.amdhsa_system_vgpr_workitem_id 0
		.amdhsa_next_free_vgpr 1
		.amdhsa_next_free_sgpr 0
		.amdhsa_accum_offset 4
		.amdhsa_reserve_vcc 0
		.amdhsa_float_round_mode_32 0
		.amdhsa_float_round_mode_16_64 0
		.amdhsa_float_denorm_mode_32 3
		.amdhsa_float_denorm_mode_16_64 3
		.amdhsa_dx10_clamp 1
		.amdhsa_ieee_mode 1
		.amdhsa_fp16_overflow 0
		.amdhsa_tg_split 0
		.amdhsa_exception_fp_ieee_invalid_op 0
		.amdhsa_exception_fp_denorm_src 0
		.amdhsa_exception_fp_ieee_div_zero 0
		.amdhsa_exception_fp_ieee_overflow 0
		.amdhsa_exception_fp_ieee_underflow 0
		.amdhsa_exception_fp_ieee_inexact 0
		.amdhsa_exception_int_div_zero 0
	.end_amdhsa_kernel
	.section	.text._ZN7rocprim17ROCPRIM_400000_NS6detail17trampoline_kernelINS0_14default_configENS1_38merge_sort_block_merge_config_selectorIN6thrust23THRUST_200600_302600_NS4pairIiiEENS0_10empty_typeEEEZZNS1_27merge_sort_block_merge_implIS3_NS6_6detail15normal_iteratorINS6_10device_ptrIS8_EEEEPS9_mNS6_4lessIS8_EEEE10hipError_tT0_T1_T2_jT3_P12ihipStream_tbPNSt15iterator_traitsISL_E10value_typeEPNSR_ISM_E10value_typeEPSN_NS1_7vsmem_tEENKUlT_SL_SM_SN_E_clISG_PS8_SH_SH_EESK_S10_SL_SM_SN_EUlS10_E1_NS1_11comp_targetILNS1_3genE2ELNS1_11target_archE906ELNS1_3gpuE6ELNS1_3repE0EEENS1_36merge_oddeven_config_static_selectorELNS0_4arch9wavefront6targetE1EEEvSM_,"axG",@progbits,_ZN7rocprim17ROCPRIM_400000_NS6detail17trampoline_kernelINS0_14default_configENS1_38merge_sort_block_merge_config_selectorIN6thrust23THRUST_200600_302600_NS4pairIiiEENS0_10empty_typeEEEZZNS1_27merge_sort_block_merge_implIS3_NS6_6detail15normal_iteratorINS6_10device_ptrIS8_EEEEPS9_mNS6_4lessIS8_EEEE10hipError_tT0_T1_T2_jT3_P12ihipStream_tbPNSt15iterator_traitsISL_E10value_typeEPNSR_ISM_E10value_typeEPSN_NS1_7vsmem_tEENKUlT_SL_SM_SN_E_clISG_PS8_SH_SH_EESK_S10_SL_SM_SN_EUlS10_E1_NS1_11comp_targetILNS1_3genE2ELNS1_11target_archE906ELNS1_3gpuE6ELNS1_3repE0EEENS1_36merge_oddeven_config_static_selectorELNS0_4arch9wavefront6targetE1EEEvSM_,comdat
.Lfunc_end678:
	.size	_ZN7rocprim17ROCPRIM_400000_NS6detail17trampoline_kernelINS0_14default_configENS1_38merge_sort_block_merge_config_selectorIN6thrust23THRUST_200600_302600_NS4pairIiiEENS0_10empty_typeEEEZZNS1_27merge_sort_block_merge_implIS3_NS6_6detail15normal_iteratorINS6_10device_ptrIS8_EEEEPS9_mNS6_4lessIS8_EEEE10hipError_tT0_T1_T2_jT3_P12ihipStream_tbPNSt15iterator_traitsISL_E10value_typeEPNSR_ISM_E10value_typeEPSN_NS1_7vsmem_tEENKUlT_SL_SM_SN_E_clISG_PS8_SH_SH_EESK_S10_SL_SM_SN_EUlS10_E1_NS1_11comp_targetILNS1_3genE2ELNS1_11target_archE906ELNS1_3gpuE6ELNS1_3repE0EEENS1_36merge_oddeven_config_static_selectorELNS0_4arch9wavefront6targetE1EEEvSM_, .Lfunc_end678-_ZN7rocprim17ROCPRIM_400000_NS6detail17trampoline_kernelINS0_14default_configENS1_38merge_sort_block_merge_config_selectorIN6thrust23THRUST_200600_302600_NS4pairIiiEENS0_10empty_typeEEEZZNS1_27merge_sort_block_merge_implIS3_NS6_6detail15normal_iteratorINS6_10device_ptrIS8_EEEEPS9_mNS6_4lessIS8_EEEE10hipError_tT0_T1_T2_jT3_P12ihipStream_tbPNSt15iterator_traitsISL_E10value_typeEPNSR_ISM_E10value_typeEPSN_NS1_7vsmem_tEENKUlT_SL_SM_SN_E_clISG_PS8_SH_SH_EESK_S10_SL_SM_SN_EUlS10_E1_NS1_11comp_targetILNS1_3genE2ELNS1_11target_archE906ELNS1_3gpuE6ELNS1_3repE0EEENS1_36merge_oddeven_config_static_selectorELNS0_4arch9wavefront6targetE1EEEvSM_
                                        ; -- End function
	.set _ZN7rocprim17ROCPRIM_400000_NS6detail17trampoline_kernelINS0_14default_configENS1_38merge_sort_block_merge_config_selectorIN6thrust23THRUST_200600_302600_NS4pairIiiEENS0_10empty_typeEEEZZNS1_27merge_sort_block_merge_implIS3_NS6_6detail15normal_iteratorINS6_10device_ptrIS8_EEEEPS9_mNS6_4lessIS8_EEEE10hipError_tT0_T1_T2_jT3_P12ihipStream_tbPNSt15iterator_traitsISL_E10value_typeEPNSR_ISM_E10value_typeEPSN_NS1_7vsmem_tEENKUlT_SL_SM_SN_E_clISG_PS8_SH_SH_EESK_S10_SL_SM_SN_EUlS10_E1_NS1_11comp_targetILNS1_3genE2ELNS1_11target_archE906ELNS1_3gpuE6ELNS1_3repE0EEENS1_36merge_oddeven_config_static_selectorELNS0_4arch9wavefront6targetE1EEEvSM_.num_vgpr, 0
	.set _ZN7rocprim17ROCPRIM_400000_NS6detail17trampoline_kernelINS0_14default_configENS1_38merge_sort_block_merge_config_selectorIN6thrust23THRUST_200600_302600_NS4pairIiiEENS0_10empty_typeEEEZZNS1_27merge_sort_block_merge_implIS3_NS6_6detail15normal_iteratorINS6_10device_ptrIS8_EEEEPS9_mNS6_4lessIS8_EEEE10hipError_tT0_T1_T2_jT3_P12ihipStream_tbPNSt15iterator_traitsISL_E10value_typeEPNSR_ISM_E10value_typeEPSN_NS1_7vsmem_tEENKUlT_SL_SM_SN_E_clISG_PS8_SH_SH_EESK_S10_SL_SM_SN_EUlS10_E1_NS1_11comp_targetILNS1_3genE2ELNS1_11target_archE906ELNS1_3gpuE6ELNS1_3repE0EEENS1_36merge_oddeven_config_static_selectorELNS0_4arch9wavefront6targetE1EEEvSM_.num_agpr, 0
	.set _ZN7rocprim17ROCPRIM_400000_NS6detail17trampoline_kernelINS0_14default_configENS1_38merge_sort_block_merge_config_selectorIN6thrust23THRUST_200600_302600_NS4pairIiiEENS0_10empty_typeEEEZZNS1_27merge_sort_block_merge_implIS3_NS6_6detail15normal_iteratorINS6_10device_ptrIS8_EEEEPS9_mNS6_4lessIS8_EEEE10hipError_tT0_T1_T2_jT3_P12ihipStream_tbPNSt15iterator_traitsISL_E10value_typeEPNSR_ISM_E10value_typeEPSN_NS1_7vsmem_tEENKUlT_SL_SM_SN_E_clISG_PS8_SH_SH_EESK_S10_SL_SM_SN_EUlS10_E1_NS1_11comp_targetILNS1_3genE2ELNS1_11target_archE906ELNS1_3gpuE6ELNS1_3repE0EEENS1_36merge_oddeven_config_static_selectorELNS0_4arch9wavefront6targetE1EEEvSM_.numbered_sgpr, 0
	.set _ZN7rocprim17ROCPRIM_400000_NS6detail17trampoline_kernelINS0_14default_configENS1_38merge_sort_block_merge_config_selectorIN6thrust23THRUST_200600_302600_NS4pairIiiEENS0_10empty_typeEEEZZNS1_27merge_sort_block_merge_implIS3_NS6_6detail15normal_iteratorINS6_10device_ptrIS8_EEEEPS9_mNS6_4lessIS8_EEEE10hipError_tT0_T1_T2_jT3_P12ihipStream_tbPNSt15iterator_traitsISL_E10value_typeEPNSR_ISM_E10value_typeEPSN_NS1_7vsmem_tEENKUlT_SL_SM_SN_E_clISG_PS8_SH_SH_EESK_S10_SL_SM_SN_EUlS10_E1_NS1_11comp_targetILNS1_3genE2ELNS1_11target_archE906ELNS1_3gpuE6ELNS1_3repE0EEENS1_36merge_oddeven_config_static_selectorELNS0_4arch9wavefront6targetE1EEEvSM_.num_named_barrier, 0
	.set _ZN7rocprim17ROCPRIM_400000_NS6detail17trampoline_kernelINS0_14default_configENS1_38merge_sort_block_merge_config_selectorIN6thrust23THRUST_200600_302600_NS4pairIiiEENS0_10empty_typeEEEZZNS1_27merge_sort_block_merge_implIS3_NS6_6detail15normal_iteratorINS6_10device_ptrIS8_EEEEPS9_mNS6_4lessIS8_EEEE10hipError_tT0_T1_T2_jT3_P12ihipStream_tbPNSt15iterator_traitsISL_E10value_typeEPNSR_ISM_E10value_typeEPSN_NS1_7vsmem_tEENKUlT_SL_SM_SN_E_clISG_PS8_SH_SH_EESK_S10_SL_SM_SN_EUlS10_E1_NS1_11comp_targetILNS1_3genE2ELNS1_11target_archE906ELNS1_3gpuE6ELNS1_3repE0EEENS1_36merge_oddeven_config_static_selectorELNS0_4arch9wavefront6targetE1EEEvSM_.private_seg_size, 0
	.set _ZN7rocprim17ROCPRIM_400000_NS6detail17trampoline_kernelINS0_14default_configENS1_38merge_sort_block_merge_config_selectorIN6thrust23THRUST_200600_302600_NS4pairIiiEENS0_10empty_typeEEEZZNS1_27merge_sort_block_merge_implIS3_NS6_6detail15normal_iteratorINS6_10device_ptrIS8_EEEEPS9_mNS6_4lessIS8_EEEE10hipError_tT0_T1_T2_jT3_P12ihipStream_tbPNSt15iterator_traitsISL_E10value_typeEPNSR_ISM_E10value_typeEPSN_NS1_7vsmem_tEENKUlT_SL_SM_SN_E_clISG_PS8_SH_SH_EESK_S10_SL_SM_SN_EUlS10_E1_NS1_11comp_targetILNS1_3genE2ELNS1_11target_archE906ELNS1_3gpuE6ELNS1_3repE0EEENS1_36merge_oddeven_config_static_selectorELNS0_4arch9wavefront6targetE1EEEvSM_.uses_vcc, 0
	.set _ZN7rocprim17ROCPRIM_400000_NS6detail17trampoline_kernelINS0_14default_configENS1_38merge_sort_block_merge_config_selectorIN6thrust23THRUST_200600_302600_NS4pairIiiEENS0_10empty_typeEEEZZNS1_27merge_sort_block_merge_implIS3_NS6_6detail15normal_iteratorINS6_10device_ptrIS8_EEEEPS9_mNS6_4lessIS8_EEEE10hipError_tT0_T1_T2_jT3_P12ihipStream_tbPNSt15iterator_traitsISL_E10value_typeEPNSR_ISM_E10value_typeEPSN_NS1_7vsmem_tEENKUlT_SL_SM_SN_E_clISG_PS8_SH_SH_EESK_S10_SL_SM_SN_EUlS10_E1_NS1_11comp_targetILNS1_3genE2ELNS1_11target_archE906ELNS1_3gpuE6ELNS1_3repE0EEENS1_36merge_oddeven_config_static_selectorELNS0_4arch9wavefront6targetE1EEEvSM_.uses_flat_scratch, 0
	.set _ZN7rocprim17ROCPRIM_400000_NS6detail17trampoline_kernelINS0_14default_configENS1_38merge_sort_block_merge_config_selectorIN6thrust23THRUST_200600_302600_NS4pairIiiEENS0_10empty_typeEEEZZNS1_27merge_sort_block_merge_implIS3_NS6_6detail15normal_iteratorINS6_10device_ptrIS8_EEEEPS9_mNS6_4lessIS8_EEEE10hipError_tT0_T1_T2_jT3_P12ihipStream_tbPNSt15iterator_traitsISL_E10value_typeEPNSR_ISM_E10value_typeEPSN_NS1_7vsmem_tEENKUlT_SL_SM_SN_E_clISG_PS8_SH_SH_EESK_S10_SL_SM_SN_EUlS10_E1_NS1_11comp_targetILNS1_3genE2ELNS1_11target_archE906ELNS1_3gpuE6ELNS1_3repE0EEENS1_36merge_oddeven_config_static_selectorELNS0_4arch9wavefront6targetE1EEEvSM_.has_dyn_sized_stack, 0
	.set _ZN7rocprim17ROCPRIM_400000_NS6detail17trampoline_kernelINS0_14default_configENS1_38merge_sort_block_merge_config_selectorIN6thrust23THRUST_200600_302600_NS4pairIiiEENS0_10empty_typeEEEZZNS1_27merge_sort_block_merge_implIS3_NS6_6detail15normal_iteratorINS6_10device_ptrIS8_EEEEPS9_mNS6_4lessIS8_EEEE10hipError_tT0_T1_T2_jT3_P12ihipStream_tbPNSt15iterator_traitsISL_E10value_typeEPNSR_ISM_E10value_typeEPSN_NS1_7vsmem_tEENKUlT_SL_SM_SN_E_clISG_PS8_SH_SH_EESK_S10_SL_SM_SN_EUlS10_E1_NS1_11comp_targetILNS1_3genE2ELNS1_11target_archE906ELNS1_3gpuE6ELNS1_3repE0EEENS1_36merge_oddeven_config_static_selectorELNS0_4arch9wavefront6targetE1EEEvSM_.has_recursion, 0
	.set _ZN7rocprim17ROCPRIM_400000_NS6detail17trampoline_kernelINS0_14default_configENS1_38merge_sort_block_merge_config_selectorIN6thrust23THRUST_200600_302600_NS4pairIiiEENS0_10empty_typeEEEZZNS1_27merge_sort_block_merge_implIS3_NS6_6detail15normal_iteratorINS6_10device_ptrIS8_EEEEPS9_mNS6_4lessIS8_EEEE10hipError_tT0_T1_T2_jT3_P12ihipStream_tbPNSt15iterator_traitsISL_E10value_typeEPNSR_ISM_E10value_typeEPSN_NS1_7vsmem_tEENKUlT_SL_SM_SN_E_clISG_PS8_SH_SH_EESK_S10_SL_SM_SN_EUlS10_E1_NS1_11comp_targetILNS1_3genE2ELNS1_11target_archE906ELNS1_3gpuE6ELNS1_3repE0EEENS1_36merge_oddeven_config_static_selectorELNS0_4arch9wavefront6targetE1EEEvSM_.has_indirect_call, 0
	.section	.AMDGPU.csdata,"",@progbits
; Kernel info:
; codeLenInByte = 0
; TotalNumSgprs: 6
; NumVgprs: 0
; NumAgprs: 0
; TotalNumVgprs: 0
; ScratchSize: 0
; MemoryBound: 0
; FloatMode: 240
; IeeeMode: 1
; LDSByteSize: 0 bytes/workgroup (compile time only)
; SGPRBlocks: 0
; VGPRBlocks: 0
; NumSGPRsForWavesPerEU: 6
; NumVGPRsForWavesPerEU: 1
; AccumOffset: 4
; Occupancy: 8
; WaveLimiterHint : 0
; COMPUTE_PGM_RSRC2:SCRATCH_EN: 0
; COMPUTE_PGM_RSRC2:USER_SGPR: 2
; COMPUTE_PGM_RSRC2:TRAP_HANDLER: 0
; COMPUTE_PGM_RSRC2:TGID_X_EN: 1
; COMPUTE_PGM_RSRC2:TGID_Y_EN: 0
; COMPUTE_PGM_RSRC2:TGID_Z_EN: 0
; COMPUTE_PGM_RSRC2:TIDIG_COMP_CNT: 0
; COMPUTE_PGM_RSRC3_GFX90A:ACCUM_OFFSET: 0
; COMPUTE_PGM_RSRC3_GFX90A:TG_SPLIT: 0
	.section	.text._ZN7rocprim17ROCPRIM_400000_NS6detail17trampoline_kernelINS0_14default_configENS1_38merge_sort_block_merge_config_selectorIN6thrust23THRUST_200600_302600_NS4pairIiiEENS0_10empty_typeEEEZZNS1_27merge_sort_block_merge_implIS3_NS6_6detail15normal_iteratorINS6_10device_ptrIS8_EEEEPS9_mNS6_4lessIS8_EEEE10hipError_tT0_T1_T2_jT3_P12ihipStream_tbPNSt15iterator_traitsISL_E10value_typeEPNSR_ISM_E10value_typeEPSN_NS1_7vsmem_tEENKUlT_SL_SM_SN_E_clISG_PS8_SH_SH_EESK_S10_SL_SM_SN_EUlS10_E1_NS1_11comp_targetILNS1_3genE9ELNS1_11target_archE1100ELNS1_3gpuE3ELNS1_3repE0EEENS1_36merge_oddeven_config_static_selectorELNS0_4arch9wavefront6targetE1EEEvSM_,"axG",@progbits,_ZN7rocprim17ROCPRIM_400000_NS6detail17trampoline_kernelINS0_14default_configENS1_38merge_sort_block_merge_config_selectorIN6thrust23THRUST_200600_302600_NS4pairIiiEENS0_10empty_typeEEEZZNS1_27merge_sort_block_merge_implIS3_NS6_6detail15normal_iteratorINS6_10device_ptrIS8_EEEEPS9_mNS6_4lessIS8_EEEE10hipError_tT0_T1_T2_jT3_P12ihipStream_tbPNSt15iterator_traitsISL_E10value_typeEPNSR_ISM_E10value_typeEPSN_NS1_7vsmem_tEENKUlT_SL_SM_SN_E_clISG_PS8_SH_SH_EESK_S10_SL_SM_SN_EUlS10_E1_NS1_11comp_targetILNS1_3genE9ELNS1_11target_archE1100ELNS1_3gpuE3ELNS1_3repE0EEENS1_36merge_oddeven_config_static_selectorELNS0_4arch9wavefront6targetE1EEEvSM_,comdat
	.protected	_ZN7rocprim17ROCPRIM_400000_NS6detail17trampoline_kernelINS0_14default_configENS1_38merge_sort_block_merge_config_selectorIN6thrust23THRUST_200600_302600_NS4pairIiiEENS0_10empty_typeEEEZZNS1_27merge_sort_block_merge_implIS3_NS6_6detail15normal_iteratorINS6_10device_ptrIS8_EEEEPS9_mNS6_4lessIS8_EEEE10hipError_tT0_T1_T2_jT3_P12ihipStream_tbPNSt15iterator_traitsISL_E10value_typeEPNSR_ISM_E10value_typeEPSN_NS1_7vsmem_tEENKUlT_SL_SM_SN_E_clISG_PS8_SH_SH_EESK_S10_SL_SM_SN_EUlS10_E1_NS1_11comp_targetILNS1_3genE9ELNS1_11target_archE1100ELNS1_3gpuE3ELNS1_3repE0EEENS1_36merge_oddeven_config_static_selectorELNS0_4arch9wavefront6targetE1EEEvSM_ ; -- Begin function _ZN7rocprim17ROCPRIM_400000_NS6detail17trampoline_kernelINS0_14default_configENS1_38merge_sort_block_merge_config_selectorIN6thrust23THRUST_200600_302600_NS4pairIiiEENS0_10empty_typeEEEZZNS1_27merge_sort_block_merge_implIS3_NS6_6detail15normal_iteratorINS6_10device_ptrIS8_EEEEPS9_mNS6_4lessIS8_EEEE10hipError_tT0_T1_T2_jT3_P12ihipStream_tbPNSt15iterator_traitsISL_E10value_typeEPNSR_ISM_E10value_typeEPSN_NS1_7vsmem_tEENKUlT_SL_SM_SN_E_clISG_PS8_SH_SH_EESK_S10_SL_SM_SN_EUlS10_E1_NS1_11comp_targetILNS1_3genE9ELNS1_11target_archE1100ELNS1_3gpuE3ELNS1_3repE0EEENS1_36merge_oddeven_config_static_selectorELNS0_4arch9wavefront6targetE1EEEvSM_
	.globl	_ZN7rocprim17ROCPRIM_400000_NS6detail17trampoline_kernelINS0_14default_configENS1_38merge_sort_block_merge_config_selectorIN6thrust23THRUST_200600_302600_NS4pairIiiEENS0_10empty_typeEEEZZNS1_27merge_sort_block_merge_implIS3_NS6_6detail15normal_iteratorINS6_10device_ptrIS8_EEEEPS9_mNS6_4lessIS8_EEEE10hipError_tT0_T1_T2_jT3_P12ihipStream_tbPNSt15iterator_traitsISL_E10value_typeEPNSR_ISM_E10value_typeEPSN_NS1_7vsmem_tEENKUlT_SL_SM_SN_E_clISG_PS8_SH_SH_EESK_S10_SL_SM_SN_EUlS10_E1_NS1_11comp_targetILNS1_3genE9ELNS1_11target_archE1100ELNS1_3gpuE3ELNS1_3repE0EEENS1_36merge_oddeven_config_static_selectorELNS0_4arch9wavefront6targetE1EEEvSM_
	.p2align	8
	.type	_ZN7rocprim17ROCPRIM_400000_NS6detail17trampoline_kernelINS0_14default_configENS1_38merge_sort_block_merge_config_selectorIN6thrust23THRUST_200600_302600_NS4pairIiiEENS0_10empty_typeEEEZZNS1_27merge_sort_block_merge_implIS3_NS6_6detail15normal_iteratorINS6_10device_ptrIS8_EEEEPS9_mNS6_4lessIS8_EEEE10hipError_tT0_T1_T2_jT3_P12ihipStream_tbPNSt15iterator_traitsISL_E10value_typeEPNSR_ISM_E10value_typeEPSN_NS1_7vsmem_tEENKUlT_SL_SM_SN_E_clISG_PS8_SH_SH_EESK_S10_SL_SM_SN_EUlS10_E1_NS1_11comp_targetILNS1_3genE9ELNS1_11target_archE1100ELNS1_3gpuE3ELNS1_3repE0EEENS1_36merge_oddeven_config_static_selectorELNS0_4arch9wavefront6targetE1EEEvSM_,@function
_ZN7rocprim17ROCPRIM_400000_NS6detail17trampoline_kernelINS0_14default_configENS1_38merge_sort_block_merge_config_selectorIN6thrust23THRUST_200600_302600_NS4pairIiiEENS0_10empty_typeEEEZZNS1_27merge_sort_block_merge_implIS3_NS6_6detail15normal_iteratorINS6_10device_ptrIS8_EEEEPS9_mNS6_4lessIS8_EEEE10hipError_tT0_T1_T2_jT3_P12ihipStream_tbPNSt15iterator_traitsISL_E10value_typeEPNSR_ISM_E10value_typeEPSN_NS1_7vsmem_tEENKUlT_SL_SM_SN_E_clISG_PS8_SH_SH_EESK_S10_SL_SM_SN_EUlS10_E1_NS1_11comp_targetILNS1_3genE9ELNS1_11target_archE1100ELNS1_3gpuE3ELNS1_3repE0EEENS1_36merge_oddeven_config_static_selectorELNS0_4arch9wavefront6targetE1EEEvSM_: ; @_ZN7rocprim17ROCPRIM_400000_NS6detail17trampoline_kernelINS0_14default_configENS1_38merge_sort_block_merge_config_selectorIN6thrust23THRUST_200600_302600_NS4pairIiiEENS0_10empty_typeEEEZZNS1_27merge_sort_block_merge_implIS3_NS6_6detail15normal_iteratorINS6_10device_ptrIS8_EEEEPS9_mNS6_4lessIS8_EEEE10hipError_tT0_T1_T2_jT3_P12ihipStream_tbPNSt15iterator_traitsISL_E10value_typeEPNSR_ISM_E10value_typeEPSN_NS1_7vsmem_tEENKUlT_SL_SM_SN_E_clISG_PS8_SH_SH_EESK_S10_SL_SM_SN_EUlS10_E1_NS1_11comp_targetILNS1_3genE9ELNS1_11target_archE1100ELNS1_3gpuE3ELNS1_3repE0EEENS1_36merge_oddeven_config_static_selectorELNS0_4arch9wavefront6targetE1EEEvSM_
; %bb.0:
	.section	.rodata,"a",@progbits
	.p2align	6, 0x0
	.amdhsa_kernel _ZN7rocprim17ROCPRIM_400000_NS6detail17trampoline_kernelINS0_14default_configENS1_38merge_sort_block_merge_config_selectorIN6thrust23THRUST_200600_302600_NS4pairIiiEENS0_10empty_typeEEEZZNS1_27merge_sort_block_merge_implIS3_NS6_6detail15normal_iteratorINS6_10device_ptrIS8_EEEEPS9_mNS6_4lessIS8_EEEE10hipError_tT0_T1_T2_jT3_P12ihipStream_tbPNSt15iterator_traitsISL_E10value_typeEPNSR_ISM_E10value_typeEPSN_NS1_7vsmem_tEENKUlT_SL_SM_SN_E_clISG_PS8_SH_SH_EESK_S10_SL_SM_SN_EUlS10_E1_NS1_11comp_targetILNS1_3genE9ELNS1_11target_archE1100ELNS1_3gpuE3ELNS1_3repE0EEENS1_36merge_oddeven_config_static_selectorELNS0_4arch9wavefront6targetE1EEEvSM_
		.amdhsa_group_segment_fixed_size 0
		.amdhsa_private_segment_fixed_size 0
		.amdhsa_kernarg_size 56
		.amdhsa_user_sgpr_count 2
		.amdhsa_user_sgpr_dispatch_ptr 0
		.amdhsa_user_sgpr_queue_ptr 0
		.amdhsa_user_sgpr_kernarg_segment_ptr 1
		.amdhsa_user_sgpr_dispatch_id 0
		.amdhsa_user_sgpr_kernarg_preload_length 0
		.amdhsa_user_sgpr_kernarg_preload_offset 0
		.amdhsa_user_sgpr_private_segment_size 0
		.amdhsa_uses_dynamic_stack 0
		.amdhsa_enable_private_segment 0
		.amdhsa_system_sgpr_workgroup_id_x 1
		.amdhsa_system_sgpr_workgroup_id_y 0
		.amdhsa_system_sgpr_workgroup_id_z 0
		.amdhsa_system_sgpr_workgroup_info 0
		.amdhsa_system_vgpr_workitem_id 0
		.amdhsa_next_free_vgpr 1
		.amdhsa_next_free_sgpr 0
		.amdhsa_accum_offset 4
		.amdhsa_reserve_vcc 0
		.amdhsa_float_round_mode_32 0
		.amdhsa_float_round_mode_16_64 0
		.amdhsa_float_denorm_mode_32 3
		.amdhsa_float_denorm_mode_16_64 3
		.amdhsa_dx10_clamp 1
		.amdhsa_ieee_mode 1
		.amdhsa_fp16_overflow 0
		.amdhsa_tg_split 0
		.amdhsa_exception_fp_ieee_invalid_op 0
		.amdhsa_exception_fp_denorm_src 0
		.amdhsa_exception_fp_ieee_div_zero 0
		.amdhsa_exception_fp_ieee_overflow 0
		.amdhsa_exception_fp_ieee_underflow 0
		.amdhsa_exception_fp_ieee_inexact 0
		.amdhsa_exception_int_div_zero 0
	.end_amdhsa_kernel
	.section	.text._ZN7rocprim17ROCPRIM_400000_NS6detail17trampoline_kernelINS0_14default_configENS1_38merge_sort_block_merge_config_selectorIN6thrust23THRUST_200600_302600_NS4pairIiiEENS0_10empty_typeEEEZZNS1_27merge_sort_block_merge_implIS3_NS6_6detail15normal_iteratorINS6_10device_ptrIS8_EEEEPS9_mNS6_4lessIS8_EEEE10hipError_tT0_T1_T2_jT3_P12ihipStream_tbPNSt15iterator_traitsISL_E10value_typeEPNSR_ISM_E10value_typeEPSN_NS1_7vsmem_tEENKUlT_SL_SM_SN_E_clISG_PS8_SH_SH_EESK_S10_SL_SM_SN_EUlS10_E1_NS1_11comp_targetILNS1_3genE9ELNS1_11target_archE1100ELNS1_3gpuE3ELNS1_3repE0EEENS1_36merge_oddeven_config_static_selectorELNS0_4arch9wavefront6targetE1EEEvSM_,"axG",@progbits,_ZN7rocprim17ROCPRIM_400000_NS6detail17trampoline_kernelINS0_14default_configENS1_38merge_sort_block_merge_config_selectorIN6thrust23THRUST_200600_302600_NS4pairIiiEENS0_10empty_typeEEEZZNS1_27merge_sort_block_merge_implIS3_NS6_6detail15normal_iteratorINS6_10device_ptrIS8_EEEEPS9_mNS6_4lessIS8_EEEE10hipError_tT0_T1_T2_jT3_P12ihipStream_tbPNSt15iterator_traitsISL_E10value_typeEPNSR_ISM_E10value_typeEPSN_NS1_7vsmem_tEENKUlT_SL_SM_SN_E_clISG_PS8_SH_SH_EESK_S10_SL_SM_SN_EUlS10_E1_NS1_11comp_targetILNS1_3genE9ELNS1_11target_archE1100ELNS1_3gpuE3ELNS1_3repE0EEENS1_36merge_oddeven_config_static_selectorELNS0_4arch9wavefront6targetE1EEEvSM_,comdat
.Lfunc_end679:
	.size	_ZN7rocprim17ROCPRIM_400000_NS6detail17trampoline_kernelINS0_14default_configENS1_38merge_sort_block_merge_config_selectorIN6thrust23THRUST_200600_302600_NS4pairIiiEENS0_10empty_typeEEEZZNS1_27merge_sort_block_merge_implIS3_NS6_6detail15normal_iteratorINS6_10device_ptrIS8_EEEEPS9_mNS6_4lessIS8_EEEE10hipError_tT0_T1_T2_jT3_P12ihipStream_tbPNSt15iterator_traitsISL_E10value_typeEPNSR_ISM_E10value_typeEPSN_NS1_7vsmem_tEENKUlT_SL_SM_SN_E_clISG_PS8_SH_SH_EESK_S10_SL_SM_SN_EUlS10_E1_NS1_11comp_targetILNS1_3genE9ELNS1_11target_archE1100ELNS1_3gpuE3ELNS1_3repE0EEENS1_36merge_oddeven_config_static_selectorELNS0_4arch9wavefront6targetE1EEEvSM_, .Lfunc_end679-_ZN7rocprim17ROCPRIM_400000_NS6detail17trampoline_kernelINS0_14default_configENS1_38merge_sort_block_merge_config_selectorIN6thrust23THRUST_200600_302600_NS4pairIiiEENS0_10empty_typeEEEZZNS1_27merge_sort_block_merge_implIS3_NS6_6detail15normal_iteratorINS6_10device_ptrIS8_EEEEPS9_mNS6_4lessIS8_EEEE10hipError_tT0_T1_T2_jT3_P12ihipStream_tbPNSt15iterator_traitsISL_E10value_typeEPNSR_ISM_E10value_typeEPSN_NS1_7vsmem_tEENKUlT_SL_SM_SN_E_clISG_PS8_SH_SH_EESK_S10_SL_SM_SN_EUlS10_E1_NS1_11comp_targetILNS1_3genE9ELNS1_11target_archE1100ELNS1_3gpuE3ELNS1_3repE0EEENS1_36merge_oddeven_config_static_selectorELNS0_4arch9wavefront6targetE1EEEvSM_
                                        ; -- End function
	.set _ZN7rocprim17ROCPRIM_400000_NS6detail17trampoline_kernelINS0_14default_configENS1_38merge_sort_block_merge_config_selectorIN6thrust23THRUST_200600_302600_NS4pairIiiEENS0_10empty_typeEEEZZNS1_27merge_sort_block_merge_implIS3_NS6_6detail15normal_iteratorINS6_10device_ptrIS8_EEEEPS9_mNS6_4lessIS8_EEEE10hipError_tT0_T1_T2_jT3_P12ihipStream_tbPNSt15iterator_traitsISL_E10value_typeEPNSR_ISM_E10value_typeEPSN_NS1_7vsmem_tEENKUlT_SL_SM_SN_E_clISG_PS8_SH_SH_EESK_S10_SL_SM_SN_EUlS10_E1_NS1_11comp_targetILNS1_3genE9ELNS1_11target_archE1100ELNS1_3gpuE3ELNS1_3repE0EEENS1_36merge_oddeven_config_static_selectorELNS0_4arch9wavefront6targetE1EEEvSM_.num_vgpr, 0
	.set _ZN7rocprim17ROCPRIM_400000_NS6detail17trampoline_kernelINS0_14default_configENS1_38merge_sort_block_merge_config_selectorIN6thrust23THRUST_200600_302600_NS4pairIiiEENS0_10empty_typeEEEZZNS1_27merge_sort_block_merge_implIS3_NS6_6detail15normal_iteratorINS6_10device_ptrIS8_EEEEPS9_mNS6_4lessIS8_EEEE10hipError_tT0_T1_T2_jT3_P12ihipStream_tbPNSt15iterator_traitsISL_E10value_typeEPNSR_ISM_E10value_typeEPSN_NS1_7vsmem_tEENKUlT_SL_SM_SN_E_clISG_PS8_SH_SH_EESK_S10_SL_SM_SN_EUlS10_E1_NS1_11comp_targetILNS1_3genE9ELNS1_11target_archE1100ELNS1_3gpuE3ELNS1_3repE0EEENS1_36merge_oddeven_config_static_selectorELNS0_4arch9wavefront6targetE1EEEvSM_.num_agpr, 0
	.set _ZN7rocprim17ROCPRIM_400000_NS6detail17trampoline_kernelINS0_14default_configENS1_38merge_sort_block_merge_config_selectorIN6thrust23THRUST_200600_302600_NS4pairIiiEENS0_10empty_typeEEEZZNS1_27merge_sort_block_merge_implIS3_NS6_6detail15normal_iteratorINS6_10device_ptrIS8_EEEEPS9_mNS6_4lessIS8_EEEE10hipError_tT0_T1_T2_jT3_P12ihipStream_tbPNSt15iterator_traitsISL_E10value_typeEPNSR_ISM_E10value_typeEPSN_NS1_7vsmem_tEENKUlT_SL_SM_SN_E_clISG_PS8_SH_SH_EESK_S10_SL_SM_SN_EUlS10_E1_NS1_11comp_targetILNS1_3genE9ELNS1_11target_archE1100ELNS1_3gpuE3ELNS1_3repE0EEENS1_36merge_oddeven_config_static_selectorELNS0_4arch9wavefront6targetE1EEEvSM_.numbered_sgpr, 0
	.set _ZN7rocprim17ROCPRIM_400000_NS6detail17trampoline_kernelINS0_14default_configENS1_38merge_sort_block_merge_config_selectorIN6thrust23THRUST_200600_302600_NS4pairIiiEENS0_10empty_typeEEEZZNS1_27merge_sort_block_merge_implIS3_NS6_6detail15normal_iteratorINS6_10device_ptrIS8_EEEEPS9_mNS6_4lessIS8_EEEE10hipError_tT0_T1_T2_jT3_P12ihipStream_tbPNSt15iterator_traitsISL_E10value_typeEPNSR_ISM_E10value_typeEPSN_NS1_7vsmem_tEENKUlT_SL_SM_SN_E_clISG_PS8_SH_SH_EESK_S10_SL_SM_SN_EUlS10_E1_NS1_11comp_targetILNS1_3genE9ELNS1_11target_archE1100ELNS1_3gpuE3ELNS1_3repE0EEENS1_36merge_oddeven_config_static_selectorELNS0_4arch9wavefront6targetE1EEEvSM_.num_named_barrier, 0
	.set _ZN7rocprim17ROCPRIM_400000_NS6detail17trampoline_kernelINS0_14default_configENS1_38merge_sort_block_merge_config_selectorIN6thrust23THRUST_200600_302600_NS4pairIiiEENS0_10empty_typeEEEZZNS1_27merge_sort_block_merge_implIS3_NS6_6detail15normal_iteratorINS6_10device_ptrIS8_EEEEPS9_mNS6_4lessIS8_EEEE10hipError_tT0_T1_T2_jT3_P12ihipStream_tbPNSt15iterator_traitsISL_E10value_typeEPNSR_ISM_E10value_typeEPSN_NS1_7vsmem_tEENKUlT_SL_SM_SN_E_clISG_PS8_SH_SH_EESK_S10_SL_SM_SN_EUlS10_E1_NS1_11comp_targetILNS1_3genE9ELNS1_11target_archE1100ELNS1_3gpuE3ELNS1_3repE0EEENS1_36merge_oddeven_config_static_selectorELNS0_4arch9wavefront6targetE1EEEvSM_.private_seg_size, 0
	.set _ZN7rocprim17ROCPRIM_400000_NS6detail17trampoline_kernelINS0_14default_configENS1_38merge_sort_block_merge_config_selectorIN6thrust23THRUST_200600_302600_NS4pairIiiEENS0_10empty_typeEEEZZNS1_27merge_sort_block_merge_implIS3_NS6_6detail15normal_iteratorINS6_10device_ptrIS8_EEEEPS9_mNS6_4lessIS8_EEEE10hipError_tT0_T1_T2_jT3_P12ihipStream_tbPNSt15iterator_traitsISL_E10value_typeEPNSR_ISM_E10value_typeEPSN_NS1_7vsmem_tEENKUlT_SL_SM_SN_E_clISG_PS8_SH_SH_EESK_S10_SL_SM_SN_EUlS10_E1_NS1_11comp_targetILNS1_3genE9ELNS1_11target_archE1100ELNS1_3gpuE3ELNS1_3repE0EEENS1_36merge_oddeven_config_static_selectorELNS0_4arch9wavefront6targetE1EEEvSM_.uses_vcc, 0
	.set _ZN7rocprim17ROCPRIM_400000_NS6detail17trampoline_kernelINS0_14default_configENS1_38merge_sort_block_merge_config_selectorIN6thrust23THRUST_200600_302600_NS4pairIiiEENS0_10empty_typeEEEZZNS1_27merge_sort_block_merge_implIS3_NS6_6detail15normal_iteratorINS6_10device_ptrIS8_EEEEPS9_mNS6_4lessIS8_EEEE10hipError_tT0_T1_T2_jT3_P12ihipStream_tbPNSt15iterator_traitsISL_E10value_typeEPNSR_ISM_E10value_typeEPSN_NS1_7vsmem_tEENKUlT_SL_SM_SN_E_clISG_PS8_SH_SH_EESK_S10_SL_SM_SN_EUlS10_E1_NS1_11comp_targetILNS1_3genE9ELNS1_11target_archE1100ELNS1_3gpuE3ELNS1_3repE0EEENS1_36merge_oddeven_config_static_selectorELNS0_4arch9wavefront6targetE1EEEvSM_.uses_flat_scratch, 0
	.set _ZN7rocprim17ROCPRIM_400000_NS6detail17trampoline_kernelINS0_14default_configENS1_38merge_sort_block_merge_config_selectorIN6thrust23THRUST_200600_302600_NS4pairIiiEENS0_10empty_typeEEEZZNS1_27merge_sort_block_merge_implIS3_NS6_6detail15normal_iteratorINS6_10device_ptrIS8_EEEEPS9_mNS6_4lessIS8_EEEE10hipError_tT0_T1_T2_jT3_P12ihipStream_tbPNSt15iterator_traitsISL_E10value_typeEPNSR_ISM_E10value_typeEPSN_NS1_7vsmem_tEENKUlT_SL_SM_SN_E_clISG_PS8_SH_SH_EESK_S10_SL_SM_SN_EUlS10_E1_NS1_11comp_targetILNS1_3genE9ELNS1_11target_archE1100ELNS1_3gpuE3ELNS1_3repE0EEENS1_36merge_oddeven_config_static_selectorELNS0_4arch9wavefront6targetE1EEEvSM_.has_dyn_sized_stack, 0
	.set _ZN7rocprim17ROCPRIM_400000_NS6detail17trampoline_kernelINS0_14default_configENS1_38merge_sort_block_merge_config_selectorIN6thrust23THRUST_200600_302600_NS4pairIiiEENS0_10empty_typeEEEZZNS1_27merge_sort_block_merge_implIS3_NS6_6detail15normal_iteratorINS6_10device_ptrIS8_EEEEPS9_mNS6_4lessIS8_EEEE10hipError_tT0_T1_T2_jT3_P12ihipStream_tbPNSt15iterator_traitsISL_E10value_typeEPNSR_ISM_E10value_typeEPSN_NS1_7vsmem_tEENKUlT_SL_SM_SN_E_clISG_PS8_SH_SH_EESK_S10_SL_SM_SN_EUlS10_E1_NS1_11comp_targetILNS1_3genE9ELNS1_11target_archE1100ELNS1_3gpuE3ELNS1_3repE0EEENS1_36merge_oddeven_config_static_selectorELNS0_4arch9wavefront6targetE1EEEvSM_.has_recursion, 0
	.set _ZN7rocprim17ROCPRIM_400000_NS6detail17trampoline_kernelINS0_14default_configENS1_38merge_sort_block_merge_config_selectorIN6thrust23THRUST_200600_302600_NS4pairIiiEENS0_10empty_typeEEEZZNS1_27merge_sort_block_merge_implIS3_NS6_6detail15normal_iteratorINS6_10device_ptrIS8_EEEEPS9_mNS6_4lessIS8_EEEE10hipError_tT0_T1_T2_jT3_P12ihipStream_tbPNSt15iterator_traitsISL_E10value_typeEPNSR_ISM_E10value_typeEPSN_NS1_7vsmem_tEENKUlT_SL_SM_SN_E_clISG_PS8_SH_SH_EESK_S10_SL_SM_SN_EUlS10_E1_NS1_11comp_targetILNS1_3genE9ELNS1_11target_archE1100ELNS1_3gpuE3ELNS1_3repE0EEENS1_36merge_oddeven_config_static_selectorELNS0_4arch9wavefront6targetE1EEEvSM_.has_indirect_call, 0
	.section	.AMDGPU.csdata,"",@progbits
; Kernel info:
; codeLenInByte = 0
; TotalNumSgprs: 6
; NumVgprs: 0
; NumAgprs: 0
; TotalNumVgprs: 0
; ScratchSize: 0
; MemoryBound: 0
; FloatMode: 240
; IeeeMode: 1
; LDSByteSize: 0 bytes/workgroup (compile time only)
; SGPRBlocks: 0
; VGPRBlocks: 0
; NumSGPRsForWavesPerEU: 6
; NumVGPRsForWavesPerEU: 1
; AccumOffset: 4
; Occupancy: 8
; WaveLimiterHint : 0
; COMPUTE_PGM_RSRC2:SCRATCH_EN: 0
; COMPUTE_PGM_RSRC2:USER_SGPR: 2
; COMPUTE_PGM_RSRC2:TRAP_HANDLER: 0
; COMPUTE_PGM_RSRC2:TGID_X_EN: 1
; COMPUTE_PGM_RSRC2:TGID_Y_EN: 0
; COMPUTE_PGM_RSRC2:TGID_Z_EN: 0
; COMPUTE_PGM_RSRC2:TIDIG_COMP_CNT: 0
; COMPUTE_PGM_RSRC3_GFX90A:ACCUM_OFFSET: 0
; COMPUTE_PGM_RSRC3_GFX90A:TG_SPLIT: 0
	.section	.text._ZN7rocprim17ROCPRIM_400000_NS6detail17trampoline_kernelINS0_14default_configENS1_38merge_sort_block_merge_config_selectorIN6thrust23THRUST_200600_302600_NS4pairIiiEENS0_10empty_typeEEEZZNS1_27merge_sort_block_merge_implIS3_NS6_6detail15normal_iteratorINS6_10device_ptrIS8_EEEEPS9_mNS6_4lessIS8_EEEE10hipError_tT0_T1_T2_jT3_P12ihipStream_tbPNSt15iterator_traitsISL_E10value_typeEPNSR_ISM_E10value_typeEPSN_NS1_7vsmem_tEENKUlT_SL_SM_SN_E_clISG_PS8_SH_SH_EESK_S10_SL_SM_SN_EUlS10_E1_NS1_11comp_targetILNS1_3genE8ELNS1_11target_archE1030ELNS1_3gpuE2ELNS1_3repE0EEENS1_36merge_oddeven_config_static_selectorELNS0_4arch9wavefront6targetE1EEEvSM_,"axG",@progbits,_ZN7rocprim17ROCPRIM_400000_NS6detail17trampoline_kernelINS0_14default_configENS1_38merge_sort_block_merge_config_selectorIN6thrust23THRUST_200600_302600_NS4pairIiiEENS0_10empty_typeEEEZZNS1_27merge_sort_block_merge_implIS3_NS6_6detail15normal_iteratorINS6_10device_ptrIS8_EEEEPS9_mNS6_4lessIS8_EEEE10hipError_tT0_T1_T2_jT3_P12ihipStream_tbPNSt15iterator_traitsISL_E10value_typeEPNSR_ISM_E10value_typeEPSN_NS1_7vsmem_tEENKUlT_SL_SM_SN_E_clISG_PS8_SH_SH_EESK_S10_SL_SM_SN_EUlS10_E1_NS1_11comp_targetILNS1_3genE8ELNS1_11target_archE1030ELNS1_3gpuE2ELNS1_3repE0EEENS1_36merge_oddeven_config_static_selectorELNS0_4arch9wavefront6targetE1EEEvSM_,comdat
	.protected	_ZN7rocprim17ROCPRIM_400000_NS6detail17trampoline_kernelINS0_14default_configENS1_38merge_sort_block_merge_config_selectorIN6thrust23THRUST_200600_302600_NS4pairIiiEENS0_10empty_typeEEEZZNS1_27merge_sort_block_merge_implIS3_NS6_6detail15normal_iteratorINS6_10device_ptrIS8_EEEEPS9_mNS6_4lessIS8_EEEE10hipError_tT0_T1_T2_jT3_P12ihipStream_tbPNSt15iterator_traitsISL_E10value_typeEPNSR_ISM_E10value_typeEPSN_NS1_7vsmem_tEENKUlT_SL_SM_SN_E_clISG_PS8_SH_SH_EESK_S10_SL_SM_SN_EUlS10_E1_NS1_11comp_targetILNS1_3genE8ELNS1_11target_archE1030ELNS1_3gpuE2ELNS1_3repE0EEENS1_36merge_oddeven_config_static_selectorELNS0_4arch9wavefront6targetE1EEEvSM_ ; -- Begin function _ZN7rocprim17ROCPRIM_400000_NS6detail17trampoline_kernelINS0_14default_configENS1_38merge_sort_block_merge_config_selectorIN6thrust23THRUST_200600_302600_NS4pairIiiEENS0_10empty_typeEEEZZNS1_27merge_sort_block_merge_implIS3_NS6_6detail15normal_iteratorINS6_10device_ptrIS8_EEEEPS9_mNS6_4lessIS8_EEEE10hipError_tT0_T1_T2_jT3_P12ihipStream_tbPNSt15iterator_traitsISL_E10value_typeEPNSR_ISM_E10value_typeEPSN_NS1_7vsmem_tEENKUlT_SL_SM_SN_E_clISG_PS8_SH_SH_EESK_S10_SL_SM_SN_EUlS10_E1_NS1_11comp_targetILNS1_3genE8ELNS1_11target_archE1030ELNS1_3gpuE2ELNS1_3repE0EEENS1_36merge_oddeven_config_static_selectorELNS0_4arch9wavefront6targetE1EEEvSM_
	.globl	_ZN7rocprim17ROCPRIM_400000_NS6detail17trampoline_kernelINS0_14default_configENS1_38merge_sort_block_merge_config_selectorIN6thrust23THRUST_200600_302600_NS4pairIiiEENS0_10empty_typeEEEZZNS1_27merge_sort_block_merge_implIS3_NS6_6detail15normal_iteratorINS6_10device_ptrIS8_EEEEPS9_mNS6_4lessIS8_EEEE10hipError_tT0_T1_T2_jT3_P12ihipStream_tbPNSt15iterator_traitsISL_E10value_typeEPNSR_ISM_E10value_typeEPSN_NS1_7vsmem_tEENKUlT_SL_SM_SN_E_clISG_PS8_SH_SH_EESK_S10_SL_SM_SN_EUlS10_E1_NS1_11comp_targetILNS1_3genE8ELNS1_11target_archE1030ELNS1_3gpuE2ELNS1_3repE0EEENS1_36merge_oddeven_config_static_selectorELNS0_4arch9wavefront6targetE1EEEvSM_
	.p2align	8
	.type	_ZN7rocprim17ROCPRIM_400000_NS6detail17trampoline_kernelINS0_14default_configENS1_38merge_sort_block_merge_config_selectorIN6thrust23THRUST_200600_302600_NS4pairIiiEENS0_10empty_typeEEEZZNS1_27merge_sort_block_merge_implIS3_NS6_6detail15normal_iteratorINS6_10device_ptrIS8_EEEEPS9_mNS6_4lessIS8_EEEE10hipError_tT0_T1_T2_jT3_P12ihipStream_tbPNSt15iterator_traitsISL_E10value_typeEPNSR_ISM_E10value_typeEPSN_NS1_7vsmem_tEENKUlT_SL_SM_SN_E_clISG_PS8_SH_SH_EESK_S10_SL_SM_SN_EUlS10_E1_NS1_11comp_targetILNS1_3genE8ELNS1_11target_archE1030ELNS1_3gpuE2ELNS1_3repE0EEENS1_36merge_oddeven_config_static_selectorELNS0_4arch9wavefront6targetE1EEEvSM_,@function
_ZN7rocprim17ROCPRIM_400000_NS6detail17trampoline_kernelINS0_14default_configENS1_38merge_sort_block_merge_config_selectorIN6thrust23THRUST_200600_302600_NS4pairIiiEENS0_10empty_typeEEEZZNS1_27merge_sort_block_merge_implIS3_NS6_6detail15normal_iteratorINS6_10device_ptrIS8_EEEEPS9_mNS6_4lessIS8_EEEE10hipError_tT0_T1_T2_jT3_P12ihipStream_tbPNSt15iterator_traitsISL_E10value_typeEPNSR_ISM_E10value_typeEPSN_NS1_7vsmem_tEENKUlT_SL_SM_SN_E_clISG_PS8_SH_SH_EESK_S10_SL_SM_SN_EUlS10_E1_NS1_11comp_targetILNS1_3genE8ELNS1_11target_archE1030ELNS1_3gpuE2ELNS1_3repE0EEENS1_36merge_oddeven_config_static_selectorELNS0_4arch9wavefront6targetE1EEEvSM_: ; @_ZN7rocprim17ROCPRIM_400000_NS6detail17trampoline_kernelINS0_14default_configENS1_38merge_sort_block_merge_config_selectorIN6thrust23THRUST_200600_302600_NS4pairIiiEENS0_10empty_typeEEEZZNS1_27merge_sort_block_merge_implIS3_NS6_6detail15normal_iteratorINS6_10device_ptrIS8_EEEEPS9_mNS6_4lessIS8_EEEE10hipError_tT0_T1_T2_jT3_P12ihipStream_tbPNSt15iterator_traitsISL_E10value_typeEPNSR_ISM_E10value_typeEPSN_NS1_7vsmem_tEENKUlT_SL_SM_SN_E_clISG_PS8_SH_SH_EESK_S10_SL_SM_SN_EUlS10_E1_NS1_11comp_targetILNS1_3genE8ELNS1_11target_archE1030ELNS1_3gpuE2ELNS1_3repE0EEENS1_36merge_oddeven_config_static_selectorELNS0_4arch9wavefront6targetE1EEEvSM_
; %bb.0:
	.section	.rodata,"a",@progbits
	.p2align	6, 0x0
	.amdhsa_kernel _ZN7rocprim17ROCPRIM_400000_NS6detail17trampoline_kernelINS0_14default_configENS1_38merge_sort_block_merge_config_selectorIN6thrust23THRUST_200600_302600_NS4pairIiiEENS0_10empty_typeEEEZZNS1_27merge_sort_block_merge_implIS3_NS6_6detail15normal_iteratorINS6_10device_ptrIS8_EEEEPS9_mNS6_4lessIS8_EEEE10hipError_tT0_T1_T2_jT3_P12ihipStream_tbPNSt15iterator_traitsISL_E10value_typeEPNSR_ISM_E10value_typeEPSN_NS1_7vsmem_tEENKUlT_SL_SM_SN_E_clISG_PS8_SH_SH_EESK_S10_SL_SM_SN_EUlS10_E1_NS1_11comp_targetILNS1_3genE8ELNS1_11target_archE1030ELNS1_3gpuE2ELNS1_3repE0EEENS1_36merge_oddeven_config_static_selectorELNS0_4arch9wavefront6targetE1EEEvSM_
		.amdhsa_group_segment_fixed_size 0
		.amdhsa_private_segment_fixed_size 0
		.amdhsa_kernarg_size 56
		.amdhsa_user_sgpr_count 2
		.amdhsa_user_sgpr_dispatch_ptr 0
		.amdhsa_user_sgpr_queue_ptr 0
		.amdhsa_user_sgpr_kernarg_segment_ptr 1
		.amdhsa_user_sgpr_dispatch_id 0
		.amdhsa_user_sgpr_kernarg_preload_length 0
		.amdhsa_user_sgpr_kernarg_preload_offset 0
		.amdhsa_user_sgpr_private_segment_size 0
		.amdhsa_uses_dynamic_stack 0
		.amdhsa_enable_private_segment 0
		.amdhsa_system_sgpr_workgroup_id_x 1
		.amdhsa_system_sgpr_workgroup_id_y 0
		.amdhsa_system_sgpr_workgroup_id_z 0
		.amdhsa_system_sgpr_workgroup_info 0
		.amdhsa_system_vgpr_workitem_id 0
		.amdhsa_next_free_vgpr 1
		.amdhsa_next_free_sgpr 0
		.amdhsa_accum_offset 4
		.amdhsa_reserve_vcc 0
		.amdhsa_float_round_mode_32 0
		.amdhsa_float_round_mode_16_64 0
		.amdhsa_float_denorm_mode_32 3
		.amdhsa_float_denorm_mode_16_64 3
		.amdhsa_dx10_clamp 1
		.amdhsa_ieee_mode 1
		.amdhsa_fp16_overflow 0
		.amdhsa_tg_split 0
		.amdhsa_exception_fp_ieee_invalid_op 0
		.amdhsa_exception_fp_denorm_src 0
		.amdhsa_exception_fp_ieee_div_zero 0
		.amdhsa_exception_fp_ieee_overflow 0
		.amdhsa_exception_fp_ieee_underflow 0
		.amdhsa_exception_fp_ieee_inexact 0
		.amdhsa_exception_int_div_zero 0
	.end_amdhsa_kernel
	.section	.text._ZN7rocprim17ROCPRIM_400000_NS6detail17trampoline_kernelINS0_14default_configENS1_38merge_sort_block_merge_config_selectorIN6thrust23THRUST_200600_302600_NS4pairIiiEENS0_10empty_typeEEEZZNS1_27merge_sort_block_merge_implIS3_NS6_6detail15normal_iteratorINS6_10device_ptrIS8_EEEEPS9_mNS6_4lessIS8_EEEE10hipError_tT0_T1_T2_jT3_P12ihipStream_tbPNSt15iterator_traitsISL_E10value_typeEPNSR_ISM_E10value_typeEPSN_NS1_7vsmem_tEENKUlT_SL_SM_SN_E_clISG_PS8_SH_SH_EESK_S10_SL_SM_SN_EUlS10_E1_NS1_11comp_targetILNS1_3genE8ELNS1_11target_archE1030ELNS1_3gpuE2ELNS1_3repE0EEENS1_36merge_oddeven_config_static_selectorELNS0_4arch9wavefront6targetE1EEEvSM_,"axG",@progbits,_ZN7rocprim17ROCPRIM_400000_NS6detail17trampoline_kernelINS0_14default_configENS1_38merge_sort_block_merge_config_selectorIN6thrust23THRUST_200600_302600_NS4pairIiiEENS0_10empty_typeEEEZZNS1_27merge_sort_block_merge_implIS3_NS6_6detail15normal_iteratorINS6_10device_ptrIS8_EEEEPS9_mNS6_4lessIS8_EEEE10hipError_tT0_T1_T2_jT3_P12ihipStream_tbPNSt15iterator_traitsISL_E10value_typeEPNSR_ISM_E10value_typeEPSN_NS1_7vsmem_tEENKUlT_SL_SM_SN_E_clISG_PS8_SH_SH_EESK_S10_SL_SM_SN_EUlS10_E1_NS1_11comp_targetILNS1_3genE8ELNS1_11target_archE1030ELNS1_3gpuE2ELNS1_3repE0EEENS1_36merge_oddeven_config_static_selectorELNS0_4arch9wavefront6targetE1EEEvSM_,comdat
.Lfunc_end680:
	.size	_ZN7rocprim17ROCPRIM_400000_NS6detail17trampoline_kernelINS0_14default_configENS1_38merge_sort_block_merge_config_selectorIN6thrust23THRUST_200600_302600_NS4pairIiiEENS0_10empty_typeEEEZZNS1_27merge_sort_block_merge_implIS3_NS6_6detail15normal_iteratorINS6_10device_ptrIS8_EEEEPS9_mNS6_4lessIS8_EEEE10hipError_tT0_T1_T2_jT3_P12ihipStream_tbPNSt15iterator_traitsISL_E10value_typeEPNSR_ISM_E10value_typeEPSN_NS1_7vsmem_tEENKUlT_SL_SM_SN_E_clISG_PS8_SH_SH_EESK_S10_SL_SM_SN_EUlS10_E1_NS1_11comp_targetILNS1_3genE8ELNS1_11target_archE1030ELNS1_3gpuE2ELNS1_3repE0EEENS1_36merge_oddeven_config_static_selectorELNS0_4arch9wavefront6targetE1EEEvSM_, .Lfunc_end680-_ZN7rocprim17ROCPRIM_400000_NS6detail17trampoline_kernelINS0_14default_configENS1_38merge_sort_block_merge_config_selectorIN6thrust23THRUST_200600_302600_NS4pairIiiEENS0_10empty_typeEEEZZNS1_27merge_sort_block_merge_implIS3_NS6_6detail15normal_iteratorINS6_10device_ptrIS8_EEEEPS9_mNS6_4lessIS8_EEEE10hipError_tT0_T1_T2_jT3_P12ihipStream_tbPNSt15iterator_traitsISL_E10value_typeEPNSR_ISM_E10value_typeEPSN_NS1_7vsmem_tEENKUlT_SL_SM_SN_E_clISG_PS8_SH_SH_EESK_S10_SL_SM_SN_EUlS10_E1_NS1_11comp_targetILNS1_3genE8ELNS1_11target_archE1030ELNS1_3gpuE2ELNS1_3repE0EEENS1_36merge_oddeven_config_static_selectorELNS0_4arch9wavefront6targetE1EEEvSM_
                                        ; -- End function
	.set _ZN7rocprim17ROCPRIM_400000_NS6detail17trampoline_kernelINS0_14default_configENS1_38merge_sort_block_merge_config_selectorIN6thrust23THRUST_200600_302600_NS4pairIiiEENS0_10empty_typeEEEZZNS1_27merge_sort_block_merge_implIS3_NS6_6detail15normal_iteratorINS6_10device_ptrIS8_EEEEPS9_mNS6_4lessIS8_EEEE10hipError_tT0_T1_T2_jT3_P12ihipStream_tbPNSt15iterator_traitsISL_E10value_typeEPNSR_ISM_E10value_typeEPSN_NS1_7vsmem_tEENKUlT_SL_SM_SN_E_clISG_PS8_SH_SH_EESK_S10_SL_SM_SN_EUlS10_E1_NS1_11comp_targetILNS1_3genE8ELNS1_11target_archE1030ELNS1_3gpuE2ELNS1_3repE0EEENS1_36merge_oddeven_config_static_selectorELNS0_4arch9wavefront6targetE1EEEvSM_.num_vgpr, 0
	.set _ZN7rocprim17ROCPRIM_400000_NS6detail17trampoline_kernelINS0_14default_configENS1_38merge_sort_block_merge_config_selectorIN6thrust23THRUST_200600_302600_NS4pairIiiEENS0_10empty_typeEEEZZNS1_27merge_sort_block_merge_implIS3_NS6_6detail15normal_iteratorINS6_10device_ptrIS8_EEEEPS9_mNS6_4lessIS8_EEEE10hipError_tT0_T1_T2_jT3_P12ihipStream_tbPNSt15iterator_traitsISL_E10value_typeEPNSR_ISM_E10value_typeEPSN_NS1_7vsmem_tEENKUlT_SL_SM_SN_E_clISG_PS8_SH_SH_EESK_S10_SL_SM_SN_EUlS10_E1_NS1_11comp_targetILNS1_3genE8ELNS1_11target_archE1030ELNS1_3gpuE2ELNS1_3repE0EEENS1_36merge_oddeven_config_static_selectorELNS0_4arch9wavefront6targetE1EEEvSM_.num_agpr, 0
	.set _ZN7rocprim17ROCPRIM_400000_NS6detail17trampoline_kernelINS0_14default_configENS1_38merge_sort_block_merge_config_selectorIN6thrust23THRUST_200600_302600_NS4pairIiiEENS0_10empty_typeEEEZZNS1_27merge_sort_block_merge_implIS3_NS6_6detail15normal_iteratorINS6_10device_ptrIS8_EEEEPS9_mNS6_4lessIS8_EEEE10hipError_tT0_T1_T2_jT3_P12ihipStream_tbPNSt15iterator_traitsISL_E10value_typeEPNSR_ISM_E10value_typeEPSN_NS1_7vsmem_tEENKUlT_SL_SM_SN_E_clISG_PS8_SH_SH_EESK_S10_SL_SM_SN_EUlS10_E1_NS1_11comp_targetILNS1_3genE8ELNS1_11target_archE1030ELNS1_3gpuE2ELNS1_3repE0EEENS1_36merge_oddeven_config_static_selectorELNS0_4arch9wavefront6targetE1EEEvSM_.numbered_sgpr, 0
	.set _ZN7rocprim17ROCPRIM_400000_NS6detail17trampoline_kernelINS0_14default_configENS1_38merge_sort_block_merge_config_selectorIN6thrust23THRUST_200600_302600_NS4pairIiiEENS0_10empty_typeEEEZZNS1_27merge_sort_block_merge_implIS3_NS6_6detail15normal_iteratorINS6_10device_ptrIS8_EEEEPS9_mNS6_4lessIS8_EEEE10hipError_tT0_T1_T2_jT3_P12ihipStream_tbPNSt15iterator_traitsISL_E10value_typeEPNSR_ISM_E10value_typeEPSN_NS1_7vsmem_tEENKUlT_SL_SM_SN_E_clISG_PS8_SH_SH_EESK_S10_SL_SM_SN_EUlS10_E1_NS1_11comp_targetILNS1_3genE8ELNS1_11target_archE1030ELNS1_3gpuE2ELNS1_3repE0EEENS1_36merge_oddeven_config_static_selectorELNS0_4arch9wavefront6targetE1EEEvSM_.num_named_barrier, 0
	.set _ZN7rocprim17ROCPRIM_400000_NS6detail17trampoline_kernelINS0_14default_configENS1_38merge_sort_block_merge_config_selectorIN6thrust23THRUST_200600_302600_NS4pairIiiEENS0_10empty_typeEEEZZNS1_27merge_sort_block_merge_implIS3_NS6_6detail15normal_iteratorINS6_10device_ptrIS8_EEEEPS9_mNS6_4lessIS8_EEEE10hipError_tT0_T1_T2_jT3_P12ihipStream_tbPNSt15iterator_traitsISL_E10value_typeEPNSR_ISM_E10value_typeEPSN_NS1_7vsmem_tEENKUlT_SL_SM_SN_E_clISG_PS8_SH_SH_EESK_S10_SL_SM_SN_EUlS10_E1_NS1_11comp_targetILNS1_3genE8ELNS1_11target_archE1030ELNS1_3gpuE2ELNS1_3repE0EEENS1_36merge_oddeven_config_static_selectorELNS0_4arch9wavefront6targetE1EEEvSM_.private_seg_size, 0
	.set _ZN7rocprim17ROCPRIM_400000_NS6detail17trampoline_kernelINS0_14default_configENS1_38merge_sort_block_merge_config_selectorIN6thrust23THRUST_200600_302600_NS4pairIiiEENS0_10empty_typeEEEZZNS1_27merge_sort_block_merge_implIS3_NS6_6detail15normal_iteratorINS6_10device_ptrIS8_EEEEPS9_mNS6_4lessIS8_EEEE10hipError_tT0_T1_T2_jT3_P12ihipStream_tbPNSt15iterator_traitsISL_E10value_typeEPNSR_ISM_E10value_typeEPSN_NS1_7vsmem_tEENKUlT_SL_SM_SN_E_clISG_PS8_SH_SH_EESK_S10_SL_SM_SN_EUlS10_E1_NS1_11comp_targetILNS1_3genE8ELNS1_11target_archE1030ELNS1_3gpuE2ELNS1_3repE0EEENS1_36merge_oddeven_config_static_selectorELNS0_4arch9wavefront6targetE1EEEvSM_.uses_vcc, 0
	.set _ZN7rocprim17ROCPRIM_400000_NS6detail17trampoline_kernelINS0_14default_configENS1_38merge_sort_block_merge_config_selectorIN6thrust23THRUST_200600_302600_NS4pairIiiEENS0_10empty_typeEEEZZNS1_27merge_sort_block_merge_implIS3_NS6_6detail15normal_iteratorINS6_10device_ptrIS8_EEEEPS9_mNS6_4lessIS8_EEEE10hipError_tT0_T1_T2_jT3_P12ihipStream_tbPNSt15iterator_traitsISL_E10value_typeEPNSR_ISM_E10value_typeEPSN_NS1_7vsmem_tEENKUlT_SL_SM_SN_E_clISG_PS8_SH_SH_EESK_S10_SL_SM_SN_EUlS10_E1_NS1_11comp_targetILNS1_3genE8ELNS1_11target_archE1030ELNS1_3gpuE2ELNS1_3repE0EEENS1_36merge_oddeven_config_static_selectorELNS0_4arch9wavefront6targetE1EEEvSM_.uses_flat_scratch, 0
	.set _ZN7rocprim17ROCPRIM_400000_NS6detail17trampoline_kernelINS0_14default_configENS1_38merge_sort_block_merge_config_selectorIN6thrust23THRUST_200600_302600_NS4pairIiiEENS0_10empty_typeEEEZZNS1_27merge_sort_block_merge_implIS3_NS6_6detail15normal_iteratorINS6_10device_ptrIS8_EEEEPS9_mNS6_4lessIS8_EEEE10hipError_tT0_T1_T2_jT3_P12ihipStream_tbPNSt15iterator_traitsISL_E10value_typeEPNSR_ISM_E10value_typeEPSN_NS1_7vsmem_tEENKUlT_SL_SM_SN_E_clISG_PS8_SH_SH_EESK_S10_SL_SM_SN_EUlS10_E1_NS1_11comp_targetILNS1_3genE8ELNS1_11target_archE1030ELNS1_3gpuE2ELNS1_3repE0EEENS1_36merge_oddeven_config_static_selectorELNS0_4arch9wavefront6targetE1EEEvSM_.has_dyn_sized_stack, 0
	.set _ZN7rocprim17ROCPRIM_400000_NS6detail17trampoline_kernelINS0_14default_configENS1_38merge_sort_block_merge_config_selectorIN6thrust23THRUST_200600_302600_NS4pairIiiEENS0_10empty_typeEEEZZNS1_27merge_sort_block_merge_implIS3_NS6_6detail15normal_iteratorINS6_10device_ptrIS8_EEEEPS9_mNS6_4lessIS8_EEEE10hipError_tT0_T1_T2_jT3_P12ihipStream_tbPNSt15iterator_traitsISL_E10value_typeEPNSR_ISM_E10value_typeEPSN_NS1_7vsmem_tEENKUlT_SL_SM_SN_E_clISG_PS8_SH_SH_EESK_S10_SL_SM_SN_EUlS10_E1_NS1_11comp_targetILNS1_3genE8ELNS1_11target_archE1030ELNS1_3gpuE2ELNS1_3repE0EEENS1_36merge_oddeven_config_static_selectorELNS0_4arch9wavefront6targetE1EEEvSM_.has_recursion, 0
	.set _ZN7rocprim17ROCPRIM_400000_NS6detail17trampoline_kernelINS0_14default_configENS1_38merge_sort_block_merge_config_selectorIN6thrust23THRUST_200600_302600_NS4pairIiiEENS0_10empty_typeEEEZZNS1_27merge_sort_block_merge_implIS3_NS6_6detail15normal_iteratorINS6_10device_ptrIS8_EEEEPS9_mNS6_4lessIS8_EEEE10hipError_tT0_T1_T2_jT3_P12ihipStream_tbPNSt15iterator_traitsISL_E10value_typeEPNSR_ISM_E10value_typeEPSN_NS1_7vsmem_tEENKUlT_SL_SM_SN_E_clISG_PS8_SH_SH_EESK_S10_SL_SM_SN_EUlS10_E1_NS1_11comp_targetILNS1_3genE8ELNS1_11target_archE1030ELNS1_3gpuE2ELNS1_3repE0EEENS1_36merge_oddeven_config_static_selectorELNS0_4arch9wavefront6targetE1EEEvSM_.has_indirect_call, 0
	.section	.AMDGPU.csdata,"",@progbits
; Kernel info:
; codeLenInByte = 0
; TotalNumSgprs: 6
; NumVgprs: 0
; NumAgprs: 0
; TotalNumVgprs: 0
; ScratchSize: 0
; MemoryBound: 0
; FloatMode: 240
; IeeeMode: 1
; LDSByteSize: 0 bytes/workgroup (compile time only)
; SGPRBlocks: 0
; VGPRBlocks: 0
; NumSGPRsForWavesPerEU: 6
; NumVGPRsForWavesPerEU: 1
; AccumOffset: 4
; Occupancy: 8
; WaveLimiterHint : 0
; COMPUTE_PGM_RSRC2:SCRATCH_EN: 0
; COMPUTE_PGM_RSRC2:USER_SGPR: 2
; COMPUTE_PGM_RSRC2:TRAP_HANDLER: 0
; COMPUTE_PGM_RSRC2:TGID_X_EN: 1
; COMPUTE_PGM_RSRC2:TGID_Y_EN: 0
; COMPUTE_PGM_RSRC2:TGID_Z_EN: 0
; COMPUTE_PGM_RSRC2:TIDIG_COMP_CNT: 0
; COMPUTE_PGM_RSRC3_GFX90A:ACCUM_OFFSET: 0
; COMPUTE_PGM_RSRC3_GFX90A:TG_SPLIT: 0
	.section	.text._ZN7rocprim17ROCPRIM_400000_NS6detail17trampoline_kernelINS0_14default_configENS1_25transform_config_selectorIN6thrust23THRUST_200600_302600_NS4pairIiiEELb0EEEZNS1_14transform_implILb0ES3_S9_PS8_NS6_6detail15normal_iteratorINS6_10device_ptrIS8_EEEENS0_8identityIS8_EEEE10hipError_tT2_T3_mT4_P12ihipStream_tbEUlT_E_NS1_11comp_targetILNS1_3genE0ELNS1_11target_archE4294967295ELNS1_3gpuE0ELNS1_3repE0EEENS1_30default_config_static_selectorELNS0_4arch9wavefront6targetE1EEEvT1_,"axG",@progbits,_ZN7rocprim17ROCPRIM_400000_NS6detail17trampoline_kernelINS0_14default_configENS1_25transform_config_selectorIN6thrust23THRUST_200600_302600_NS4pairIiiEELb0EEEZNS1_14transform_implILb0ES3_S9_PS8_NS6_6detail15normal_iteratorINS6_10device_ptrIS8_EEEENS0_8identityIS8_EEEE10hipError_tT2_T3_mT4_P12ihipStream_tbEUlT_E_NS1_11comp_targetILNS1_3genE0ELNS1_11target_archE4294967295ELNS1_3gpuE0ELNS1_3repE0EEENS1_30default_config_static_selectorELNS0_4arch9wavefront6targetE1EEEvT1_,comdat
	.protected	_ZN7rocprim17ROCPRIM_400000_NS6detail17trampoline_kernelINS0_14default_configENS1_25transform_config_selectorIN6thrust23THRUST_200600_302600_NS4pairIiiEELb0EEEZNS1_14transform_implILb0ES3_S9_PS8_NS6_6detail15normal_iteratorINS6_10device_ptrIS8_EEEENS0_8identityIS8_EEEE10hipError_tT2_T3_mT4_P12ihipStream_tbEUlT_E_NS1_11comp_targetILNS1_3genE0ELNS1_11target_archE4294967295ELNS1_3gpuE0ELNS1_3repE0EEENS1_30default_config_static_selectorELNS0_4arch9wavefront6targetE1EEEvT1_ ; -- Begin function _ZN7rocprim17ROCPRIM_400000_NS6detail17trampoline_kernelINS0_14default_configENS1_25transform_config_selectorIN6thrust23THRUST_200600_302600_NS4pairIiiEELb0EEEZNS1_14transform_implILb0ES3_S9_PS8_NS6_6detail15normal_iteratorINS6_10device_ptrIS8_EEEENS0_8identityIS8_EEEE10hipError_tT2_T3_mT4_P12ihipStream_tbEUlT_E_NS1_11comp_targetILNS1_3genE0ELNS1_11target_archE4294967295ELNS1_3gpuE0ELNS1_3repE0EEENS1_30default_config_static_selectorELNS0_4arch9wavefront6targetE1EEEvT1_
	.globl	_ZN7rocprim17ROCPRIM_400000_NS6detail17trampoline_kernelINS0_14default_configENS1_25transform_config_selectorIN6thrust23THRUST_200600_302600_NS4pairIiiEELb0EEEZNS1_14transform_implILb0ES3_S9_PS8_NS6_6detail15normal_iteratorINS6_10device_ptrIS8_EEEENS0_8identityIS8_EEEE10hipError_tT2_T3_mT4_P12ihipStream_tbEUlT_E_NS1_11comp_targetILNS1_3genE0ELNS1_11target_archE4294967295ELNS1_3gpuE0ELNS1_3repE0EEENS1_30default_config_static_selectorELNS0_4arch9wavefront6targetE1EEEvT1_
	.p2align	8
	.type	_ZN7rocprim17ROCPRIM_400000_NS6detail17trampoline_kernelINS0_14default_configENS1_25transform_config_selectorIN6thrust23THRUST_200600_302600_NS4pairIiiEELb0EEEZNS1_14transform_implILb0ES3_S9_PS8_NS6_6detail15normal_iteratorINS6_10device_ptrIS8_EEEENS0_8identityIS8_EEEE10hipError_tT2_T3_mT4_P12ihipStream_tbEUlT_E_NS1_11comp_targetILNS1_3genE0ELNS1_11target_archE4294967295ELNS1_3gpuE0ELNS1_3repE0EEENS1_30default_config_static_selectorELNS0_4arch9wavefront6targetE1EEEvT1_,@function
_ZN7rocprim17ROCPRIM_400000_NS6detail17trampoline_kernelINS0_14default_configENS1_25transform_config_selectorIN6thrust23THRUST_200600_302600_NS4pairIiiEELb0EEEZNS1_14transform_implILb0ES3_S9_PS8_NS6_6detail15normal_iteratorINS6_10device_ptrIS8_EEEENS0_8identityIS8_EEEE10hipError_tT2_T3_mT4_P12ihipStream_tbEUlT_E_NS1_11comp_targetILNS1_3genE0ELNS1_11target_archE4294967295ELNS1_3gpuE0ELNS1_3repE0EEENS1_30default_config_static_selectorELNS0_4arch9wavefront6targetE1EEEvT1_: ; @_ZN7rocprim17ROCPRIM_400000_NS6detail17trampoline_kernelINS0_14default_configENS1_25transform_config_selectorIN6thrust23THRUST_200600_302600_NS4pairIiiEELb0EEEZNS1_14transform_implILb0ES3_S9_PS8_NS6_6detail15normal_iteratorINS6_10device_ptrIS8_EEEENS0_8identityIS8_EEEE10hipError_tT2_T3_mT4_P12ihipStream_tbEUlT_E_NS1_11comp_targetILNS1_3genE0ELNS1_11target_archE4294967295ELNS1_3gpuE0ELNS1_3repE0EEENS1_30default_config_static_selectorELNS0_4arch9wavefront6targetE1EEEvT1_
; %bb.0:
	s_load_dword s3, s[0:1], 0x28
	s_load_dword s5, s[0:1], 0x10
	s_lshl_b32 s4, s2, 7
	s_waitcnt lgkmcnt(0)
	s_add_i32 s3, s3, -1
	s_cmp_lg_u32 s2, s3
	s_cselect_b64 s[2:3], -1, 0
	s_sub_i32 s5, s5, s4
	v_cmp_gt_u32_e32 vcc, s5, v0
	s_or_b64 s[2:3], vcc, s[2:3]
	s_and_saveexec_b64 s[6:7], s[2:3]
	s_cbranch_execz .LBB681_2
; %bb.1:
	s_load_dwordx4 s[8:11], s[0:1], 0x0
	s_load_dwordx2 s[2:3], s[0:1], 0x18
	s_mov_b32 s5, 0
	v_lshlrev_b32_e32 v0, 3, v0
	v_mov_b32_e32 v1, 0
	s_waitcnt lgkmcnt(0)
	s_lshl_b64 s[0:1], s[10:11], 3
	s_add_u32 s6, s8, s0
	s_addc_u32 s7, s9, s1
	s_lshl_b64 s[4:5], s[4:5], 3
	s_add_u32 s6, s6, s4
	s_addc_u32 s7, s7, s5
	global_load_dwordx2 v[2:3], v0, s[6:7]
	s_add_u32 s0, s2, s0
	s_addc_u32 s1, s3, s1
	s_add_u32 s0, s0, s4
	s_addc_u32 s1, s1, s5
	v_lshl_add_u64 v[0:1], s[0:1], 0, v[0:1]
	s_waitcnt vmcnt(0)
	flat_store_dwordx2 v[0:1], v[2:3]
.LBB681_2:
	s_endpgm
	.section	.rodata,"a",@progbits
	.p2align	6, 0x0
	.amdhsa_kernel _ZN7rocprim17ROCPRIM_400000_NS6detail17trampoline_kernelINS0_14default_configENS1_25transform_config_selectorIN6thrust23THRUST_200600_302600_NS4pairIiiEELb0EEEZNS1_14transform_implILb0ES3_S9_PS8_NS6_6detail15normal_iteratorINS6_10device_ptrIS8_EEEENS0_8identityIS8_EEEE10hipError_tT2_T3_mT4_P12ihipStream_tbEUlT_E_NS1_11comp_targetILNS1_3genE0ELNS1_11target_archE4294967295ELNS1_3gpuE0ELNS1_3repE0EEENS1_30default_config_static_selectorELNS0_4arch9wavefront6targetE1EEEvT1_
		.amdhsa_group_segment_fixed_size 0
		.amdhsa_private_segment_fixed_size 0
		.amdhsa_kernarg_size 296
		.amdhsa_user_sgpr_count 2
		.amdhsa_user_sgpr_dispatch_ptr 0
		.amdhsa_user_sgpr_queue_ptr 0
		.amdhsa_user_sgpr_kernarg_segment_ptr 1
		.amdhsa_user_sgpr_dispatch_id 0
		.amdhsa_user_sgpr_kernarg_preload_length 0
		.amdhsa_user_sgpr_kernarg_preload_offset 0
		.amdhsa_user_sgpr_private_segment_size 0
		.amdhsa_uses_dynamic_stack 0
		.amdhsa_enable_private_segment 0
		.amdhsa_system_sgpr_workgroup_id_x 1
		.amdhsa_system_sgpr_workgroup_id_y 0
		.amdhsa_system_sgpr_workgroup_id_z 0
		.amdhsa_system_sgpr_workgroup_info 0
		.amdhsa_system_vgpr_workitem_id 0
		.amdhsa_next_free_vgpr 4
		.amdhsa_next_free_sgpr 12
		.amdhsa_accum_offset 4
		.amdhsa_reserve_vcc 1
		.amdhsa_float_round_mode_32 0
		.amdhsa_float_round_mode_16_64 0
		.amdhsa_float_denorm_mode_32 3
		.amdhsa_float_denorm_mode_16_64 3
		.amdhsa_dx10_clamp 1
		.amdhsa_ieee_mode 1
		.amdhsa_fp16_overflow 0
		.amdhsa_tg_split 0
		.amdhsa_exception_fp_ieee_invalid_op 0
		.amdhsa_exception_fp_denorm_src 0
		.amdhsa_exception_fp_ieee_div_zero 0
		.amdhsa_exception_fp_ieee_overflow 0
		.amdhsa_exception_fp_ieee_underflow 0
		.amdhsa_exception_fp_ieee_inexact 0
		.amdhsa_exception_int_div_zero 0
	.end_amdhsa_kernel
	.section	.text._ZN7rocprim17ROCPRIM_400000_NS6detail17trampoline_kernelINS0_14default_configENS1_25transform_config_selectorIN6thrust23THRUST_200600_302600_NS4pairIiiEELb0EEEZNS1_14transform_implILb0ES3_S9_PS8_NS6_6detail15normal_iteratorINS6_10device_ptrIS8_EEEENS0_8identityIS8_EEEE10hipError_tT2_T3_mT4_P12ihipStream_tbEUlT_E_NS1_11comp_targetILNS1_3genE0ELNS1_11target_archE4294967295ELNS1_3gpuE0ELNS1_3repE0EEENS1_30default_config_static_selectorELNS0_4arch9wavefront6targetE1EEEvT1_,"axG",@progbits,_ZN7rocprim17ROCPRIM_400000_NS6detail17trampoline_kernelINS0_14default_configENS1_25transform_config_selectorIN6thrust23THRUST_200600_302600_NS4pairIiiEELb0EEEZNS1_14transform_implILb0ES3_S9_PS8_NS6_6detail15normal_iteratorINS6_10device_ptrIS8_EEEENS0_8identityIS8_EEEE10hipError_tT2_T3_mT4_P12ihipStream_tbEUlT_E_NS1_11comp_targetILNS1_3genE0ELNS1_11target_archE4294967295ELNS1_3gpuE0ELNS1_3repE0EEENS1_30default_config_static_selectorELNS0_4arch9wavefront6targetE1EEEvT1_,comdat
.Lfunc_end681:
	.size	_ZN7rocprim17ROCPRIM_400000_NS6detail17trampoline_kernelINS0_14default_configENS1_25transform_config_selectorIN6thrust23THRUST_200600_302600_NS4pairIiiEELb0EEEZNS1_14transform_implILb0ES3_S9_PS8_NS6_6detail15normal_iteratorINS6_10device_ptrIS8_EEEENS0_8identityIS8_EEEE10hipError_tT2_T3_mT4_P12ihipStream_tbEUlT_E_NS1_11comp_targetILNS1_3genE0ELNS1_11target_archE4294967295ELNS1_3gpuE0ELNS1_3repE0EEENS1_30default_config_static_selectorELNS0_4arch9wavefront6targetE1EEEvT1_, .Lfunc_end681-_ZN7rocprim17ROCPRIM_400000_NS6detail17trampoline_kernelINS0_14default_configENS1_25transform_config_selectorIN6thrust23THRUST_200600_302600_NS4pairIiiEELb0EEEZNS1_14transform_implILb0ES3_S9_PS8_NS6_6detail15normal_iteratorINS6_10device_ptrIS8_EEEENS0_8identityIS8_EEEE10hipError_tT2_T3_mT4_P12ihipStream_tbEUlT_E_NS1_11comp_targetILNS1_3genE0ELNS1_11target_archE4294967295ELNS1_3gpuE0ELNS1_3repE0EEENS1_30default_config_static_selectorELNS0_4arch9wavefront6targetE1EEEvT1_
                                        ; -- End function
	.set _ZN7rocprim17ROCPRIM_400000_NS6detail17trampoline_kernelINS0_14default_configENS1_25transform_config_selectorIN6thrust23THRUST_200600_302600_NS4pairIiiEELb0EEEZNS1_14transform_implILb0ES3_S9_PS8_NS6_6detail15normal_iteratorINS6_10device_ptrIS8_EEEENS0_8identityIS8_EEEE10hipError_tT2_T3_mT4_P12ihipStream_tbEUlT_E_NS1_11comp_targetILNS1_3genE0ELNS1_11target_archE4294967295ELNS1_3gpuE0ELNS1_3repE0EEENS1_30default_config_static_selectorELNS0_4arch9wavefront6targetE1EEEvT1_.num_vgpr, 4
	.set _ZN7rocprim17ROCPRIM_400000_NS6detail17trampoline_kernelINS0_14default_configENS1_25transform_config_selectorIN6thrust23THRUST_200600_302600_NS4pairIiiEELb0EEEZNS1_14transform_implILb0ES3_S9_PS8_NS6_6detail15normal_iteratorINS6_10device_ptrIS8_EEEENS0_8identityIS8_EEEE10hipError_tT2_T3_mT4_P12ihipStream_tbEUlT_E_NS1_11comp_targetILNS1_3genE0ELNS1_11target_archE4294967295ELNS1_3gpuE0ELNS1_3repE0EEENS1_30default_config_static_selectorELNS0_4arch9wavefront6targetE1EEEvT1_.num_agpr, 0
	.set _ZN7rocprim17ROCPRIM_400000_NS6detail17trampoline_kernelINS0_14default_configENS1_25transform_config_selectorIN6thrust23THRUST_200600_302600_NS4pairIiiEELb0EEEZNS1_14transform_implILb0ES3_S9_PS8_NS6_6detail15normal_iteratorINS6_10device_ptrIS8_EEEENS0_8identityIS8_EEEE10hipError_tT2_T3_mT4_P12ihipStream_tbEUlT_E_NS1_11comp_targetILNS1_3genE0ELNS1_11target_archE4294967295ELNS1_3gpuE0ELNS1_3repE0EEENS1_30default_config_static_selectorELNS0_4arch9wavefront6targetE1EEEvT1_.numbered_sgpr, 12
	.set _ZN7rocprim17ROCPRIM_400000_NS6detail17trampoline_kernelINS0_14default_configENS1_25transform_config_selectorIN6thrust23THRUST_200600_302600_NS4pairIiiEELb0EEEZNS1_14transform_implILb0ES3_S9_PS8_NS6_6detail15normal_iteratorINS6_10device_ptrIS8_EEEENS0_8identityIS8_EEEE10hipError_tT2_T3_mT4_P12ihipStream_tbEUlT_E_NS1_11comp_targetILNS1_3genE0ELNS1_11target_archE4294967295ELNS1_3gpuE0ELNS1_3repE0EEENS1_30default_config_static_selectorELNS0_4arch9wavefront6targetE1EEEvT1_.num_named_barrier, 0
	.set _ZN7rocprim17ROCPRIM_400000_NS6detail17trampoline_kernelINS0_14default_configENS1_25transform_config_selectorIN6thrust23THRUST_200600_302600_NS4pairIiiEELb0EEEZNS1_14transform_implILb0ES3_S9_PS8_NS6_6detail15normal_iteratorINS6_10device_ptrIS8_EEEENS0_8identityIS8_EEEE10hipError_tT2_T3_mT4_P12ihipStream_tbEUlT_E_NS1_11comp_targetILNS1_3genE0ELNS1_11target_archE4294967295ELNS1_3gpuE0ELNS1_3repE0EEENS1_30default_config_static_selectorELNS0_4arch9wavefront6targetE1EEEvT1_.private_seg_size, 0
	.set _ZN7rocprim17ROCPRIM_400000_NS6detail17trampoline_kernelINS0_14default_configENS1_25transform_config_selectorIN6thrust23THRUST_200600_302600_NS4pairIiiEELb0EEEZNS1_14transform_implILb0ES3_S9_PS8_NS6_6detail15normal_iteratorINS6_10device_ptrIS8_EEEENS0_8identityIS8_EEEE10hipError_tT2_T3_mT4_P12ihipStream_tbEUlT_E_NS1_11comp_targetILNS1_3genE0ELNS1_11target_archE4294967295ELNS1_3gpuE0ELNS1_3repE0EEENS1_30default_config_static_selectorELNS0_4arch9wavefront6targetE1EEEvT1_.uses_vcc, 1
	.set _ZN7rocprim17ROCPRIM_400000_NS6detail17trampoline_kernelINS0_14default_configENS1_25transform_config_selectorIN6thrust23THRUST_200600_302600_NS4pairIiiEELb0EEEZNS1_14transform_implILb0ES3_S9_PS8_NS6_6detail15normal_iteratorINS6_10device_ptrIS8_EEEENS0_8identityIS8_EEEE10hipError_tT2_T3_mT4_P12ihipStream_tbEUlT_E_NS1_11comp_targetILNS1_3genE0ELNS1_11target_archE4294967295ELNS1_3gpuE0ELNS1_3repE0EEENS1_30default_config_static_selectorELNS0_4arch9wavefront6targetE1EEEvT1_.uses_flat_scratch, 0
	.set _ZN7rocprim17ROCPRIM_400000_NS6detail17trampoline_kernelINS0_14default_configENS1_25transform_config_selectorIN6thrust23THRUST_200600_302600_NS4pairIiiEELb0EEEZNS1_14transform_implILb0ES3_S9_PS8_NS6_6detail15normal_iteratorINS6_10device_ptrIS8_EEEENS0_8identityIS8_EEEE10hipError_tT2_T3_mT4_P12ihipStream_tbEUlT_E_NS1_11comp_targetILNS1_3genE0ELNS1_11target_archE4294967295ELNS1_3gpuE0ELNS1_3repE0EEENS1_30default_config_static_selectorELNS0_4arch9wavefront6targetE1EEEvT1_.has_dyn_sized_stack, 0
	.set _ZN7rocprim17ROCPRIM_400000_NS6detail17trampoline_kernelINS0_14default_configENS1_25transform_config_selectorIN6thrust23THRUST_200600_302600_NS4pairIiiEELb0EEEZNS1_14transform_implILb0ES3_S9_PS8_NS6_6detail15normal_iteratorINS6_10device_ptrIS8_EEEENS0_8identityIS8_EEEE10hipError_tT2_T3_mT4_P12ihipStream_tbEUlT_E_NS1_11comp_targetILNS1_3genE0ELNS1_11target_archE4294967295ELNS1_3gpuE0ELNS1_3repE0EEENS1_30default_config_static_selectorELNS0_4arch9wavefront6targetE1EEEvT1_.has_recursion, 0
	.set _ZN7rocprim17ROCPRIM_400000_NS6detail17trampoline_kernelINS0_14default_configENS1_25transform_config_selectorIN6thrust23THRUST_200600_302600_NS4pairIiiEELb0EEEZNS1_14transform_implILb0ES3_S9_PS8_NS6_6detail15normal_iteratorINS6_10device_ptrIS8_EEEENS0_8identityIS8_EEEE10hipError_tT2_T3_mT4_P12ihipStream_tbEUlT_E_NS1_11comp_targetILNS1_3genE0ELNS1_11target_archE4294967295ELNS1_3gpuE0ELNS1_3repE0EEENS1_30default_config_static_selectorELNS0_4arch9wavefront6targetE1EEEvT1_.has_indirect_call, 0
	.section	.AMDGPU.csdata,"",@progbits
; Kernel info:
; codeLenInByte = 160
; TotalNumSgprs: 18
; NumVgprs: 4
; NumAgprs: 0
; TotalNumVgprs: 4
; ScratchSize: 0
; MemoryBound: 0
; FloatMode: 240
; IeeeMode: 1
; LDSByteSize: 0 bytes/workgroup (compile time only)
; SGPRBlocks: 2
; VGPRBlocks: 0
; NumSGPRsForWavesPerEU: 18
; NumVGPRsForWavesPerEU: 4
; AccumOffset: 4
; Occupancy: 8
; WaveLimiterHint : 0
; COMPUTE_PGM_RSRC2:SCRATCH_EN: 0
; COMPUTE_PGM_RSRC2:USER_SGPR: 2
; COMPUTE_PGM_RSRC2:TRAP_HANDLER: 0
; COMPUTE_PGM_RSRC2:TGID_X_EN: 1
; COMPUTE_PGM_RSRC2:TGID_Y_EN: 0
; COMPUTE_PGM_RSRC2:TGID_Z_EN: 0
; COMPUTE_PGM_RSRC2:TIDIG_COMP_CNT: 0
; COMPUTE_PGM_RSRC3_GFX90A:ACCUM_OFFSET: 0
; COMPUTE_PGM_RSRC3_GFX90A:TG_SPLIT: 0
	.section	.text._ZN7rocprim17ROCPRIM_400000_NS6detail17trampoline_kernelINS0_14default_configENS1_25transform_config_selectorIN6thrust23THRUST_200600_302600_NS4pairIiiEELb0EEEZNS1_14transform_implILb0ES3_S9_PS8_NS6_6detail15normal_iteratorINS6_10device_ptrIS8_EEEENS0_8identityIS8_EEEE10hipError_tT2_T3_mT4_P12ihipStream_tbEUlT_E_NS1_11comp_targetILNS1_3genE5ELNS1_11target_archE942ELNS1_3gpuE9ELNS1_3repE0EEENS1_30default_config_static_selectorELNS0_4arch9wavefront6targetE1EEEvT1_,"axG",@progbits,_ZN7rocprim17ROCPRIM_400000_NS6detail17trampoline_kernelINS0_14default_configENS1_25transform_config_selectorIN6thrust23THRUST_200600_302600_NS4pairIiiEELb0EEEZNS1_14transform_implILb0ES3_S9_PS8_NS6_6detail15normal_iteratorINS6_10device_ptrIS8_EEEENS0_8identityIS8_EEEE10hipError_tT2_T3_mT4_P12ihipStream_tbEUlT_E_NS1_11comp_targetILNS1_3genE5ELNS1_11target_archE942ELNS1_3gpuE9ELNS1_3repE0EEENS1_30default_config_static_selectorELNS0_4arch9wavefront6targetE1EEEvT1_,comdat
	.protected	_ZN7rocprim17ROCPRIM_400000_NS6detail17trampoline_kernelINS0_14default_configENS1_25transform_config_selectorIN6thrust23THRUST_200600_302600_NS4pairIiiEELb0EEEZNS1_14transform_implILb0ES3_S9_PS8_NS6_6detail15normal_iteratorINS6_10device_ptrIS8_EEEENS0_8identityIS8_EEEE10hipError_tT2_T3_mT4_P12ihipStream_tbEUlT_E_NS1_11comp_targetILNS1_3genE5ELNS1_11target_archE942ELNS1_3gpuE9ELNS1_3repE0EEENS1_30default_config_static_selectorELNS0_4arch9wavefront6targetE1EEEvT1_ ; -- Begin function _ZN7rocprim17ROCPRIM_400000_NS6detail17trampoline_kernelINS0_14default_configENS1_25transform_config_selectorIN6thrust23THRUST_200600_302600_NS4pairIiiEELb0EEEZNS1_14transform_implILb0ES3_S9_PS8_NS6_6detail15normal_iteratorINS6_10device_ptrIS8_EEEENS0_8identityIS8_EEEE10hipError_tT2_T3_mT4_P12ihipStream_tbEUlT_E_NS1_11comp_targetILNS1_3genE5ELNS1_11target_archE942ELNS1_3gpuE9ELNS1_3repE0EEENS1_30default_config_static_selectorELNS0_4arch9wavefront6targetE1EEEvT1_
	.globl	_ZN7rocprim17ROCPRIM_400000_NS6detail17trampoline_kernelINS0_14default_configENS1_25transform_config_selectorIN6thrust23THRUST_200600_302600_NS4pairIiiEELb0EEEZNS1_14transform_implILb0ES3_S9_PS8_NS6_6detail15normal_iteratorINS6_10device_ptrIS8_EEEENS0_8identityIS8_EEEE10hipError_tT2_T3_mT4_P12ihipStream_tbEUlT_E_NS1_11comp_targetILNS1_3genE5ELNS1_11target_archE942ELNS1_3gpuE9ELNS1_3repE0EEENS1_30default_config_static_selectorELNS0_4arch9wavefront6targetE1EEEvT1_
	.p2align	8
	.type	_ZN7rocprim17ROCPRIM_400000_NS6detail17trampoline_kernelINS0_14default_configENS1_25transform_config_selectorIN6thrust23THRUST_200600_302600_NS4pairIiiEELb0EEEZNS1_14transform_implILb0ES3_S9_PS8_NS6_6detail15normal_iteratorINS6_10device_ptrIS8_EEEENS0_8identityIS8_EEEE10hipError_tT2_T3_mT4_P12ihipStream_tbEUlT_E_NS1_11comp_targetILNS1_3genE5ELNS1_11target_archE942ELNS1_3gpuE9ELNS1_3repE0EEENS1_30default_config_static_selectorELNS0_4arch9wavefront6targetE1EEEvT1_,@function
_ZN7rocprim17ROCPRIM_400000_NS6detail17trampoline_kernelINS0_14default_configENS1_25transform_config_selectorIN6thrust23THRUST_200600_302600_NS4pairIiiEELb0EEEZNS1_14transform_implILb0ES3_S9_PS8_NS6_6detail15normal_iteratorINS6_10device_ptrIS8_EEEENS0_8identityIS8_EEEE10hipError_tT2_T3_mT4_P12ihipStream_tbEUlT_E_NS1_11comp_targetILNS1_3genE5ELNS1_11target_archE942ELNS1_3gpuE9ELNS1_3repE0EEENS1_30default_config_static_selectorELNS0_4arch9wavefront6targetE1EEEvT1_: ; @_ZN7rocprim17ROCPRIM_400000_NS6detail17trampoline_kernelINS0_14default_configENS1_25transform_config_selectorIN6thrust23THRUST_200600_302600_NS4pairIiiEELb0EEEZNS1_14transform_implILb0ES3_S9_PS8_NS6_6detail15normal_iteratorINS6_10device_ptrIS8_EEEENS0_8identityIS8_EEEE10hipError_tT2_T3_mT4_P12ihipStream_tbEUlT_E_NS1_11comp_targetILNS1_3genE5ELNS1_11target_archE942ELNS1_3gpuE9ELNS1_3repE0EEENS1_30default_config_static_selectorELNS0_4arch9wavefront6targetE1EEEvT1_
; %bb.0:
	.section	.rodata,"a",@progbits
	.p2align	6, 0x0
	.amdhsa_kernel _ZN7rocprim17ROCPRIM_400000_NS6detail17trampoline_kernelINS0_14default_configENS1_25transform_config_selectorIN6thrust23THRUST_200600_302600_NS4pairIiiEELb0EEEZNS1_14transform_implILb0ES3_S9_PS8_NS6_6detail15normal_iteratorINS6_10device_ptrIS8_EEEENS0_8identityIS8_EEEE10hipError_tT2_T3_mT4_P12ihipStream_tbEUlT_E_NS1_11comp_targetILNS1_3genE5ELNS1_11target_archE942ELNS1_3gpuE9ELNS1_3repE0EEENS1_30default_config_static_selectorELNS0_4arch9wavefront6targetE1EEEvT1_
		.amdhsa_group_segment_fixed_size 0
		.amdhsa_private_segment_fixed_size 0
		.amdhsa_kernarg_size 40
		.amdhsa_user_sgpr_count 2
		.amdhsa_user_sgpr_dispatch_ptr 0
		.amdhsa_user_sgpr_queue_ptr 0
		.amdhsa_user_sgpr_kernarg_segment_ptr 1
		.amdhsa_user_sgpr_dispatch_id 0
		.amdhsa_user_sgpr_kernarg_preload_length 0
		.amdhsa_user_sgpr_kernarg_preload_offset 0
		.amdhsa_user_sgpr_private_segment_size 0
		.amdhsa_uses_dynamic_stack 0
		.amdhsa_enable_private_segment 0
		.amdhsa_system_sgpr_workgroup_id_x 1
		.amdhsa_system_sgpr_workgroup_id_y 0
		.amdhsa_system_sgpr_workgroup_id_z 0
		.amdhsa_system_sgpr_workgroup_info 0
		.amdhsa_system_vgpr_workitem_id 0
		.amdhsa_next_free_vgpr 1
		.amdhsa_next_free_sgpr 0
		.amdhsa_accum_offset 4
		.amdhsa_reserve_vcc 0
		.amdhsa_float_round_mode_32 0
		.amdhsa_float_round_mode_16_64 0
		.amdhsa_float_denorm_mode_32 3
		.amdhsa_float_denorm_mode_16_64 3
		.amdhsa_dx10_clamp 1
		.amdhsa_ieee_mode 1
		.amdhsa_fp16_overflow 0
		.amdhsa_tg_split 0
		.amdhsa_exception_fp_ieee_invalid_op 0
		.amdhsa_exception_fp_denorm_src 0
		.amdhsa_exception_fp_ieee_div_zero 0
		.amdhsa_exception_fp_ieee_overflow 0
		.amdhsa_exception_fp_ieee_underflow 0
		.amdhsa_exception_fp_ieee_inexact 0
		.amdhsa_exception_int_div_zero 0
	.end_amdhsa_kernel
	.section	.text._ZN7rocprim17ROCPRIM_400000_NS6detail17trampoline_kernelINS0_14default_configENS1_25transform_config_selectorIN6thrust23THRUST_200600_302600_NS4pairIiiEELb0EEEZNS1_14transform_implILb0ES3_S9_PS8_NS6_6detail15normal_iteratorINS6_10device_ptrIS8_EEEENS0_8identityIS8_EEEE10hipError_tT2_T3_mT4_P12ihipStream_tbEUlT_E_NS1_11comp_targetILNS1_3genE5ELNS1_11target_archE942ELNS1_3gpuE9ELNS1_3repE0EEENS1_30default_config_static_selectorELNS0_4arch9wavefront6targetE1EEEvT1_,"axG",@progbits,_ZN7rocprim17ROCPRIM_400000_NS6detail17trampoline_kernelINS0_14default_configENS1_25transform_config_selectorIN6thrust23THRUST_200600_302600_NS4pairIiiEELb0EEEZNS1_14transform_implILb0ES3_S9_PS8_NS6_6detail15normal_iteratorINS6_10device_ptrIS8_EEEENS0_8identityIS8_EEEE10hipError_tT2_T3_mT4_P12ihipStream_tbEUlT_E_NS1_11comp_targetILNS1_3genE5ELNS1_11target_archE942ELNS1_3gpuE9ELNS1_3repE0EEENS1_30default_config_static_selectorELNS0_4arch9wavefront6targetE1EEEvT1_,comdat
.Lfunc_end682:
	.size	_ZN7rocprim17ROCPRIM_400000_NS6detail17trampoline_kernelINS0_14default_configENS1_25transform_config_selectorIN6thrust23THRUST_200600_302600_NS4pairIiiEELb0EEEZNS1_14transform_implILb0ES3_S9_PS8_NS6_6detail15normal_iteratorINS6_10device_ptrIS8_EEEENS0_8identityIS8_EEEE10hipError_tT2_T3_mT4_P12ihipStream_tbEUlT_E_NS1_11comp_targetILNS1_3genE5ELNS1_11target_archE942ELNS1_3gpuE9ELNS1_3repE0EEENS1_30default_config_static_selectorELNS0_4arch9wavefront6targetE1EEEvT1_, .Lfunc_end682-_ZN7rocprim17ROCPRIM_400000_NS6detail17trampoline_kernelINS0_14default_configENS1_25transform_config_selectorIN6thrust23THRUST_200600_302600_NS4pairIiiEELb0EEEZNS1_14transform_implILb0ES3_S9_PS8_NS6_6detail15normal_iteratorINS6_10device_ptrIS8_EEEENS0_8identityIS8_EEEE10hipError_tT2_T3_mT4_P12ihipStream_tbEUlT_E_NS1_11comp_targetILNS1_3genE5ELNS1_11target_archE942ELNS1_3gpuE9ELNS1_3repE0EEENS1_30default_config_static_selectorELNS0_4arch9wavefront6targetE1EEEvT1_
                                        ; -- End function
	.set _ZN7rocprim17ROCPRIM_400000_NS6detail17trampoline_kernelINS0_14default_configENS1_25transform_config_selectorIN6thrust23THRUST_200600_302600_NS4pairIiiEELb0EEEZNS1_14transform_implILb0ES3_S9_PS8_NS6_6detail15normal_iteratorINS6_10device_ptrIS8_EEEENS0_8identityIS8_EEEE10hipError_tT2_T3_mT4_P12ihipStream_tbEUlT_E_NS1_11comp_targetILNS1_3genE5ELNS1_11target_archE942ELNS1_3gpuE9ELNS1_3repE0EEENS1_30default_config_static_selectorELNS0_4arch9wavefront6targetE1EEEvT1_.num_vgpr, 0
	.set _ZN7rocprim17ROCPRIM_400000_NS6detail17trampoline_kernelINS0_14default_configENS1_25transform_config_selectorIN6thrust23THRUST_200600_302600_NS4pairIiiEELb0EEEZNS1_14transform_implILb0ES3_S9_PS8_NS6_6detail15normal_iteratorINS6_10device_ptrIS8_EEEENS0_8identityIS8_EEEE10hipError_tT2_T3_mT4_P12ihipStream_tbEUlT_E_NS1_11comp_targetILNS1_3genE5ELNS1_11target_archE942ELNS1_3gpuE9ELNS1_3repE0EEENS1_30default_config_static_selectorELNS0_4arch9wavefront6targetE1EEEvT1_.num_agpr, 0
	.set _ZN7rocprim17ROCPRIM_400000_NS6detail17trampoline_kernelINS0_14default_configENS1_25transform_config_selectorIN6thrust23THRUST_200600_302600_NS4pairIiiEELb0EEEZNS1_14transform_implILb0ES3_S9_PS8_NS6_6detail15normal_iteratorINS6_10device_ptrIS8_EEEENS0_8identityIS8_EEEE10hipError_tT2_T3_mT4_P12ihipStream_tbEUlT_E_NS1_11comp_targetILNS1_3genE5ELNS1_11target_archE942ELNS1_3gpuE9ELNS1_3repE0EEENS1_30default_config_static_selectorELNS0_4arch9wavefront6targetE1EEEvT1_.numbered_sgpr, 0
	.set _ZN7rocprim17ROCPRIM_400000_NS6detail17trampoline_kernelINS0_14default_configENS1_25transform_config_selectorIN6thrust23THRUST_200600_302600_NS4pairIiiEELb0EEEZNS1_14transform_implILb0ES3_S9_PS8_NS6_6detail15normal_iteratorINS6_10device_ptrIS8_EEEENS0_8identityIS8_EEEE10hipError_tT2_T3_mT4_P12ihipStream_tbEUlT_E_NS1_11comp_targetILNS1_3genE5ELNS1_11target_archE942ELNS1_3gpuE9ELNS1_3repE0EEENS1_30default_config_static_selectorELNS0_4arch9wavefront6targetE1EEEvT1_.num_named_barrier, 0
	.set _ZN7rocprim17ROCPRIM_400000_NS6detail17trampoline_kernelINS0_14default_configENS1_25transform_config_selectorIN6thrust23THRUST_200600_302600_NS4pairIiiEELb0EEEZNS1_14transform_implILb0ES3_S9_PS8_NS6_6detail15normal_iteratorINS6_10device_ptrIS8_EEEENS0_8identityIS8_EEEE10hipError_tT2_T3_mT4_P12ihipStream_tbEUlT_E_NS1_11comp_targetILNS1_3genE5ELNS1_11target_archE942ELNS1_3gpuE9ELNS1_3repE0EEENS1_30default_config_static_selectorELNS0_4arch9wavefront6targetE1EEEvT1_.private_seg_size, 0
	.set _ZN7rocprim17ROCPRIM_400000_NS6detail17trampoline_kernelINS0_14default_configENS1_25transform_config_selectorIN6thrust23THRUST_200600_302600_NS4pairIiiEELb0EEEZNS1_14transform_implILb0ES3_S9_PS8_NS6_6detail15normal_iteratorINS6_10device_ptrIS8_EEEENS0_8identityIS8_EEEE10hipError_tT2_T3_mT4_P12ihipStream_tbEUlT_E_NS1_11comp_targetILNS1_3genE5ELNS1_11target_archE942ELNS1_3gpuE9ELNS1_3repE0EEENS1_30default_config_static_selectorELNS0_4arch9wavefront6targetE1EEEvT1_.uses_vcc, 0
	.set _ZN7rocprim17ROCPRIM_400000_NS6detail17trampoline_kernelINS0_14default_configENS1_25transform_config_selectorIN6thrust23THRUST_200600_302600_NS4pairIiiEELb0EEEZNS1_14transform_implILb0ES3_S9_PS8_NS6_6detail15normal_iteratorINS6_10device_ptrIS8_EEEENS0_8identityIS8_EEEE10hipError_tT2_T3_mT4_P12ihipStream_tbEUlT_E_NS1_11comp_targetILNS1_3genE5ELNS1_11target_archE942ELNS1_3gpuE9ELNS1_3repE0EEENS1_30default_config_static_selectorELNS0_4arch9wavefront6targetE1EEEvT1_.uses_flat_scratch, 0
	.set _ZN7rocprim17ROCPRIM_400000_NS6detail17trampoline_kernelINS0_14default_configENS1_25transform_config_selectorIN6thrust23THRUST_200600_302600_NS4pairIiiEELb0EEEZNS1_14transform_implILb0ES3_S9_PS8_NS6_6detail15normal_iteratorINS6_10device_ptrIS8_EEEENS0_8identityIS8_EEEE10hipError_tT2_T3_mT4_P12ihipStream_tbEUlT_E_NS1_11comp_targetILNS1_3genE5ELNS1_11target_archE942ELNS1_3gpuE9ELNS1_3repE0EEENS1_30default_config_static_selectorELNS0_4arch9wavefront6targetE1EEEvT1_.has_dyn_sized_stack, 0
	.set _ZN7rocprim17ROCPRIM_400000_NS6detail17trampoline_kernelINS0_14default_configENS1_25transform_config_selectorIN6thrust23THRUST_200600_302600_NS4pairIiiEELb0EEEZNS1_14transform_implILb0ES3_S9_PS8_NS6_6detail15normal_iteratorINS6_10device_ptrIS8_EEEENS0_8identityIS8_EEEE10hipError_tT2_T3_mT4_P12ihipStream_tbEUlT_E_NS1_11comp_targetILNS1_3genE5ELNS1_11target_archE942ELNS1_3gpuE9ELNS1_3repE0EEENS1_30default_config_static_selectorELNS0_4arch9wavefront6targetE1EEEvT1_.has_recursion, 0
	.set _ZN7rocprim17ROCPRIM_400000_NS6detail17trampoline_kernelINS0_14default_configENS1_25transform_config_selectorIN6thrust23THRUST_200600_302600_NS4pairIiiEELb0EEEZNS1_14transform_implILb0ES3_S9_PS8_NS6_6detail15normal_iteratorINS6_10device_ptrIS8_EEEENS0_8identityIS8_EEEE10hipError_tT2_T3_mT4_P12ihipStream_tbEUlT_E_NS1_11comp_targetILNS1_3genE5ELNS1_11target_archE942ELNS1_3gpuE9ELNS1_3repE0EEENS1_30default_config_static_selectorELNS0_4arch9wavefront6targetE1EEEvT1_.has_indirect_call, 0
	.section	.AMDGPU.csdata,"",@progbits
; Kernel info:
; codeLenInByte = 0
; TotalNumSgprs: 6
; NumVgprs: 0
; NumAgprs: 0
; TotalNumVgprs: 0
; ScratchSize: 0
; MemoryBound: 0
; FloatMode: 240
; IeeeMode: 1
; LDSByteSize: 0 bytes/workgroup (compile time only)
; SGPRBlocks: 0
; VGPRBlocks: 0
; NumSGPRsForWavesPerEU: 6
; NumVGPRsForWavesPerEU: 1
; AccumOffset: 4
; Occupancy: 8
; WaveLimiterHint : 0
; COMPUTE_PGM_RSRC2:SCRATCH_EN: 0
; COMPUTE_PGM_RSRC2:USER_SGPR: 2
; COMPUTE_PGM_RSRC2:TRAP_HANDLER: 0
; COMPUTE_PGM_RSRC2:TGID_X_EN: 1
; COMPUTE_PGM_RSRC2:TGID_Y_EN: 0
; COMPUTE_PGM_RSRC2:TGID_Z_EN: 0
; COMPUTE_PGM_RSRC2:TIDIG_COMP_CNT: 0
; COMPUTE_PGM_RSRC3_GFX90A:ACCUM_OFFSET: 0
; COMPUTE_PGM_RSRC3_GFX90A:TG_SPLIT: 0
	.section	.text._ZN7rocprim17ROCPRIM_400000_NS6detail17trampoline_kernelINS0_14default_configENS1_25transform_config_selectorIN6thrust23THRUST_200600_302600_NS4pairIiiEELb0EEEZNS1_14transform_implILb0ES3_S9_PS8_NS6_6detail15normal_iteratorINS6_10device_ptrIS8_EEEENS0_8identityIS8_EEEE10hipError_tT2_T3_mT4_P12ihipStream_tbEUlT_E_NS1_11comp_targetILNS1_3genE4ELNS1_11target_archE910ELNS1_3gpuE8ELNS1_3repE0EEENS1_30default_config_static_selectorELNS0_4arch9wavefront6targetE1EEEvT1_,"axG",@progbits,_ZN7rocprim17ROCPRIM_400000_NS6detail17trampoline_kernelINS0_14default_configENS1_25transform_config_selectorIN6thrust23THRUST_200600_302600_NS4pairIiiEELb0EEEZNS1_14transform_implILb0ES3_S9_PS8_NS6_6detail15normal_iteratorINS6_10device_ptrIS8_EEEENS0_8identityIS8_EEEE10hipError_tT2_T3_mT4_P12ihipStream_tbEUlT_E_NS1_11comp_targetILNS1_3genE4ELNS1_11target_archE910ELNS1_3gpuE8ELNS1_3repE0EEENS1_30default_config_static_selectorELNS0_4arch9wavefront6targetE1EEEvT1_,comdat
	.protected	_ZN7rocprim17ROCPRIM_400000_NS6detail17trampoline_kernelINS0_14default_configENS1_25transform_config_selectorIN6thrust23THRUST_200600_302600_NS4pairIiiEELb0EEEZNS1_14transform_implILb0ES3_S9_PS8_NS6_6detail15normal_iteratorINS6_10device_ptrIS8_EEEENS0_8identityIS8_EEEE10hipError_tT2_T3_mT4_P12ihipStream_tbEUlT_E_NS1_11comp_targetILNS1_3genE4ELNS1_11target_archE910ELNS1_3gpuE8ELNS1_3repE0EEENS1_30default_config_static_selectorELNS0_4arch9wavefront6targetE1EEEvT1_ ; -- Begin function _ZN7rocprim17ROCPRIM_400000_NS6detail17trampoline_kernelINS0_14default_configENS1_25transform_config_selectorIN6thrust23THRUST_200600_302600_NS4pairIiiEELb0EEEZNS1_14transform_implILb0ES3_S9_PS8_NS6_6detail15normal_iteratorINS6_10device_ptrIS8_EEEENS0_8identityIS8_EEEE10hipError_tT2_T3_mT4_P12ihipStream_tbEUlT_E_NS1_11comp_targetILNS1_3genE4ELNS1_11target_archE910ELNS1_3gpuE8ELNS1_3repE0EEENS1_30default_config_static_selectorELNS0_4arch9wavefront6targetE1EEEvT1_
	.globl	_ZN7rocprim17ROCPRIM_400000_NS6detail17trampoline_kernelINS0_14default_configENS1_25transform_config_selectorIN6thrust23THRUST_200600_302600_NS4pairIiiEELb0EEEZNS1_14transform_implILb0ES3_S9_PS8_NS6_6detail15normal_iteratorINS6_10device_ptrIS8_EEEENS0_8identityIS8_EEEE10hipError_tT2_T3_mT4_P12ihipStream_tbEUlT_E_NS1_11comp_targetILNS1_3genE4ELNS1_11target_archE910ELNS1_3gpuE8ELNS1_3repE0EEENS1_30default_config_static_selectorELNS0_4arch9wavefront6targetE1EEEvT1_
	.p2align	8
	.type	_ZN7rocprim17ROCPRIM_400000_NS6detail17trampoline_kernelINS0_14default_configENS1_25transform_config_selectorIN6thrust23THRUST_200600_302600_NS4pairIiiEELb0EEEZNS1_14transform_implILb0ES3_S9_PS8_NS6_6detail15normal_iteratorINS6_10device_ptrIS8_EEEENS0_8identityIS8_EEEE10hipError_tT2_T3_mT4_P12ihipStream_tbEUlT_E_NS1_11comp_targetILNS1_3genE4ELNS1_11target_archE910ELNS1_3gpuE8ELNS1_3repE0EEENS1_30default_config_static_selectorELNS0_4arch9wavefront6targetE1EEEvT1_,@function
_ZN7rocprim17ROCPRIM_400000_NS6detail17trampoline_kernelINS0_14default_configENS1_25transform_config_selectorIN6thrust23THRUST_200600_302600_NS4pairIiiEELb0EEEZNS1_14transform_implILb0ES3_S9_PS8_NS6_6detail15normal_iteratorINS6_10device_ptrIS8_EEEENS0_8identityIS8_EEEE10hipError_tT2_T3_mT4_P12ihipStream_tbEUlT_E_NS1_11comp_targetILNS1_3genE4ELNS1_11target_archE910ELNS1_3gpuE8ELNS1_3repE0EEENS1_30default_config_static_selectorELNS0_4arch9wavefront6targetE1EEEvT1_: ; @_ZN7rocprim17ROCPRIM_400000_NS6detail17trampoline_kernelINS0_14default_configENS1_25transform_config_selectorIN6thrust23THRUST_200600_302600_NS4pairIiiEELb0EEEZNS1_14transform_implILb0ES3_S9_PS8_NS6_6detail15normal_iteratorINS6_10device_ptrIS8_EEEENS0_8identityIS8_EEEE10hipError_tT2_T3_mT4_P12ihipStream_tbEUlT_E_NS1_11comp_targetILNS1_3genE4ELNS1_11target_archE910ELNS1_3gpuE8ELNS1_3repE0EEENS1_30default_config_static_selectorELNS0_4arch9wavefront6targetE1EEEvT1_
; %bb.0:
	.section	.rodata,"a",@progbits
	.p2align	6, 0x0
	.amdhsa_kernel _ZN7rocprim17ROCPRIM_400000_NS6detail17trampoline_kernelINS0_14default_configENS1_25transform_config_selectorIN6thrust23THRUST_200600_302600_NS4pairIiiEELb0EEEZNS1_14transform_implILb0ES3_S9_PS8_NS6_6detail15normal_iteratorINS6_10device_ptrIS8_EEEENS0_8identityIS8_EEEE10hipError_tT2_T3_mT4_P12ihipStream_tbEUlT_E_NS1_11comp_targetILNS1_3genE4ELNS1_11target_archE910ELNS1_3gpuE8ELNS1_3repE0EEENS1_30default_config_static_selectorELNS0_4arch9wavefront6targetE1EEEvT1_
		.amdhsa_group_segment_fixed_size 0
		.amdhsa_private_segment_fixed_size 0
		.amdhsa_kernarg_size 40
		.amdhsa_user_sgpr_count 2
		.amdhsa_user_sgpr_dispatch_ptr 0
		.amdhsa_user_sgpr_queue_ptr 0
		.amdhsa_user_sgpr_kernarg_segment_ptr 1
		.amdhsa_user_sgpr_dispatch_id 0
		.amdhsa_user_sgpr_kernarg_preload_length 0
		.amdhsa_user_sgpr_kernarg_preload_offset 0
		.amdhsa_user_sgpr_private_segment_size 0
		.amdhsa_uses_dynamic_stack 0
		.amdhsa_enable_private_segment 0
		.amdhsa_system_sgpr_workgroup_id_x 1
		.amdhsa_system_sgpr_workgroup_id_y 0
		.amdhsa_system_sgpr_workgroup_id_z 0
		.amdhsa_system_sgpr_workgroup_info 0
		.amdhsa_system_vgpr_workitem_id 0
		.amdhsa_next_free_vgpr 1
		.amdhsa_next_free_sgpr 0
		.amdhsa_accum_offset 4
		.amdhsa_reserve_vcc 0
		.amdhsa_float_round_mode_32 0
		.amdhsa_float_round_mode_16_64 0
		.amdhsa_float_denorm_mode_32 3
		.amdhsa_float_denorm_mode_16_64 3
		.amdhsa_dx10_clamp 1
		.amdhsa_ieee_mode 1
		.amdhsa_fp16_overflow 0
		.amdhsa_tg_split 0
		.amdhsa_exception_fp_ieee_invalid_op 0
		.amdhsa_exception_fp_denorm_src 0
		.amdhsa_exception_fp_ieee_div_zero 0
		.amdhsa_exception_fp_ieee_overflow 0
		.amdhsa_exception_fp_ieee_underflow 0
		.amdhsa_exception_fp_ieee_inexact 0
		.amdhsa_exception_int_div_zero 0
	.end_amdhsa_kernel
	.section	.text._ZN7rocprim17ROCPRIM_400000_NS6detail17trampoline_kernelINS0_14default_configENS1_25transform_config_selectorIN6thrust23THRUST_200600_302600_NS4pairIiiEELb0EEEZNS1_14transform_implILb0ES3_S9_PS8_NS6_6detail15normal_iteratorINS6_10device_ptrIS8_EEEENS0_8identityIS8_EEEE10hipError_tT2_T3_mT4_P12ihipStream_tbEUlT_E_NS1_11comp_targetILNS1_3genE4ELNS1_11target_archE910ELNS1_3gpuE8ELNS1_3repE0EEENS1_30default_config_static_selectorELNS0_4arch9wavefront6targetE1EEEvT1_,"axG",@progbits,_ZN7rocprim17ROCPRIM_400000_NS6detail17trampoline_kernelINS0_14default_configENS1_25transform_config_selectorIN6thrust23THRUST_200600_302600_NS4pairIiiEELb0EEEZNS1_14transform_implILb0ES3_S9_PS8_NS6_6detail15normal_iteratorINS6_10device_ptrIS8_EEEENS0_8identityIS8_EEEE10hipError_tT2_T3_mT4_P12ihipStream_tbEUlT_E_NS1_11comp_targetILNS1_3genE4ELNS1_11target_archE910ELNS1_3gpuE8ELNS1_3repE0EEENS1_30default_config_static_selectorELNS0_4arch9wavefront6targetE1EEEvT1_,comdat
.Lfunc_end683:
	.size	_ZN7rocprim17ROCPRIM_400000_NS6detail17trampoline_kernelINS0_14default_configENS1_25transform_config_selectorIN6thrust23THRUST_200600_302600_NS4pairIiiEELb0EEEZNS1_14transform_implILb0ES3_S9_PS8_NS6_6detail15normal_iteratorINS6_10device_ptrIS8_EEEENS0_8identityIS8_EEEE10hipError_tT2_T3_mT4_P12ihipStream_tbEUlT_E_NS1_11comp_targetILNS1_3genE4ELNS1_11target_archE910ELNS1_3gpuE8ELNS1_3repE0EEENS1_30default_config_static_selectorELNS0_4arch9wavefront6targetE1EEEvT1_, .Lfunc_end683-_ZN7rocprim17ROCPRIM_400000_NS6detail17trampoline_kernelINS0_14default_configENS1_25transform_config_selectorIN6thrust23THRUST_200600_302600_NS4pairIiiEELb0EEEZNS1_14transform_implILb0ES3_S9_PS8_NS6_6detail15normal_iteratorINS6_10device_ptrIS8_EEEENS0_8identityIS8_EEEE10hipError_tT2_T3_mT4_P12ihipStream_tbEUlT_E_NS1_11comp_targetILNS1_3genE4ELNS1_11target_archE910ELNS1_3gpuE8ELNS1_3repE0EEENS1_30default_config_static_selectorELNS0_4arch9wavefront6targetE1EEEvT1_
                                        ; -- End function
	.set _ZN7rocprim17ROCPRIM_400000_NS6detail17trampoline_kernelINS0_14default_configENS1_25transform_config_selectorIN6thrust23THRUST_200600_302600_NS4pairIiiEELb0EEEZNS1_14transform_implILb0ES3_S9_PS8_NS6_6detail15normal_iteratorINS6_10device_ptrIS8_EEEENS0_8identityIS8_EEEE10hipError_tT2_T3_mT4_P12ihipStream_tbEUlT_E_NS1_11comp_targetILNS1_3genE4ELNS1_11target_archE910ELNS1_3gpuE8ELNS1_3repE0EEENS1_30default_config_static_selectorELNS0_4arch9wavefront6targetE1EEEvT1_.num_vgpr, 0
	.set _ZN7rocprim17ROCPRIM_400000_NS6detail17trampoline_kernelINS0_14default_configENS1_25transform_config_selectorIN6thrust23THRUST_200600_302600_NS4pairIiiEELb0EEEZNS1_14transform_implILb0ES3_S9_PS8_NS6_6detail15normal_iteratorINS6_10device_ptrIS8_EEEENS0_8identityIS8_EEEE10hipError_tT2_T3_mT4_P12ihipStream_tbEUlT_E_NS1_11comp_targetILNS1_3genE4ELNS1_11target_archE910ELNS1_3gpuE8ELNS1_3repE0EEENS1_30default_config_static_selectorELNS0_4arch9wavefront6targetE1EEEvT1_.num_agpr, 0
	.set _ZN7rocprim17ROCPRIM_400000_NS6detail17trampoline_kernelINS0_14default_configENS1_25transform_config_selectorIN6thrust23THRUST_200600_302600_NS4pairIiiEELb0EEEZNS1_14transform_implILb0ES3_S9_PS8_NS6_6detail15normal_iteratorINS6_10device_ptrIS8_EEEENS0_8identityIS8_EEEE10hipError_tT2_T3_mT4_P12ihipStream_tbEUlT_E_NS1_11comp_targetILNS1_3genE4ELNS1_11target_archE910ELNS1_3gpuE8ELNS1_3repE0EEENS1_30default_config_static_selectorELNS0_4arch9wavefront6targetE1EEEvT1_.numbered_sgpr, 0
	.set _ZN7rocprim17ROCPRIM_400000_NS6detail17trampoline_kernelINS0_14default_configENS1_25transform_config_selectorIN6thrust23THRUST_200600_302600_NS4pairIiiEELb0EEEZNS1_14transform_implILb0ES3_S9_PS8_NS6_6detail15normal_iteratorINS6_10device_ptrIS8_EEEENS0_8identityIS8_EEEE10hipError_tT2_T3_mT4_P12ihipStream_tbEUlT_E_NS1_11comp_targetILNS1_3genE4ELNS1_11target_archE910ELNS1_3gpuE8ELNS1_3repE0EEENS1_30default_config_static_selectorELNS0_4arch9wavefront6targetE1EEEvT1_.num_named_barrier, 0
	.set _ZN7rocprim17ROCPRIM_400000_NS6detail17trampoline_kernelINS0_14default_configENS1_25transform_config_selectorIN6thrust23THRUST_200600_302600_NS4pairIiiEELb0EEEZNS1_14transform_implILb0ES3_S9_PS8_NS6_6detail15normal_iteratorINS6_10device_ptrIS8_EEEENS0_8identityIS8_EEEE10hipError_tT2_T3_mT4_P12ihipStream_tbEUlT_E_NS1_11comp_targetILNS1_3genE4ELNS1_11target_archE910ELNS1_3gpuE8ELNS1_3repE0EEENS1_30default_config_static_selectorELNS0_4arch9wavefront6targetE1EEEvT1_.private_seg_size, 0
	.set _ZN7rocprim17ROCPRIM_400000_NS6detail17trampoline_kernelINS0_14default_configENS1_25transform_config_selectorIN6thrust23THRUST_200600_302600_NS4pairIiiEELb0EEEZNS1_14transform_implILb0ES3_S9_PS8_NS6_6detail15normal_iteratorINS6_10device_ptrIS8_EEEENS0_8identityIS8_EEEE10hipError_tT2_T3_mT4_P12ihipStream_tbEUlT_E_NS1_11comp_targetILNS1_3genE4ELNS1_11target_archE910ELNS1_3gpuE8ELNS1_3repE0EEENS1_30default_config_static_selectorELNS0_4arch9wavefront6targetE1EEEvT1_.uses_vcc, 0
	.set _ZN7rocprim17ROCPRIM_400000_NS6detail17trampoline_kernelINS0_14default_configENS1_25transform_config_selectorIN6thrust23THRUST_200600_302600_NS4pairIiiEELb0EEEZNS1_14transform_implILb0ES3_S9_PS8_NS6_6detail15normal_iteratorINS6_10device_ptrIS8_EEEENS0_8identityIS8_EEEE10hipError_tT2_T3_mT4_P12ihipStream_tbEUlT_E_NS1_11comp_targetILNS1_3genE4ELNS1_11target_archE910ELNS1_3gpuE8ELNS1_3repE0EEENS1_30default_config_static_selectorELNS0_4arch9wavefront6targetE1EEEvT1_.uses_flat_scratch, 0
	.set _ZN7rocprim17ROCPRIM_400000_NS6detail17trampoline_kernelINS0_14default_configENS1_25transform_config_selectorIN6thrust23THRUST_200600_302600_NS4pairIiiEELb0EEEZNS1_14transform_implILb0ES3_S9_PS8_NS6_6detail15normal_iteratorINS6_10device_ptrIS8_EEEENS0_8identityIS8_EEEE10hipError_tT2_T3_mT4_P12ihipStream_tbEUlT_E_NS1_11comp_targetILNS1_3genE4ELNS1_11target_archE910ELNS1_3gpuE8ELNS1_3repE0EEENS1_30default_config_static_selectorELNS0_4arch9wavefront6targetE1EEEvT1_.has_dyn_sized_stack, 0
	.set _ZN7rocprim17ROCPRIM_400000_NS6detail17trampoline_kernelINS0_14default_configENS1_25transform_config_selectorIN6thrust23THRUST_200600_302600_NS4pairIiiEELb0EEEZNS1_14transform_implILb0ES3_S9_PS8_NS6_6detail15normal_iteratorINS6_10device_ptrIS8_EEEENS0_8identityIS8_EEEE10hipError_tT2_T3_mT4_P12ihipStream_tbEUlT_E_NS1_11comp_targetILNS1_3genE4ELNS1_11target_archE910ELNS1_3gpuE8ELNS1_3repE0EEENS1_30default_config_static_selectorELNS0_4arch9wavefront6targetE1EEEvT1_.has_recursion, 0
	.set _ZN7rocprim17ROCPRIM_400000_NS6detail17trampoline_kernelINS0_14default_configENS1_25transform_config_selectorIN6thrust23THRUST_200600_302600_NS4pairIiiEELb0EEEZNS1_14transform_implILb0ES3_S9_PS8_NS6_6detail15normal_iteratorINS6_10device_ptrIS8_EEEENS0_8identityIS8_EEEE10hipError_tT2_T3_mT4_P12ihipStream_tbEUlT_E_NS1_11comp_targetILNS1_3genE4ELNS1_11target_archE910ELNS1_3gpuE8ELNS1_3repE0EEENS1_30default_config_static_selectorELNS0_4arch9wavefront6targetE1EEEvT1_.has_indirect_call, 0
	.section	.AMDGPU.csdata,"",@progbits
; Kernel info:
; codeLenInByte = 0
; TotalNumSgprs: 6
; NumVgprs: 0
; NumAgprs: 0
; TotalNumVgprs: 0
; ScratchSize: 0
; MemoryBound: 0
; FloatMode: 240
; IeeeMode: 1
; LDSByteSize: 0 bytes/workgroup (compile time only)
; SGPRBlocks: 0
; VGPRBlocks: 0
; NumSGPRsForWavesPerEU: 6
; NumVGPRsForWavesPerEU: 1
; AccumOffset: 4
; Occupancy: 8
; WaveLimiterHint : 0
; COMPUTE_PGM_RSRC2:SCRATCH_EN: 0
; COMPUTE_PGM_RSRC2:USER_SGPR: 2
; COMPUTE_PGM_RSRC2:TRAP_HANDLER: 0
; COMPUTE_PGM_RSRC2:TGID_X_EN: 1
; COMPUTE_PGM_RSRC2:TGID_Y_EN: 0
; COMPUTE_PGM_RSRC2:TGID_Z_EN: 0
; COMPUTE_PGM_RSRC2:TIDIG_COMP_CNT: 0
; COMPUTE_PGM_RSRC3_GFX90A:ACCUM_OFFSET: 0
; COMPUTE_PGM_RSRC3_GFX90A:TG_SPLIT: 0
	.section	.text._ZN7rocprim17ROCPRIM_400000_NS6detail17trampoline_kernelINS0_14default_configENS1_25transform_config_selectorIN6thrust23THRUST_200600_302600_NS4pairIiiEELb0EEEZNS1_14transform_implILb0ES3_S9_PS8_NS6_6detail15normal_iteratorINS6_10device_ptrIS8_EEEENS0_8identityIS8_EEEE10hipError_tT2_T3_mT4_P12ihipStream_tbEUlT_E_NS1_11comp_targetILNS1_3genE3ELNS1_11target_archE908ELNS1_3gpuE7ELNS1_3repE0EEENS1_30default_config_static_selectorELNS0_4arch9wavefront6targetE1EEEvT1_,"axG",@progbits,_ZN7rocprim17ROCPRIM_400000_NS6detail17trampoline_kernelINS0_14default_configENS1_25transform_config_selectorIN6thrust23THRUST_200600_302600_NS4pairIiiEELb0EEEZNS1_14transform_implILb0ES3_S9_PS8_NS6_6detail15normal_iteratorINS6_10device_ptrIS8_EEEENS0_8identityIS8_EEEE10hipError_tT2_T3_mT4_P12ihipStream_tbEUlT_E_NS1_11comp_targetILNS1_3genE3ELNS1_11target_archE908ELNS1_3gpuE7ELNS1_3repE0EEENS1_30default_config_static_selectorELNS0_4arch9wavefront6targetE1EEEvT1_,comdat
	.protected	_ZN7rocprim17ROCPRIM_400000_NS6detail17trampoline_kernelINS0_14default_configENS1_25transform_config_selectorIN6thrust23THRUST_200600_302600_NS4pairIiiEELb0EEEZNS1_14transform_implILb0ES3_S9_PS8_NS6_6detail15normal_iteratorINS6_10device_ptrIS8_EEEENS0_8identityIS8_EEEE10hipError_tT2_T3_mT4_P12ihipStream_tbEUlT_E_NS1_11comp_targetILNS1_3genE3ELNS1_11target_archE908ELNS1_3gpuE7ELNS1_3repE0EEENS1_30default_config_static_selectorELNS0_4arch9wavefront6targetE1EEEvT1_ ; -- Begin function _ZN7rocprim17ROCPRIM_400000_NS6detail17trampoline_kernelINS0_14default_configENS1_25transform_config_selectorIN6thrust23THRUST_200600_302600_NS4pairIiiEELb0EEEZNS1_14transform_implILb0ES3_S9_PS8_NS6_6detail15normal_iteratorINS6_10device_ptrIS8_EEEENS0_8identityIS8_EEEE10hipError_tT2_T3_mT4_P12ihipStream_tbEUlT_E_NS1_11comp_targetILNS1_3genE3ELNS1_11target_archE908ELNS1_3gpuE7ELNS1_3repE0EEENS1_30default_config_static_selectorELNS0_4arch9wavefront6targetE1EEEvT1_
	.globl	_ZN7rocprim17ROCPRIM_400000_NS6detail17trampoline_kernelINS0_14default_configENS1_25transform_config_selectorIN6thrust23THRUST_200600_302600_NS4pairIiiEELb0EEEZNS1_14transform_implILb0ES3_S9_PS8_NS6_6detail15normal_iteratorINS6_10device_ptrIS8_EEEENS0_8identityIS8_EEEE10hipError_tT2_T3_mT4_P12ihipStream_tbEUlT_E_NS1_11comp_targetILNS1_3genE3ELNS1_11target_archE908ELNS1_3gpuE7ELNS1_3repE0EEENS1_30default_config_static_selectorELNS0_4arch9wavefront6targetE1EEEvT1_
	.p2align	8
	.type	_ZN7rocprim17ROCPRIM_400000_NS6detail17trampoline_kernelINS0_14default_configENS1_25transform_config_selectorIN6thrust23THRUST_200600_302600_NS4pairIiiEELb0EEEZNS1_14transform_implILb0ES3_S9_PS8_NS6_6detail15normal_iteratorINS6_10device_ptrIS8_EEEENS0_8identityIS8_EEEE10hipError_tT2_T3_mT4_P12ihipStream_tbEUlT_E_NS1_11comp_targetILNS1_3genE3ELNS1_11target_archE908ELNS1_3gpuE7ELNS1_3repE0EEENS1_30default_config_static_selectorELNS0_4arch9wavefront6targetE1EEEvT1_,@function
_ZN7rocprim17ROCPRIM_400000_NS6detail17trampoline_kernelINS0_14default_configENS1_25transform_config_selectorIN6thrust23THRUST_200600_302600_NS4pairIiiEELb0EEEZNS1_14transform_implILb0ES3_S9_PS8_NS6_6detail15normal_iteratorINS6_10device_ptrIS8_EEEENS0_8identityIS8_EEEE10hipError_tT2_T3_mT4_P12ihipStream_tbEUlT_E_NS1_11comp_targetILNS1_3genE3ELNS1_11target_archE908ELNS1_3gpuE7ELNS1_3repE0EEENS1_30default_config_static_selectorELNS0_4arch9wavefront6targetE1EEEvT1_: ; @_ZN7rocprim17ROCPRIM_400000_NS6detail17trampoline_kernelINS0_14default_configENS1_25transform_config_selectorIN6thrust23THRUST_200600_302600_NS4pairIiiEELb0EEEZNS1_14transform_implILb0ES3_S9_PS8_NS6_6detail15normal_iteratorINS6_10device_ptrIS8_EEEENS0_8identityIS8_EEEE10hipError_tT2_T3_mT4_P12ihipStream_tbEUlT_E_NS1_11comp_targetILNS1_3genE3ELNS1_11target_archE908ELNS1_3gpuE7ELNS1_3repE0EEENS1_30default_config_static_selectorELNS0_4arch9wavefront6targetE1EEEvT1_
; %bb.0:
	.section	.rodata,"a",@progbits
	.p2align	6, 0x0
	.amdhsa_kernel _ZN7rocprim17ROCPRIM_400000_NS6detail17trampoline_kernelINS0_14default_configENS1_25transform_config_selectorIN6thrust23THRUST_200600_302600_NS4pairIiiEELb0EEEZNS1_14transform_implILb0ES3_S9_PS8_NS6_6detail15normal_iteratorINS6_10device_ptrIS8_EEEENS0_8identityIS8_EEEE10hipError_tT2_T3_mT4_P12ihipStream_tbEUlT_E_NS1_11comp_targetILNS1_3genE3ELNS1_11target_archE908ELNS1_3gpuE7ELNS1_3repE0EEENS1_30default_config_static_selectorELNS0_4arch9wavefront6targetE1EEEvT1_
		.amdhsa_group_segment_fixed_size 0
		.amdhsa_private_segment_fixed_size 0
		.amdhsa_kernarg_size 40
		.amdhsa_user_sgpr_count 2
		.amdhsa_user_sgpr_dispatch_ptr 0
		.amdhsa_user_sgpr_queue_ptr 0
		.amdhsa_user_sgpr_kernarg_segment_ptr 1
		.amdhsa_user_sgpr_dispatch_id 0
		.amdhsa_user_sgpr_kernarg_preload_length 0
		.amdhsa_user_sgpr_kernarg_preload_offset 0
		.amdhsa_user_sgpr_private_segment_size 0
		.amdhsa_uses_dynamic_stack 0
		.amdhsa_enable_private_segment 0
		.amdhsa_system_sgpr_workgroup_id_x 1
		.amdhsa_system_sgpr_workgroup_id_y 0
		.amdhsa_system_sgpr_workgroup_id_z 0
		.amdhsa_system_sgpr_workgroup_info 0
		.amdhsa_system_vgpr_workitem_id 0
		.amdhsa_next_free_vgpr 1
		.amdhsa_next_free_sgpr 0
		.amdhsa_accum_offset 4
		.amdhsa_reserve_vcc 0
		.amdhsa_float_round_mode_32 0
		.amdhsa_float_round_mode_16_64 0
		.amdhsa_float_denorm_mode_32 3
		.amdhsa_float_denorm_mode_16_64 3
		.amdhsa_dx10_clamp 1
		.amdhsa_ieee_mode 1
		.amdhsa_fp16_overflow 0
		.amdhsa_tg_split 0
		.amdhsa_exception_fp_ieee_invalid_op 0
		.amdhsa_exception_fp_denorm_src 0
		.amdhsa_exception_fp_ieee_div_zero 0
		.amdhsa_exception_fp_ieee_overflow 0
		.amdhsa_exception_fp_ieee_underflow 0
		.amdhsa_exception_fp_ieee_inexact 0
		.amdhsa_exception_int_div_zero 0
	.end_amdhsa_kernel
	.section	.text._ZN7rocprim17ROCPRIM_400000_NS6detail17trampoline_kernelINS0_14default_configENS1_25transform_config_selectorIN6thrust23THRUST_200600_302600_NS4pairIiiEELb0EEEZNS1_14transform_implILb0ES3_S9_PS8_NS6_6detail15normal_iteratorINS6_10device_ptrIS8_EEEENS0_8identityIS8_EEEE10hipError_tT2_T3_mT4_P12ihipStream_tbEUlT_E_NS1_11comp_targetILNS1_3genE3ELNS1_11target_archE908ELNS1_3gpuE7ELNS1_3repE0EEENS1_30default_config_static_selectorELNS0_4arch9wavefront6targetE1EEEvT1_,"axG",@progbits,_ZN7rocprim17ROCPRIM_400000_NS6detail17trampoline_kernelINS0_14default_configENS1_25transform_config_selectorIN6thrust23THRUST_200600_302600_NS4pairIiiEELb0EEEZNS1_14transform_implILb0ES3_S9_PS8_NS6_6detail15normal_iteratorINS6_10device_ptrIS8_EEEENS0_8identityIS8_EEEE10hipError_tT2_T3_mT4_P12ihipStream_tbEUlT_E_NS1_11comp_targetILNS1_3genE3ELNS1_11target_archE908ELNS1_3gpuE7ELNS1_3repE0EEENS1_30default_config_static_selectorELNS0_4arch9wavefront6targetE1EEEvT1_,comdat
.Lfunc_end684:
	.size	_ZN7rocprim17ROCPRIM_400000_NS6detail17trampoline_kernelINS0_14default_configENS1_25transform_config_selectorIN6thrust23THRUST_200600_302600_NS4pairIiiEELb0EEEZNS1_14transform_implILb0ES3_S9_PS8_NS6_6detail15normal_iteratorINS6_10device_ptrIS8_EEEENS0_8identityIS8_EEEE10hipError_tT2_T3_mT4_P12ihipStream_tbEUlT_E_NS1_11comp_targetILNS1_3genE3ELNS1_11target_archE908ELNS1_3gpuE7ELNS1_3repE0EEENS1_30default_config_static_selectorELNS0_4arch9wavefront6targetE1EEEvT1_, .Lfunc_end684-_ZN7rocprim17ROCPRIM_400000_NS6detail17trampoline_kernelINS0_14default_configENS1_25transform_config_selectorIN6thrust23THRUST_200600_302600_NS4pairIiiEELb0EEEZNS1_14transform_implILb0ES3_S9_PS8_NS6_6detail15normal_iteratorINS6_10device_ptrIS8_EEEENS0_8identityIS8_EEEE10hipError_tT2_T3_mT4_P12ihipStream_tbEUlT_E_NS1_11comp_targetILNS1_3genE3ELNS1_11target_archE908ELNS1_3gpuE7ELNS1_3repE0EEENS1_30default_config_static_selectorELNS0_4arch9wavefront6targetE1EEEvT1_
                                        ; -- End function
	.set _ZN7rocprim17ROCPRIM_400000_NS6detail17trampoline_kernelINS0_14default_configENS1_25transform_config_selectorIN6thrust23THRUST_200600_302600_NS4pairIiiEELb0EEEZNS1_14transform_implILb0ES3_S9_PS8_NS6_6detail15normal_iteratorINS6_10device_ptrIS8_EEEENS0_8identityIS8_EEEE10hipError_tT2_T3_mT4_P12ihipStream_tbEUlT_E_NS1_11comp_targetILNS1_3genE3ELNS1_11target_archE908ELNS1_3gpuE7ELNS1_3repE0EEENS1_30default_config_static_selectorELNS0_4arch9wavefront6targetE1EEEvT1_.num_vgpr, 0
	.set _ZN7rocprim17ROCPRIM_400000_NS6detail17trampoline_kernelINS0_14default_configENS1_25transform_config_selectorIN6thrust23THRUST_200600_302600_NS4pairIiiEELb0EEEZNS1_14transform_implILb0ES3_S9_PS8_NS6_6detail15normal_iteratorINS6_10device_ptrIS8_EEEENS0_8identityIS8_EEEE10hipError_tT2_T3_mT4_P12ihipStream_tbEUlT_E_NS1_11comp_targetILNS1_3genE3ELNS1_11target_archE908ELNS1_3gpuE7ELNS1_3repE0EEENS1_30default_config_static_selectorELNS0_4arch9wavefront6targetE1EEEvT1_.num_agpr, 0
	.set _ZN7rocprim17ROCPRIM_400000_NS6detail17trampoline_kernelINS0_14default_configENS1_25transform_config_selectorIN6thrust23THRUST_200600_302600_NS4pairIiiEELb0EEEZNS1_14transform_implILb0ES3_S9_PS8_NS6_6detail15normal_iteratorINS6_10device_ptrIS8_EEEENS0_8identityIS8_EEEE10hipError_tT2_T3_mT4_P12ihipStream_tbEUlT_E_NS1_11comp_targetILNS1_3genE3ELNS1_11target_archE908ELNS1_3gpuE7ELNS1_3repE0EEENS1_30default_config_static_selectorELNS0_4arch9wavefront6targetE1EEEvT1_.numbered_sgpr, 0
	.set _ZN7rocprim17ROCPRIM_400000_NS6detail17trampoline_kernelINS0_14default_configENS1_25transform_config_selectorIN6thrust23THRUST_200600_302600_NS4pairIiiEELb0EEEZNS1_14transform_implILb0ES3_S9_PS8_NS6_6detail15normal_iteratorINS6_10device_ptrIS8_EEEENS0_8identityIS8_EEEE10hipError_tT2_T3_mT4_P12ihipStream_tbEUlT_E_NS1_11comp_targetILNS1_3genE3ELNS1_11target_archE908ELNS1_3gpuE7ELNS1_3repE0EEENS1_30default_config_static_selectorELNS0_4arch9wavefront6targetE1EEEvT1_.num_named_barrier, 0
	.set _ZN7rocprim17ROCPRIM_400000_NS6detail17trampoline_kernelINS0_14default_configENS1_25transform_config_selectorIN6thrust23THRUST_200600_302600_NS4pairIiiEELb0EEEZNS1_14transform_implILb0ES3_S9_PS8_NS6_6detail15normal_iteratorINS6_10device_ptrIS8_EEEENS0_8identityIS8_EEEE10hipError_tT2_T3_mT4_P12ihipStream_tbEUlT_E_NS1_11comp_targetILNS1_3genE3ELNS1_11target_archE908ELNS1_3gpuE7ELNS1_3repE0EEENS1_30default_config_static_selectorELNS0_4arch9wavefront6targetE1EEEvT1_.private_seg_size, 0
	.set _ZN7rocprim17ROCPRIM_400000_NS6detail17trampoline_kernelINS0_14default_configENS1_25transform_config_selectorIN6thrust23THRUST_200600_302600_NS4pairIiiEELb0EEEZNS1_14transform_implILb0ES3_S9_PS8_NS6_6detail15normal_iteratorINS6_10device_ptrIS8_EEEENS0_8identityIS8_EEEE10hipError_tT2_T3_mT4_P12ihipStream_tbEUlT_E_NS1_11comp_targetILNS1_3genE3ELNS1_11target_archE908ELNS1_3gpuE7ELNS1_3repE0EEENS1_30default_config_static_selectorELNS0_4arch9wavefront6targetE1EEEvT1_.uses_vcc, 0
	.set _ZN7rocprim17ROCPRIM_400000_NS6detail17trampoline_kernelINS0_14default_configENS1_25transform_config_selectorIN6thrust23THRUST_200600_302600_NS4pairIiiEELb0EEEZNS1_14transform_implILb0ES3_S9_PS8_NS6_6detail15normal_iteratorINS6_10device_ptrIS8_EEEENS0_8identityIS8_EEEE10hipError_tT2_T3_mT4_P12ihipStream_tbEUlT_E_NS1_11comp_targetILNS1_3genE3ELNS1_11target_archE908ELNS1_3gpuE7ELNS1_3repE0EEENS1_30default_config_static_selectorELNS0_4arch9wavefront6targetE1EEEvT1_.uses_flat_scratch, 0
	.set _ZN7rocprim17ROCPRIM_400000_NS6detail17trampoline_kernelINS0_14default_configENS1_25transform_config_selectorIN6thrust23THRUST_200600_302600_NS4pairIiiEELb0EEEZNS1_14transform_implILb0ES3_S9_PS8_NS6_6detail15normal_iteratorINS6_10device_ptrIS8_EEEENS0_8identityIS8_EEEE10hipError_tT2_T3_mT4_P12ihipStream_tbEUlT_E_NS1_11comp_targetILNS1_3genE3ELNS1_11target_archE908ELNS1_3gpuE7ELNS1_3repE0EEENS1_30default_config_static_selectorELNS0_4arch9wavefront6targetE1EEEvT1_.has_dyn_sized_stack, 0
	.set _ZN7rocprim17ROCPRIM_400000_NS6detail17trampoline_kernelINS0_14default_configENS1_25transform_config_selectorIN6thrust23THRUST_200600_302600_NS4pairIiiEELb0EEEZNS1_14transform_implILb0ES3_S9_PS8_NS6_6detail15normal_iteratorINS6_10device_ptrIS8_EEEENS0_8identityIS8_EEEE10hipError_tT2_T3_mT4_P12ihipStream_tbEUlT_E_NS1_11comp_targetILNS1_3genE3ELNS1_11target_archE908ELNS1_3gpuE7ELNS1_3repE0EEENS1_30default_config_static_selectorELNS0_4arch9wavefront6targetE1EEEvT1_.has_recursion, 0
	.set _ZN7rocprim17ROCPRIM_400000_NS6detail17trampoline_kernelINS0_14default_configENS1_25transform_config_selectorIN6thrust23THRUST_200600_302600_NS4pairIiiEELb0EEEZNS1_14transform_implILb0ES3_S9_PS8_NS6_6detail15normal_iteratorINS6_10device_ptrIS8_EEEENS0_8identityIS8_EEEE10hipError_tT2_T3_mT4_P12ihipStream_tbEUlT_E_NS1_11comp_targetILNS1_3genE3ELNS1_11target_archE908ELNS1_3gpuE7ELNS1_3repE0EEENS1_30default_config_static_selectorELNS0_4arch9wavefront6targetE1EEEvT1_.has_indirect_call, 0
	.section	.AMDGPU.csdata,"",@progbits
; Kernel info:
; codeLenInByte = 0
; TotalNumSgprs: 6
; NumVgprs: 0
; NumAgprs: 0
; TotalNumVgprs: 0
; ScratchSize: 0
; MemoryBound: 0
; FloatMode: 240
; IeeeMode: 1
; LDSByteSize: 0 bytes/workgroup (compile time only)
; SGPRBlocks: 0
; VGPRBlocks: 0
; NumSGPRsForWavesPerEU: 6
; NumVGPRsForWavesPerEU: 1
; AccumOffset: 4
; Occupancy: 8
; WaveLimiterHint : 0
; COMPUTE_PGM_RSRC2:SCRATCH_EN: 0
; COMPUTE_PGM_RSRC2:USER_SGPR: 2
; COMPUTE_PGM_RSRC2:TRAP_HANDLER: 0
; COMPUTE_PGM_RSRC2:TGID_X_EN: 1
; COMPUTE_PGM_RSRC2:TGID_Y_EN: 0
; COMPUTE_PGM_RSRC2:TGID_Z_EN: 0
; COMPUTE_PGM_RSRC2:TIDIG_COMP_CNT: 0
; COMPUTE_PGM_RSRC3_GFX90A:ACCUM_OFFSET: 0
; COMPUTE_PGM_RSRC3_GFX90A:TG_SPLIT: 0
	.section	.text._ZN7rocprim17ROCPRIM_400000_NS6detail17trampoline_kernelINS0_14default_configENS1_25transform_config_selectorIN6thrust23THRUST_200600_302600_NS4pairIiiEELb0EEEZNS1_14transform_implILb0ES3_S9_PS8_NS6_6detail15normal_iteratorINS6_10device_ptrIS8_EEEENS0_8identityIS8_EEEE10hipError_tT2_T3_mT4_P12ihipStream_tbEUlT_E_NS1_11comp_targetILNS1_3genE2ELNS1_11target_archE906ELNS1_3gpuE6ELNS1_3repE0EEENS1_30default_config_static_selectorELNS0_4arch9wavefront6targetE1EEEvT1_,"axG",@progbits,_ZN7rocprim17ROCPRIM_400000_NS6detail17trampoline_kernelINS0_14default_configENS1_25transform_config_selectorIN6thrust23THRUST_200600_302600_NS4pairIiiEELb0EEEZNS1_14transform_implILb0ES3_S9_PS8_NS6_6detail15normal_iteratorINS6_10device_ptrIS8_EEEENS0_8identityIS8_EEEE10hipError_tT2_T3_mT4_P12ihipStream_tbEUlT_E_NS1_11comp_targetILNS1_3genE2ELNS1_11target_archE906ELNS1_3gpuE6ELNS1_3repE0EEENS1_30default_config_static_selectorELNS0_4arch9wavefront6targetE1EEEvT1_,comdat
	.protected	_ZN7rocprim17ROCPRIM_400000_NS6detail17trampoline_kernelINS0_14default_configENS1_25transform_config_selectorIN6thrust23THRUST_200600_302600_NS4pairIiiEELb0EEEZNS1_14transform_implILb0ES3_S9_PS8_NS6_6detail15normal_iteratorINS6_10device_ptrIS8_EEEENS0_8identityIS8_EEEE10hipError_tT2_T3_mT4_P12ihipStream_tbEUlT_E_NS1_11comp_targetILNS1_3genE2ELNS1_11target_archE906ELNS1_3gpuE6ELNS1_3repE0EEENS1_30default_config_static_selectorELNS0_4arch9wavefront6targetE1EEEvT1_ ; -- Begin function _ZN7rocprim17ROCPRIM_400000_NS6detail17trampoline_kernelINS0_14default_configENS1_25transform_config_selectorIN6thrust23THRUST_200600_302600_NS4pairIiiEELb0EEEZNS1_14transform_implILb0ES3_S9_PS8_NS6_6detail15normal_iteratorINS6_10device_ptrIS8_EEEENS0_8identityIS8_EEEE10hipError_tT2_T3_mT4_P12ihipStream_tbEUlT_E_NS1_11comp_targetILNS1_3genE2ELNS1_11target_archE906ELNS1_3gpuE6ELNS1_3repE0EEENS1_30default_config_static_selectorELNS0_4arch9wavefront6targetE1EEEvT1_
	.globl	_ZN7rocprim17ROCPRIM_400000_NS6detail17trampoline_kernelINS0_14default_configENS1_25transform_config_selectorIN6thrust23THRUST_200600_302600_NS4pairIiiEELb0EEEZNS1_14transform_implILb0ES3_S9_PS8_NS6_6detail15normal_iteratorINS6_10device_ptrIS8_EEEENS0_8identityIS8_EEEE10hipError_tT2_T3_mT4_P12ihipStream_tbEUlT_E_NS1_11comp_targetILNS1_3genE2ELNS1_11target_archE906ELNS1_3gpuE6ELNS1_3repE0EEENS1_30default_config_static_selectorELNS0_4arch9wavefront6targetE1EEEvT1_
	.p2align	8
	.type	_ZN7rocprim17ROCPRIM_400000_NS6detail17trampoline_kernelINS0_14default_configENS1_25transform_config_selectorIN6thrust23THRUST_200600_302600_NS4pairIiiEELb0EEEZNS1_14transform_implILb0ES3_S9_PS8_NS6_6detail15normal_iteratorINS6_10device_ptrIS8_EEEENS0_8identityIS8_EEEE10hipError_tT2_T3_mT4_P12ihipStream_tbEUlT_E_NS1_11comp_targetILNS1_3genE2ELNS1_11target_archE906ELNS1_3gpuE6ELNS1_3repE0EEENS1_30default_config_static_selectorELNS0_4arch9wavefront6targetE1EEEvT1_,@function
_ZN7rocprim17ROCPRIM_400000_NS6detail17trampoline_kernelINS0_14default_configENS1_25transform_config_selectorIN6thrust23THRUST_200600_302600_NS4pairIiiEELb0EEEZNS1_14transform_implILb0ES3_S9_PS8_NS6_6detail15normal_iteratorINS6_10device_ptrIS8_EEEENS0_8identityIS8_EEEE10hipError_tT2_T3_mT4_P12ihipStream_tbEUlT_E_NS1_11comp_targetILNS1_3genE2ELNS1_11target_archE906ELNS1_3gpuE6ELNS1_3repE0EEENS1_30default_config_static_selectorELNS0_4arch9wavefront6targetE1EEEvT1_: ; @_ZN7rocprim17ROCPRIM_400000_NS6detail17trampoline_kernelINS0_14default_configENS1_25transform_config_selectorIN6thrust23THRUST_200600_302600_NS4pairIiiEELb0EEEZNS1_14transform_implILb0ES3_S9_PS8_NS6_6detail15normal_iteratorINS6_10device_ptrIS8_EEEENS0_8identityIS8_EEEE10hipError_tT2_T3_mT4_P12ihipStream_tbEUlT_E_NS1_11comp_targetILNS1_3genE2ELNS1_11target_archE906ELNS1_3gpuE6ELNS1_3repE0EEENS1_30default_config_static_selectorELNS0_4arch9wavefront6targetE1EEEvT1_
; %bb.0:
	.section	.rodata,"a",@progbits
	.p2align	6, 0x0
	.amdhsa_kernel _ZN7rocprim17ROCPRIM_400000_NS6detail17trampoline_kernelINS0_14default_configENS1_25transform_config_selectorIN6thrust23THRUST_200600_302600_NS4pairIiiEELb0EEEZNS1_14transform_implILb0ES3_S9_PS8_NS6_6detail15normal_iteratorINS6_10device_ptrIS8_EEEENS0_8identityIS8_EEEE10hipError_tT2_T3_mT4_P12ihipStream_tbEUlT_E_NS1_11comp_targetILNS1_3genE2ELNS1_11target_archE906ELNS1_3gpuE6ELNS1_3repE0EEENS1_30default_config_static_selectorELNS0_4arch9wavefront6targetE1EEEvT1_
		.amdhsa_group_segment_fixed_size 0
		.amdhsa_private_segment_fixed_size 0
		.amdhsa_kernarg_size 40
		.amdhsa_user_sgpr_count 2
		.amdhsa_user_sgpr_dispatch_ptr 0
		.amdhsa_user_sgpr_queue_ptr 0
		.amdhsa_user_sgpr_kernarg_segment_ptr 1
		.amdhsa_user_sgpr_dispatch_id 0
		.amdhsa_user_sgpr_kernarg_preload_length 0
		.amdhsa_user_sgpr_kernarg_preload_offset 0
		.amdhsa_user_sgpr_private_segment_size 0
		.amdhsa_uses_dynamic_stack 0
		.amdhsa_enable_private_segment 0
		.amdhsa_system_sgpr_workgroup_id_x 1
		.amdhsa_system_sgpr_workgroup_id_y 0
		.amdhsa_system_sgpr_workgroup_id_z 0
		.amdhsa_system_sgpr_workgroup_info 0
		.amdhsa_system_vgpr_workitem_id 0
		.amdhsa_next_free_vgpr 1
		.amdhsa_next_free_sgpr 0
		.amdhsa_accum_offset 4
		.amdhsa_reserve_vcc 0
		.amdhsa_float_round_mode_32 0
		.amdhsa_float_round_mode_16_64 0
		.amdhsa_float_denorm_mode_32 3
		.amdhsa_float_denorm_mode_16_64 3
		.amdhsa_dx10_clamp 1
		.amdhsa_ieee_mode 1
		.amdhsa_fp16_overflow 0
		.amdhsa_tg_split 0
		.amdhsa_exception_fp_ieee_invalid_op 0
		.amdhsa_exception_fp_denorm_src 0
		.amdhsa_exception_fp_ieee_div_zero 0
		.amdhsa_exception_fp_ieee_overflow 0
		.amdhsa_exception_fp_ieee_underflow 0
		.amdhsa_exception_fp_ieee_inexact 0
		.amdhsa_exception_int_div_zero 0
	.end_amdhsa_kernel
	.section	.text._ZN7rocprim17ROCPRIM_400000_NS6detail17trampoline_kernelINS0_14default_configENS1_25transform_config_selectorIN6thrust23THRUST_200600_302600_NS4pairIiiEELb0EEEZNS1_14transform_implILb0ES3_S9_PS8_NS6_6detail15normal_iteratorINS6_10device_ptrIS8_EEEENS0_8identityIS8_EEEE10hipError_tT2_T3_mT4_P12ihipStream_tbEUlT_E_NS1_11comp_targetILNS1_3genE2ELNS1_11target_archE906ELNS1_3gpuE6ELNS1_3repE0EEENS1_30default_config_static_selectorELNS0_4arch9wavefront6targetE1EEEvT1_,"axG",@progbits,_ZN7rocprim17ROCPRIM_400000_NS6detail17trampoline_kernelINS0_14default_configENS1_25transform_config_selectorIN6thrust23THRUST_200600_302600_NS4pairIiiEELb0EEEZNS1_14transform_implILb0ES3_S9_PS8_NS6_6detail15normal_iteratorINS6_10device_ptrIS8_EEEENS0_8identityIS8_EEEE10hipError_tT2_T3_mT4_P12ihipStream_tbEUlT_E_NS1_11comp_targetILNS1_3genE2ELNS1_11target_archE906ELNS1_3gpuE6ELNS1_3repE0EEENS1_30default_config_static_selectorELNS0_4arch9wavefront6targetE1EEEvT1_,comdat
.Lfunc_end685:
	.size	_ZN7rocprim17ROCPRIM_400000_NS6detail17trampoline_kernelINS0_14default_configENS1_25transform_config_selectorIN6thrust23THRUST_200600_302600_NS4pairIiiEELb0EEEZNS1_14transform_implILb0ES3_S9_PS8_NS6_6detail15normal_iteratorINS6_10device_ptrIS8_EEEENS0_8identityIS8_EEEE10hipError_tT2_T3_mT4_P12ihipStream_tbEUlT_E_NS1_11comp_targetILNS1_3genE2ELNS1_11target_archE906ELNS1_3gpuE6ELNS1_3repE0EEENS1_30default_config_static_selectorELNS0_4arch9wavefront6targetE1EEEvT1_, .Lfunc_end685-_ZN7rocprim17ROCPRIM_400000_NS6detail17trampoline_kernelINS0_14default_configENS1_25transform_config_selectorIN6thrust23THRUST_200600_302600_NS4pairIiiEELb0EEEZNS1_14transform_implILb0ES3_S9_PS8_NS6_6detail15normal_iteratorINS6_10device_ptrIS8_EEEENS0_8identityIS8_EEEE10hipError_tT2_T3_mT4_P12ihipStream_tbEUlT_E_NS1_11comp_targetILNS1_3genE2ELNS1_11target_archE906ELNS1_3gpuE6ELNS1_3repE0EEENS1_30default_config_static_selectorELNS0_4arch9wavefront6targetE1EEEvT1_
                                        ; -- End function
	.set _ZN7rocprim17ROCPRIM_400000_NS6detail17trampoline_kernelINS0_14default_configENS1_25transform_config_selectorIN6thrust23THRUST_200600_302600_NS4pairIiiEELb0EEEZNS1_14transform_implILb0ES3_S9_PS8_NS6_6detail15normal_iteratorINS6_10device_ptrIS8_EEEENS0_8identityIS8_EEEE10hipError_tT2_T3_mT4_P12ihipStream_tbEUlT_E_NS1_11comp_targetILNS1_3genE2ELNS1_11target_archE906ELNS1_3gpuE6ELNS1_3repE0EEENS1_30default_config_static_selectorELNS0_4arch9wavefront6targetE1EEEvT1_.num_vgpr, 0
	.set _ZN7rocprim17ROCPRIM_400000_NS6detail17trampoline_kernelINS0_14default_configENS1_25transform_config_selectorIN6thrust23THRUST_200600_302600_NS4pairIiiEELb0EEEZNS1_14transform_implILb0ES3_S9_PS8_NS6_6detail15normal_iteratorINS6_10device_ptrIS8_EEEENS0_8identityIS8_EEEE10hipError_tT2_T3_mT4_P12ihipStream_tbEUlT_E_NS1_11comp_targetILNS1_3genE2ELNS1_11target_archE906ELNS1_3gpuE6ELNS1_3repE0EEENS1_30default_config_static_selectorELNS0_4arch9wavefront6targetE1EEEvT1_.num_agpr, 0
	.set _ZN7rocprim17ROCPRIM_400000_NS6detail17trampoline_kernelINS0_14default_configENS1_25transform_config_selectorIN6thrust23THRUST_200600_302600_NS4pairIiiEELb0EEEZNS1_14transform_implILb0ES3_S9_PS8_NS6_6detail15normal_iteratorINS6_10device_ptrIS8_EEEENS0_8identityIS8_EEEE10hipError_tT2_T3_mT4_P12ihipStream_tbEUlT_E_NS1_11comp_targetILNS1_3genE2ELNS1_11target_archE906ELNS1_3gpuE6ELNS1_3repE0EEENS1_30default_config_static_selectorELNS0_4arch9wavefront6targetE1EEEvT1_.numbered_sgpr, 0
	.set _ZN7rocprim17ROCPRIM_400000_NS6detail17trampoline_kernelINS0_14default_configENS1_25transform_config_selectorIN6thrust23THRUST_200600_302600_NS4pairIiiEELb0EEEZNS1_14transform_implILb0ES3_S9_PS8_NS6_6detail15normal_iteratorINS6_10device_ptrIS8_EEEENS0_8identityIS8_EEEE10hipError_tT2_T3_mT4_P12ihipStream_tbEUlT_E_NS1_11comp_targetILNS1_3genE2ELNS1_11target_archE906ELNS1_3gpuE6ELNS1_3repE0EEENS1_30default_config_static_selectorELNS0_4arch9wavefront6targetE1EEEvT1_.num_named_barrier, 0
	.set _ZN7rocprim17ROCPRIM_400000_NS6detail17trampoline_kernelINS0_14default_configENS1_25transform_config_selectorIN6thrust23THRUST_200600_302600_NS4pairIiiEELb0EEEZNS1_14transform_implILb0ES3_S9_PS8_NS6_6detail15normal_iteratorINS6_10device_ptrIS8_EEEENS0_8identityIS8_EEEE10hipError_tT2_T3_mT4_P12ihipStream_tbEUlT_E_NS1_11comp_targetILNS1_3genE2ELNS1_11target_archE906ELNS1_3gpuE6ELNS1_3repE0EEENS1_30default_config_static_selectorELNS0_4arch9wavefront6targetE1EEEvT1_.private_seg_size, 0
	.set _ZN7rocprim17ROCPRIM_400000_NS6detail17trampoline_kernelINS0_14default_configENS1_25transform_config_selectorIN6thrust23THRUST_200600_302600_NS4pairIiiEELb0EEEZNS1_14transform_implILb0ES3_S9_PS8_NS6_6detail15normal_iteratorINS6_10device_ptrIS8_EEEENS0_8identityIS8_EEEE10hipError_tT2_T3_mT4_P12ihipStream_tbEUlT_E_NS1_11comp_targetILNS1_3genE2ELNS1_11target_archE906ELNS1_3gpuE6ELNS1_3repE0EEENS1_30default_config_static_selectorELNS0_4arch9wavefront6targetE1EEEvT1_.uses_vcc, 0
	.set _ZN7rocprim17ROCPRIM_400000_NS6detail17trampoline_kernelINS0_14default_configENS1_25transform_config_selectorIN6thrust23THRUST_200600_302600_NS4pairIiiEELb0EEEZNS1_14transform_implILb0ES3_S9_PS8_NS6_6detail15normal_iteratorINS6_10device_ptrIS8_EEEENS0_8identityIS8_EEEE10hipError_tT2_T3_mT4_P12ihipStream_tbEUlT_E_NS1_11comp_targetILNS1_3genE2ELNS1_11target_archE906ELNS1_3gpuE6ELNS1_3repE0EEENS1_30default_config_static_selectorELNS0_4arch9wavefront6targetE1EEEvT1_.uses_flat_scratch, 0
	.set _ZN7rocprim17ROCPRIM_400000_NS6detail17trampoline_kernelINS0_14default_configENS1_25transform_config_selectorIN6thrust23THRUST_200600_302600_NS4pairIiiEELb0EEEZNS1_14transform_implILb0ES3_S9_PS8_NS6_6detail15normal_iteratorINS6_10device_ptrIS8_EEEENS0_8identityIS8_EEEE10hipError_tT2_T3_mT4_P12ihipStream_tbEUlT_E_NS1_11comp_targetILNS1_3genE2ELNS1_11target_archE906ELNS1_3gpuE6ELNS1_3repE0EEENS1_30default_config_static_selectorELNS0_4arch9wavefront6targetE1EEEvT1_.has_dyn_sized_stack, 0
	.set _ZN7rocprim17ROCPRIM_400000_NS6detail17trampoline_kernelINS0_14default_configENS1_25transform_config_selectorIN6thrust23THRUST_200600_302600_NS4pairIiiEELb0EEEZNS1_14transform_implILb0ES3_S9_PS8_NS6_6detail15normal_iteratorINS6_10device_ptrIS8_EEEENS0_8identityIS8_EEEE10hipError_tT2_T3_mT4_P12ihipStream_tbEUlT_E_NS1_11comp_targetILNS1_3genE2ELNS1_11target_archE906ELNS1_3gpuE6ELNS1_3repE0EEENS1_30default_config_static_selectorELNS0_4arch9wavefront6targetE1EEEvT1_.has_recursion, 0
	.set _ZN7rocprim17ROCPRIM_400000_NS6detail17trampoline_kernelINS0_14default_configENS1_25transform_config_selectorIN6thrust23THRUST_200600_302600_NS4pairIiiEELb0EEEZNS1_14transform_implILb0ES3_S9_PS8_NS6_6detail15normal_iteratorINS6_10device_ptrIS8_EEEENS0_8identityIS8_EEEE10hipError_tT2_T3_mT4_P12ihipStream_tbEUlT_E_NS1_11comp_targetILNS1_3genE2ELNS1_11target_archE906ELNS1_3gpuE6ELNS1_3repE0EEENS1_30default_config_static_selectorELNS0_4arch9wavefront6targetE1EEEvT1_.has_indirect_call, 0
	.section	.AMDGPU.csdata,"",@progbits
; Kernel info:
; codeLenInByte = 0
; TotalNumSgprs: 6
; NumVgprs: 0
; NumAgprs: 0
; TotalNumVgprs: 0
; ScratchSize: 0
; MemoryBound: 0
; FloatMode: 240
; IeeeMode: 1
; LDSByteSize: 0 bytes/workgroup (compile time only)
; SGPRBlocks: 0
; VGPRBlocks: 0
; NumSGPRsForWavesPerEU: 6
; NumVGPRsForWavesPerEU: 1
; AccumOffset: 4
; Occupancy: 8
; WaveLimiterHint : 0
; COMPUTE_PGM_RSRC2:SCRATCH_EN: 0
; COMPUTE_PGM_RSRC2:USER_SGPR: 2
; COMPUTE_PGM_RSRC2:TRAP_HANDLER: 0
; COMPUTE_PGM_RSRC2:TGID_X_EN: 1
; COMPUTE_PGM_RSRC2:TGID_Y_EN: 0
; COMPUTE_PGM_RSRC2:TGID_Z_EN: 0
; COMPUTE_PGM_RSRC2:TIDIG_COMP_CNT: 0
; COMPUTE_PGM_RSRC3_GFX90A:ACCUM_OFFSET: 0
; COMPUTE_PGM_RSRC3_GFX90A:TG_SPLIT: 0
	.section	.text._ZN7rocprim17ROCPRIM_400000_NS6detail17trampoline_kernelINS0_14default_configENS1_25transform_config_selectorIN6thrust23THRUST_200600_302600_NS4pairIiiEELb0EEEZNS1_14transform_implILb0ES3_S9_PS8_NS6_6detail15normal_iteratorINS6_10device_ptrIS8_EEEENS0_8identityIS8_EEEE10hipError_tT2_T3_mT4_P12ihipStream_tbEUlT_E_NS1_11comp_targetILNS1_3genE10ELNS1_11target_archE1201ELNS1_3gpuE5ELNS1_3repE0EEENS1_30default_config_static_selectorELNS0_4arch9wavefront6targetE1EEEvT1_,"axG",@progbits,_ZN7rocprim17ROCPRIM_400000_NS6detail17trampoline_kernelINS0_14default_configENS1_25transform_config_selectorIN6thrust23THRUST_200600_302600_NS4pairIiiEELb0EEEZNS1_14transform_implILb0ES3_S9_PS8_NS6_6detail15normal_iteratorINS6_10device_ptrIS8_EEEENS0_8identityIS8_EEEE10hipError_tT2_T3_mT4_P12ihipStream_tbEUlT_E_NS1_11comp_targetILNS1_3genE10ELNS1_11target_archE1201ELNS1_3gpuE5ELNS1_3repE0EEENS1_30default_config_static_selectorELNS0_4arch9wavefront6targetE1EEEvT1_,comdat
	.protected	_ZN7rocprim17ROCPRIM_400000_NS6detail17trampoline_kernelINS0_14default_configENS1_25transform_config_selectorIN6thrust23THRUST_200600_302600_NS4pairIiiEELb0EEEZNS1_14transform_implILb0ES3_S9_PS8_NS6_6detail15normal_iteratorINS6_10device_ptrIS8_EEEENS0_8identityIS8_EEEE10hipError_tT2_T3_mT4_P12ihipStream_tbEUlT_E_NS1_11comp_targetILNS1_3genE10ELNS1_11target_archE1201ELNS1_3gpuE5ELNS1_3repE0EEENS1_30default_config_static_selectorELNS0_4arch9wavefront6targetE1EEEvT1_ ; -- Begin function _ZN7rocprim17ROCPRIM_400000_NS6detail17trampoline_kernelINS0_14default_configENS1_25transform_config_selectorIN6thrust23THRUST_200600_302600_NS4pairIiiEELb0EEEZNS1_14transform_implILb0ES3_S9_PS8_NS6_6detail15normal_iteratorINS6_10device_ptrIS8_EEEENS0_8identityIS8_EEEE10hipError_tT2_T3_mT4_P12ihipStream_tbEUlT_E_NS1_11comp_targetILNS1_3genE10ELNS1_11target_archE1201ELNS1_3gpuE5ELNS1_3repE0EEENS1_30default_config_static_selectorELNS0_4arch9wavefront6targetE1EEEvT1_
	.globl	_ZN7rocprim17ROCPRIM_400000_NS6detail17trampoline_kernelINS0_14default_configENS1_25transform_config_selectorIN6thrust23THRUST_200600_302600_NS4pairIiiEELb0EEEZNS1_14transform_implILb0ES3_S9_PS8_NS6_6detail15normal_iteratorINS6_10device_ptrIS8_EEEENS0_8identityIS8_EEEE10hipError_tT2_T3_mT4_P12ihipStream_tbEUlT_E_NS1_11comp_targetILNS1_3genE10ELNS1_11target_archE1201ELNS1_3gpuE5ELNS1_3repE0EEENS1_30default_config_static_selectorELNS0_4arch9wavefront6targetE1EEEvT1_
	.p2align	8
	.type	_ZN7rocprim17ROCPRIM_400000_NS6detail17trampoline_kernelINS0_14default_configENS1_25transform_config_selectorIN6thrust23THRUST_200600_302600_NS4pairIiiEELb0EEEZNS1_14transform_implILb0ES3_S9_PS8_NS6_6detail15normal_iteratorINS6_10device_ptrIS8_EEEENS0_8identityIS8_EEEE10hipError_tT2_T3_mT4_P12ihipStream_tbEUlT_E_NS1_11comp_targetILNS1_3genE10ELNS1_11target_archE1201ELNS1_3gpuE5ELNS1_3repE0EEENS1_30default_config_static_selectorELNS0_4arch9wavefront6targetE1EEEvT1_,@function
_ZN7rocprim17ROCPRIM_400000_NS6detail17trampoline_kernelINS0_14default_configENS1_25transform_config_selectorIN6thrust23THRUST_200600_302600_NS4pairIiiEELb0EEEZNS1_14transform_implILb0ES3_S9_PS8_NS6_6detail15normal_iteratorINS6_10device_ptrIS8_EEEENS0_8identityIS8_EEEE10hipError_tT2_T3_mT4_P12ihipStream_tbEUlT_E_NS1_11comp_targetILNS1_3genE10ELNS1_11target_archE1201ELNS1_3gpuE5ELNS1_3repE0EEENS1_30default_config_static_selectorELNS0_4arch9wavefront6targetE1EEEvT1_: ; @_ZN7rocprim17ROCPRIM_400000_NS6detail17trampoline_kernelINS0_14default_configENS1_25transform_config_selectorIN6thrust23THRUST_200600_302600_NS4pairIiiEELb0EEEZNS1_14transform_implILb0ES3_S9_PS8_NS6_6detail15normal_iteratorINS6_10device_ptrIS8_EEEENS0_8identityIS8_EEEE10hipError_tT2_T3_mT4_P12ihipStream_tbEUlT_E_NS1_11comp_targetILNS1_3genE10ELNS1_11target_archE1201ELNS1_3gpuE5ELNS1_3repE0EEENS1_30default_config_static_selectorELNS0_4arch9wavefront6targetE1EEEvT1_
; %bb.0:
	.section	.rodata,"a",@progbits
	.p2align	6, 0x0
	.amdhsa_kernel _ZN7rocprim17ROCPRIM_400000_NS6detail17trampoline_kernelINS0_14default_configENS1_25transform_config_selectorIN6thrust23THRUST_200600_302600_NS4pairIiiEELb0EEEZNS1_14transform_implILb0ES3_S9_PS8_NS6_6detail15normal_iteratorINS6_10device_ptrIS8_EEEENS0_8identityIS8_EEEE10hipError_tT2_T3_mT4_P12ihipStream_tbEUlT_E_NS1_11comp_targetILNS1_3genE10ELNS1_11target_archE1201ELNS1_3gpuE5ELNS1_3repE0EEENS1_30default_config_static_selectorELNS0_4arch9wavefront6targetE1EEEvT1_
		.amdhsa_group_segment_fixed_size 0
		.amdhsa_private_segment_fixed_size 0
		.amdhsa_kernarg_size 40
		.amdhsa_user_sgpr_count 2
		.amdhsa_user_sgpr_dispatch_ptr 0
		.amdhsa_user_sgpr_queue_ptr 0
		.amdhsa_user_sgpr_kernarg_segment_ptr 1
		.amdhsa_user_sgpr_dispatch_id 0
		.amdhsa_user_sgpr_kernarg_preload_length 0
		.amdhsa_user_sgpr_kernarg_preload_offset 0
		.amdhsa_user_sgpr_private_segment_size 0
		.amdhsa_uses_dynamic_stack 0
		.amdhsa_enable_private_segment 0
		.amdhsa_system_sgpr_workgroup_id_x 1
		.amdhsa_system_sgpr_workgroup_id_y 0
		.amdhsa_system_sgpr_workgroup_id_z 0
		.amdhsa_system_sgpr_workgroup_info 0
		.amdhsa_system_vgpr_workitem_id 0
		.amdhsa_next_free_vgpr 1
		.amdhsa_next_free_sgpr 0
		.amdhsa_accum_offset 4
		.amdhsa_reserve_vcc 0
		.amdhsa_float_round_mode_32 0
		.amdhsa_float_round_mode_16_64 0
		.amdhsa_float_denorm_mode_32 3
		.amdhsa_float_denorm_mode_16_64 3
		.amdhsa_dx10_clamp 1
		.amdhsa_ieee_mode 1
		.amdhsa_fp16_overflow 0
		.amdhsa_tg_split 0
		.amdhsa_exception_fp_ieee_invalid_op 0
		.amdhsa_exception_fp_denorm_src 0
		.amdhsa_exception_fp_ieee_div_zero 0
		.amdhsa_exception_fp_ieee_overflow 0
		.amdhsa_exception_fp_ieee_underflow 0
		.amdhsa_exception_fp_ieee_inexact 0
		.amdhsa_exception_int_div_zero 0
	.end_amdhsa_kernel
	.section	.text._ZN7rocprim17ROCPRIM_400000_NS6detail17trampoline_kernelINS0_14default_configENS1_25transform_config_selectorIN6thrust23THRUST_200600_302600_NS4pairIiiEELb0EEEZNS1_14transform_implILb0ES3_S9_PS8_NS6_6detail15normal_iteratorINS6_10device_ptrIS8_EEEENS0_8identityIS8_EEEE10hipError_tT2_T3_mT4_P12ihipStream_tbEUlT_E_NS1_11comp_targetILNS1_3genE10ELNS1_11target_archE1201ELNS1_3gpuE5ELNS1_3repE0EEENS1_30default_config_static_selectorELNS0_4arch9wavefront6targetE1EEEvT1_,"axG",@progbits,_ZN7rocprim17ROCPRIM_400000_NS6detail17trampoline_kernelINS0_14default_configENS1_25transform_config_selectorIN6thrust23THRUST_200600_302600_NS4pairIiiEELb0EEEZNS1_14transform_implILb0ES3_S9_PS8_NS6_6detail15normal_iteratorINS6_10device_ptrIS8_EEEENS0_8identityIS8_EEEE10hipError_tT2_T3_mT4_P12ihipStream_tbEUlT_E_NS1_11comp_targetILNS1_3genE10ELNS1_11target_archE1201ELNS1_3gpuE5ELNS1_3repE0EEENS1_30default_config_static_selectorELNS0_4arch9wavefront6targetE1EEEvT1_,comdat
.Lfunc_end686:
	.size	_ZN7rocprim17ROCPRIM_400000_NS6detail17trampoline_kernelINS0_14default_configENS1_25transform_config_selectorIN6thrust23THRUST_200600_302600_NS4pairIiiEELb0EEEZNS1_14transform_implILb0ES3_S9_PS8_NS6_6detail15normal_iteratorINS6_10device_ptrIS8_EEEENS0_8identityIS8_EEEE10hipError_tT2_T3_mT4_P12ihipStream_tbEUlT_E_NS1_11comp_targetILNS1_3genE10ELNS1_11target_archE1201ELNS1_3gpuE5ELNS1_3repE0EEENS1_30default_config_static_selectorELNS0_4arch9wavefront6targetE1EEEvT1_, .Lfunc_end686-_ZN7rocprim17ROCPRIM_400000_NS6detail17trampoline_kernelINS0_14default_configENS1_25transform_config_selectorIN6thrust23THRUST_200600_302600_NS4pairIiiEELb0EEEZNS1_14transform_implILb0ES3_S9_PS8_NS6_6detail15normal_iteratorINS6_10device_ptrIS8_EEEENS0_8identityIS8_EEEE10hipError_tT2_T3_mT4_P12ihipStream_tbEUlT_E_NS1_11comp_targetILNS1_3genE10ELNS1_11target_archE1201ELNS1_3gpuE5ELNS1_3repE0EEENS1_30default_config_static_selectorELNS0_4arch9wavefront6targetE1EEEvT1_
                                        ; -- End function
	.set _ZN7rocprim17ROCPRIM_400000_NS6detail17trampoline_kernelINS0_14default_configENS1_25transform_config_selectorIN6thrust23THRUST_200600_302600_NS4pairIiiEELb0EEEZNS1_14transform_implILb0ES3_S9_PS8_NS6_6detail15normal_iteratorINS6_10device_ptrIS8_EEEENS0_8identityIS8_EEEE10hipError_tT2_T3_mT4_P12ihipStream_tbEUlT_E_NS1_11comp_targetILNS1_3genE10ELNS1_11target_archE1201ELNS1_3gpuE5ELNS1_3repE0EEENS1_30default_config_static_selectorELNS0_4arch9wavefront6targetE1EEEvT1_.num_vgpr, 0
	.set _ZN7rocprim17ROCPRIM_400000_NS6detail17trampoline_kernelINS0_14default_configENS1_25transform_config_selectorIN6thrust23THRUST_200600_302600_NS4pairIiiEELb0EEEZNS1_14transform_implILb0ES3_S9_PS8_NS6_6detail15normal_iteratorINS6_10device_ptrIS8_EEEENS0_8identityIS8_EEEE10hipError_tT2_T3_mT4_P12ihipStream_tbEUlT_E_NS1_11comp_targetILNS1_3genE10ELNS1_11target_archE1201ELNS1_3gpuE5ELNS1_3repE0EEENS1_30default_config_static_selectorELNS0_4arch9wavefront6targetE1EEEvT1_.num_agpr, 0
	.set _ZN7rocprim17ROCPRIM_400000_NS6detail17trampoline_kernelINS0_14default_configENS1_25transform_config_selectorIN6thrust23THRUST_200600_302600_NS4pairIiiEELb0EEEZNS1_14transform_implILb0ES3_S9_PS8_NS6_6detail15normal_iteratorINS6_10device_ptrIS8_EEEENS0_8identityIS8_EEEE10hipError_tT2_T3_mT4_P12ihipStream_tbEUlT_E_NS1_11comp_targetILNS1_3genE10ELNS1_11target_archE1201ELNS1_3gpuE5ELNS1_3repE0EEENS1_30default_config_static_selectorELNS0_4arch9wavefront6targetE1EEEvT1_.numbered_sgpr, 0
	.set _ZN7rocprim17ROCPRIM_400000_NS6detail17trampoline_kernelINS0_14default_configENS1_25transform_config_selectorIN6thrust23THRUST_200600_302600_NS4pairIiiEELb0EEEZNS1_14transform_implILb0ES3_S9_PS8_NS6_6detail15normal_iteratorINS6_10device_ptrIS8_EEEENS0_8identityIS8_EEEE10hipError_tT2_T3_mT4_P12ihipStream_tbEUlT_E_NS1_11comp_targetILNS1_3genE10ELNS1_11target_archE1201ELNS1_3gpuE5ELNS1_3repE0EEENS1_30default_config_static_selectorELNS0_4arch9wavefront6targetE1EEEvT1_.num_named_barrier, 0
	.set _ZN7rocprim17ROCPRIM_400000_NS6detail17trampoline_kernelINS0_14default_configENS1_25transform_config_selectorIN6thrust23THRUST_200600_302600_NS4pairIiiEELb0EEEZNS1_14transform_implILb0ES3_S9_PS8_NS6_6detail15normal_iteratorINS6_10device_ptrIS8_EEEENS0_8identityIS8_EEEE10hipError_tT2_T3_mT4_P12ihipStream_tbEUlT_E_NS1_11comp_targetILNS1_3genE10ELNS1_11target_archE1201ELNS1_3gpuE5ELNS1_3repE0EEENS1_30default_config_static_selectorELNS0_4arch9wavefront6targetE1EEEvT1_.private_seg_size, 0
	.set _ZN7rocprim17ROCPRIM_400000_NS6detail17trampoline_kernelINS0_14default_configENS1_25transform_config_selectorIN6thrust23THRUST_200600_302600_NS4pairIiiEELb0EEEZNS1_14transform_implILb0ES3_S9_PS8_NS6_6detail15normal_iteratorINS6_10device_ptrIS8_EEEENS0_8identityIS8_EEEE10hipError_tT2_T3_mT4_P12ihipStream_tbEUlT_E_NS1_11comp_targetILNS1_3genE10ELNS1_11target_archE1201ELNS1_3gpuE5ELNS1_3repE0EEENS1_30default_config_static_selectorELNS0_4arch9wavefront6targetE1EEEvT1_.uses_vcc, 0
	.set _ZN7rocprim17ROCPRIM_400000_NS6detail17trampoline_kernelINS0_14default_configENS1_25transform_config_selectorIN6thrust23THRUST_200600_302600_NS4pairIiiEELb0EEEZNS1_14transform_implILb0ES3_S9_PS8_NS6_6detail15normal_iteratorINS6_10device_ptrIS8_EEEENS0_8identityIS8_EEEE10hipError_tT2_T3_mT4_P12ihipStream_tbEUlT_E_NS1_11comp_targetILNS1_3genE10ELNS1_11target_archE1201ELNS1_3gpuE5ELNS1_3repE0EEENS1_30default_config_static_selectorELNS0_4arch9wavefront6targetE1EEEvT1_.uses_flat_scratch, 0
	.set _ZN7rocprim17ROCPRIM_400000_NS6detail17trampoline_kernelINS0_14default_configENS1_25transform_config_selectorIN6thrust23THRUST_200600_302600_NS4pairIiiEELb0EEEZNS1_14transform_implILb0ES3_S9_PS8_NS6_6detail15normal_iteratorINS6_10device_ptrIS8_EEEENS0_8identityIS8_EEEE10hipError_tT2_T3_mT4_P12ihipStream_tbEUlT_E_NS1_11comp_targetILNS1_3genE10ELNS1_11target_archE1201ELNS1_3gpuE5ELNS1_3repE0EEENS1_30default_config_static_selectorELNS0_4arch9wavefront6targetE1EEEvT1_.has_dyn_sized_stack, 0
	.set _ZN7rocprim17ROCPRIM_400000_NS6detail17trampoline_kernelINS0_14default_configENS1_25transform_config_selectorIN6thrust23THRUST_200600_302600_NS4pairIiiEELb0EEEZNS1_14transform_implILb0ES3_S9_PS8_NS6_6detail15normal_iteratorINS6_10device_ptrIS8_EEEENS0_8identityIS8_EEEE10hipError_tT2_T3_mT4_P12ihipStream_tbEUlT_E_NS1_11comp_targetILNS1_3genE10ELNS1_11target_archE1201ELNS1_3gpuE5ELNS1_3repE0EEENS1_30default_config_static_selectorELNS0_4arch9wavefront6targetE1EEEvT1_.has_recursion, 0
	.set _ZN7rocprim17ROCPRIM_400000_NS6detail17trampoline_kernelINS0_14default_configENS1_25transform_config_selectorIN6thrust23THRUST_200600_302600_NS4pairIiiEELb0EEEZNS1_14transform_implILb0ES3_S9_PS8_NS6_6detail15normal_iteratorINS6_10device_ptrIS8_EEEENS0_8identityIS8_EEEE10hipError_tT2_T3_mT4_P12ihipStream_tbEUlT_E_NS1_11comp_targetILNS1_3genE10ELNS1_11target_archE1201ELNS1_3gpuE5ELNS1_3repE0EEENS1_30default_config_static_selectorELNS0_4arch9wavefront6targetE1EEEvT1_.has_indirect_call, 0
	.section	.AMDGPU.csdata,"",@progbits
; Kernel info:
; codeLenInByte = 0
; TotalNumSgprs: 6
; NumVgprs: 0
; NumAgprs: 0
; TotalNumVgprs: 0
; ScratchSize: 0
; MemoryBound: 0
; FloatMode: 240
; IeeeMode: 1
; LDSByteSize: 0 bytes/workgroup (compile time only)
; SGPRBlocks: 0
; VGPRBlocks: 0
; NumSGPRsForWavesPerEU: 6
; NumVGPRsForWavesPerEU: 1
; AccumOffset: 4
; Occupancy: 8
; WaveLimiterHint : 0
; COMPUTE_PGM_RSRC2:SCRATCH_EN: 0
; COMPUTE_PGM_RSRC2:USER_SGPR: 2
; COMPUTE_PGM_RSRC2:TRAP_HANDLER: 0
; COMPUTE_PGM_RSRC2:TGID_X_EN: 1
; COMPUTE_PGM_RSRC2:TGID_Y_EN: 0
; COMPUTE_PGM_RSRC2:TGID_Z_EN: 0
; COMPUTE_PGM_RSRC2:TIDIG_COMP_CNT: 0
; COMPUTE_PGM_RSRC3_GFX90A:ACCUM_OFFSET: 0
; COMPUTE_PGM_RSRC3_GFX90A:TG_SPLIT: 0
	.section	.text._ZN7rocprim17ROCPRIM_400000_NS6detail17trampoline_kernelINS0_14default_configENS1_25transform_config_selectorIN6thrust23THRUST_200600_302600_NS4pairIiiEELb0EEEZNS1_14transform_implILb0ES3_S9_PS8_NS6_6detail15normal_iteratorINS6_10device_ptrIS8_EEEENS0_8identityIS8_EEEE10hipError_tT2_T3_mT4_P12ihipStream_tbEUlT_E_NS1_11comp_targetILNS1_3genE10ELNS1_11target_archE1200ELNS1_3gpuE4ELNS1_3repE0EEENS1_30default_config_static_selectorELNS0_4arch9wavefront6targetE1EEEvT1_,"axG",@progbits,_ZN7rocprim17ROCPRIM_400000_NS6detail17trampoline_kernelINS0_14default_configENS1_25transform_config_selectorIN6thrust23THRUST_200600_302600_NS4pairIiiEELb0EEEZNS1_14transform_implILb0ES3_S9_PS8_NS6_6detail15normal_iteratorINS6_10device_ptrIS8_EEEENS0_8identityIS8_EEEE10hipError_tT2_T3_mT4_P12ihipStream_tbEUlT_E_NS1_11comp_targetILNS1_3genE10ELNS1_11target_archE1200ELNS1_3gpuE4ELNS1_3repE0EEENS1_30default_config_static_selectorELNS0_4arch9wavefront6targetE1EEEvT1_,comdat
	.protected	_ZN7rocprim17ROCPRIM_400000_NS6detail17trampoline_kernelINS0_14default_configENS1_25transform_config_selectorIN6thrust23THRUST_200600_302600_NS4pairIiiEELb0EEEZNS1_14transform_implILb0ES3_S9_PS8_NS6_6detail15normal_iteratorINS6_10device_ptrIS8_EEEENS0_8identityIS8_EEEE10hipError_tT2_T3_mT4_P12ihipStream_tbEUlT_E_NS1_11comp_targetILNS1_3genE10ELNS1_11target_archE1200ELNS1_3gpuE4ELNS1_3repE0EEENS1_30default_config_static_selectorELNS0_4arch9wavefront6targetE1EEEvT1_ ; -- Begin function _ZN7rocprim17ROCPRIM_400000_NS6detail17trampoline_kernelINS0_14default_configENS1_25transform_config_selectorIN6thrust23THRUST_200600_302600_NS4pairIiiEELb0EEEZNS1_14transform_implILb0ES3_S9_PS8_NS6_6detail15normal_iteratorINS6_10device_ptrIS8_EEEENS0_8identityIS8_EEEE10hipError_tT2_T3_mT4_P12ihipStream_tbEUlT_E_NS1_11comp_targetILNS1_3genE10ELNS1_11target_archE1200ELNS1_3gpuE4ELNS1_3repE0EEENS1_30default_config_static_selectorELNS0_4arch9wavefront6targetE1EEEvT1_
	.globl	_ZN7rocprim17ROCPRIM_400000_NS6detail17trampoline_kernelINS0_14default_configENS1_25transform_config_selectorIN6thrust23THRUST_200600_302600_NS4pairIiiEELb0EEEZNS1_14transform_implILb0ES3_S9_PS8_NS6_6detail15normal_iteratorINS6_10device_ptrIS8_EEEENS0_8identityIS8_EEEE10hipError_tT2_T3_mT4_P12ihipStream_tbEUlT_E_NS1_11comp_targetILNS1_3genE10ELNS1_11target_archE1200ELNS1_3gpuE4ELNS1_3repE0EEENS1_30default_config_static_selectorELNS0_4arch9wavefront6targetE1EEEvT1_
	.p2align	8
	.type	_ZN7rocprim17ROCPRIM_400000_NS6detail17trampoline_kernelINS0_14default_configENS1_25transform_config_selectorIN6thrust23THRUST_200600_302600_NS4pairIiiEELb0EEEZNS1_14transform_implILb0ES3_S9_PS8_NS6_6detail15normal_iteratorINS6_10device_ptrIS8_EEEENS0_8identityIS8_EEEE10hipError_tT2_T3_mT4_P12ihipStream_tbEUlT_E_NS1_11comp_targetILNS1_3genE10ELNS1_11target_archE1200ELNS1_3gpuE4ELNS1_3repE0EEENS1_30default_config_static_selectorELNS0_4arch9wavefront6targetE1EEEvT1_,@function
_ZN7rocprim17ROCPRIM_400000_NS6detail17trampoline_kernelINS0_14default_configENS1_25transform_config_selectorIN6thrust23THRUST_200600_302600_NS4pairIiiEELb0EEEZNS1_14transform_implILb0ES3_S9_PS8_NS6_6detail15normal_iteratorINS6_10device_ptrIS8_EEEENS0_8identityIS8_EEEE10hipError_tT2_T3_mT4_P12ihipStream_tbEUlT_E_NS1_11comp_targetILNS1_3genE10ELNS1_11target_archE1200ELNS1_3gpuE4ELNS1_3repE0EEENS1_30default_config_static_selectorELNS0_4arch9wavefront6targetE1EEEvT1_: ; @_ZN7rocprim17ROCPRIM_400000_NS6detail17trampoline_kernelINS0_14default_configENS1_25transform_config_selectorIN6thrust23THRUST_200600_302600_NS4pairIiiEELb0EEEZNS1_14transform_implILb0ES3_S9_PS8_NS6_6detail15normal_iteratorINS6_10device_ptrIS8_EEEENS0_8identityIS8_EEEE10hipError_tT2_T3_mT4_P12ihipStream_tbEUlT_E_NS1_11comp_targetILNS1_3genE10ELNS1_11target_archE1200ELNS1_3gpuE4ELNS1_3repE0EEENS1_30default_config_static_selectorELNS0_4arch9wavefront6targetE1EEEvT1_
; %bb.0:
	.section	.rodata,"a",@progbits
	.p2align	6, 0x0
	.amdhsa_kernel _ZN7rocprim17ROCPRIM_400000_NS6detail17trampoline_kernelINS0_14default_configENS1_25transform_config_selectorIN6thrust23THRUST_200600_302600_NS4pairIiiEELb0EEEZNS1_14transform_implILb0ES3_S9_PS8_NS6_6detail15normal_iteratorINS6_10device_ptrIS8_EEEENS0_8identityIS8_EEEE10hipError_tT2_T3_mT4_P12ihipStream_tbEUlT_E_NS1_11comp_targetILNS1_3genE10ELNS1_11target_archE1200ELNS1_3gpuE4ELNS1_3repE0EEENS1_30default_config_static_selectorELNS0_4arch9wavefront6targetE1EEEvT1_
		.amdhsa_group_segment_fixed_size 0
		.amdhsa_private_segment_fixed_size 0
		.amdhsa_kernarg_size 40
		.amdhsa_user_sgpr_count 2
		.amdhsa_user_sgpr_dispatch_ptr 0
		.amdhsa_user_sgpr_queue_ptr 0
		.amdhsa_user_sgpr_kernarg_segment_ptr 1
		.amdhsa_user_sgpr_dispatch_id 0
		.amdhsa_user_sgpr_kernarg_preload_length 0
		.amdhsa_user_sgpr_kernarg_preload_offset 0
		.amdhsa_user_sgpr_private_segment_size 0
		.amdhsa_uses_dynamic_stack 0
		.amdhsa_enable_private_segment 0
		.amdhsa_system_sgpr_workgroup_id_x 1
		.amdhsa_system_sgpr_workgroup_id_y 0
		.amdhsa_system_sgpr_workgroup_id_z 0
		.amdhsa_system_sgpr_workgroup_info 0
		.amdhsa_system_vgpr_workitem_id 0
		.amdhsa_next_free_vgpr 1
		.amdhsa_next_free_sgpr 0
		.amdhsa_accum_offset 4
		.amdhsa_reserve_vcc 0
		.amdhsa_float_round_mode_32 0
		.amdhsa_float_round_mode_16_64 0
		.amdhsa_float_denorm_mode_32 3
		.amdhsa_float_denorm_mode_16_64 3
		.amdhsa_dx10_clamp 1
		.amdhsa_ieee_mode 1
		.amdhsa_fp16_overflow 0
		.amdhsa_tg_split 0
		.amdhsa_exception_fp_ieee_invalid_op 0
		.amdhsa_exception_fp_denorm_src 0
		.amdhsa_exception_fp_ieee_div_zero 0
		.amdhsa_exception_fp_ieee_overflow 0
		.amdhsa_exception_fp_ieee_underflow 0
		.amdhsa_exception_fp_ieee_inexact 0
		.amdhsa_exception_int_div_zero 0
	.end_amdhsa_kernel
	.section	.text._ZN7rocprim17ROCPRIM_400000_NS6detail17trampoline_kernelINS0_14default_configENS1_25transform_config_selectorIN6thrust23THRUST_200600_302600_NS4pairIiiEELb0EEEZNS1_14transform_implILb0ES3_S9_PS8_NS6_6detail15normal_iteratorINS6_10device_ptrIS8_EEEENS0_8identityIS8_EEEE10hipError_tT2_T3_mT4_P12ihipStream_tbEUlT_E_NS1_11comp_targetILNS1_3genE10ELNS1_11target_archE1200ELNS1_3gpuE4ELNS1_3repE0EEENS1_30default_config_static_selectorELNS0_4arch9wavefront6targetE1EEEvT1_,"axG",@progbits,_ZN7rocprim17ROCPRIM_400000_NS6detail17trampoline_kernelINS0_14default_configENS1_25transform_config_selectorIN6thrust23THRUST_200600_302600_NS4pairIiiEELb0EEEZNS1_14transform_implILb0ES3_S9_PS8_NS6_6detail15normal_iteratorINS6_10device_ptrIS8_EEEENS0_8identityIS8_EEEE10hipError_tT2_T3_mT4_P12ihipStream_tbEUlT_E_NS1_11comp_targetILNS1_3genE10ELNS1_11target_archE1200ELNS1_3gpuE4ELNS1_3repE0EEENS1_30default_config_static_selectorELNS0_4arch9wavefront6targetE1EEEvT1_,comdat
.Lfunc_end687:
	.size	_ZN7rocprim17ROCPRIM_400000_NS6detail17trampoline_kernelINS0_14default_configENS1_25transform_config_selectorIN6thrust23THRUST_200600_302600_NS4pairIiiEELb0EEEZNS1_14transform_implILb0ES3_S9_PS8_NS6_6detail15normal_iteratorINS6_10device_ptrIS8_EEEENS0_8identityIS8_EEEE10hipError_tT2_T3_mT4_P12ihipStream_tbEUlT_E_NS1_11comp_targetILNS1_3genE10ELNS1_11target_archE1200ELNS1_3gpuE4ELNS1_3repE0EEENS1_30default_config_static_selectorELNS0_4arch9wavefront6targetE1EEEvT1_, .Lfunc_end687-_ZN7rocprim17ROCPRIM_400000_NS6detail17trampoline_kernelINS0_14default_configENS1_25transform_config_selectorIN6thrust23THRUST_200600_302600_NS4pairIiiEELb0EEEZNS1_14transform_implILb0ES3_S9_PS8_NS6_6detail15normal_iteratorINS6_10device_ptrIS8_EEEENS0_8identityIS8_EEEE10hipError_tT2_T3_mT4_P12ihipStream_tbEUlT_E_NS1_11comp_targetILNS1_3genE10ELNS1_11target_archE1200ELNS1_3gpuE4ELNS1_3repE0EEENS1_30default_config_static_selectorELNS0_4arch9wavefront6targetE1EEEvT1_
                                        ; -- End function
	.set _ZN7rocprim17ROCPRIM_400000_NS6detail17trampoline_kernelINS0_14default_configENS1_25transform_config_selectorIN6thrust23THRUST_200600_302600_NS4pairIiiEELb0EEEZNS1_14transform_implILb0ES3_S9_PS8_NS6_6detail15normal_iteratorINS6_10device_ptrIS8_EEEENS0_8identityIS8_EEEE10hipError_tT2_T3_mT4_P12ihipStream_tbEUlT_E_NS1_11comp_targetILNS1_3genE10ELNS1_11target_archE1200ELNS1_3gpuE4ELNS1_3repE0EEENS1_30default_config_static_selectorELNS0_4arch9wavefront6targetE1EEEvT1_.num_vgpr, 0
	.set _ZN7rocprim17ROCPRIM_400000_NS6detail17trampoline_kernelINS0_14default_configENS1_25transform_config_selectorIN6thrust23THRUST_200600_302600_NS4pairIiiEELb0EEEZNS1_14transform_implILb0ES3_S9_PS8_NS6_6detail15normal_iteratorINS6_10device_ptrIS8_EEEENS0_8identityIS8_EEEE10hipError_tT2_T3_mT4_P12ihipStream_tbEUlT_E_NS1_11comp_targetILNS1_3genE10ELNS1_11target_archE1200ELNS1_3gpuE4ELNS1_3repE0EEENS1_30default_config_static_selectorELNS0_4arch9wavefront6targetE1EEEvT1_.num_agpr, 0
	.set _ZN7rocprim17ROCPRIM_400000_NS6detail17trampoline_kernelINS0_14default_configENS1_25transform_config_selectorIN6thrust23THRUST_200600_302600_NS4pairIiiEELb0EEEZNS1_14transform_implILb0ES3_S9_PS8_NS6_6detail15normal_iteratorINS6_10device_ptrIS8_EEEENS0_8identityIS8_EEEE10hipError_tT2_T3_mT4_P12ihipStream_tbEUlT_E_NS1_11comp_targetILNS1_3genE10ELNS1_11target_archE1200ELNS1_3gpuE4ELNS1_3repE0EEENS1_30default_config_static_selectorELNS0_4arch9wavefront6targetE1EEEvT1_.numbered_sgpr, 0
	.set _ZN7rocprim17ROCPRIM_400000_NS6detail17trampoline_kernelINS0_14default_configENS1_25transform_config_selectorIN6thrust23THRUST_200600_302600_NS4pairIiiEELb0EEEZNS1_14transform_implILb0ES3_S9_PS8_NS6_6detail15normal_iteratorINS6_10device_ptrIS8_EEEENS0_8identityIS8_EEEE10hipError_tT2_T3_mT4_P12ihipStream_tbEUlT_E_NS1_11comp_targetILNS1_3genE10ELNS1_11target_archE1200ELNS1_3gpuE4ELNS1_3repE0EEENS1_30default_config_static_selectorELNS0_4arch9wavefront6targetE1EEEvT1_.num_named_barrier, 0
	.set _ZN7rocprim17ROCPRIM_400000_NS6detail17trampoline_kernelINS0_14default_configENS1_25transform_config_selectorIN6thrust23THRUST_200600_302600_NS4pairIiiEELb0EEEZNS1_14transform_implILb0ES3_S9_PS8_NS6_6detail15normal_iteratorINS6_10device_ptrIS8_EEEENS0_8identityIS8_EEEE10hipError_tT2_T3_mT4_P12ihipStream_tbEUlT_E_NS1_11comp_targetILNS1_3genE10ELNS1_11target_archE1200ELNS1_3gpuE4ELNS1_3repE0EEENS1_30default_config_static_selectorELNS0_4arch9wavefront6targetE1EEEvT1_.private_seg_size, 0
	.set _ZN7rocprim17ROCPRIM_400000_NS6detail17trampoline_kernelINS0_14default_configENS1_25transform_config_selectorIN6thrust23THRUST_200600_302600_NS4pairIiiEELb0EEEZNS1_14transform_implILb0ES3_S9_PS8_NS6_6detail15normal_iteratorINS6_10device_ptrIS8_EEEENS0_8identityIS8_EEEE10hipError_tT2_T3_mT4_P12ihipStream_tbEUlT_E_NS1_11comp_targetILNS1_3genE10ELNS1_11target_archE1200ELNS1_3gpuE4ELNS1_3repE0EEENS1_30default_config_static_selectorELNS0_4arch9wavefront6targetE1EEEvT1_.uses_vcc, 0
	.set _ZN7rocprim17ROCPRIM_400000_NS6detail17trampoline_kernelINS0_14default_configENS1_25transform_config_selectorIN6thrust23THRUST_200600_302600_NS4pairIiiEELb0EEEZNS1_14transform_implILb0ES3_S9_PS8_NS6_6detail15normal_iteratorINS6_10device_ptrIS8_EEEENS0_8identityIS8_EEEE10hipError_tT2_T3_mT4_P12ihipStream_tbEUlT_E_NS1_11comp_targetILNS1_3genE10ELNS1_11target_archE1200ELNS1_3gpuE4ELNS1_3repE0EEENS1_30default_config_static_selectorELNS0_4arch9wavefront6targetE1EEEvT1_.uses_flat_scratch, 0
	.set _ZN7rocprim17ROCPRIM_400000_NS6detail17trampoline_kernelINS0_14default_configENS1_25transform_config_selectorIN6thrust23THRUST_200600_302600_NS4pairIiiEELb0EEEZNS1_14transform_implILb0ES3_S9_PS8_NS6_6detail15normal_iteratorINS6_10device_ptrIS8_EEEENS0_8identityIS8_EEEE10hipError_tT2_T3_mT4_P12ihipStream_tbEUlT_E_NS1_11comp_targetILNS1_3genE10ELNS1_11target_archE1200ELNS1_3gpuE4ELNS1_3repE0EEENS1_30default_config_static_selectorELNS0_4arch9wavefront6targetE1EEEvT1_.has_dyn_sized_stack, 0
	.set _ZN7rocprim17ROCPRIM_400000_NS6detail17trampoline_kernelINS0_14default_configENS1_25transform_config_selectorIN6thrust23THRUST_200600_302600_NS4pairIiiEELb0EEEZNS1_14transform_implILb0ES3_S9_PS8_NS6_6detail15normal_iteratorINS6_10device_ptrIS8_EEEENS0_8identityIS8_EEEE10hipError_tT2_T3_mT4_P12ihipStream_tbEUlT_E_NS1_11comp_targetILNS1_3genE10ELNS1_11target_archE1200ELNS1_3gpuE4ELNS1_3repE0EEENS1_30default_config_static_selectorELNS0_4arch9wavefront6targetE1EEEvT1_.has_recursion, 0
	.set _ZN7rocprim17ROCPRIM_400000_NS6detail17trampoline_kernelINS0_14default_configENS1_25transform_config_selectorIN6thrust23THRUST_200600_302600_NS4pairIiiEELb0EEEZNS1_14transform_implILb0ES3_S9_PS8_NS6_6detail15normal_iteratorINS6_10device_ptrIS8_EEEENS0_8identityIS8_EEEE10hipError_tT2_T3_mT4_P12ihipStream_tbEUlT_E_NS1_11comp_targetILNS1_3genE10ELNS1_11target_archE1200ELNS1_3gpuE4ELNS1_3repE0EEENS1_30default_config_static_selectorELNS0_4arch9wavefront6targetE1EEEvT1_.has_indirect_call, 0
	.section	.AMDGPU.csdata,"",@progbits
; Kernel info:
; codeLenInByte = 0
; TotalNumSgprs: 6
; NumVgprs: 0
; NumAgprs: 0
; TotalNumVgprs: 0
; ScratchSize: 0
; MemoryBound: 0
; FloatMode: 240
; IeeeMode: 1
; LDSByteSize: 0 bytes/workgroup (compile time only)
; SGPRBlocks: 0
; VGPRBlocks: 0
; NumSGPRsForWavesPerEU: 6
; NumVGPRsForWavesPerEU: 1
; AccumOffset: 4
; Occupancy: 8
; WaveLimiterHint : 0
; COMPUTE_PGM_RSRC2:SCRATCH_EN: 0
; COMPUTE_PGM_RSRC2:USER_SGPR: 2
; COMPUTE_PGM_RSRC2:TRAP_HANDLER: 0
; COMPUTE_PGM_RSRC2:TGID_X_EN: 1
; COMPUTE_PGM_RSRC2:TGID_Y_EN: 0
; COMPUTE_PGM_RSRC2:TGID_Z_EN: 0
; COMPUTE_PGM_RSRC2:TIDIG_COMP_CNT: 0
; COMPUTE_PGM_RSRC3_GFX90A:ACCUM_OFFSET: 0
; COMPUTE_PGM_RSRC3_GFX90A:TG_SPLIT: 0
	.section	.text._ZN7rocprim17ROCPRIM_400000_NS6detail17trampoline_kernelINS0_14default_configENS1_25transform_config_selectorIN6thrust23THRUST_200600_302600_NS4pairIiiEELb0EEEZNS1_14transform_implILb0ES3_S9_PS8_NS6_6detail15normal_iteratorINS6_10device_ptrIS8_EEEENS0_8identityIS8_EEEE10hipError_tT2_T3_mT4_P12ihipStream_tbEUlT_E_NS1_11comp_targetILNS1_3genE9ELNS1_11target_archE1100ELNS1_3gpuE3ELNS1_3repE0EEENS1_30default_config_static_selectorELNS0_4arch9wavefront6targetE1EEEvT1_,"axG",@progbits,_ZN7rocprim17ROCPRIM_400000_NS6detail17trampoline_kernelINS0_14default_configENS1_25transform_config_selectorIN6thrust23THRUST_200600_302600_NS4pairIiiEELb0EEEZNS1_14transform_implILb0ES3_S9_PS8_NS6_6detail15normal_iteratorINS6_10device_ptrIS8_EEEENS0_8identityIS8_EEEE10hipError_tT2_T3_mT4_P12ihipStream_tbEUlT_E_NS1_11comp_targetILNS1_3genE9ELNS1_11target_archE1100ELNS1_3gpuE3ELNS1_3repE0EEENS1_30default_config_static_selectorELNS0_4arch9wavefront6targetE1EEEvT1_,comdat
	.protected	_ZN7rocprim17ROCPRIM_400000_NS6detail17trampoline_kernelINS0_14default_configENS1_25transform_config_selectorIN6thrust23THRUST_200600_302600_NS4pairIiiEELb0EEEZNS1_14transform_implILb0ES3_S9_PS8_NS6_6detail15normal_iteratorINS6_10device_ptrIS8_EEEENS0_8identityIS8_EEEE10hipError_tT2_T3_mT4_P12ihipStream_tbEUlT_E_NS1_11comp_targetILNS1_3genE9ELNS1_11target_archE1100ELNS1_3gpuE3ELNS1_3repE0EEENS1_30default_config_static_selectorELNS0_4arch9wavefront6targetE1EEEvT1_ ; -- Begin function _ZN7rocprim17ROCPRIM_400000_NS6detail17trampoline_kernelINS0_14default_configENS1_25transform_config_selectorIN6thrust23THRUST_200600_302600_NS4pairIiiEELb0EEEZNS1_14transform_implILb0ES3_S9_PS8_NS6_6detail15normal_iteratorINS6_10device_ptrIS8_EEEENS0_8identityIS8_EEEE10hipError_tT2_T3_mT4_P12ihipStream_tbEUlT_E_NS1_11comp_targetILNS1_3genE9ELNS1_11target_archE1100ELNS1_3gpuE3ELNS1_3repE0EEENS1_30default_config_static_selectorELNS0_4arch9wavefront6targetE1EEEvT1_
	.globl	_ZN7rocprim17ROCPRIM_400000_NS6detail17trampoline_kernelINS0_14default_configENS1_25transform_config_selectorIN6thrust23THRUST_200600_302600_NS4pairIiiEELb0EEEZNS1_14transform_implILb0ES3_S9_PS8_NS6_6detail15normal_iteratorINS6_10device_ptrIS8_EEEENS0_8identityIS8_EEEE10hipError_tT2_T3_mT4_P12ihipStream_tbEUlT_E_NS1_11comp_targetILNS1_3genE9ELNS1_11target_archE1100ELNS1_3gpuE3ELNS1_3repE0EEENS1_30default_config_static_selectorELNS0_4arch9wavefront6targetE1EEEvT1_
	.p2align	8
	.type	_ZN7rocprim17ROCPRIM_400000_NS6detail17trampoline_kernelINS0_14default_configENS1_25transform_config_selectorIN6thrust23THRUST_200600_302600_NS4pairIiiEELb0EEEZNS1_14transform_implILb0ES3_S9_PS8_NS6_6detail15normal_iteratorINS6_10device_ptrIS8_EEEENS0_8identityIS8_EEEE10hipError_tT2_T3_mT4_P12ihipStream_tbEUlT_E_NS1_11comp_targetILNS1_3genE9ELNS1_11target_archE1100ELNS1_3gpuE3ELNS1_3repE0EEENS1_30default_config_static_selectorELNS0_4arch9wavefront6targetE1EEEvT1_,@function
_ZN7rocprim17ROCPRIM_400000_NS6detail17trampoline_kernelINS0_14default_configENS1_25transform_config_selectorIN6thrust23THRUST_200600_302600_NS4pairIiiEELb0EEEZNS1_14transform_implILb0ES3_S9_PS8_NS6_6detail15normal_iteratorINS6_10device_ptrIS8_EEEENS0_8identityIS8_EEEE10hipError_tT2_T3_mT4_P12ihipStream_tbEUlT_E_NS1_11comp_targetILNS1_3genE9ELNS1_11target_archE1100ELNS1_3gpuE3ELNS1_3repE0EEENS1_30default_config_static_selectorELNS0_4arch9wavefront6targetE1EEEvT1_: ; @_ZN7rocprim17ROCPRIM_400000_NS6detail17trampoline_kernelINS0_14default_configENS1_25transform_config_selectorIN6thrust23THRUST_200600_302600_NS4pairIiiEELb0EEEZNS1_14transform_implILb0ES3_S9_PS8_NS6_6detail15normal_iteratorINS6_10device_ptrIS8_EEEENS0_8identityIS8_EEEE10hipError_tT2_T3_mT4_P12ihipStream_tbEUlT_E_NS1_11comp_targetILNS1_3genE9ELNS1_11target_archE1100ELNS1_3gpuE3ELNS1_3repE0EEENS1_30default_config_static_selectorELNS0_4arch9wavefront6targetE1EEEvT1_
; %bb.0:
	.section	.rodata,"a",@progbits
	.p2align	6, 0x0
	.amdhsa_kernel _ZN7rocprim17ROCPRIM_400000_NS6detail17trampoline_kernelINS0_14default_configENS1_25transform_config_selectorIN6thrust23THRUST_200600_302600_NS4pairIiiEELb0EEEZNS1_14transform_implILb0ES3_S9_PS8_NS6_6detail15normal_iteratorINS6_10device_ptrIS8_EEEENS0_8identityIS8_EEEE10hipError_tT2_T3_mT4_P12ihipStream_tbEUlT_E_NS1_11comp_targetILNS1_3genE9ELNS1_11target_archE1100ELNS1_3gpuE3ELNS1_3repE0EEENS1_30default_config_static_selectorELNS0_4arch9wavefront6targetE1EEEvT1_
		.amdhsa_group_segment_fixed_size 0
		.amdhsa_private_segment_fixed_size 0
		.amdhsa_kernarg_size 40
		.amdhsa_user_sgpr_count 2
		.amdhsa_user_sgpr_dispatch_ptr 0
		.amdhsa_user_sgpr_queue_ptr 0
		.amdhsa_user_sgpr_kernarg_segment_ptr 1
		.amdhsa_user_sgpr_dispatch_id 0
		.amdhsa_user_sgpr_kernarg_preload_length 0
		.amdhsa_user_sgpr_kernarg_preload_offset 0
		.amdhsa_user_sgpr_private_segment_size 0
		.amdhsa_uses_dynamic_stack 0
		.amdhsa_enable_private_segment 0
		.amdhsa_system_sgpr_workgroup_id_x 1
		.amdhsa_system_sgpr_workgroup_id_y 0
		.amdhsa_system_sgpr_workgroup_id_z 0
		.amdhsa_system_sgpr_workgroup_info 0
		.amdhsa_system_vgpr_workitem_id 0
		.amdhsa_next_free_vgpr 1
		.amdhsa_next_free_sgpr 0
		.amdhsa_accum_offset 4
		.amdhsa_reserve_vcc 0
		.amdhsa_float_round_mode_32 0
		.amdhsa_float_round_mode_16_64 0
		.amdhsa_float_denorm_mode_32 3
		.amdhsa_float_denorm_mode_16_64 3
		.amdhsa_dx10_clamp 1
		.amdhsa_ieee_mode 1
		.amdhsa_fp16_overflow 0
		.amdhsa_tg_split 0
		.amdhsa_exception_fp_ieee_invalid_op 0
		.amdhsa_exception_fp_denorm_src 0
		.amdhsa_exception_fp_ieee_div_zero 0
		.amdhsa_exception_fp_ieee_overflow 0
		.amdhsa_exception_fp_ieee_underflow 0
		.amdhsa_exception_fp_ieee_inexact 0
		.amdhsa_exception_int_div_zero 0
	.end_amdhsa_kernel
	.section	.text._ZN7rocprim17ROCPRIM_400000_NS6detail17trampoline_kernelINS0_14default_configENS1_25transform_config_selectorIN6thrust23THRUST_200600_302600_NS4pairIiiEELb0EEEZNS1_14transform_implILb0ES3_S9_PS8_NS6_6detail15normal_iteratorINS6_10device_ptrIS8_EEEENS0_8identityIS8_EEEE10hipError_tT2_T3_mT4_P12ihipStream_tbEUlT_E_NS1_11comp_targetILNS1_3genE9ELNS1_11target_archE1100ELNS1_3gpuE3ELNS1_3repE0EEENS1_30default_config_static_selectorELNS0_4arch9wavefront6targetE1EEEvT1_,"axG",@progbits,_ZN7rocprim17ROCPRIM_400000_NS6detail17trampoline_kernelINS0_14default_configENS1_25transform_config_selectorIN6thrust23THRUST_200600_302600_NS4pairIiiEELb0EEEZNS1_14transform_implILb0ES3_S9_PS8_NS6_6detail15normal_iteratorINS6_10device_ptrIS8_EEEENS0_8identityIS8_EEEE10hipError_tT2_T3_mT4_P12ihipStream_tbEUlT_E_NS1_11comp_targetILNS1_3genE9ELNS1_11target_archE1100ELNS1_3gpuE3ELNS1_3repE0EEENS1_30default_config_static_selectorELNS0_4arch9wavefront6targetE1EEEvT1_,comdat
.Lfunc_end688:
	.size	_ZN7rocprim17ROCPRIM_400000_NS6detail17trampoline_kernelINS0_14default_configENS1_25transform_config_selectorIN6thrust23THRUST_200600_302600_NS4pairIiiEELb0EEEZNS1_14transform_implILb0ES3_S9_PS8_NS6_6detail15normal_iteratorINS6_10device_ptrIS8_EEEENS0_8identityIS8_EEEE10hipError_tT2_T3_mT4_P12ihipStream_tbEUlT_E_NS1_11comp_targetILNS1_3genE9ELNS1_11target_archE1100ELNS1_3gpuE3ELNS1_3repE0EEENS1_30default_config_static_selectorELNS0_4arch9wavefront6targetE1EEEvT1_, .Lfunc_end688-_ZN7rocprim17ROCPRIM_400000_NS6detail17trampoline_kernelINS0_14default_configENS1_25transform_config_selectorIN6thrust23THRUST_200600_302600_NS4pairIiiEELb0EEEZNS1_14transform_implILb0ES3_S9_PS8_NS6_6detail15normal_iteratorINS6_10device_ptrIS8_EEEENS0_8identityIS8_EEEE10hipError_tT2_T3_mT4_P12ihipStream_tbEUlT_E_NS1_11comp_targetILNS1_3genE9ELNS1_11target_archE1100ELNS1_3gpuE3ELNS1_3repE0EEENS1_30default_config_static_selectorELNS0_4arch9wavefront6targetE1EEEvT1_
                                        ; -- End function
	.set _ZN7rocprim17ROCPRIM_400000_NS6detail17trampoline_kernelINS0_14default_configENS1_25transform_config_selectorIN6thrust23THRUST_200600_302600_NS4pairIiiEELb0EEEZNS1_14transform_implILb0ES3_S9_PS8_NS6_6detail15normal_iteratorINS6_10device_ptrIS8_EEEENS0_8identityIS8_EEEE10hipError_tT2_T3_mT4_P12ihipStream_tbEUlT_E_NS1_11comp_targetILNS1_3genE9ELNS1_11target_archE1100ELNS1_3gpuE3ELNS1_3repE0EEENS1_30default_config_static_selectorELNS0_4arch9wavefront6targetE1EEEvT1_.num_vgpr, 0
	.set _ZN7rocprim17ROCPRIM_400000_NS6detail17trampoline_kernelINS0_14default_configENS1_25transform_config_selectorIN6thrust23THRUST_200600_302600_NS4pairIiiEELb0EEEZNS1_14transform_implILb0ES3_S9_PS8_NS6_6detail15normal_iteratorINS6_10device_ptrIS8_EEEENS0_8identityIS8_EEEE10hipError_tT2_T3_mT4_P12ihipStream_tbEUlT_E_NS1_11comp_targetILNS1_3genE9ELNS1_11target_archE1100ELNS1_3gpuE3ELNS1_3repE0EEENS1_30default_config_static_selectorELNS0_4arch9wavefront6targetE1EEEvT1_.num_agpr, 0
	.set _ZN7rocprim17ROCPRIM_400000_NS6detail17trampoline_kernelINS0_14default_configENS1_25transform_config_selectorIN6thrust23THRUST_200600_302600_NS4pairIiiEELb0EEEZNS1_14transform_implILb0ES3_S9_PS8_NS6_6detail15normal_iteratorINS6_10device_ptrIS8_EEEENS0_8identityIS8_EEEE10hipError_tT2_T3_mT4_P12ihipStream_tbEUlT_E_NS1_11comp_targetILNS1_3genE9ELNS1_11target_archE1100ELNS1_3gpuE3ELNS1_3repE0EEENS1_30default_config_static_selectorELNS0_4arch9wavefront6targetE1EEEvT1_.numbered_sgpr, 0
	.set _ZN7rocprim17ROCPRIM_400000_NS6detail17trampoline_kernelINS0_14default_configENS1_25transform_config_selectorIN6thrust23THRUST_200600_302600_NS4pairIiiEELb0EEEZNS1_14transform_implILb0ES3_S9_PS8_NS6_6detail15normal_iteratorINS6_10device_ptrIS8_EEEENS0_8identityIS8_EEEE10hipError_tT2_T3_mT4_P12ihipStream_tbEUlT_E_NS1_11comp_targetILNS1_3genE9ELNS1_11target_archE1100ELNS1_3gpuE3ELNS1_3repE0EEENS1_30default_config_static_selectorELNS0_4arch9wavefront6targetE1EEEvT1_.num_named_barrier, 0
	.set _ZN7rocprim17ROCPRIM_400000_NS6detail17trampoline_kernelINS0_14default_configENS1_25transform_config_selectorIN6thrust23THRUST_200600_302600_NS4pairIiiEELb0EEEZNS1_14transform_implILb0ES3_S9_PS8_NS6_6detail15normal_iteratorINS6_10device_ptrIS8_EEEENS0_8identityIS8_EEEE10hipError_tT2_T3_mT4_P12ihipStream_tbEUlT_E_NS1_11comp_targetILNS1_3genE9ELNS1_11target_archE1100ELNS1_3gpuE3ELNS1_3repE0EEENS1_30default_config_static_selectorELNS0_4arch9wavefront6targetE1EEEvT1_.private_seg_size, 0
	.set _ZN7rocprim17ROCPRIM_400000_NS6detail17trampoline_kernelINS0_14default_configENS1_25transform_config_selectorIN6thrust23THRUST_200600_302600_NS4pairIiiEELb0EEEZNS1_14transform_implILb0ES3_S9_PS8_NS6_6detail15normal_iteratorINS6_10device_ptrIS8_EEEENS0_8identityIS8_EEEE10hipError_tT2_T3_mT4_P12ihipStream_tbEUlT_E_NS1_11comp_targetILNS1_3genE9ELNS1_11target_archE1100ELNS1_3gpuE3ELNS1_3repE0EEENS1_30default_config_static_selectorELNS0_4arch9wavefront6targetE1EEEvT1_.uses_vcc, 0
	.set _ZN7rocprim17ROCPRIM_400000_NS6detail17trampoline_kernelINS0_14default_configENS1_25transform_config_selectorIN6thrust23THRUST_200600_302600_NS4pairIiiEELb0EEEZNS1_14transform_implILb0ES3_S9_PS8_NS6_6detail15normal_iteratorINS6_10device_ptrIS8_EEEENS0_8identityIS8_EEEE10hipError_tT2_T3_mT4_P12ihipStream_tbEUlT_E_NS1_11comp_targetILNS1_3genE9ELNS1_11target_archE1100ELNS1_3gpuE3ELNS1_3repE0EEENS1_30default_config_static_selectorELNS0_4arch9wavefront6targetE1EEEvT1_.uses_flat_scratch, 0
	.set _ZN7rocprim17ROCPRIM_400000_NS6detail17trampoline_kernelINS0_14default_configENS1_25transform_config_selectorIN6thrust23THRUST_200600_302600_NS4pairIiiEELb0EEEZNS1_14transform_implILb0ES3_S9_PS8_NS6_6detail15normal_iteratorINS6_10device_ptrIS8_EEEENS0_8identityIS8_EEEE10hipError_tT2_T3_mT4_P12ihipStream_tbEUlT_E_NS1_11comp_targetILNS1_3genE9ELNS1_11target_archE1100ELNS1_3gpuE3ELNS1_3repE0EEENS1_30default_config_static_selectorELNS0_4arch9wavefront6targetE1EEEvT1_.has_dyn_sized_stack, 0
	.set _ZN7rocprim17ROCPRIM_400000_NS6detail17trampoline_kernelINS0_14default_configENS1_25transform_config_selectorIN6thrust23THRUST_200600_302600_NS4pairIiiEELb0EEEZNS1_14transform_implILb0ES3_S9_PS8_NS6_6detail15normal_iteratorINS6_10device_ptrIS8_EEEENS0_8identityIS8_EEEE10hipError_tT2_T3_mT4_P12ihipStream_tbEUlT_E_NS1_11comp_targetILNS1_3genE9ELNS1_11target_archE1100ELNS1_3gpuE3ELNS1_3repE0EEENS1_30default_config_static_selectorELNS0_4arch9wavefront6targetE1EEEvT1_.has_recursion, 0
	.set _ZN7rocprim17ROCPRIM_400000_NS6detail17trampoline_kernelINS0_14default_configENS1_25transform_config_selectorIN6thrust23THRUST_200600_302600_NS4pairIiiEELb0EEEZNS1_14transform_implILb0ES3_S9_PS8_NS6_6detail15normal_iteratorINS6_10device_ptrIS8_EEEENS0_8identityIS8_EEEE10hipError_tT2_T3_mT4_P12ihipStream_tbEUlT_E_NS1_11comp_targetILNS1_3genE9ELNS1_11target_archE1100ELNS1_3gpuE3ELNS1_3repE0EEENS1_30default_config_static_selectorELNS0_4arch9wavefront6targetE1EEEvT1_.has_indirect_call, 0
	.section	.AMDGPU.csdata,"",@progbits
; Kernel info:
; codeLenInByte = 0
; TotalNumSgprs: 6
; NumVgprs: 0
; NumAgprs: 0
; TotalNumVgprs: 0
; ScratchSize: 0
; MemoryBound: 0
; FloatMode: 240
; IeeeMode: 1
; LDSByteSize: 0 bytes/workgroup (compile time only)
; SGPRBlocks: 0
; VGPRBlocks: 0
; NumSGPRsForWavesPerEU: 6
; NumVGPRsForWavesPerEU: 1
; AccumOffset: 4
; Occupancy: 8
; WaveLimiterHint : 0
; COMPUTE_PGM_RSRC2:SCRATCH_EN: 0
; COMPUTE_PGM_RSRC2:USER_SGPR: 2
; COMPUTE_PGM_RSRC2:TRAP_HANDLER: 0
; COMPUTE_PGM_RSRC2:TGID_X_EN: 1
; COMPUTE_PGM_RSRC2:TGID_Y_EN: 0
; COMPUTE_PGM_RSRC2:TGID_Z_EN: 0
; COMPUTE_PGM_RSRC2:TIDIG_COMP_CNT: 0
; COMPUTE_PGM_RSRC3_GFX90A:ACCUM_OFFSET: 0
; COMPUTE_PGM_RSRC3_GFX90A:TG_SPLIT: 0
	.section	.text._ZN7rocprim17ROCPRIM_400000_NS6detail17trampoline_kernelINS0_14default_configENS1_25transform_config_selectorIN6thrust23THRUST_200600_302600_NS4pairIiiEELb0EEEZNS1_14transform_implILb0ES3_S9_PS8_NS6_6detail15normal_iteratorINS6_10device_ptrIS8_EEEENS0_8identityIS8_EEEE10hipError_tT2_T3_mT4_P12ihipStream_tbEUlT_E_NS1_11comp_targetILNS1_3genE8ELNS1_11target_archE1030ELNS1_3gpuE2ELNS1_3repE0EEENS1_30default_config_static_selectorELNS0_4arch9wavefront6targetE1EEEvT1_,"axG",@progbits,_ZN7rocprim17ROCPRIM_400000_NS6detail17trampoline_kernelINS0_14default_configENS1_25transform_config_selectorIN6thrust23THRUST_200600_302600_NS4pairIiiEELb0EEEZNS1_14transform_implILb0ES3_S9_PS8_NS6_6detail15normal_iteratorINS6_10device_ptrIS8_EEEENS0_8identityIS8_EEEE10hipError_tT2_T3_mT4_P12ihipStream_tbEUlT_E_NS1_11comp_targetILNS1_3genE8ELNS1_11target_archE1030ELNS1_3gpuE2ELNS1_3repE0EEENS1_30default_config_static_selectorELNS0_4arch9wavefront6targetE1EEEvT1_,comdat
	.protected	_ZN7rocprim17ROCPRIM_400000_NS6detail17trampoline_kernelINS0_14default_configENS1_25transform_config_selectorIN6thrust23THRUST_200600_302600_NS4pairIiiEELb0EEEZNS1_14transform_implILb0ES3_S9_PS8_NS6_6detail15normal_iteratorINS6_10device_ptrIS8_EEEENS0_8identityIS8_EEEE10hipError_tT2_T3_mT4_P12ihipStream_tbEUlT_E_NS1_11comp_targetILNS1_3genE8ELNS1_11target_archE1030ELNS1_3gpuE2ELNS1_3repE0EEENS1_30default_config_static_selectorELNS0_4arch9wavefront6targetE1EEEvT1_ ; -- Begin function _ZN7rocprim17ROCPRIM_400000_NS6detail17trampoline_kernelINS0_14default_configENS1_25transform_config_selectorIN6thrust23THRUST_200600_302600_NS4pairIiiEELb0EEEZNS1_14transform_implILb0ES3_S9_PS8_NS6_6detail15normal_iteratorINS6_10device_ptrIS8_EEEENS0_8identityIS8_EEEE10hipError_tT2_T3_mT4_P12ihipStream_tbEUlT_E_NS1_11comp_targetILNS1_3genE8ELNS1_11target_archE1030ELNS1_3gpuE2ELNS1_3repE0EEENS1_30default_config_static_selectorELNS0_4arch9wavefront6targetE1EEEvT1_
	.globl	_ZN7rocprim17ROCPRIM_400000_NS6detail17trampoline_kernelINS0_14default_configENS1_25transform_config_selectorIN6thrust23THRUST_200600_302600_NS4pairIiiEELb0EEEZNS1_14transform_implILb0ES3_S9_PS8_NS6_6detail15normal_iteratorINS6_10device_ptrIS8_EEEENS0_8identityIS8_EEEE10hipError_tT2_T3_mT4_P12ihipStream_tbEUlT_E_NS1_11comp_targetILNS1_3genE8ELNS1_11target_archE1030ELNS1_3gpuE2ELNS1_3repE0EEENS1_30default_config_static_selectorELNS0_4arch9wavefront6targetE1EEEvT1_
	.p2align	8
	.type	_ZN7rocprim17ROCPRIM_400000_NS6detail17trampoline_kernelINS0_14default_configENS1_25transform_config_selectorIN6thrust23THRUST_200600_302600_NS4pairIiiEELb0EEEZNS1_14transform_implILb0ES3_S9_PS8_NS6_6detail15normal_iteratorINS6_10device_ptrIS8_EEEENS0_8identityIS8_EEEE10hipError_tT2_T3_mT4_P12ihipStream_tbEUlT_E_NS1_11comp_targetILNS1_3genE8ELNS1_11target_archE1030ELNS1_3gpuE2ELNS1_3repE0EEENS1_30default_config_static_selectorELNS0_4arch9wavefront6targetE1EEEvT1_,@function
_ZN7rocprim17ROCPRIM_400000_NS6detail17trampoline_kernelINS0_14default_configENS1_25transform_config_selectorIN6thrust23THRUST_200600_302600_NS4pairIiiEELb0EEEZNS1_14transform_implILb0ES3_S9_PS8_NS6_6detail15normal_iteratorINS6_10device_ptrIS8_EEEENS0_8identityIS8_EEEE10hipError_tT2_T3_mT4_P12ihipStream_tbEUlT_E_NS1_11comp_targetILNS1_3genE8ELNS1_11target_archE1030ELNS1_3gpuE2ELNS1_3repE0EEENS1_30default_config_static_selectorELNS0_4arch9wavefront6targetE1EEEvT1_: ; @_ZN7rocprim17ROCPRIM_400000_NS6detail17trampoline_kernelINS0_14default_configENS1_25transform_config_selectorIN6thrust23THRUST_200600_302600_NS4pairIiiEELb0EEEZNS1_14transform_implILb0ES3_S9_PS8_NS6_6detail15normal_iteratorINS6_10device_ptrIS8_EEEENS0_8identityIS8_EEEE10hipError_tT2_T3_mT4_P12ihipStream_tbEUlT_E_NS1_11comp_targetILNS1_3genE8ELNS1_11target_archE1030ELNS1_3gpuE2ELNS1_3repE0EEENS1_30default_config_static_selectorELNS0_4arch9wavefront6targetE1EEEvT1_
; %bb.0:
	.section	.rodata,"a",@progbits
	.p2align	6, 0x0
	.amdhsa_kernel _ZN7rocprim17ROCPRIM_400000_NS6detail17trampoline_kernelINS0_14default_configENS1_25transform_config_selectorIN6thrust23THRUST_200600_302600_NS4pairIiiEELb0EEEZNS1_14transform_implILb0ES3_S9_PS8_NS6_6detail15normal_iteratorINS6_10device_ptrIS8_EEEENS0_8identityIS8_EEEE10hipError_tT2_T3_mT4_P12ihipStream_tbEUlT_E_NS1_11comp_targetILNS1_3genE8ELNS1_11target_archE1030ELNS1_3gpuE2ELNS1_3repE0EEENS1_30default_config_static_selectorELNS0_4arch9wavefront6targetE1EEEvT1_
		.amdhsa_group_segment_fixed_size 0
		.amdhsa_private_segment_fixed_size 0
		.amdhsa_kernarg_size 40
		.amdhsa_user_sgpr_count 2
		.amdhsa_user_sgpr_dispatch_ptr 0
		.amdhsa_user_sgpr_queue_ptr 0
		.amdhsa_user_sgpr_kernarg_segment_ptr 1
		.amdhsa_user_sgpr_dispatch_id 0
		.amdhsa_user_sgpr_kernarg_preload_length 0
		.amdhsa_user_sgpr_kernarg_preload_offset 0
		.amdhsa_user_sgpr_private_segment_size 0
		.amdhsa_uses_dynamic_stack 0
		.amdhsa_enable_private_segment 0
		.amdhsa_system_sgpr_workgroup_id_x 1
		.amdhsa_system_sgpr_workgroup_id_y 0
		.amdhsa_system_sgpr_workgroup_id_z 0
		.amdhsa_system_sgpr_workgroup_info 0
		.amdhsa_system_vgpr_workitem_id 0
		.amdhsa_next_free_vgpr 1
		.amdhsa_next_free_sgpr 0
		.amdhsa_accum_offset 4
		.amdhsa_reserve_vcc 0
		.amdhsa_float_round_mode_32 0
		.amdhsa_float_round_mode_16_64 0
		.amdhsa_float_denorm_mode_32 3
		.amdhsa_float_denorm_mode_16_64 3
		.amdhsa_dx10_clamp 1
		.amdhsa_ieee_mode 1
		.amdhsa_fp16_overflow 0
		.amdhsa_tg_split 0
		.amdhsa_exception_fp_ieee_invalid_op 0
		.amdhsa_exception_fp_denorm_src 0
		.amdhsa_exception_fp_ieee_div_zero 0
		.amdhsa_exception_fp_ieee_overflow 0
		.amdhsa_exception_fp_ieee_underflow 0
		.amdhsa_exception_fp_ieee_inexact 0
		.amdhsa_exception_int_div_zero 0
	.end_amdhsa_kernel
	.section	.text._ZN7rocprim17ROCPRIM_400000_NS6detail17trampoline_kernelINS0_14default_configENS1_25transform_config_selectorIN6thrust23THRUST_200600_302600_NS4pairIiiEELb0EEEZNS1_14transform_implILb0ES3_S9_PS8_NS6_6detail15normal_iteratorINS6_10device_ptrIS8_EEEENS0_8identityIS8_EEEE10hipError_tT2_T3_mT4_P12ihipStream_tbEUlT_E_NS1_11comp_targetILNS1_3genE8ELNS1_11target_archE1030ELNS1_3gpuE2ELNS1_3repE0EEENS1_30default_config_static_selectorELNS0_4arch9wavefront6targetE1EEEvT1_,"axG",@progbits,_ZN7rocprim17ROCPRIM_400000_NS6detail17trampoline_kernelINS0_14default_configENS1_25transform_config_selectorIN6thrust23THRUST_200600_302600_NS4pairIiiEELb0EEEZNS1_14transform_implILb0ES3_S9_PS8_NS6_6detail15normal_iteratorINS6_10device_ptrIS8_EEEENS0_8identityIS8_EEEE10hipError_tT2_T3_mT4_P12ihipStream_tbEUlT_E_NS1_11comp_targetILNS1_3genE8ELNS1_11target_archE1030ELNS1_3gpuE2ELNS1_3repE0EEENS1_30default_config_static_selectorELNS0_4arch9wavefront6targetE1EEEvT1_,comdat
.Lfunc_end689:
	.size	_ZN7rocprim17ROCPRIM_400000_NS6detail17trampoline_kernelINS0_14default_configENS1_25transform_config_selectorIN6thrust23THRUST_200600_302600_NS4pairIiiEELb0EEEZNS1_14transform_implILb0ES3_S9_PS8_NS6_6detail15normal_iteratorINS6_10device_ptrIS8_EEEENS0_8identityIS8_EEEE10hipError_tT2_T3_mT4_P12ihipStream_tbEUlT_E_NS1_11comp_targetILNS1_3genE8ELNS1_11target_archE1030ELNS1_3gpuE2ELNS1_3repE0EEENS1_30default_config_static_selectorELNS0_4arch9wavefront6targetE1EEEvT1_, .Lfunc_end689-_ZN7rocprim17ROCPRIM_400000_NS6detail17trampoline_kernelINS0_14default_configENS1_25transform_config_selectorIN6thrust23THRUST_200600_302600_NS4pairIiiEELb0EEEZNS1_14transform_implILb0ES3_S9_PS8_NS6_6detail15normal_iteratorINS6_10device_ptrIS8_EEEENS0_8identityIS8_EEEE10hipError_tT2_T3_mT4_P12ihipStream_tbEUlT_E_NS1_11comp_targetILNS1_3genE8ELNS1_11target_archE1030ELNS1_3gpuE2ELNS1_3repE0EEENS1_30default_config_static_selectorELNS0_4arch9wavefront6targetE1EEEvT1_
                                        ; -- End function
	.set _ZN7rocprim17ROCPRIM_400000_NS6detail17trampoline_kernelINS0_14default_configENS1_25transform_config_selectorIN6thrust23THRUST_200600_302600_NS4pairIiiEELb0EEEZNS1_14transform_implILb0ES3_S9_PS8_NS6_6detail15normal_iteratorINS6_10device_ptrIS8_EEEENS0_8identityIS8_EEEE10hipError_tT2_T3_mT4_P12ihipStream_tbEUlT_E_NS1_11comp_targetILNS1_3genE8ELNS1_11target_archE1030ELNS1_3gpuE2ELNS1_3repE0EEENS1_30default_config_static_selectorELNS0_4arch9wavefront6targetE1EEEvT1_.num_vgpr, 0
	.set _ZN7rocprim17ROCPRIM_400000_NS6detail17trampoline_kernelINS0_14default_configENS1_25transform_config_selectorIN6thrust23THRUST_200600_302600_NS4pairIiiEELb0EEEZNS1_14transform_implILb0ES3_S9_PS8_NS6_6detail15normal_iteratorINS6_10device_ptrIS8_EEEENS0_8identityIS8_EEEE10hipError_tT2_T3_mT4_P12ihipStream_tbEUlT_E_NS1_11comp_targetILNS1_3genE8ELNS1_11target_archE1030ELNS1_3gpuE2ELNS1_3repE0EEENS1_30default_config_static_selectorELNS0_4arch9wavefront6targetE1EEEvT1_.num_agpr, 0
	.set _ZN7rocprim17ROCPRIM_400000_NS6detail17trampoline_kernelINS0_14default_configENS1_25transform_config_selectorIN6thrust23THRUST_200600_302600_NS4pairIiiEELb0EEEZNS1_14transform_implILb0ES3_S9_PS8_NS6_6detail15normal_iteratorINS6_10device_ptrIS8_EEEENS0_8identityIS8_EEEE10hipError_tT2_T3_mT4_P12ihipStream_tbEUlT_E_NS1_11comp_targetILNS1_3genE8ELNS1_11target_archE1030ELNS1_3gpuE2ELNS1_3repE0EEENS1_30default_config_static_selectorELNS0_4arch9wavefront6targetE1EEEvT1_.numbered_sgpr, 0
	.set _ZN7rocprim17ROCPRIM_400000_NS6detail17trampoline_kernelINS0_14default_configENS1_25transform_config_selectorIN6thrust23THRUST_200600_302600_NS4pairIiiEELb0EEEZNS1_14transform_implILb0ES3_S9_PS8_NS6_6detail15normal_iteratorINS6_10device_ptrIS8_EEEENS0_8identityIS8_EEEE10hipError_tT2_T3_mT4_P12ihipStream_tbEUlT_E_NS1_11comp_targetILNS1_3genE8ELNS1_11target_archE1030ELNS1_3gpuE2ELNS1_3repE0EEENS1_30default_config_static_selectorELNS0_4arch9wavefront6targetE1EEEvT1_.num_named_barrier, 0
	.set _ZN7rocprim17ROCPRIM_400000_NS6detail17trampoline_kernelINS0_14default_configENS1_25transform_config_selectorIN6thrust23THRUST_200600_302600_NS4pairIiiEELb0EEEZNS1_14transform_implILb0ES3_S9_PS8_NS6_6detail15normal_iteratorINS6_10device_ptrIS8_EEEENS0_8identityIS8_EEEE10hipError_tT2_T3_mT4_P12ihipStream_tbEUlT_E_NS1_11comp_targetILNS1_3genE8ELNS1_11target_archE1030ELNS1_3gpuE2ELNS1_3repE0EEENS1_30default_config_static_selectorELNS0_4arch9wavefront6targetE1EEEvT1_.private_seg_size, 0
	.set _ZN7rocprim17ROCPRIM_400000_NS6detail17trampoline_kernelINS0_14default_configENS1_25transform_config_selectorIN6thrust23THRUST_200600_302600_NS4pairIiiEELb0EEEZNS1_14transform_implILb0ES3_S9_PS8_NS6_6detail15normal_iteratorINS6_10device_ptrIS8_EEEENS0_8identityIS8_EEEE10hipError_tT2_T3_mT4_P12ihipStream_tbEUlT_E_NS1_11comp_targetILNS1_3genE8ELNS1_11target_archE1030ELNS1_3gpuE2ELNS1_3repE0EEENS1_30default_config_static_selectorELNS0_4arch9wavefront6targetE1EEEvT1_.uses_vcc, 0
	.set _ZN7rocprim17ROCPRIM_400000_NS6detail17trampoline_kernelINS0_14default_configENS1_25transform_config_selectorIN6thrust23THRUST_200600_302600_NS4pairIiiEELb0EEEZNS1_14transform_implILb0ES3_S9_PS8_NS6_6detail15normal_iteratorINS6_10device_ptrIS8_EEEENS0_8identityIS8_EEEE10hipError_tT2_T3_mT4_P12ihipStream_tbEUlT_E_NS1_11comp_targetILNS1_3genE8ELNS1_11target_archE1030ELNS1_3gpuE2ELNS1_3repE0EEENS1_30default_config_static_selectorELNS0_4arch9wavefront6targetE1EEEvT1_.uses_flat_scratch, 0
	.set _ZN7rocprim17ROCPRIM_400000_NS6detail17trampoline_kernelINS0_14default_configENS1_25transform_config_selectorIN6thrust23THRUST_200600_302600_NS4pairIiiEELb0EEEZNS1_14transform_implILb0ES3_S9_PS8_NS6_6detail15normal_iteratorINS6_10device_ptrIS8_EEEENS0_8identityIS8_EEEE10hipError_tT2_T3_mT4_P12ihipStream_tbEUlT_E_NS1_11comp_targetILNS1_3genE8ELNS1_11target_archE1030ELNS1_3gpuE2ELNS1_3repE0EEENS1_30default_config_static_selectorELNS0_4arch9wavefront6targetE1EEEvT1_.has_dyn_sized_stack, 0
	.set _ZN7rocprim17ROCPRIM_400000_NS6detail17trampoline_kernelINS0_14default_configENS1_25transform_config_selectorIN6thrust23THRUST_200600_302600_NS4pairIiiEELb0EEEZNS1_14transform_implILb0ES3_S9_PS8_NS6_6detail15normal_iteratorINS6_10device_ptrIS8_EEEENS0_8identityIS8_EEEE10hipError_tT2_T3_mT4_P12ihipStream_tbEUlT_E_NS1_11comp_targetILNS1_3genE8ELNS1_11target_archE1030ELNS1_3gpuE2ELNS1_3repE0EEENS1_30default_config_static_selectorELNS0_4arch9wavefront6targetE1EEEvT1_.has_recursion, 0
	.set _ZN7rocprim17ROCPRIM_400000_NS6detail17trampoline_kernelINS0_14default_configENS1_25transform_config_selectorIN6thrust23THRUST_200600_302600_NS4pairIiiEELb0EEEZNS1_14transform_implILb0ES3_S9_PS8_NS6_6detail15normal_iteratorINS6_10device_ptrIS8_EEEENS0_8identityIS8_EEEE10hipError_tT2_T3_mT4_P12ihipStream_tbEUlT_E_NS1_11comp_targetILNS1_3genE8ELNS1_11target_archE1030ELNS1_3gpuE2ELNS1_3repE0EEENS1_30default_config_static_selectorELNS0_4arch9wavefront6targetE1EEEvT1_.has_indirect_call, 0
	.section	.AMDGPU.csdata,"",@progbits
; Kernel info:
; codeLenInByte = 0
; TotalNumSgprs: 6
; NumVgprs: 0
; NumAgprs: 0
; TotalNumVgprs: 0
; ScratchSize: 0
; MemoryBound: 0
; FloatMode: 240
; IeeeMode: 1
; LDSByteSize: 0 bytes/workgroup (compile time only)
; SGPRBlocks: 0
; VGPRBlocks: 0
; NumSGPRsForWavesPerEU: 6
; NumVGPRsForWavesPerEU: 1
; AccumOffset: 4
; Occupancy: 8
; WaveLimiterHint : 0
; COMPUTE_PGM_RSRC2:SCRATCH_EN: 0
; COMPUTE_PGM_RSRC2:USER_SGPR: 2
; COMPUTE_PGM_RSRC2:TRAP_HANDLER: 0
; COMPUTE_PGM_RSRC2:TGID_X_EN: 1
; COMPUTE_PGM_RSRC2:TGID_Y_EN: 0
; COMPUTE_PGM_RSRC2:TGID_Z_EN: 0
; COMPUTE_PGM_RSRC2:TIDIG_COMP_CNT: 0
; COMPUTE_PGM_RSRC3_GFX90A:ACCUM_OFFSET: 0
; COMPUTE_PGM_RSRC3_GFX90A:TG_SPLIT: 0
	.section	.text._ZN7rocprim17ROCPRIM_400000_NS6detail17trampoline_kernelINS0_13kernel_configILj256ELj4ELj4294967295EEENS1_37radix_sort_block_sort_config_selectorIiiEEZNS1_21radix_sort_block_sortIS4_Lb0EN6thrust23THRUST_200600_302600_NS6detail15normal_iteratorINS9_10device_ptrIiEEEESE_SE_SE_NS0_19identity_decomposerEEE10hipError_tT1_T2_T3_T4_jRjT5_jjP12ihipStream_tbEUlT_E_NS1_11comp_targetILNS1_3genE0ELNS1_11target_archE4294967295ELNS1_3gpuE0ELNS1_3repE0EEENS1_44radix_sort_block_sort_config_static_selectorELNS0_4arch9wavefront6targetE1EEEvSH_,"axG",@progbits,_ZN7rocprim17ROCPRIM_400000_NS6detail17trampoline_kernelINS0_13kernel_configILj256ELj4ELj4294967295EEENS1_37radix_sort_block_sort_config_selectorIiiEEZNS1_21radix_sort_block_sortIS4_Lb0EN6thrust23THRUST_200600_302600_NS6detail15normal_iteratorINS9_10device_ptrIiEEEESE_SE_SE_NS0_19identity_decomposerEEE10hipError_tT1_T2_T3_T4_jRjT5_jjP12ihipStream_tbEUlT_E_NS1_11comp_targetILNS1_3genE0ELNS1_11target_archE4294967295ELNS1_3gpuE0ELNS1_3repE0EEENS1_44radix_sort_block_sort_config_static_selectorELNS0_4arch9wavefront6targetE1EEEvSH_,comdat
	.protected	_ZN7rocprim17ROCPRIM_400000_NS6detail17trampoline_kernelINS0_13kernel_configILj256ELj4ELj4294967295EEENS1_37radix_sort_block_sort_config_selectorIiiEEZNS1_21radix_sort_block_sortIS4_Lb0EN6thrust23THRUST_200600_302600_NS6detail15normal_iteratorINS9_10device_ptrIiEEEESE_SE_SE_NS0_19identity_decomposerEEE10hipError_tT1_T2_T3_T4_jRjT5_jjP12ihipStream_tbEUlT_E_NS1_11comp_targetILNS1_3genE0ELNS1_11target_archE4294967295ELNS1_3gpuE0ELNS1_3repE0EEENS1_44radix_sort_block_sort_config_static_selectorELNS0_4arch9wavefront6targetE1EEEvSH_ ; -- Begin function _ZN7rocprim17ROCPRIM_400000_NS6detail17trampoline_kernelINS0_13kernel_configILj256ELj4ELj4294967295EEENS1_37radix_sort_block_sort_config_selectorIiiEEZNS1_21radix_sort_block_sortIS4_Lb0EN6thrust23THRUST_200600_302600_NS6detail15normal_iteratorINS9_10device_ptrIiEEEESE_SE_SE_NS0_19identity_decomposerEEE10hipError_tT1_T2_T3_T4_jRjT5_jjP12ihipStream_tbEUlT_E_NS1_11comp_targetILNS1_3genE0ELNS1_11target_archE4294967295ELNS1_3gpuE0ELNS1_3repE0EEENS1_44radix_sort_block_sort_config_static_selectorELNS0_4arch9wavefront6targetE1EEEvSH_
	.globl	_ZN7rocprim17ROCPRIM_400000_NS6detail17trampoline_kernelINS0_13kernel_configILj256ELj4ELj4294967295EEENS1_37radix_sort_block_sort_config_selectorIiiEEZNS1_21radix_sort_block_sortIS4_Lb0EN6thrust23THRUST_200600_302600_NS6detail15normal_iteratorINS9_10device_ptrIiEEEESE_SE_SE_NS0_19identity_decomposerEEE10hipError_tT1_T2_T3_T4_jRjT5_jjP12ihipStream_tbEUlT_E_NS1_11comp_targetILNS1_3genE0ELNS1_11target_archE4294967295ELNS1_3gpuE0ELNS1_3repE0EEENS1_44radix_sort_block_sort_config_static_selectorELNS0_4arch9wavefront6targetE1EEEvSH_
	.p2align	8
	.type	_ZN7rocprim17ROCPRIM_400000_NS6detail17trampoline_kernelINS0_13kernel_configILj256ELj4ELj4294967295EEENS1_37radix_sort_block_sort_config_selectorIiiEEZNS1_21radix_sort_block_sortIS4_Lb0EN6thrust23THRUST_200600_302600_NS6detail15normal_iteratorINS9_10device_ptrIiEEEESE_SE_SE_NS0_19identity_decomposerEEE10hipError_tT1_T2_T3_T4_jRjT5_jjP12ihipStream_tbEUlT_E_NS1_11comp_targetILNS1_3genE0ELNS1_11target_archE4294967295ELNS1_3gpuE0ELNS1_3repE0EEENS1_44radix_sort_block_sort_config_static_selectorELNS0_4arch9wavefront6targetE1EEEvSH_,@function
_ZN7rocprim17ROCPRIM_400000_NS6detail17trampoline_kernelINS0_13kernel_configILj256ELj4ELj4294967295EEENS1_37radix_sort_block_sort_config_selectorIiiEEZNS1_21radix_sort_block_sortIS4_Lb0EN6thrust23THRUST_200600_302600_NS6detail15normal_iteratorINS9_10device_ptrIiEEEESE_SE_SE_NS0_19identity_decomposerEEE10hipError_tT1_T2_T3_T4_jRjT5_jjP12ihipStream_tbEUlT_E_NS1_11comp_targetILNS1_3genE0ELNS1_11target_archE4294967295ELNS1_3gpuE0ELNS1_3repE0EEENS1_44radix_sort_block_sort_config_static_selectorELNS0_4arch9wavefront6targetE1EEEvSH_: ; @_ZN7rocprim17ROCPRIM_400000_NS6detail17trampoline_kernelINS0_13kernel_configILj256ELj4ELj4294967295EEENS1_37radix_sort_block_sort_config_selectorIiiEEZNS1_21radix_sort_block_sortIS4_Lb0EN6thrust23THRUST_200600_302600_NS6detail15normal_iteratorINS9_10device_ptrIiEEEESE_SE_SE_NS0_19identity_decomposerEEE10hipError_tT1_T2_T3_T4_jRjT5_jjP12ihipStream_tbEUlT_E_NS1_11comp_targetILNS1_3genE0ELNS1_11target_archE4294967295ELNS1_3gpuE0ELNS1_3repE0EEENS1_44radix_sort_block_sort_config_static_selectorELNS0_4arch9wavefront6targetE1EEEvSH_
; %bb.0:
	s_load_dword s8, s[0:1], 0x20
	s_load_dwordx8 s[36:43], s[0:1], 0x0
	s_lshl_b32 s4, s2, 10
	s_mov_b32 s5, 0
	v_mbcnt_lo_u32_b32 v1, -1, 0
	s_waitcnt lgkmcnt(0)
	s_lshr_b32 s3, s8, 10
	s_cmp_lg_u32 s2, s3
	v_and_b32_e32 v10, 0x3ff, v0
	s_cselect_b64 s[30:31], -1, 0
	s_lshl_b64 s[28:29], s[4:5], 2
	v_mbcnt_hi_u32_b32 v16, -1, v1
	s_add_u32 s6, s36, s28
	v_and_b32_e32 v1, 63, v16
	v_lshlrev_b32_e32 v8, 2, v10
	s_addc_u32 s7, s37, s29
	v_and_b32_e32 v9, 0x300, v8
	v_mov_b32_e32 v13, 0
	v_lshlrev_b32_e32 v12, 2, v1
	v_lshl_add_u64 v[2:3], s[6:7], 0, v[12:13]
	v_lshlrev_b32_e32 v6, 2, v9
	v_mov_b32_e32 v7, v13
	s_cmp_eq_u32 s2, s3
	v_lshl_add_u64 v[14:15], v[2:3], 0, v[6:7]
	s_cbranch_scc1 .LBB690_2
; %bb.1:
	s_add_u32 s2, s40, s28
	s_addc_u32 s3, s41, s29
	v_lshl_add_u64 v[18:19], s[2:3], 0, v[12:13]
	global_load_dword v2, v[14:15], off
	global_load_dword v3, v[14:15], off offset:256
	global_load_dword v4, v[14:15], off offset:512
	;; [unrolled: 1-line block ×3, first 2 shown]
	v_lshl_add_u64 v[18:19], v[18:19], 0, v[6:7]
	global_load_dword v30, v[18:19], off
	global_load_dword v31, v[18:19], off offset:256
	global_load_dword v32, v[18:19], off offset:512
	s_mov_b64 s[6:7], -1
	s_load_dwordx2 s[34:35], s[0:1], 0x28
	s_sub_i32 s33, s8, s4
	s_cbranch_execz .LBB690_3
	s_branch .LBB690_16
.LBB690_2:
	s_mov_b64 s[6:7], 0
                                        ; implicit-def: $vgpr2_vgpr3_vgpr4_vgpr5
                                        ; implicit-def: $vgpr30_vgpr31_vgpr32_vgpr33
	s_load_dwordx2 s[34:35], s[0:1], 0x28
	s_sub_i32 s33, s8, s4
.LBB690_3:
	v_or_b32_e32 v7, v1, v9
	s_waitcnt vmcnt(6)
	v_bfrev_b32_e32 v2, -2
	v_cmp_gt_u32_e32 vcc, s33, v7
	s_waitcnt vmcnt(5)
	v_mov_b32_e32 v3, v2
	s_waitcnt vmcnt(4)
	v_mov_b32_e32 v4, v2
	;; [unrolled: 2-line block ×3, first 2 shown]
	s_and_saveexec_b64 s[2:3], vcc
	s_cbranch_execz .LBB690_5
; %bb.4:
	global_load_dword v18, v[14:15], off
	v_mov_b32_e32 v19, v2
	v_mov_b32_e32 v20, v2
	;; [unrolled: 1-line block ×3, first 2 shown]
	s_waitcnt vmcnt(0)
	v_mov_b64_e32 v[2:3], v[18:19]
	v_mov_b64_e32 v[4:5], v[20:21]
.LBB690_5:
	s_or_b64 exec, exec, s[2:3]
	v_or_b32_e32 v9, 64, v7
	v_cmp_gt_u32_e64 s[2:3], s33, v9
	s_and_saveexec_b64 s[4:5], s[2:3]
	s_cbranch_execz .LBB690_7
; %bb.6:
	global_load_dword v3, v[14:15], off offset:256
.LBB690_7:
	s_or_b64 exec, exec, s[4:5]
	v_or_b32_e32 v9, 0x80, v7
	v_cmp_gt_u32_e64 s[4:5], s33, v9
	s_and_saveexec_b64 s[6:7], s[4:5]
	s_cbranch_execz .LBB690_9
; %bb.8:
	global_load_dword v4, v[14:15], off offset:512
.LBB690_9:
	;; [unrolled: 8-line block ×3, first 2 shown]
	s_or_b64 exec, exec, s[8:9]
	s_add_u32 s8, s40, s28
	s_addc_u32 s9, s41, s29
	v_mov_b32_e32 v13, 0
	v_lshl_add_u64 v[14:15], s[8:9], 0, v[12:13]
	v_mov_b32_e32 v7, v13
	v_lshl_add_u64 v[14:15], v[14:15], 0, v[6:7]
	s_waitcnt vmcnt(2)
	v_mov_b32_e32 v30, v13
	s_waitcnt vmcnt(1)
	v_mov_b32_e32 v31, v13
	s_waitcnt vmcnt(0)
	v_mov_b32_e32 v32, v13
	v_mov_b32_e32 v33, v13
	s_and_saveexec_b64 s[8:9], vcc
	s_cbranch_execnz .LBB690_55
; %bb.12:
	s_or_b64 exec, exec, s[8:9]
	s_and_saveexec_b64 s[8:9], s[2:3]
	s_cbranch_execnz .LBB690_56
.LBB690_13:
	s_or_b64 exec, exec, s[8:9]
	s_and_saveexec_b64 s[2:3], s[4:5]
	s_cbranch_execz .LBB690_15
.LBB690_14:
	global_load_dword v32, v[14:15], off offset:512
.LBB690_15:
	s_or_b64 exec, exec, s[2:3]
.LBB690_16:
	s_and_saveexec_b64 s[2:3], s[6:7]
	s_cbranch_execz .LBB690_18
; %bb.17:
	s_add_u32 s4, s40, s28
	s_addc_u32 s5, s41, s29
	v_mov_b32_e32 v13, 0
	v_lshl_add_u64 v[14:15], s[4:5], 0, v[12:13]
	v_mov_b32_e32 v7, v13
	v_lshl_add_u64 v[12:13], v[14:15], 0, v[6:7]
	global_load_dword v33, v[12:13], off offset:768
.LBB690_18:
	s_or_b64 exec, exec, s[2:3]
	s_load_dword s2, s[0:1], 0x3c
	s_waitcnt lgkmcnt(0)
	s_add_i32 s36, s35, s34
	s_getpc_b64 s[0:1]
	s_add_u32 s0, s0, _ZN7rocprim17ROCPRIM_400000_NS16block_radix_sortIiLj256ELj4EiLj1ELj1ELj0ELNS0_26block_radix_rank_algorithmE1ELNS0_18block_padding_hintE2ELNS0_4arch9wavefront6targetE1EE19radix_bits_per_passE@rel32@lo+4
	s_addc_u32 s1, s1, _ZN7rocprim17ROCPRIM_400000_NS16block_radix_sortIiLj256ELj4EiLj1ELj1ELj0ELNS0_26block_radix_rank_algorithmE1ELNS0_18block_padding_hintE2ELNS0_4arch9wavefront6targetE1EE19radix_bits_per_passE@rel32@hi+12
	s_waitcnt vmcnt(6)
	v_xor_b32_e32 v18, 0x80000000, v2
	s_load_dword s37, s[0:1], 0x0
	s_lshr_b32 s0, s2, 16
	v_bfe_u32 v2, v0, 10, 10
	v_bfe_u32 v0, v0, 20, 10
	s_and_b32 s1, s2, 0xffff
	v_mad_u32_u24 v0, v0, s0, v2
	s_waitcnt vmcnt(5)
	v_xor_b32_e32 v19, 0x80000000, v3
	v_mad_u64_u32 v[2:3], s[0:1], v0, s1, v[10:11]
	v_lshrrev_b32_e32 v0, 4, v2
	v_and_b32_e32 v11, 0xffffffc, v0
	v_and_b32_e32 v0, 15, v16
	v_cmp_eq_u32_e64 s[0:1], 0, v0
	v_cmp_lt_u32_e64 s[2:3], 1, v0
	v_cmp_lt_u32_e64 s[4:5], 3, v0
	;; [unrolled: 1-line block ×3, first 2 shown]
	v_and_b32_e32 v0, 16, v16
	v_cmp_eq_u32_e64 s[8:9], 0, v0
	v_and_b32_e32 v0, 0x3c0, v10
	v_min_u32_e32 v0, 0xc0, v0
	v_or_b32_e32 v0, 63, v0
	v_cmp_eq_u32_e64 s[12:13], v10, v0
	v_subrev_co_u32_e64 v0, s[18:19], 1, v16
	v_and_b32_e32 v2, 64, v16
	v_cmp_lt_i32_e32 vcc, v0, v2
	s_mov_b32 s26, 0
	s_mov_b32 s27, s26
	v_cndmask_b32_e32 v0, v0, v16, vcc
	v_lshlrev_b32_e32 v21, 2, v0
	v_lshrrev_b32_e32 v0, 4, v10
	v_and_b32_e32 v22, 60, v0
	v_and_b32_e32 v0, 3, v16
	s_mov_b32 s40, s26
	s_mov_b32 s41, s26
	s_waitcnt vmcnt(4)
	v_xor_b32_e32 v4, 0x80000000, v4
	s_waitcnt vmcnt(3)
	v_xor_b32_e32 v5, 0x80000000, v5
	v_lshlrev_b32_e32 v9, 2, v8
	v_cmp_lt_u32_e64 s[10:11], 31, v16
	v_cmp_gt_u32_e64 s[14:15], 4, v10
	v_cmp_lt_u32_e64 s[16:17], 63, v10
	v_cmp_eq_u32_e64 s[20:21], 0, v10
	v_mul_i32_i24_e32 v20, -12, v10
	v_cmp_eq_u32_e64 s[22:23], 0, v0
	v_cmp_lt_u32_e64 s[24:25], 1, v0
	v_add_u32_e32 v23, -4, v22
	v_lshl_add_u32 v24, v1, 2, v6
	v_mov_b64_e32 v[12:13], s[26:27]
	v_mov_b64_e32 v[14:15], s[40:41]
	v_mov_b32_e32 v17, 0
	s_branch .LBB690_20
.LBB690_19:                             ;   in Loop: Header=BB690_20 Depth=1
	s_andn2_b64 vcc, exec, s[26:27]
	s_mov_b32 s35, s40
	s_cbranch_vccz .LBB690_36
.LBB690_20:                             ; =>This Inner Loop Header: Depth=1
	v_mov_b32_e32 v28, v18
	s_waitcnt lgkmcnt(0)
	s_min_u32 s26, s37, s35
	v_mov_b32_e32 v26, v4
	s_lshl_b32 s40, -1, s26
	v_lshrrev_b32_e32 v4, s34, v28
	v_bitop3_b32 v6, v4, s40, v4 bitop3:0x30
	v_and_b32_e32 v16, 1, v6
	v_mov_b32_e32 v25, v5
	v_lshl_add_u64 v[4:5], v[16:17], 0, -1
	v_cmp_ne_u32_e32 vcc, 0, v16
	v_lshlrev_b32_e32 v7, 4, v6
	s_waitcnt vmcnt(0)
	v_mov_b64_e32 v[0:1], v[30:31]
	v_xor_b32_e32 v5, vcc_hi, v5
	v_xor_b32_e32 v4, vcc_lo, v4
	v_and_b32_e32 v16, exec_hi, v5
	v_and_b32_e32 v18, exec_lo, v4
	v_lshlrev_b32_e32 v5, 30, v6
	v_mov_b32_e32 v4, v17
	v_cmp_gt_i64_e32 vcc, 0, v[4:5]
	v_not_b32_e32 v4, v5
	v_ashrrev_i32_e32 v4, 31, v4
	v_xor_b32_e32 v5, vcc_hi, v4
	v_xor_b32_e32 v4, vcc_lo, v4
	v_and_b32_e32 v16, v16, v5
	v_and_b32_e32 v18, v18, v4
	v_lshlrev_b32_e32 v5, 29, v6
	v_mov_b32_e32 v4, v17
	v_cmp_gt_i64_e32 vcc, 0, v[4:5]
	v_not_b32_e32 v4, v5
	v_ashrrev_i32_e32 v4, 31, v4
	v_xor_b32_e32 v5, vcc_hi, v4
	v_xor_b32_e32 v4, vcc_lo, v4
	v_and_b32_e32 v16, v16, v5
	v_and_b32_e32 v18, v18, v4
	;; [unrolled: 9-line block ×7, first 2 shown]
	v_mbcnt_lo_u32_b32 v6, v4, 0
	v_mbcnt_hi_u32_b32 v18, v5, v6
	v_cmp_eq_u32_e32 vcc, 0, v18
	v_cmp_ne_u64_e64 s[26:27], 0, v[4:5]
	v_mov_b32_e32 v27, v19
	v_mov_b64_e32 v[2:3], v[32:33]
	s_and_b64 s[44:45], s[26:27], vcc
	v_add_u32_e32 v19, v11, v7
	ds_write2_b64 v9, v[12:13], v[14:15] offset0:2 offset1:3
	s_waitcnt lgkmcnt(0)
	s_barrier
	; wave barrier
	s_and_saveexec_b64 s[26:27], s[44:45]
; %bb.21:                               ;   in Loop: Header=BB690_20 Depth=1
	v_bcnt_u32_b32 v4, v4, 0
	v_bcnt_u32_b32 v4, v5, v4
	ds_write_b32 v19, v4 offset:16
; %bb.22:                               ;   in Loop: Header=BB690_20 Depth=1
	s_or_b64 exec, exec, s[26:27]
	s_not_b32 s40, s40
	v_lshrrev_b32_e32 v4, s34, v27
	v_and_b32_e32 v6, s40, v4
	v_lshlrev_b32_e32 v4, 4, v6
	v_and_b32_e32 v16, 1, v6
	v_add_u32_e32 v30, v11, v4
	v_lshl_add_u64 v[4:5], v[16:17], 0, -1
	v_cmp_ne_u32_e32 vcc, 0, v16
	; wave barrier
	s_nop 1
	v_xor_b32_e32 v5, vcc_hi, v5
	v_xor_b32_e32 v4, vcc_lo, v4
	v_and_b32_e32 v7, exec_hi, v5
	v_and_b32_e32 v16, exec_lo, v4
	v_lshlrev_b32_e32 v5, 30, v6
	v_mov_b32_e32 v4, v17
	v_cmp_gt_i64_e32 vcc, 0, v[4:5]
	v_not_b32_e32 v4, v5
	v_ashrrev_i32_e32 v4, 31, v4
	v_xor_b32_e32 v5, vcc_hi, v4
	v_xor_b32_e32 v4, vcc_lo, v4
	v_and_b32_e32 v7, v7, v5
	v_and_b32_e32 v16, v16, v4
	v_lshlrev_b32_e32 v5, 29, v6
	v_mov_b32_e32 v4, v17
	v_cmp_gt_i64_e32 vcc, 0, v[4:5]
	v_not_b32_e32 v4, v5
	v_ashrrev_i32_e32 v4, 31, v4
	v_xor_b32_e32 v5, vcc_hi, v4
	v_xor_b32_e32 v4, vcc_lo, v4
	v_and_b32_e32 v7, v7, v5
	v_and_b32_e32 v16, v16, v4
	;; [unrolled: 9-line block ×6, first 2 shown]
	v_lshlrev_b32_e32 v5, 24, v6
	v_mov_b32_e32 v4, v17
	v_cmp_gt_i64_e32 vcc, 0, v[4:5]
	v_not_b32_e32 v4, v5
	v_ashrrev_i32_e32 v4, 31, v4
	v_xor_b32_e32 v5, vcc_hi, v4
	v_xor_b32_e32 v4, vcc_lo, v4
	ds_read_b32 v29, v30 offset:16
	v_and_b32_e32 v4, v16, v4
	v_and_b32_e32 v5, v7, v5
	v_mbcnt_lo_u32_b32 v6, v4, 0
	v_mbcnt_hi_u32_b32 v31, v5, v6
	v_cmp_eq_u32_e32 vcc, 0, v31
	v_cmp_ne_u64_e64 s[26:27], 0, v[4:5]
	s_and_b64 s[44:45], s[26:27], vcc
	; wave barrier
	s_and_saveexec_b64 s[26:27], s[44:45]
	s_cbranch_execz .LBB690_24
; %bb.23:                               ;   in Loop: Header=BB690_20 Depth=1
	v_bcnt_u32_b32 v4, v4, 0
	v_bcnt_u32_b32 v4, v5, v4
	s_waitcnt lgkmcnt(0)
	v_add_u32_e32 v4, v29, v4
	ds_write_b32 v30, v4 offset:16
.LBB690_24:                             ;   in Loop: Header=BB690_20 Depth=1
	s_or_b64 exec, exec, s[26:27]
	v_lshrrev_b32_e32 v4, s34, v26
	v_and_b32_e32 v6, s40, v4
	v_lshlrev_b32_e32 v4, 4, v6
	v_and_b32_e32 v16, 1, v6
	v_add_u32_e32 v33, v11, v4
	v_lshl_add_u64 v[4:5], v[16:17], 0, -1
	v_cmp_ne_u32_e32 vcc, 0, v16
	; wave barrier
	s_nop 1
	v_xor_b32_e32 v5, vcc_hi, v5
	v_xor_b32_e32 v4, vcc_lo, v4
	v_and_b32_e32 v7, exec_hi, v5
	v_and_b32_e32 v16, exec_lo, v4
	v_lshlrev_b32_e32 v5, 30, v6
	v_mov_b32_e32 v4, v17
	v_cmp_gt_i64_e32 vcc, 0, v[4:5]
	v_not_b32_e32 v4, v5
	v_ashrrev_i32_e32 v4, 31, v4
	v_xor_b32_e32 v5, vcc_hi, v4
	v_xor_b32_e32 v4, vcc_lo, v4
	v_and_b32_e32 v7, v7, v5
	v_and_b32_e32 v16, v16, v4
	v_lshlrev_b32_e32 v5, 29, v6
	v_mov_b32_e32 v4, v17
	v_cmp_gt_i64_e32 vcc, 0, v[4:5]
	v_not_b32_e32 v4, v5
	v_ashrrev_i32_e32 v4, 31, v4
	v_xor_b32_e32 v5, vcc_hi, v4
	v_xor_b32_e32 v4, vcc_lo, v4
	v_and_b32_e32 v7, v7, v5
	v_and_b32_e32 v16, v16, v4
	;; [unrolled: 9-line block ×6, first 2 shown]
	v_lshlrev_b32_e32 v5, 24, v6
	v_mov_b32_e32 v4, v17
	v_cmp_gt_i64_e32 vcc, 0, v[4:5]
	v_not_b32_e32 v4, v5
	v_ashrrev_i32_e32 v4, 31, v4
	v_xor_b32_e32 v5, vcc_hi, v4
	v_xor_b32_e32 v4, vcc_lo, v4
	ds_read_b32 v32, v33 offset:16
	v_and_b32_e32 v4, v16, v4
	v_and_b32_e32 v5, v7, v5
	v_mbcnt_lo_u32_b32 v6, v4, 0
	v_mbcnt_hi_u32_b32 v34, v5, v6
	v_cmp_eq_u32_e32 vcc, 0, v34
	v_cmp_ne_u64_e64 s[26:27], 0, v[4:5]
	s_and_b64 s[44:45], s[26:27], vcc
	; wave barrier
	s_and_saveexec_b64 s[26:27], s[44:45]
	s_cbranch_execz .LBB690_26
; %bb.25:                               ;   in Loop: Header=BB690_20 Depth=1
	v_bcnt_u32_b32 v4, v4, 0
	v_bcnt_u32_b32 v4, v5, v4
	s_waitcnt lgkmcnt(0)
	v_add_u32_e32 v4, v32, v4
	ds_write_b32 v33, v4 offset:16
.LBB690_26:                             ;   in Loop: Header=BB690_20 Depth=1
	s_or_b64 exec, exec, s[26:27]
	v_lshrrev_b32_e32 v4, s34, v25
	v_and_b32_e32 v6, s40, v4
	v_lshlrev_b32_e32 v4, 4, v6
	v_and_b32_e32 v16, 1, v6
	v_add_u32_e32 v36, v11, v4
	v_lshl_add_u64 v[4:5], v[16:17], 0, -1
	v_cmp_ne_u32_e32 vcc, 0, v16
	; wave barrier
	s_nop 1
	v_xor_b32_e32 v5, vcc_hi, v5
	v_xor_b32_e32 v4, vcc_lo, v4
	v_and_b32_e32 v7, exec_hi, v5
	v_and_b32_e32 v16, exec_lo, v4
	v_lshlrev_b32_e32 v5, 30, v6
	v_mov_b32_e32 v4, v17
	v_cmp_gt_i64_e32 vcc, 0, v[4:5]
	v_not_b32_e32 v4, v5
	v_ashrrev_i32_e32 v4, 31, v4
	v_xor_b32_e32 v5, vcc_hi, v4
	v_xor_b32_e32 v4, vcc_lo, v4
	v_and_b32_e32 v7, v7, v5
	v_and_b32_e32 v16, v16, v4
	v_lshlrev_b32_e32 v5, 29, v6
	v_mov_b32_e32 v4, v17
	v_cmp_gt_i64_e32 vcc, 0, v[4:5]
	v_not_b32_e32 v4, v5
	v_ashrrev_i32_e32 v4, 31, v4
	v_xor_b32_e32 v5, vcc_hi, v4
	v_xor_b32_e32 v4, vcc_lo, v4
	v_and_b32_e32 v7, v7, v5
	v_and_b32_e32 v16, v16, v4
	;; [unrolled: 9-line block ×6, first 2 shown]
	v_lshlrev_b32_e32 v5, 24, v6
	v_mov_b32_e32 v4, v17
	v_cmp_gt_i64_e32 vcc, 0, v[4:5]
	v_not_b32_e32 v4, v5
	v_ashrrev_i32_e32 v4, 31, v4
	v_xor_b32_e32 v5, vcc_hi, v4
	v_xor_b32_e32 v4, vcc_lo, v4
	ds_read_b32 v35, v36 offset:16
	v_and_b32_e32 v4, v16, v4
	v_and_b32_e32 v5, v7, v5
	v_mbcnt_lo_u32_b32 v6, v4, 0
	v_mbcnt_hi_u32_b32 v16, v5, v6
	v_cmp_eq_u32_e32 vcc, 0, v16
	v_cmp_ne_u64_e64 s[26:27], 0, v[4:5]
	s_and_b64 s[40:41], s[26:27], vcc
	; wave barrier
	s_and_saveexec_b64 s[26:27], s[40:41]
	s_cbranch_execz .LBB690_28
; %bb.27:                               ;   in Loop: Header=BB690_20 Depth=1
	v_bcnt_u32_b32 v4, v4, 0
	v_bcnt_u32_b32 v4, v5, v4
	s_waitcnt lgkmcnt(0)
	v_add_u32_e32 v4, v35, v4
	ds_write_b32 v36, v4 offset:16
.LBB690_28:                             ;   in Loop: Header=BB690_20 Depth=1
	s_or_b64 exec, exec, s[26:27]
	; wave barrier
	s_waitcnt lgkmcnt(0)
	s_barrier
	ds_read2_b64 v[4:7], v9 offset0:2 offset1:3
	s_waitcnt lgkmcnt(0)
	v_add_u32_e32 v37, v5, v4
	v_add3_u32 v7, v37, v6, v7
	s_nop 1
	v_mov_b32_dpp v37, v7 row_shr:1 row_mask:0xf bank_mask:0xf
	v_cndmask_b32_e64 v37, v37, 0, s[0:1]
	v_add_u32_e32 v7, v37, v7
	s_nop 1
	v_mov_b32_dpp v37, v7 row_shr:2 row_mask:0xf bank_mask:0xf
	v_cndmask_b32_e64 v37, 0, v37, s[2:3]
	v_add_u32_e32 v7, v7, v37
	;; [unrolled: 4-line block ×4, first 2 shown]
	s_nop 1
	v_mov_b32_dpp v37, v7 row_bcast:15 row_mask:0xf bank_mask:0xf
	v_cndmask_b32_e64 v37, v37, 0, s[8:9]
	v_add_u32_e32 v7, v7, v37
	s_nop 1
	v_mov_b32_dpp v37, v7 row_bcast:31 row_mask:0xf bank_mask:0xf
	v_cndmask_b32_e64 v37, 0, v37, s[10:11]
	v_add_u32_e32 v7, v7, v37
	s_and_saveexec_b64 s[26:27], s[12:13]
; %bb.29:                               ;   in Loop: Header=BB690_20 Depth=1
	ds_write_b32 v22, v7
; %bb.30:                               ;   in Loop: Header=BB690_20 Depth=1
	s_or_b64 exec, exec, s[26:27]
	s_waitcnt lgkmcnt(0)
	s_barrier
	s_and_saveexec_b64 s[26:27], s[14:15]
	s_cbranch_execz .LBB690_32
; %bb.31:                               ;   in Loop: Header=BB690_20 Depth=1
	v_add_u32_e32 v37, v9, v20
	ds_read_b32 v38, v37
	s_waitcnt lgkmcnt(0)
	s_nop 0
	v_mov_b32_dpp v39, v38 row_shr:1 row_mask:0xf bank_mask:0xf
	v_cndmask_b32_e64 v39, v39, 0, s[22:23]
	v_add_u32_e32 v38, v39, v38
	s_nop 1
	v_mov_b32_dpp v39, v38 row_shr:2 row_mask:0xf bank_mask:0xf
	v_cndmask_b32_e64 v39, 0, v39, s[24:25]
	v_add_u32_e32 v38, v38, v39
	ds_write_b32 v37, v38
.LBB690_32:                             ;   in Loop: Header=BB690_20 Depth=1
	s_or_b64 exec, exec, s[26:27]
	v_mov_b32_e32 v37, 0
	s_waitcnt lgkmcnt(0)
	s_barrier
	s_and_saveexec_b64 s[26:27], s[16:17]
; %bb.33:                               ;   in Loop: Header=BB690_20 Depth=1
	ds_read_b32 v37, v23
; %bb.34:                               ;   in Loop: Header=BB690_20 Depth=1
	s_or_b64 exec, exec, s[26:27]
	s_waitcnt lgkmcnt(0)
	v_add_u32_e32 v7, v37, v7
	ds_bpermute_b32 v7, v21, v7
	s_add_i32 s34, s34, 8
	s_cmp_ge_u32 s34, s36
	s_mov_b64 s[26:27], -1
	v_readfirstlane_b32 s40, v0
	s_waitcnt lgkmcnt(0)
	v_cndmask_b32_e64 v7, v7, v37, s[18:19]
	v_cndmask_b32_e64 v38, v7, 0, s[20:21]
	v_add_u32_e32 v39, v38, v4
	v_add_u32_e32 v4, v39, v5
	;; [unrolled: 1-line block ×3, first 2 shown]
	ds_write2_b64 v9, v[38:39], v[4:5] offset0:2 offset1:3
	s_waitcnt lgkmcnt(0)
	s_barrier
	ds_read_b32 v4, v19 offset:16
	ds_read_b32 v5, v30 offset:16
	;; [unrolled: 1-line block ×4, first 2 shown]
	v_lshlrev_b32_e32 v6, 2, v18
	s_waitcnt lgkmcnt(3)
	v_lshl_add_u32 v6, v4, 2, v6
	v_lshlrev_b32_e32 v4, 2, v31
	v_lshlrev_b32_e32 v7, 2, v29
	s_waitcnt lgkmcnt(2)
	v_lshlrev_b32_e32 v5, 2, v5
	v_add3_u32 v7, v4, v7, v5
	v_lshlrev_b32_e32 v4, 2, v34
	v_lshlrev_b32_e32 v5, 2, v32
	s_waitcnt lgkmcnt(1)
	v_lshlrev_b32_e32 v18, 2, v19
	v_add3_u32 v29, v4, v5, v18
	;; [unrolled: 5-line block ×3, first 2 shown]
                                        ; implicit-def: $vgpr5
                                        ; implicit-def: $vgpr19
                                        ; implicit-def: $vgpr30_vgpr31_vgpr32_vgpr33
	s_cbranch_scc1 .LBB690_19
; %bb.35:                               ;   in Loop: Header=BB690_20 Depth=1
	s_barrier
	ds_write_b32 v6, v28
	ds_write_b32 v7, v27
	;; [unrolled: 1-line block ×4, first 2 shown]
	s_waitcnt lgkmcnt(0)
	s_barrier
	ds_read2st64_b32 v[18:19], v24 offset1:1
	ds_read2st64_b32 v[4:5], v24 offset0:2 offset1:3
	s_waitcnt lgkmcnt(0)
	s_barrier
	ds_write_b32 v6, v0
	ds_write_b32 v7, v1
	;; [unrolled: 1-line block ×4, first 2 shown]
	s_waitcnt lgkmcnt(0)
	s_barrier
	ds_read2st64_b32 v[30:31], v24 offset1:1
	ds_read2st64_b32 v[32:33], v24 offset0:2 offset1:3
	s_add_i32 s40, s35, -8
	s_mov_b64 s[26:27], 0
	s_waitcnt lgkmcnt(0)
	s_barrier
	s_branch .LBB690_19
.LBB690_36:
	v_add_u32_e32 v9, v9, v20
	s_barrier
	ds_write_b32 v6, v28
	ds_write_b32 v7, v27
	;; [unrolled: 1-line block ×4, first 2 shown]
	s_waitcnt lgkmcnt(0)
	s_barrier
	ds_read2st64_b32 v[4:5], v9 offset1:4
	ds_read2st64_b32 v[14:15], v9 offset0:8 offset1:12
	s_waitcnt lgkmcnt(0)
	s_barrier
	ds_write_b32 v6, v0
	ds_write_b32 v7, v1
	;; [unrolled: 1-line block ×4, first 2 shown]
	s_waitcnt lgkmcnt(0)
	s_barrier
	ds_read2st64_b32 v[2:3], v9 offset1:4
	ds_read2st64_b32 v[0:1], v9 offset0:8 offset1:12
	s_add_u32 s0, s38, s28
	s_addc_u32 s1, s39, s29
	v_mov_b32_e32 v9, 0
	v_xor_b32_e32 v12, 0x80000000, v4
	v_xor_b32_e32 v11, 0x80000000, v5
	v_xor_b32_e32 v7, 0x80000000, v14
	v_xor_b32_e32 v6, 0x80000000, v15
	s_andn2_b64 vcc, exec, s[30:31]
	v_lshl_add_u64 v[4:5], s[0:1], 0, v[8:9]
	s_cbranch_vccnz .LBB690_38
; %bb.37:
	s_add_u32 s0, s42, s28
	s_addc_u32 s1, s43, s29
	global_store_dword v[4:5], v12, off
	global_store_dword v[4:5], v11, off offset:1024
	global_store_dword v[4:5], v7, off offset:2048
	;; [unrolled: 1-line block ×3, first 2 shown]
	s_waitcnt lgkmcnt(1)
	global_store_dword v8, v2, s[0:1]
	global_store_dword v8, v3, s[0:1] offset:1024
	s_waitcnt lgkmcnt(0)
	global_store_dword v8, v0, s[0:1] offset:2048
	s_mov_b64 s[4:5], -1
	s_cbranch_execz .LBB690_39
	s_branch .LBB690_52
.LBB690_38:
	s_mov_b64 s[4:5], 0
.LBB690_39:
	v_cmp_gt_u32_e32 vcc, s33, v10
	s_and_saveexec_b64 s[0:1], vcc
	s_cbranch_execz .LBB690_41
; %bb.40:
	global_store_dword v[4:5], v12, off
.LBB690_41:
	s_or_b64 exec, exec, s[0:1]
	v_add_u32_e32 v9, 0x100, v10
	v_cmp_gt_u32_e64 s[0:1], s33, v9
	s_and_saveexec_b64 s[2:3], s[0:1]
	s_cbranch_execz .LBB690_43
; %bb.42:
	global_store_dword v[4:5], v11, off offset:1024
.LBB690_43:
	s_or_b64 exec, exec, s[2:3]
	v_add_u32_e32 v9, 0x200, v10
	v_cmp_gt_u32_e64 s[2:3], s33, v9
	s_and_saveexec_b64 s[4:5], s[2:3]
	s_cbranch_execz .LBB690_45
; %bb.44:
	global_store_dword v[4:5], v7, off offset:2048
.LBB690_45:
	;; [unrolled: 8-line block ×3, first 2 shown]
	s_or_b64 exec, exec, s[6:7]
	s_add_u32 s6, s42, s28
	s_addc_u32 s7, s43, s29
	v_mov_b32_e32 v9, 0
	v_lshl_add_u64 v[4:5], s[6:7], 0, v[8:9]
	s_and_saveexec_b64 s[6:7], vcc
	s_cbranch_execnz .LBB690_57
; %bb.48:
	s_or_b64 exec, exec, s[6:7]
	s_and_saveexec_b64 s[6:7], s[0:1]
	s_cbranch_execnz .LBB690_58
.LBB690_49:
	s_or_b64 exec, exec, s[6:7]
	s_and_saveexec_b64 s[0:1], s[2:3]
	s_cbranch_execz .LBB690_51
.LBB690_50:
	s_waitcnt lgkmcnt(0)
	global_store_dword v[4:5], v0, off offset:2048
.LBB690_51:
	s_or_b64 exec, exec, s[0:1]
.LBB690_52:
	s_and_saveexec_b64 s[0:1], s[4:5]
	s_cbranch_execnz .LBB690_54
; %bb.53:
	s_endpgm
.LBB690_54:
	s_add_u32 s0, s42, s28
	s_addc_u32 s1, s43, s29
	s_waitcnt lgkmcnt(0)
	global_store_dword v8, v1, s[0:1] offset:3072
	s_endpgm
.LBB690_55:
	global_load_dword v30, v[14:15], off
	v_mov_b32_e32 v31, v13
	v_mov_b32_e32 v32, v13
	;; [unrolled: 1-line block ×3, first 2 shown]
	s_or_b64 exec, exec, s[8:9]
	s_and_saveexec_b64 s[8:9], s[2:3]
	s_cbranch_execz .LBB690_13
.LBB690_56:
	global_load_dword v31, v[14:15], off offset:256
	s_or_b64 exec, exec, s[8:9]
	s_and_saveexec_b64 s[2:3], s[4:5]
	s_cbranch_execnz .LBB690_14
	s_branch .LBB690_15
.LBB690_57:
	s_waitcnt lgkmcnt(1)
	global_store_dword v[4:5], v2, off
	s_or_b64 exec, exec, s[6:7]
	s_and_saveexec_b64 s[6:7], s[0:1]
	s_cbranch_execz .LBB690_49
.LBB690_58:
	s_waitcnt lgkmcnt(1)
	global_store_dword v[4:5], v3, off offset:1024
	s_or_b64 exec, exec, s[6:7]
	s_and_saveexec_b64 s[0:1], s[2:3]
	s_cbranch_execnz .LBB690_50
	s_branch .LBB690_51
	.section	.rodata,"a",@progbits
	.p2align	6, 0x0
	.amdhsa_kernel _ZN7rocprim17ROCPRIM_400000_NS6detail17trampoline_kernelINS0_13kernel_configILj256ELj4ELj4294967295EEENS1_37radix_sort_block_sort_config_selectorIiiEEZNS1_21radix_sort_block_sortIS4_Lb0EN6thrust23THRUST_200600_302600_NS6detail15normal_iteratorINS9_10device_ptrIiEEEESE_SE_SE_NS0_19identity_decomposerEEE10hipError_tT1_T2_T3_T4_jRjT5_jjP12ihipStream_tbEUlT_E_NS1_11comp_targetILNS1_3genE0ELNS1_11target_archE4294967295ELNS1_3gpuE0ELNS1_3repE0EEENS1_44radix_sort_block_sort_config_static_selectorELNS0_4arch9wavefront6targetE1EEEvSH_
		.amdhsa_group_segment_fixed_size 4112
		.amdhsa_private_segment_fixed_size 0
		.amdhsa_kernarg_size 304
		.amdhsa_user_sgpr_count 2
		.amdhsa_user_sgpr_dispatch_ptr 0
		.amdhsa_user_sgpr_queue_ptr 0
		.amdhsa_user_sgpr_kernarg_segment_ptr 1
		.amdhsa_user_sgpr_dispatch_id 0
		.amdhsa_user_sgpr_kernarg_preload_length 0
		.amdhsa_user_sgpr_kernarg_preload_offset 0
		.amdhsa_user_sgpr_private_segment_size 0
		.amdhsa_uses_dynamic_stack 0
		.amdhsa_enable_private_segment 0
		.amdhsa_system_sgpr_workgroup_id_x 1
		.amdhsa_system_sgpr_workgroup_id_y 0
		.amdhsa_system_sgpr_workgroup_id_z 0
		.amdhsa_system_sgpr_workgroup_info 0
		.amdhsa_system_vgpr_workitem_id 2
		.amdhsa_next_free_vgpr 40
		.amdhsa_next_free_sgpr 46
		.amdhsa_accum_offset 40
		.amdhsa_reserve_vcc 1
		.amdhsa_float_round_mode_32 0
		.amdhsa_float_round_mode_16_64 0
		.amdhsa_float_denorm_mode_32 3
		.amdhsa_float_denorm_mode_16_64 3
		.amdhsa_dx10_clamp 1
		.amdhsa_ieee_mode 1
		.amdhsa_fp16_overflow 0
		.amdhsa_tg_split 0
		.amdhsa_exception_fp_ieee_invalid_op 0
		.amdhsa_exception_fp_denorm_src 0
		.amdhsa_exception_fp_ieee_div_zero 0
		.amdhsa_exception_fp_ieee_overflow 0
		.amdhsa_exception_fp_ieee_underflow 0
		.amdhsa_exception_fp_ieee_inexact 0
		.amdhsa_exception_int_div_zero 0
	.end_amdhsa_kernel
	.section	.text._ZN7rocprim17ROCPRIM_400000_NS6detail17trampoline_kernelINS0_13kernel_configILj256ELj4ELj4294967295EEENS1_37radix_sort_block_sort_config_selectorIiiEEZNS1_21radix_sort_block_sortIS4_Lb0EN6thrust23THRUST_200600_302600_NS6detail15normal_iteratorINS9_10device_ptrIiEEEESE_SE_SE_NS0_19identity_decomposerEEE10hipError_tT1_T2_T3_T4_jRjT5_jjP12ihipStream_tbEUlT_E_NS1_11comp_targetILNS1_3genE0ELNS1_11target_archE4294967295ELNS1_3gpuE0ELNS1_3repE0EEENS1_44radix_sort_block_sort_config_static_selectorELNS0_4arch9wavefront6targetE1EEEvSH_,"axG",@progbits,_ZN7rocprim17ROCPRIM_400000_NS6detail17trampoline_kernelINS0_13kernel_configILj256ELj4ELj4294967295EEENS1_37radix_sort_block_sort_config_selectorIiiEEZNS1_21radix_sort_block_sortIS4_Lb0EN6thrust23THRUST_200600_302600_NS6detail15normal_iteratorINS9_10device_ptrIiEEEESE_SE_SE_NS0_19identity_decomposerEEE10hipError_tT1_T2_T3_T4_jRjT5_jjP12ihipStream_tbEUlT_E_NS1_11comp_targetILNS1_3genE0ELNS1_11target_archE4294967295ELNS1_3gpuE0ELNS1_3repE0EEENS1_44radix_sort_block_sort_config_static_selectorELNS0_4arch9wavefront6targetE1EEEvSH_,comdat
.Lfunc_end690:
	.size	_ZN7rocprim17ROCPRIM_400000_NS6detail17trampoline_kernelINS0_13kernel_configILj256ELj4ELj4294967295EEENS1_37radix_sort_block_sort_config_selectorIiiEEZNS1_21radix_sort_block_sortIS4_Lb0EN6thrust23THRUST_200600_302600_NS6detail15normal_iteratorINS9_10device_ptrIiEEEESE_SE_SE_NS0_19identity_decomposerEEE10hipError_tT1_T2_T3_T4_jRjT5_jjP12ihipStream_tbEUlT_E_NS1_11comp_targetILNS1_3genE0ELNS1_11target_archE4294967295ELNS1_3gpuE0ELNS1_3repE0EEENS1_44radix_sort_block_sort_config_static_selectorELNS0_4arch9wavefront6targetE1EEEvSH_, .Lfunc_end690-_ZN7rocprim17ROCPRIM_400000_NS6detail17trampoline_kernelINS0_13kernel_configILj256ELj4ELj4294967295EEENS1_37radix_sort_block_sort_config_selectorIiiEEZNS1_21radix_sort_block_sortIS4_Lb0EN6thrust23THRUST_200600_302600_NS6detail15normal_iteratorINS9_10device_ptrIiEEEESE_SE_SE_NS0_19identity_decomposerEEE10hipError_tT1_T2_T3_T4_jRjT5_jjP12ihipStream_tbEUlT_E_NS1_11comp_targetILNS1_3genE0ELNS1_11target_archE4294967295ELNS1_3gpuE0ELNS1_3repE0EEENS1_44radix_sort_block_sort_config_static_selectorELNS0_4arch9wavefront6targetE1EEEvSH_
                                        ; -- End function
	.set _ZN7rocprim17ROCPRIM_400000_NS6detail17trampoline_kernelINS0_13kernel_configILj256ELj4ELj4294967295EEENS1_37radix_sort_block_sort_config_selectorIiiEEZNS1_21radix_sort_block_sortIS4_Lb0EN6thrust23THRUST_200600_302600_NS6detail15normal_iteratorINS9_10device_ptrIiEEEESE_SE_SE_NS0_19identity_decomposerEEE10hipError_tT1_T2_T3_T4_jRjT5_jjP12ihipStream_tbEUlT_E_NS1_11comp_targetILNS1_3genE0ELNS1_11target_archE4294967295ELNS1_3gpuE0ELNS1_3repE0EEENS1_44radix_sort_block_sort_config_static_selectorELNS0_4arch9wavefront6targetE1EEEvSH_.num_vgpr, 40
	.set _ZN7rocprim17ROCPRIM_400000_NS6detail17trampoline_kernelINS0_13kernel_configILj256ELj4ELj4294967295EEENS1_37radix_sort_block_sort_config_selectorIiiEEZNS1_21radix_sort_block_sortIS4_Lb0EN6thrust23THRUST_200600_302600_NS6detail15normal_iteratorINS9_10device_ptrIiEEEESE_SE_SE_NS0_19identity_decomposerEEE10hipError_tT1_T2_T3_T4_jRjT5_jjP12ihipStream_tbEUlT_E_NS1_11comp_targetILNS1_3genE0ELNS1_11target_archE4294967295ELNS1_3gpuE0ELNS1_3repE0EEENS1_44radix_sort_block_sort_config_static_selectorELNS0_4arch9wavefront6targetE1EEEvSH_.num_agpr, 0
	.set _ZN7rocprim17ROCPRIM_400000_NS6detail17trampoline_kernelINS0_13kernel_configILj256ELj4ELj4294967295EEENS1_37radix_sort_block_sort_config_selectorIiiEEZNS1_21radix_sort_block_sortIS4_Lb0EN6thrust23THRUST_200600_302600_NS6detail15normal_iteratorINS9_10device_ptrIiEEEESE_SE_SE_NS0_19identity_decomposerEEE10hipError_tT1_T2_T3_T4_jRjT5_jjP12ihipStream_tbEUlT_E_NS1_11comp_targetILNS1_3genE0ELNS1_11target_archE4294967295ELNS1_3gpuE0ELNS1_3repE0EEENS1_44radix_sort_block_sort_config_static_selectorELNS0_4arch9wavefront6targetE1EEEvSH_.numbered_sgpr, 46
	.set _ZN7rocprim17ROCPRIM_400000_NS6detail17trampoline_kernelINS0_13kernel_configILj256ELj4ELj4294967295EEENS1_37radix_sort_block_sort_config_selectorIiiEEZNS1_21radix_sort_block_sortIS4_Lb0EN6thrust23THRUST_200600_302600_NS6detail15normal_iteratorINS9_10device_ptrIiEEEESE_SE_SE_NS0_19identity_decomposerEEE10hipError_tT1_T2_T3_T4_jRjT5_jjP12ihipStream_tbEUlT_E_NS1_11comp_targetILNS1_3genE0ELNS1_11target_archE4294967295ELNS1_3gpuE0ELNS1_3repE0EEENS1_44radix_sort_block_sort_config_static_selectorELNS0_4arch9wavefront6targetE1EEEvSH_.num_named_barrier, 0
	.set _ZN7rocprim17ROCPRIM_400000_NS6detail17trampoline_kernelINS0_13kernel_configILj256ELj4ELj4294967295EEENS1_37radix_sort_block_sort_config_selectorIiiEEZNS1_21radix_sort_block_sortIS4_Lb0EN6thrust23THRUST_200600_302600_NS6detail15normal_iteratorINS9_10device_ptrIiEEEESE_SE_SE_NS0_19identity_decomposerEEE10hipError_tT1_T2_T3_T4_jRjT5_jjP12ihipStream_tbEUlT_E_NS1_11comp_targetILNS1_3genE0ELNS1_11target_archE4294967295ELNS1_3gpuE0ELNS1_3repE0EEENS1_44radix_sort_block_sort_config_static_selectorELNS0_4arch9wavefront6targetE1EEEvSH_.private_seg_size, 0
	.set _ZN7rocprim17ROCPRIM_400000_NS6detail17trampoline_kernelINS0_13kernel_configILj256ELj4ELj4294967295EEENS1_37radix_sort_block_sort_config_selectorIiiEEZNS1_21radix_sort_block_sortIS4_Lb0EN6thrust23THRUST_200600_302600_NS6detail15normal_iteratorINS9_10device_ptrIiEEEESE_SE_SE_NS0_19identity_decomposerEEE10hipError_tT1_T2_T3_T4_jRjT5_jjP12ihipStream_tbEUlT_E_NS1_11comp_targetILNS1_3genE0ELNS1_11target_archE4294967295ELNS1_3gpuE0ELNS1_3repE0EEENS1_44radix_sort_block_sort_config_static_selectorELNS0_4arch9wavefront6targetE1EEEvSH_.uses_vcc, 1
	.set _ZN7rocprim17ROCPRIM_400000_NS6detail17trampoline_kernelINS0_13kernel_configILj256ELj4ELj4294967295EEENS1_37radix_sort_block_sort_config_selectorIiiEEZNS1_21radix_sort_block_sortIS4_Lb0EN6thrust23THRUST_200600_302600_NS6detail15normal_iteratorINS9_10device_ptrIiEEEESE_SE_SE_NS0_19identity_decomposerEEE10hipError_tT1_T2_T3_T4_jRjT5_jjP12ihipStream_tbEUlT_E_NS1_11comp_targetILNS1_3genE0ELNS1_11target_archE4294967295ELNS1_3gpuE0ELNS1_3repE0EEENS1_44radix_sort_block_sort_config_static_selectorELNS0_4arch9wavefront6targetE1EEEvSH_.uses_flat_scratch, 0
	.set _ZN7rocprim17ROCPRIM_400000_NS6detail17trampoline_kernelINS0_13kernel_configILj256ELj4ELj4294967295EEENS1_37radix_sort_block_sort_config_selectorIiiEEZNS1_21radix_sort_block_sortIS4_Lb0EN6thrust23THRUST_200600_302600_NS6detail15normal_iteratorINS9_10device_ptrIiEEEESE_SE_SE_NS0_19identity_decomposerEEE10hipError_tT1_T2_T3_T4_jRjT5_jjP12ihipStream_tbEUlT_E_NS1_11comp_targetILNS1_3genE0ELNS1_11target_archE4294967295ELNS1_3gpuE0ELNS1_3repE0EEENS1_44radix_sort_block_sort_config_static_selectorELNS0_4arch9wavefront6targetE1EEEvSH_.has_dyn_sized_stack, 0
	.set _ZN7rocprim17ROCPRIM_400000_NS6detail17trampoline_kernelINS0_13kernel_configILj256ELj4ELj4294967295EEENS1_37radix_sort_block_sort_config_selectorIiiEEZNS1_21radix_sort_block_sortIS4_Lb0EN6thrust23THRUST_200600_302600_NS6detail15normal_iteratorINS9_10device_ptrIiEEEESE_SE_SE_NS0_19identity_decomposerEEE10hipError_tT1_T2_T3_T4_jRjT5_jjP12ihipStream_tbEUlT_E_NS1_11comp_targetILNS1_3genE0ELNS1_11target_archE4294967295ELNS1_3gpuE0ELNS1_3repE0EEENS1_44radix_sort_block_sort_config_static_selectorELNS0_4arch9wavefront6targetE1EEEvSH_.has_recursion, 0
	.set _ZN7rocprim17ROCPRIM_400000_NS6detail17trampoline_kernelINS0_13kernel_configILj256ELj4ELj4294967295EEENS1_37radix_sort_block_sort_config_selectorIiiEEZNS1_21radix_sort_block_sortIS4_Lb0EN6thrust23THRUST_200600_302600_NS6detail15normal_iteratorINS9_10device_ptrIiEEEESE_SE_SE_NS0_19identity_decomposerEEE10hipError_tT1_T2_T3_T4_jRjT5_jjP12ihipStream_tbEUlT_E_NS1_11comp_targetILNS1_3genE0ELNS1_11target_archE4294967295ELNS1_3gpuE0ELNS1_3repE0EEENS1_44radix_sort_block_sort_config_static_selectorELNS0_4arch9wavefront6targetE1EEEvSH_.has_indirect_call, 0
	.section	.AMDGPU.csdata,"",@progbits
; Kernel info:
; codeLenInByte = 3840
; TotalNumSgprs: 52
; NumVgprs: 40
; NumAgprs: 0
; TotalNumVgprs: 40
; ScratchSize: 0
; MemoryBound: 0
; FloatMode: 240
; IeeeMode: 1
; LDSByteSize: 4112 bytes/workgroup (compile time only)
; SGPRBlocks: 6
; VGPRBlocks: 4
; NumSGPRsForWavesPerEU: 52
; NumVGPRsForWavesPerEU: 40
; AccumOffset: 40
; Occupancy: 8
; WaveLimiterHint : 1
; COMPUTE_PGM_RSRC2:SCRATCH_EN: 0
; COMPUTE_PGM_RSRC2:USER_SGPR: 2
; COMPUTE_PGM_RSRC2:TRAP_HANDLER: 0
; COMPUTE_PGM_RSRC2:TGID_X_EN: 1
; COMPUTE_PGM_RSRC2:TGID_Y_EN: 0
; COMPUTE_PGM_RSRC2:TGID_Z_EN: 0
; COMPUTE_PGM_RSRC2:TIDIG_COMP_CNT: 2
; COMPUTE_PGM_RSRC3_GFX90A:ACCUM_OFFSET: 9
; COMPUTE_PGM_RSRC3_GFX90A:TG_SPLIT: 0
	.section	.text._ZN7rocprim17ROCPRIM_400000_NS6detail17trampoline_kernelINS0_13kernel_configILj256ELj4ELj4294967295EEENS1_37radix_sort_block_sort_config_selectorIiiEEZNS1_21radix_sort_block_sortIS4_Lb0EN6thrust23THRUST_200600_302600_NS6detail15normal_iteratorINS9_10device_ptrIiEEEESE_SE_SE_NS0_19identity_decomposerEEE10hipError_tT1_T2_T3_T4_jRjT5_jjP12ihipStream_tbEUlT_E_NS1_11comp_targetILNS1_3genE5ELNS1_11target_archE942ELNS1_3gpuE9ELNS1_3repE0EEENS1_44radix_sort_block_sort_config_static_selectorELNS0_4arch9wavefront6targetE1EEEvSH_,"axG",@progbits,_ZN7rocprim17ROCPRIM_400000_NS6detail17trampoline_kernelINS0_13kernel_configILj256ELj4ELj4294967295EEENS1_37radix_sort_block_sort_config_selectorIiiEEZNS1_21radix_sort_block_sortIS4_Lb0EN6thrust23THRUST_200600_302600_NS6detail15normal_iteratorINS9_10device_ptrIiEEEESE_SE_SE_NS0_19identity_decomposerEEE10hipError_tT1_T2_T3_T4_jRjT5_jjP12ihipStream_tbEUlT_E_NS1_11comp_targetILNS1_3genE5ELNS1_11target_archE942ELNS1_3gpuE9ELNS1_3repE0EEENS1_44radix_sort_block_sort_config_static_selectorELNS0_4arch9wavefront6targetE1EEEvSH_,comdat
	.protected	_ZN7rocprim17ROCPRIM_400000_NS6detail17trampoline_kernelINS0_13kernel_configILj256ELj4ELj4294967295EEENS1_37radix_sort_block_sort_config_selectorIiiEEZNS1_21radix_sort_block_sortIS4_Lb0EN6thrust23THRUST_200600_302600_NS6detail15normal_iteratorINS9_10device_ptrIiEEEESE_SE_SE_NS0_19identity_decomposerEEE10hipError_tT1_T2_T3_T4_jRjT5_jjP12ihipStream_tbEUlT_E_NS1_11comp_targetILNS1_3genE5ELNS1_11target_archE942ELNS1_3gpuE9ELNS1_3repE0EEENS1_44radix_sort_block_sort_config_static_selectorELNS0_4arch9wavefront6targetE1EEEvSH_ ; -- Begin function _ZN7rocprim17ROCPRIM_400000_NS6detail17trampoline_kernelINS0_13kernel_configILj256ELj4ELj4294967295EEENS1_37radix_sort_block_sort_config_selectorIiiEEZNS1_21radix_sort_block_sortIS4_Lb0EN6thrust23THRUST_200600_302600_NS6detail15normal_iteratorINS9_10device_ptrIiEEEESE_SE_SE_NS0_19identity_decomposerEEE10hipError_tT1_T2_T3_T4_jRjT5_jjP12ihipStream_tbEUlT_E_NS1_11comp_targetILNS1_3genE5ELNS1_11target_archE942ELNS1_3gpuE9ELNS1_3repE0EEENS1_44radix_sort_block_sort_config_static_selectorELNS0_4arch9wavefront6targetE1EEEvSH_
	.globl	_ZN7rocprim17ROCPRIM_400000_NS6detail17trampoline_kernelINS0_13kernel_configILj256ELj4ELj4294967295EEENS1_37radix_sort_block_sort_config_selectorIiiEEZNS1_21radix_sort_block_sortIS4_Lb0EN6thrust23THRUST_200600_302600_NS6detail15normal_iteratorINS9_10device_ptrIiEEEESE_SE_SE_NS0_19identity_decomposerEEE10hipError_tT1_T2_T3_T4_jRjT5_jjP12ihipStream_tbEUlT_E_NS1_11comp_targetILNS1_3genE5ELNS1_11target_archE942ELNS1_3gpuE9ELNS1_3repE0EEENS1_44radix_sort_block_sort_config_static_selectorELNS0_4arch9wavefront6targetE1EEEvSH_
	.p2align	8
	.type	_ZN7rocprim17ROCPRIM_400000_NS6detail17trampoline_kernelINS0_13kernel_configILj256ELj4ELj4294967295EEENS1_37radix_sort_block_sort_config_selectorIiiEEZNS1_21radix_sort_block_sortIS4_Lb0EN6thrust23THRUST_200600_302600_NS6detail15normal_iteratorINS9_10device_ptrIiEEEESE_SE_SE_NS0_19identity_decomposerEEE10hipError_tT1_T2_T3_T4_jRjT5_jjP12ihipStream_tbEUlT_E_NS1_11comp_targetILNS1_3genE5ELNS1_11target_archE942ELNS1_3gpuE9ELNS1_3repE0EEENS1_44radix_sort_block_sort_config_static_selectorELNS0_4arch9wavefront6targetE1EEEvSH_,@function
_ZN7rocprim17ROCPRIM_400000_NS6detail17trampoline_kernelINS0_13kernel_configILj256ELj4ELj4294967295EEENS1_37radix_sort_block_sort_config_selectorIiiEEZNS1_21radix_sort_block_sortIS4_Lb0EN6thrust23THRUST_200600_302600_NS6detail15normal_iteratorINS9_10device_ptrIiEEEESE_SE_SE_NS0_19identity_decomposerEEE10hipError_tT1_T2_T3_T4_jRjT5_jjP12ihipStream_tbEUlT_E_NS1_11comp_targetILNS1_3genE5ELNS1_11target_archE942ELNS1_3gpuE9ELNS1_3repE0EEENS1_44radix_sort_block_sort_config_static_selectorELNS0_4arch9wavefront6targetE1EEEvSH_: ; @_ZN7rocprim17ROCPRIM_400000_NS6detail17trampoline_kernelINS0_13kernel_configILj256ELj4ELj4294967295EEENS1_37radix_sort_block_sort_config_selectorIiiEEZNS1_21radix_sort_block_sortIS4_Lb0EN6thrust23THRUST_200600_302600_NS6detail15normal_iteratorINS9_10device_ptrIiEEEESE_SE_SE_NS0_19identity_decomposerEEE10hipError_tT1_T2_T3_T4_jRjT5_jjP12ihipStream_tbEUlT_E_NS1_11comp_targetILNS1_3genE5ELNS1_11target_archE942ELNS1_3gpuE9ELNS1_3repE0EEENS1_44radix_sort_block_sort_config_static_selectorELNS0_4arch9wavefront6targetE1EEEvSH_
; %bb.0:
	.section	.rodata,"a",@progbits
	.p2align	6, 0x0
	.amdhsa_kernel _ZN7rocprim17ROCPRIM_400000_NS6detail17trampoline_kernelINS0_13kernel_configILj256ELj4ELj4294967295EEENS1_37radix_sort_block_sort_config_selectorIiiEEZNS1_21radix_sort_block_sortIS4_Lb0EN6thrust23THRUST_200600_302600_NS6detail15normal_iteratorINS9_10device_ptrIiEEEESE_SE_SE_NS0_19identity_decomposerEEE10hipError_tT1_T2_T3_T4_jRjT5_jjP12ihipStream_tbEUlT_E_NS1_11comp_targetILNS1_3genE5ELNS1_11target_archE942ELNS1_3gpuE9ELNS1_3repE0EEENS1_44radix_sort_block_sort_config_static_selectorELNS0_4arch9wavefront6targetE1EEEvSH_
		.amdhsa_group_segment_fixed_size 0
		.amdhsa_private_segment_fixed_size 0
		.amdhsa_kernarg_size 48
		.amdhsa_user_sgpr_count 2
		.amdhsa_user_sgpr_dispatch_ptr 0
		.amdhsa_user_sgpr_queue_ptr 0
		.amdhsa_user_sgpr_kernarg_segment_ptr 1
		.amdhsa_user_sgpr_dispatch_id 0
		.amdhsa_user_sgpr_kernarg_preload_length 0
		.amdhsa_user_sgpr_kernarg_preload_offset 0
		.amdhsa_user_sgpr_private_segment_size 0
		.amdhsa_uses_dynamic_stack 0
		.amdhsa_enable_private_segment 0
		.amdhsa_system_sgpr_workgroup_id_x 1
		.amdhsa_system_sgpr_workgroup_id_y 0
		.amdhsa_system_sgpr_workgroup_id_z 0
		.amdhsa_system_sgpr_workgroup_info 0
		.amdhsa_system_vgpr_workitem_id 0
		.amdhsa_next_free_vgpr 1
		.amdhsa_next_free_sgpr 0
		.amdhsa_accum_offset 4
		.amdhsa_reserve_vcc 0
		.amdhsa_float_round_mode_32 0
		.amdhsa_float_round_mode_16_64 0
		.amdhsa_float_denorm_mode_32 3
		.amdhsa_float_denorm_mode_16_64 3
		.amdhsa_dx10_clamp 1
		.amdhsa_ieee_mode 1
		.amdhsa_fp16_overflow 0
		.amdhsa_tg_split 0
		.amdhsa_exception_fp_ieee_invalid_op 0
		.amdhsa_exception_fp_denorm_src 0
		.amdhsa_exception_fp_ieee_div_zero 0
		.amdhsa_exception_fp_ieee_overflow 0
		.amdhsa_exception_fp_ieee_underflow 0
		.amdhsa_exception_fp_ieee_inexact 0
		.amdhsa_exception_int_div_zero 0
	.end_amdhsa_kernel
	.section	.text._ZN7rocprim17ROCPRIM_400000_NS6detail17trampoline_kernelINS0_13kernel_configILj256ELj4ELj4294967295EEENS1_37radix_sort_block_sort_config_selectorIiiEEZNS1_21radix_sort_block_sortIS4_Lb0EN6thrust23THRUST_200600_302600_NS6detail15normal_iteratorINS9_10device_ptrIiEEEESE_SE_SE_NS0_19identity_decomposerEEE10hipError_tT1_T2_T3_T4_jRjT5_jjP12ihipStream_tbEUlT_E_NS1_11comp_targetILNS1_3genE5ELNS1_11target_archE942ELNS1_3gpuE9ELNS1_3repE0EEENS1_44radix_sort_block_sort_config_static_selectorELNS0_4arch9wavefront6targetE1EEEvSH_,"axG",@progbits,_ZN7rocprim17ROCPRIM_400000_NS6detail17trampoline_kernelINS0_13kernel_configILj256ELj4ELj4294967295EEENS1_37radix_sort_block_sort_config_selectorIiiEEZNS1_21radix_sort_block_sortIS4_Lb0EN6thrust23THRUST_200600_302600_NS6detail15normal_iteratorINS9_10device_ptrIiEEEESE_SE_SE_NS0_19identity_decomposerEEE10hipError_tT1_T2_T3_T4_jRjT5_jjP12ihipStream_tbEUlT_E_NS1_11comp_targetILNS1_3genE5ELNS1_11target_archE942ELNS1_3gpuE9ELNS1_3repE0EEENS1_44radix_sort_block_sort_config_static_selectorELNS0_4arch9wavefront6targetE1EEEvSH_,comdat
.Lfunc_end691:
	.size	_ZN7rocprim17ROCPRIM_400000_NS6detail17trampoline_kernelINS0_13kernel_configILj256ELj4ELj4294967295EEENS1_37radix_sort_block_sort_config_selectorIiiEEZNS1_21radix_sort_block_sortIS4_Lb0EN6thrust23THRUST_200600_302600_NS6detail15normal_iteratorINS9_10device_ptrIiEEEESE_SE_SE_NS0_19identity_decomposerEEE10hipError_tT1_T2_T3_T4_jRjT5_jjP12ihipStream_tbEUlT_E_NS1_11comp_targetILNS1_3genE5ELNS1_11target_archE942ELNS1_3gpuE9ELNS1_3repE0EEENS1_44radix_sort_block_sort_config_static_selectorELNS0_4arch9wavefront6targetE1EEEvSH_, .Lfunc_end691-_ZN7rocprim17ROCPRIM_400000_NS6detail17trampoline_kernelINS0_13kernel_configILj256ELj4ELj4294967295EEENS1_37radix_sort_block_sort_config_selectorIiiEEZNS1_21radix_sort_block_sortIS4_Lb0EN6thrust23THRUST_200600_302600_NS6detail15normal_iteratorINS9_10device_ptrIiEEEESE_SE_SE_NS0_19identity_decomposerEEE10hipError_tT1_T2_T3_T4_jRjT5_jjP12ihipStream_tbEUlT_E_NS1_11comp_targetILNS1_3genE5ELNS1_11target_archE942ELNS1_3gpuE9ELNS1_3repE0EEENS1_44radix_sort_block_sort_config_static_selectorELNS0_4arch9wavefront6targetE1EEEvSH_
                                        ; -- End function
	.set _ZN7rocprim17ROCPRIM_400000_NS6detail17trampoline_kernelINS0_13kernel_configILj256ELj4ELj4294967295EEENS1_37radix_sort_block_sort_config_selectorIiiEEZNS1_21radix_sort_block_sortIS4_Lb0EN6thrust23THRUST_200600_302600_NS6detail15normal_iteratorINS9_10device_ptrIiEEEESE_SE_SE_NS0_19identity_decomposerEEE10hipError_tT1_T2_T3_T4_jRjT5_jjP12ihipStream_tbEUlT_E_NS1_11comp_targetILNS1_3genE5ELNS1_11target_archE942ELNS1_3gpuE9ELNS1_3repE0EEENS1_44radix_sort_block_sort_config_static_selectorELNS0_4arch9wavefront6targetE1EEEvSH_.num_vgpr, 0
	.set _ZN7rocprim17ROCPRIM_400000_NS6detail17trampoline_kernelINS0_13kernel_configILj256ELj4ELj4294967295EEENS1_37radix_sort_block_sort_config_selectorIiiEEZNS1_21radix_sort_block_sortIS4_Lb0EN6thrust23THRUST_200600_302600_NS6detail15normal_iteratorINS9_10device_ptrIiEEEESE_SE_SE_NS0_19identity_decomposerEEE10hipError_tT1_T2_T3_T4_jRjT5_jjP12ihipStream_tbEUlT_E_NS1_11comp_targetILNS1_3genE5ELNS1_11target_archE942ELNS1_3gpuE9ELNS1_3repE0EEENS1_44radix_sort_block_sort_config_static_selectorELNS0_4arch9wavefront6targetE1EEEvSH_.num_agpr, 0
	.set _ZN7rocprim17ROCPRIM_400000_NS6detail17trampoline_kernelINS0_13kernel_configILj256ELj4ELj4294967295EEENS1_37radix_sort_block_sort_config_selectorIiiEEZNS1_21radix_sort_block_sortIS4_Lb0EN6thrust23THRUST_200600_302600_NS6detail15normal_iteratorINS9_10device_ptrIiEEEESE_SE_SE_NS0_19identity_decomposerEEE10hipError_tT1_T2_T3_T4_jRjT5_jjP12ihipStream_tbEUlT_E_NS1_11comp_targetILNS1_3genE5ELNS1_11target_archE942ELNS1_3gpuE9ELNS1_3repE0EEENS1_44radix_sort_block_sort_config_static_selectorELNS0_4arch9wavefront6targetE1EEEvSH_.numbered_sgpr, 0
	.set _ZN7rocprim17ROCPRIM_400000_NS6detail17trampoline_kernelINS0_13kernel_configILj256ELj4ELj4294967295EEENS1_37radix_sort_block_sort_config_selectorIiiEEZNS1_21radix_sort_block_sortIS4_Lb0EN6thrust23THRUST_200600_302600_NS6detail15normal_iteratorINS9_10device_ptrIiEEEESE_SE_SE_NS0_19identity_decomposerEEE10hipError_tT1_T2_T3_T4_jRjT5_jjP12ihipStream_tbEUlT_E_NS1_11comp_targetILNS1_3genE5ELNS1_11target_archE942ELNS1_3gpuE9ELNS1_3repE0EEENS1_44radix_sort_block_sort_config_static_selectorELNS0_4arch9wavefront6targetE1EEEvSH_.num_named_barrier, 0
	.set _ZN7rocprim17ROCPRIM_400000_NS6detail17trampoline_kernelINS0_13kernel_configILj256ELj4ELj4294967295EEENS1_37radix_sort_block_sort_config_selectorIiiEEZNS1_21radix_sort_block_sortIS4_Lb0EN6thrust23THRUST_200600_302600_NS6detail15normal_iteratorINS9_10device_ptrIiEEEESE_SE_SE_NS0_19identity_decomposerEEE10hipError_tT1_T2_T3_T4_jRjT5_jjP12ihipStream_tbEUlT_E_NS1_11comp_targetILNS1_3genE5ELNS1_11target_archE942ELNS1_3gpuE9ELNS1_3repE0EEENS1_44radix_sort_block_sort_config_static_selectorELNS0_4arch9wavefront6targetE1EEEvSH_.private_seg_size, 0
	.set _ZN7rocprim17ROCPRIM_400000_NS6detail17trampoline_kernelINS0_13kernel_configILj256ELj4ELj4294967295EEENS1_37radix_sort_block_sort_config_selectorIiiEEZNS1_21radix_sort_block_sortIS4_Lb0EN6thrust23THRUST_200600_302600_NS6detail15normal_iteratorINS9_10device_ptrIiEEEESE_SE_SE_NS0_19identity_decomposerEEE10hipError_tT1_T2_T3_T4_jRjT5_jjP12ihipStream_tbEUlT_E_NS1_11comp_targetILNS1_3genE5ELNS1_11target_archE942ELNS1_3gpuE9ELNS1_3repE0EEENS1_44radix_sort_block_sort_config_static_selectorELNS0_4arch9wavefront6targetE1EEEvSH_.uses_vcc, 0
	.set _ZN7rocprim17ROCPRIM_400000_NS6detail17trampoline_kernelINS0_13kernel_configILj256ELj4ELj4294967295EEENS1_37radix_sort_block_sort_config_selectorIiiEEZNS1_21radix_sort_block_sortIS4_Lb0EN6thrust23THRUST_200600_302600_NS6detail15normal_iteratorINS9_10device_ptrIiEEEESE_SE_SE_NS0_19identity_decomposerEEE10hipError_tT1_T2_T3_T4_jRjT5_jjP12ihipStream_tbEUlT_E_NS1_11comp_targetILNS1_3genE5ELNS1_11target_archE942ELNS1_3gpuE9ELNS1_3repE0EEENS1_44radix_sort_block_sort_config_static_selectorELNS0_4arch9wavefront6targetE1EEEvSH_.uses_flat_scratch, 0
	.set _ZN7rocprim17ROCPRIM_400000_NS6detail17trampoline_kernelINS0_13kernel_configILj256ELj4ELj4294967295EEENS1_37radix_sort_block_sort_config_selectorIiiEEZNS1_21radix_sort_block_sortIS4_Lb0EN6thrust23THRUST_200600_302600_NS6detail15normal_iteratorINS9_10device_ptrIiEEEESE_SE_SE_NS0_19identity_decomposerEEE10hipError_tT1_T2_T3_T4_jRjT5_jjP12ihipStream_tbEUlT_E_NS1_11comp_targetILNS1_3genE5ELNS1_11target_archE942ELNS1_3gpuE9ELNS1_3repE0EEENS1_44radix_sort_block_sort_config_static_selectorELNS0_4arch9wavefront6targetE1EEEvSH_.has_dyn_sized_stack, 0
	.set _ZN7rocprim17ROCPRIM_400000_NS6detail17trampoline_kernelINS0_13kernel_configILj256ELj4ELj4294967295EEENS1_37radix_sort_block_sort_config_selectorIiiEEZNS1_21radix_sort_block_sortIS4_Lb0EN6thrust23THRUST_200600_302600_NS6detail15normal_iteratorINS9_10device_ptrIiEEEESE_SE_SE_NS0_19identity_decomposerEEE10hipError_tT1_T2_T3_T4_jRjT5_jjP12ihipStream_tbEUlT_E_NS1_11comp_targetILNS1_3genE5ELNS1_11target_archE942ELNS1_3gpuE9ELNS1_3repE0EEENS1_44radix_sort_block_sort_config_static_selectorELNS0_4arch9wavefront6targetE1EEEvSH_.has_recursion, 0
	.set _ZN7rocprim17ROCPRIM_400000_NS6detail17trampoline_kernelINS0_13kernel_configILj256ELj4ELj4294967295EEENS1_37radix_sort_block_sort_config_selectorIiiEEZNS1_21radix_sort_block_sortIS4_Lb0EN6thrust23THRUST_200600_302600_NS6detail15normal_iteratorINS9_10device_ptrIiEEEESE_SE_SE_NS0_19identity_decomposerEEE10hipError_tT1_T2_T3_T4_jRjT5_jjP12ihipStream_tbEUlT_E_NS1_11comp_targetILNS1_3genE5ELNS1_11target_archE942ELNS1_3gpuE9ELNS1_3repE0EEENS1_44radix_sort_block_sort_config_static_selectorELNS0_4arch9wavefront6targetE1EEEvSH_.has_indirect_call, 0
	.section	.AMDGPU.csdata,"",@progbits
; Kernel info:
; codeLenInByte = 0
; TotalNumSgprs: 6
; NumVgprs: 0
; NumAgprs: 0
; TotalNumVgprs: 0
; ScratchSize: 0
; MemoryBound: 0
; FloatMode: 240
; IeeeMode: 1
; LDSByteSize: 0 bytes/workgroup (compile time only)
; SGPRBlocks: 0
; VGPRBlocks: 0
; NumSGPRsForWavesPerEU: 6
; NumVGPRsForWavesPerEU: 1
; AccumOffset: 4
; Occupancy: 8
; WaveLimiterHint : 0
; COMPUTE_PGM_RSRC2:SCRATCH_EN: 0
; COMPUTE_PGM_RSRC2:USER_SGPR: 2
; COMPUTE_PGM_RSRC2:TRAP_HANDLER: 0
; COMPUTE_PGM_RSRC2:TGID_X_EN: 1
; COMPUTE_PGM_RSRC2:TGID_Y_EN: 0
; COMPUTE_PGM_RSRC2:TGID_Z_EN: 0
; COMPUTE_PGM_RSRC2:TIDIG_COMP_CNT: 0
; COMPUTE_PGM_RSRC3_GFX90A:ACCUM_OFFSET: 0
; COMPUTE_PGM_RSRC3_GFX90A:TG_SPLIT: 0
	.section	.text._ZN7rocprim17ROCPRIM_400000_NS6detail17trampoline_kernelINS0_13kernel_configILj256ELj4ELj4294967295EEENS1_37radix_sort_block_sort_config_selectorIiiEEZNS1_21radix_sort_block_sortIS4_Lb0EN6thrust23THRUST_200600_302600_NS6detail15normal_iteratorINS9_10device_ptrIiEEEESE_SE_SE_NS0_19identity_decomposerEEE10hipError_tT1_T2_T3_T4_jRjT5_jjP12ihipStream_tbEUlT_E_NS1_11comp_targetILNS1_3genE4ELNS1_11target_archE910ELNS1_3gpuE8ELNS1_3repE0EEENS1_44radix_sort_block_sort_config_static_selectorELNS0_4arch9wavefront6targetE1EEEvSH_,"axG",@progbits,_ZN7rocprim17ROCPRIM_400000_NS6detail17trampoline_kernelINS0_13kernel_configILj256ELj4ELj4294967295EEENS1_37radix_sort_block_sort_config_selectorIiiEEZNS1_21radix_sort_block_sortIS4_Lb0EN6thrust23THRUST_200600_302600_NS6detail15normal_iteratorINS9_10device_ptrIiEEEESE_SE_SE_NS0_19identity_decomposerEEE10hipError_tT1_T2_T3_T4_jRjT5_jjP12ihipStream_tbEUlT_E_NS1_11comp_targetILNS1_3genE4ELNS1_11target_archE910ELNS1_3gpuE8ELNS1_3repE0EEENS1_44radix_sort_block_sort_config_static_selectorELNS0_4arch9wavefront6targetE1EEEvSH_,comdat
	.protected	_ZN7rocprim17ROCPRIM_400000_NS6detail17trampoline_kernelINS0_13kernel_configILj256ELj4ELj4294967295EEENS1_37radix_sort_block_sort_config_selectorIiiEEZNS1_21radix_sort_block_sortIS4_Lb0EN6thrust23THRUST_200600_302600_NS6detail15normal_iteratorINS9_10device_ptrIiEEEESE_SE_SE_NS0_19identity_decomposerEEE10hipError_tT1_T2_T3_T4_jRjT5_jjP12ihipStream_tbEUlT_E_NS1_11comp_targetILNS1_3genE4ELNS1_11target_archE910ELNS1_3gpuE8ELNS1_3repE0EEENS1_44radix_sort_block_sort_config_static_selectorELNS0_4arch9wavefront6targetE1EEEvSH_ ; -- Begin function _ZN7rocprim17ROCPRIM_400000_NS6detail17trampoline_kernelINS0_13kernel_configILj256ELj4ELj4294967295EEENS1_37radix_sort_block_sort_config_selectorIiiEEZNS1_21radix_sort_block_sortIS4_Lb0EN6thrust23THRUST_200600_302600_NS6detail15normal_iteratorINS9_10device_ptrIiEEEESE_SE_SE_NS0_19identity_decomposerEEE10hipError_tT1_T2_T3_T4_jRjT5_jjP12ihipStream_tbEUlT_E_NS1_11comp_targetILNS1_3genE4ELNS1_11target_archE910ELNS1_3gpuE8ELNS1_3repE0EEENS1_44radix_sort_block_sort_config_static_selectorELNS0_4arch9wavefront6targetE1EEEvSH_
	.globl	_ZN7rocprim17ROCPRIM_400000_NS6detail17trampoline_kernelINS0_13kernel_configILj256ELj4ELj4294967295EEENS1_37radix_sort_block_sort_config_selectorIiiEEZNS1_21radix_sort_block_sortIS4_Lb0EN6thrust23THRUST_200600_302600_NS6detail15normal_iteratorINS9_10device_ptrIiEEEESE_SE_SE_NS0_19identity_decomposerEEE10hipError_tT1_T2_T3_T4_jRjT5_jjP12ihipStream_tbEUlT_E_NS1_11comp_targetILNS1_3genE4ELNS1_11target_archE910ELNS1_3gpuE8ELNS1_3repE0EEENS1_44radix_sort_block_sort_config_static_selectorELNS0_4arch9wavefront6targetE1EEEvSH_
	.p2align	8
	.type	_ZN7rocprim17ROCPRIM_400000_NS6detail17trampoline_kernelINS0_13kernel_configILj256ELj4ELj4294967295EEENS1_37radix_sort_block_sort_config_selectorIiiEEZNS1_21radix_sort_block_sortIS4_Lb0EN6thrust23THRUST_200600_302600_NS6detail15normal_iteratorINS9_10device_ptrIiEEEESE_SE_SE_NS0_19identity_decomposerEEE10hipError_tT1_T2_T3_T4_jRjT5_jjP12ihipStream_tbEUlT_E_NS1_11comp_targetILNS1_3genE4ELNS1_11target_archE910ELNS1_3gpuE8ELNS1_3repE0EEENS1_44radix_sort_block_sort_config_static_selectorELNS0_4arch9wavefront6targetE1EEEvSH_,@function
_ZN7rocprim17ROCPRIM_400000_NS6detail17trampoline_kernelINS0_13kernel_configILj256ELj4ELj4294967295EEENS1_37radix_sort_block_sort_config_selectorIiiEEZNS1_21radix_sort_block_sortIS4_Lb0EN6thrust23THRUST_200600_302600_NS6detail15normal_iteratorINS9_10device_ptrIiEEEESE_SE_SE_NS0_19identity_decomposerEEE10hipError_tT1_T2_T3_T4_jRjT5_jjP12ihipStream_tbEUlT_E_NS1_11comp_targetILNS1_3genE4ELNS1_11target_archE910ELNS1_3gpuE8ELNS1_3repE0EEENS1_44radix_sort_block_sort_config_static_selectorELNS0_4arch9wavefront6targetE1EEEvSH_: ; @_ZN7rocprim17ROCPRIM_400000_NS6detail17trampoline_kernelINS0_13kernel_configILj256ELj4ELj4294967295EEENS1_37radix_sort_block_sort_config_selectorIiiEEZNS1_21radix_sort_block_sortIS4_Lb0EN6thrust23THRUST_200600_302600_NS6detail15normal_iteratorINS9_10device_ptrIiEEEESE_SE_SE_NS0_19identity_decomposerEEE10hipError_tT1_T2_T3_T4_jRjT5_jjP12ihipStream_tbEUlT_E_NS1_11comp_targetILNS1_3genE4ELNS1_11target_archE910ELNS1_3gpuE8ELNS1_3repE0EEENS1_44radix_sort_block_sort_config_static_selectorELNS0_4arch9wavefront6targetE1EEEvSH_
; %bb.0:
	.section	.rodata,"a",@progbits
	.p2align	6, 0x0
	.amdhsa_kernel _ZN7rocprim17ROCPRIM_400000_NS6detail17trampoline_kernelINS0_13kernel_configILj256ELj4ELj4294967295EEENS1_37radix_sort_block_sort_config_selectorIiiEEZNS1_21radix_sort_block_sortIS4_Lb0EN6thrust23THRUST_200600_302600_NS6detail15normal_iteratorINS9_10device_ptrIiEEEESE_SE_SE_NS0_19identity_decomposerEEE10hipError_tT1_T2_T3_T4_jRjT5_jjP12ihipStream_tbEUlT_E_NS1_11comp_targetILNS1_3genE4ELNS1_11target_archE910ELNS1_3gpuE8ELNS1_3repE0EEENS1_44radix_sort_block_sort_config_static_selectorELNS0_4arch9wavefront6targetE1EEEvSH_
		.amdhsa_group_segment_fixed_size 0
		.amdhsa_private_segment_fixed_size 0
		.amdhsa_kernarg_size 48
		.amdhsa_user_sgpr_count 2
		.amdhsa_user_sgpr_dispatch_ptr 0
		.amdhsa_user_sgpr_queue_ptr 0
		.amdhsa_user_sgpr_kernarg_segment_ptr 1
		.amdhsa_user_sgpr_dispatch_id 0
		.amdhsa_user_sgpr_kernarg_preload_length 0
		.amdhsa_user_sgpr_kernarg_preload_offset 0
		.amdhsa_user_sgpr_private_segment_size 0
		.amdhsa_uses_dynamic_stack 0
		.amdhsa_enable_private_segment 0
		.amdhsa_system_sgpr_workgroup_id_x 1
		.amdhsa_system_sgpr_workgroup_id_y 0
		.amdhsa_system_sgpr_workgroup_id_z 0
		.amdhsa_system_sgpr_workgroup_info 0
		.amdhsa_system_vgpr_workitem_id 0
		.amdhsa_next_free_vgpr 1
		.amdhsa_next_free_sgpr 0
		.amdhsa_accum_offset 4
		.amdhsa_reserve_vcc 0
		.amdhsa_float_round_mode_32 0
		.amdhsa_float_round_mode_16_64 0
		.amdhsa_float_denorm_mode_32 3
		.amdhsa_float_denorm_mode_16_64 3
		.amdhsa_dx10_clamp 1
		.amdhsa_ieee_mode 1
		.amdhsa_fp16_overflow 0
		.amdhsa_tg_split 0
		.amdhsa_exception_fp_ieee_invalid_op 0
		.amdhsa_exception_fp_denorm_src 0
		.amdhsa_exception_fp_ieee_div_zero 0
		.amdhsa_exception_fp_ieee_overflow 0
		.amdhsa_exception_fp_ieee_underflow 0
		.amdhsa_exception_fp_ieee_inexact 0
		.amdhsa_exception_int_div_zero 0
	.end_amdhsa_kernel
	.section	.text._ZN7rocprim17ROCPRIM_400000_NS6detail17trampoline_kernelINS0_13kernel_configILj256ELj4ELj4294967295EEENS1_37radix_sort_block_sort_config_selectorIiiEEZNS1_21radix_sort_block_sortIS4_Lb0EN6thrust23THRUST_200600_302600_NS6detail15normal_iteratorINS9_10device_ptrIiEEEESE_SE_SE_NS0_19identity_decomposerEEE10hipError_tT1_T2_T3_T4_jRjT5_jjP12ihipStream_tbEUlT_E_NS1_11comp_targetILNS1_3genE4ELNS1_11target_archE910ELNS1_3gpuE8ELNS1_3repE0EEENS1_44radix_sort_block_sort_config_static_selectorELNS0_4arch9wavefront6targetE1EEEvSH_,"axG",@progbits,_ZN7rocprim17ROCPRIM_400000_NS6detail17trampoline_kernelINS0_13kernel_configILj256ELj4ELj4294967295EEENS1_37radix_sort_block_sort_config_selectorIiiEEZNS1_21radix_sort_block_sortIS4_Lb0EN6thrust23THRUST_200600_302600_NS6detail15normal_iteratorINS9_10device_ptrIiEEEESE_SE_SE_NS0_19identity_decomposerEEE10hipError_tT1_T2_T3_T4_jRjT5_jjP12ihipStream_tbEUlT_E_NS1_11comp_targetILNS1_3genE4ELNS1_11target_archE910ELNS1_3gpuE8ELNS1_3repE0EEENS1_44radix_sort_block_sort_config_static_selectorELNS0_4arch9wavefront6targetE1EEEvSH_,comdat
.Lfunc_end692:
	.size	_ZN7rocprim17ROCPRIM_400000_NS6detail17trampoline_kernelINS0_13kernel_configILj256ELj4ELj4294967295EEENS1_37radix_sort_block_sort_config_selectorIiiEEZNS1_21radix_sort_block_sortIS4_Lb0EN6thrust23THRUST_200600_302600_NS6detail15normal_iteratorINS9_10device_ptrIiEEEESE_SE_SE_NS0_19identity_decomposerEEE10hipError_tT1_T2_T3_T4_jRjT5_jjP12ihipStream_tbEUlT_E_NS1_11comp_targetILNS1_3genE4ELNS1_11target_archE910ELNS1_3gpuE8ELNS1_3repE0EEENS1_44radix_sort_block_sort_config_static_selectorELNS0_4arch9wavefront6targetE1EEEvSH_, .Lfunc_end692-_ZN7rocprim17ROCPRIM_400000_NS6detail17trampoline_kernelINS0_13kernel_configILj256ELj4ELj4294967295EEENS1_37radix_sort_block_sort_config_selectorIiiEEZNS1_21radix_sort_block_sortIS4_Lb0EN6thrust23THRUST_200600_302600_NS6detail15normal_iteratorINS9_10device_ptrIiEEEESE_SE_SE_NS0_19identity_decomposerEEE10hipError_tT1_T2_T3_T4_jRjT5_jjP12ihipStream_tbEUlT_E_NS1_11comp_targetILNS1_3genE4ELNS1_11target_archE910ELNS1_3gpuE8ELNS1_3repE0EEENS1_44radix_sort_block_sort_config_static_selectorELNS0_4arch9wavefront6targetE1EEEvSH_
                                        ; -- End function
	.set _ZN7rocprim17ROCPRIM_400000_NS6detail17trampoline_kernelINS0_13kernel_configILj256ELj4ELj4294967295EEENS1_37radix_sort_block_sort_config_selectorIiiEEZNS1_21radix_sort_block_sortIS4_Lb0EN6thrust23THRUST_200600_302600_NS6detail15normal_iteratorINS9_10device_ptrIiEEEESE_SE_SE_NS0_19identity_decomposerEEE10hipError_tT1_T2_T3_T4_jRjT5_jjP12ihipStream_tbEUlT_E_NS1_11comp_targetILNS1_3genE4ELNS1_11target_archE910ELNS1_3gpuE8ELNS1_3repE0EEENS1_44radix_sort_block_sort_config_static_selectorELNS0_4arch9wavefront6targetE1EEEvSH_.num_vgpr, 0
	.set _ZN7rocprim17ROCPRIM_400000_NS6detail17trampoline_kernelINS0_13kernel_configILj256ELj4ELj4294967295EEENS1_37radix_sort_block_sort_config_selectorIiiEEZNS1_21radix_sort_block_sortIS4_Lb0EN6thrust23THRUST_200600_302600_NS6detail15normal_iteratorINS9_10device_ptrIiEEEESE_SE_SE_NS0_19identity_decomposerEEE10hipError_tT1_T2_T3_T4_jRjT5_jjP12ihipStream_tbEUlT_E_NS1_11comp_targetILNS1_3genE4ELNS1_11target_archE910ELNS1_3gpuE8ELNS1_3repE0EEENS1_44radix_sort_block_sort_config_static_selectorELNS0_4arch9wavefront6targetE1EEEvSH_.num_agpr, 0
	.set _ZN7rocprim17ROCPRIM_400000_NS6detail17trampoline_kernelINS0_13kernel_configILj256ELj4ELj4294967295EEENS1_37radix_sort_block_sort_config_selectorIiiEEZNS1_21radix_sort_block_sortIS4_Lb0EN6thrust23THRUST_200600_302600_NS6detail15normal_iteratorINS9_10device_ptrIiEEEESE_SE_SE_NS0_19identity_decomposerEEE10hipError_tT1_T2_T3_T4_jRjT5_jjP12ihipStream_tbEUlT_E_NS1_11comp_targetILNS1_3genE4ELNS1_11target_archE910ELNS1_3gpuE8ELNS1_3repE0EEENS1_44radix_sort_block_sort_config_static_selectorELNS0_4arch9wavefront6targetE1EEEvSH_.numbered_sgpr, 0
	.set _ZN7rocprim17ROCPRIM_400000_NS6detail17trampoline_kernelINS0_13kernel_configILj256ELj4ELj4294967295EEENS1_37radix_sort_block_sort_config_selectorIiiEEZNS1_21radix_sort_block_sortIS4_Lb0EN6thrust23THRUST_200600_302600_NS6detail15normal_iteratorINS9_10device_ptrIiEEEESE_SE_SE_NS0_19identity_decomposerEEE10hipError_tT1_T2_T3_T4_jRjT5_jjP12ihipStream_tbEUlT_E_NS1_11comp_targetILNS1_3genE4ELNS1_11target_archE910ELNS1_3gpuE8ELNS1_3repE0EEENS1_44radix_sort_block_sort_config_static_selectorELNS0_4arch9wavefront6targetE1EEEvSH_.num_named_barrier, 0
	.set _ZN7rocprim17ROCPRIM_400000_NS6detail17trampoline_kernelINS0_13kernel_configILj256ELj4ELj4294967295EEENS1_37radix_sort_block_sort_config_selectorIiiEEZNS1_21radix_sort_block_sortIS4_Lb0EN6thrust23THRUST_200600_302600_NS6detail15normal_iteratorINS9_10device_ptrIiEEEESE_SE_SE_NS0_19identity_decomposerEEE10hipError_tT1_T2_T3_T4_jRjT5_jjP12ihipStream_tbEUlT_E_NS1_11comp_targetILNS1_3genE4ELNS1_11target_archE910ELNS1_3gpuE8ELNS1_3repE0EEENS1_44radix_sort_block_sort_config_static_selectorELNS0_4arch9wavefront6targetE1EEEvSH_.private_seg_size, 0
	.set _ZN7rocprim17ROCPRIM_400000_NS6detail17trampoline_kernelINS0_13kernel_configILj256ELj4ELj4294967295EEENS1_37radix_sort_block_sort_config_selectorIiiEEZNS1_21radix_sort_block_sortIS4_Lb0EN6thrust23THRUST_200600_302600_NS6detail15normal_iteratorINS9_10device_ptrIiEEEESE_SE_SE_NS0_19identity_decomposerEEE10hipError_tT1_T2_T3_T4_jRjT5_jjP12ihipStream_tbEUlT_E_NS1_11comp_targetILNS1_3genE4ELNS1_11target_archE910ELNS1_3gpuE8ELNS1_3repE0EEENS1_44radix_sort_block_sort_config_static_selectorELNS0_4arch9wavefront6targetE1EEEvSH_.uses_vcc, 0
	.set _ZN7rocprim17ROCPRIM_400000_NS6detail17trampoline_kernelINS0_13kernel_configILj256ELj4ELj4294967295EEENS1_37radix_sort_block_sort_config_selectorIiiEEZNS1_21radix_sort_block_sortIS4_Lb0EN6thrust23THRUST_200600_302600_NS6detail15normal_iteratorINS9_10device_ptrIiEEEESE_SE_SE_NS0_19identity_decomposerEEE10hipError_tT1_T2_T3_T4_jRjT5_jjP12ihipStream_tbEUlT_E_NS1_11comp_targetILNS1_3genE4ELNS1_11target_archE910ELNS1_3gpuE8ELNS1_3repE0EEENS1_44radix_sort_block_sort_config_static_selectorELNS0_4arch9wavefront6targetE1EEEvSH_.uses_flat_scratch, 0
	.set _ZN7rocprim17ROCPRIM_400000_NS6detail17trampoline_kernelINS0_13kernel_configILj256ELj4ELj4294967295EEENS1_37radix_sort_block_sort_config_selectorIiiEEZNS1_21radix_sort_block_sortIS4_Lb0EN6thrust23THRUST_200600_302600_NS6detail15normal_iteratorINS9_10device_ptrIiEEEESE_SE_SE_NS0_19identity_decomposerEEE10hipError_tT1_T2_T3_T4_jRjT5_jjP12ihipStream_tbEUlT_E_NS1_11comp_targetILNS1_3genE4ELNS1_11target_archE910ELNS1_3gpuE8ELNS1_3repE0EEENS1_44radix_sort_block_sort_config_static_selectorELNS0_4arch9wavefront6targetE1EEEvSH_.has_dyn_sized_stack, 0
	.set _ZN7rocprim17ROCPRIM_400000_NS6detail17trampoline_kernelINS0_13kernel_configILj256ELj4ELj4294967295EEENS1_37radix_sort_block_sort_config_selectorIiiEEZNS1_21radix_sort_block_sortIS4_Lb0EN6thrust23THRUST_200600_302600_NS6detail15normal_iteratorINS9_10device_ptrIiEEEESE_SE_SE_NS0_19identity_decomposerEEE10hipError_tT1_T2_T3_T4_jRjT5_jjP12ihipStream_tbEUlT_E_NS1_11comp_targetILNS1_3genE4ELNS1_11target_archE910ELNS1_3gpuE8ELNS1_3repE0EEENS1_44radix_sort_block_sort_config_static_selectorELNS0_4arch9wavefront6targetE1EEEvSH_.has_recursion, 0
	.set _ZN7rocprim17ROCPRIM_400000_NS6detail17trampoline_kernelINS0_13kernel_configILj256ELj4ELj4294967295EEENS1_37radix_sort_block_sort_config_selectorIiiEEZNS1_21radix_sort_block_sortIS4_Lb0EN6thrust23THRUST_200600_302600_NS6detail15normal_iteratorINS9_10device_ptrIiEEEESE_SE_SE_NS0_19identity_decomposerEEE10hipError_tT1_T2_T3_T4_jRjT5_jjP12ihipStream_tbEUlT_E_NS1_11comp_targetILNS1_3genE4ELNS1_11target_archE910ELNS1_3gpuE8ELNS1_3repE0EEENS1_44radix_sort_block_sort_config_static_selectorELNS0_4arch9wavefront6targetE1EEEvSH_.has_indirect_call, 0
	.section	.AMDGPU.csdata,"",@progbits
; Kernel info:
; codeLenInByte = 0
; TotalNumSgprs: 6
; NumVgprs: 0
; NumAgprs: 0
; TotalNumVgprs: 0
; ScratchSize: 0
; MemoryBound: 0
; FloatMode: 240
; IeeeMode: 1
; LDSByteSize: 0 bytes/workgroup (compile time only)
; SGPRBlocks: 0
; VGPRBlocks: 0
; NumSGPRsForWavesPerEU: 6
; NumVGPRsForWavesPerEU: 1
; AccumOffset: 4
; Occupancy: 8
; WaveLimiterHint : 0
; COMPUTE_PGM_RSRC2:SCRATCH_EN: 0
; COMPUTE_PGM_RSRC2:USER_SGPR: 2
; COMPUTE_PGM_RSRC2:TRAP_HANDLER: 0
; COMPUTE_PGM_RSRC2:TGID_X_EN: 1
; COMPUTE_PGM_RSRC2:TGID_Y_EN: 0
; COMPUTE_PGM_RSRC2:TGID_Z_EN: 0
; COMPUTE_PGM_RSRC2:TIDIG_COMP_CNT: 0
; COMPUTE_PGM_RSRC3_GFX90A:ACCUM_OFFSET: 0
; COMPUTE_PGM_RSRC3_GFX90A:TG_SPLIT: 0
	.section	.text._ZN7rocprim17ROCPRIM_400000_NS6detail17trampoline_kernelINS0_13kernel_configILj256ELj4ELj4294967295EEENS1_37radix_sort_block_sort_config_selectorIiiEEZNS1_21radix_sort_block_sortIS4_Lb0EN6thrust23THRUST_200600_302600_NS6detail15normal_iteratorINS9_10device_ptrIiEEEESE_SE_SE_NS0_19identity_decomposerEEE10hipError_tT1_T2_T3_T4_jRjT5_jjP12ihipStream_tbEUlT_E_NS1_11comp_targetILNS1_3genE3ELNS1_11target_archE908ELNS1_3gpuE7ELNS1_3repE0EEENS1_44radix_sort_block_sort_config_static_selectorELNS0_4arch9wavefront6targetE1EEEvSH_,"axG",@progbits,_ZN7rocprim17ROCPRIM_400000_NS6detail17trampoline_kernelINS0_13kernel_configILj256ELj4ELj4294967295EEENS1_37radix_sort_block_sort_config_selectorIiiEEZNS1_21radix_sort_block_sortIS4_Lb0EN6thrust23THRUST_200600_302600_NS6detail15normal_iteratorINS9_10device_ptrIiEEEESE_SE_SE_NS0_19identity_decomposerEEE10hipError_tT1_T2_T3_T4_jRjT5_jjP12ihipStream_tbEUlT_E_NS1_11comp_targetILNS1_3genE3ELNS1_11target_archE908ELNS1_3gpuE7ELNS1_3repE0EEENS1_44radix_sort_block_sort_config_static_selectorELNS0_4arch9wavefront6targetE1EEEvSH_,comdat
	.protected	_ZN7rocprim17ROCPRIM_400000_NS6detail17trampoline_kernelINS0_13kernel_configILj256ELj4ELj4294967295EEENS1_37radix_sort_block_sort_config_selectorIiiEEZNS1_21radix_sort_block_sortIS4_Lb0EN6thrust23THRUST_200600_302600_NS6detail15normal_iteratorINS9_10device_ptrIiEEEESE_SE_SE_NS0_19identity_decomposerEEE10hipError_tT1_T2_T3_T4_jRjT5_jjP12ihipStream_tbEUlT_E_NS1_11comp_targetILNS1_3genE3ELNS1_11target_archE908ELNS1_3gpuE7ELNS1_3repE0EEENS1_44radix_sort_block_sort_config_static_selectorELNS0_4arch9wavefront6targetE1EEEvSH_ ; -- Begin function _ZN7rocprim17ROCPRIM_400000_NS6detail17trampoline_kernelINS0_13kernel_configILj256ELj4ELj4294967295EEENS1_37radix_sort_block_sort_config_selectorIiiEEZNS1_21radix_sort_block_sortIS4_Lb0EN6thrust23THRUST_200600_302600_NS6detail15normal_iteratorINS9_10device_ptrIiEEEESE_SE_SE_NS0_19identity_decomposerEEE10hipError_tT1_T2_T3_T4_jRjT5_jjP12ihipStream_tbEUlT_E_NS1_11comp_targetILNS1_3genE3ELNS1_11target_archE908ELNS1_3gpuE7ELNS1_3repE0EEENS1_44radix_sort_block_sort_config_static_selectorELNS0_4arch9wavefront6targetE1EEEvSH_
	.globl	_ZN7rocprim17ROCPRIM_400000_NS6detail17trampoline_kernelINS0_13kernel_configILj256ELj4ELj4294967295EEENS1_37radix_sort_block_sort_config_selectorIiiEEZNS1_21radix_sort_block_sortIS4_Lb0EN6thrust23THRUST_200600_302600_NS6detail15normal_iteratorINS9_10device_ptrIiEEEESE_SE_SE_NS0_19identity_decomposerEEE10hipError_tT1_T2_T3_T4_jRjT5_jjP12ihipStream_tbEUlT_E_NS1_11comp_targetILNS1_3genE3ELNS1_11target_archE908ELNS1_3gpuE7ELNS1_3repE0EEENS1_44radix_sort_block_sort_config_static_selectorELNS0_4arch9wavefront6targetE1EEEvSH_
	.p2align	8
	.type	_ZN7rocprim17ROCPRIM_400000_NS6detail17trampoline_kernelINS0_13kernel_configILj256ELj4ELj4294967295EEENS1_37radix_sort_block_sort_config_selectorIiiEEZNS1_21radix_sort_block_sortIS4_Lb0EN6thrust23THRUST_200600_302600_NS6detail15normal_iteratorINS9_10device_ptrIiEEEESE_SE_SE_NS0_19identity_decomposerEEE10hipError_tT1_T2_T3_T4_jRjT5_jjP12ihipStream_tbEUlT_E_NS1_11comp_targetILNS1_3genE3ELNS1_11target_archE908ELNS1_3gpuE7ELNS1_3repE0EEENS1_44radix_sort_block_sort_config_static_selectorELNS0_4arch9wavefront6targetE1EEEvSH_,@function
_ZN7rocprim17ROCPRIM_400000_NS6detail17trampoline_kernelINS0_13kernel_configILj256ELj4ELj4294967295EEENS1_37radix_sort_block_sort_config_selectorIiiEEZNS1_21radix_sort_block_sortIS4_Lb0EN6thrust23THRUST_200600_302600_NS6detail15normal_iteratorINS9_10device_ptrIiEEEESE_SE_SE_NS0_19identity_decomposerEEE10hipError_tT1_T2_T3_T4_jRjT5_jjP12ihipStream_tbEUlT_E_NS1_11comp_targetILNS1_3genE3ELNS1_11target_archE908ELNS1_3gpuE7ELNS1_3repE0EEENS1_44radix_sort_block_sort_config_static_selectorELNS0_4arch9wavefront6targetE1EEEvSH_: ; @_ZN7rocprim17ROCPRIM_400000_NS6detail17trampoline_kernelINS0_13kernel_configILj256ELj4ELj4294967295EEENS1_37radix_sort_block_sort_config_selectorIiiEEZNS1_21radix_sort_block_sortIS4_Lb0EN6thrust23THRUST_200600_302600_NS6detail15normal_iteratorINS9_10device_ptrIiEEEESE_SE_SE_NS0_19identity_decomposerEEE10hipError_tT1_T2_T3_T4_jRjT5_jjP12ihipStream_tbEUlT_E_NS1_11comp_targetILNS1_3genE3ELNS1_11target_archE908ELNS1_3gpuE7ELNS1_3repE0EEENS1_44radix_sort_block_sort_config_static_selectorELNS0_4arch9wavefront6targetE1EEEvSH_
; %bb.0:
	.section	.rodata,"a",@progbits
	.p2align	6, 0x0
	.amdhsa_kernel _ZN7rocprim17ROCPRIM_400000_NS6detail17trampoline_kernelINS0_13kernel_configILj256ELj4ELj4294967295EEENS1_37radix_sort_block_sort_config_selectorIiiEEZNS1_21radix_sort_block_sortIS4_Lb0EN6thrust23THRUST_200600_302600_NS6detail15normal_iteratorINS9_10device_ptrIiEEEESE_SE_SE_NS0_19identity_decomposerEEE10hipError_tT1_T2_T3_T4_jRjT5_jjP12ihipStream_tbEUlT_E_NS1_11comp_targetILNS1_3genE3ELNS1_11target_archE908ELNS1_3gpuE7ELNS1_3repE0EEENS1_44radix_sort_block_sort_config_static_selectorELNS0_4arch9wavefront6targetE1EEEvSH_
		.amdhsa_group_segment_fixed_size 0
		.amdhsa_private_segment_fixed_size 0
		.amdhsa_kernarg_size 48
		.amdhsa_user_sgpr_count 2
		.amdhsa_user_sgpr_dispatch_ptr 0
		.amdhsa_user_sgpr_queue_ptr 0
		.amdhsa_user_sgpr_kernarg_segment_ptr 1
		.amdhsa_user_sgpr_dispatch_id 0
		.amdhsa_user_sgpr_kernarg_preload_length 0
		.amdhsa_user_sgpr_kernarg_preload_offset 0
		.amdhsa_user_sgpr_private_segment_size 0
		.amdhsa_uses_dynamic_stack 0
		.amdhsa_enable_private_segment 0
		.amdhsa_system_sgpr_workgroup_id_x 1
		.amdhsa_system_sgpr_workgroup_id_y 0
		.amdhsa_system_sgpr_workgroup_id_z 0
		.amdhsa_system_sgpr_workgroup_info 0
		.amdhsa_system_vgpr_workitem_id 0
		.amdhsa_next_free_vgpr 1
		.amdhsa_next_free_sgpr 0
		.amdhsa_accum_offset 4
		.amdhsa_reserve_vcc 0
		.amdhsa_float_round_mode_32 0
		.amdhsa_float_round_mode_16_64 0
		.amdhsa_float_denorm_mode_32 3
		.amdhsa_float_denorm_mode_16_64 3
		.amdhsa_dx10_clamp 1
		.amdhsa_ieee_mode 1
		.amdhsa_fp16_overflow 0
		.amdhsa_tg_split 0
		.amdhsa_exception_fp_ieee_invalid_op 0
		.amdhsa_exception_fp_denorm_src 0
		.amdhsa_exception_fp_ieee_div_zero 0
		.amdhsa_exception_fp_ieee_overflow 0
		.amdhsa_exception_fp_ieee_underflow 0
		.amdhsa_exception_fp_ieee_inexact 0
		.amdhsa_exception_int_div_zero 0
	.end_amdhsa_kernel
	.section	.text._ZN7rocprim17ROCPRIM_400000_NS6detail17trampoline_kernelINS0_13kernel_configILj256ELj4ELj4294967295EEENS1_37radix_sort_block_sort_config_selectorIiiEEZNS1_21radix_sort_block_sortIS4_Lb0EN6thrust23THRUST_200600_302600_NS6detail15normal_iteratorINS9_10device_ptrIiEEEESE_SE_SE_NS0_19identity_decomposerEEE10hipError_tT1_T2_T3_T4_jRjT5_jjP12ihipStream_tbEUlT_E_NS1_11comp_targetILNS1_3genE3ELNS1_11target_archE908ELNS1_3gpuE7ELNS1_3repE0EEENS1_44radix_sort_block_sort_config_static_selectorELNS0_4arch9wavefront6targetE1EEEvSH_,"axG",@progbits,_ZN7rocprim17ROCPRIM_400000_NS6detail17trampoline_kernelINS0_13kernel_configILj256ELj4ELj4294967295EEENS1_37radix_sort_block_sort_config_selectorIiiEEZNS1_21radix_sort_block_sortIS4_Lb0EN6thrust23THRUST_200600_302600_NS6detail15normal_iteratorINS9_10device_ptrIiEEEESE_SE_SE_NS0_19identity_decomposerEEE10hipError_tT1_T2_T3_T4_jRjT5_jjP12ihipStream_tbEUlT_E_NS1_11comp_targetILNS1_3genE3ELNS1_11target_archE908ELNS1_3gpuE7ELNS1_3repE0EEENS1_44radix_sort_block_sort_config_static_selectorELNS0_4arch9wavefront6targetE1EEEvSH_,comdat
.Lfunc_end693:
	.size	_ZN7rocprim17ROCPRIM_400000_NS6detail17trampoline_kernelINS0_13kernel_configILj256ELj4ELj4294967295EEENS1_37radix_sort_block_sort_config_selectorIiiEEZNS1_21radix_sort_block_sortIS4_Lb0EN6thrust23THRUST_200600_302600_NS6detail15normal_iteratorINS9_10device_ptrIiEEEESE_SE_SE_NS0_19identity_decomposerEEE10hipError_tT1_T2_T3_T4_jRjT5_jjP12ihipStream_tbEUlT_E_NS1_11comp_targetILNS1_3genE3ELNS1_11target_archE908ELNS1_3gpuE7ELNS1_3repE0EEENS1_44radix_sort_block_sort_config_static_selectorELNS0_4arch9wavefront6targetE1EEEvSH_, .Lfunc_end693-_ZN7rocprim17ROCPRIM_400000_NS6detail17trampoline_kernelINS0_13kernel_configILj256ELj4ELj4294967295EEENS1_37radix_sort_block_sort_config_selectorIiiEEZNS1_21radix_sort_block_sortIS4_Lb0EN6thrust23THRUST_200600_302600_NS6detail15normal_iteratorINS9_10device_ptrIiEEEESE_SE_SE_NS0_19identity_decomposerEEE10hipError_tT1_T2_T3_T4_jRjT5_jjP12ihipStream_tbEUlT_E_NS1_11comp_targetILNS1_3genE3ELNS1_11target_archE908ELNS1_3gpuE7ELNS1_3repE0EEENS1_44radix_sort_block_sort_config_static_selectorELNS0_4arch9wavefront6targetE1EEEvSH_
                                        ; -- End function
	.set _ZN7rocprim17ROCPRIM_400000_NS6detail17trampoline_kernelINS0_13kernel_configILj256ELj4ELj4294967295EEENS1_37radix_sort_block_sort_config_selectorIiiEEZNS1_21radix_sort_block_sortIS4_Lb0EN6thrust23THRUST_200600_302600_NS6detail15normal_iteratorINS9_10device_ptrIiEEEESE_SE_SE_NS0_19identity_decomposerEEE10hipError_tT1_T2_T3_T4_jRjT5_jjP12ihipStream_tbEUlT_E_NS1_11comp_targetILNS1_3genE3ELNS1_11target_archE908ELNS1_3gpuE7ELNS1_3repE0EEENS1_44radix_sort_block_sort_config_static_selectorELNS0_4arch9wavefront6targetE1EEEvSH_.num_vgpr, 0
	.set _ZN7rocprim17ROCPRIM_400000_NS6detail17trampoline_kernelINS0_13kernel_configILj256ELj4ELj4294967295EEENS1_37radix_sort_block_sort_config_selectorIiiEEZNS1_21radix_sort_block_sortIS4_Lb0EN6thrust23THRUST_200600_302600_NS6detail15normal_iteratorINS9_10device_ptrIiEEEESE_SE_SE_NS0_19identity_decomposerEEE10hipError_tT1_T2_T3_T4_jRjT5_jjP12ihipStream_tbEUlT_E_NS1_11comp_targetILNS1_3genE3ELNS1_11target_archE908ELNS1_3gpuE7ELNS1_3repE0EEENS1_44radix_sort_block_sort_config_static_selectorELNS0_4arch9wavefront6targetE1EEEvSH_.num_agpr, 0
	.set _ZN7rocprim17ROCPRIM_400000_NS6detail17trampoline_kernelINS0_13kernel_configILj256ELj4ELj4294967295EEENS1_37radix_sort_block_sort_config_selectorIiiEEZNS1_21radix_sort_block_sortIS4_Lb0EN6thrust23THRUST_200600_302600_NS6detail15normal_iteratorINS9_10device_ptrIiEEEESE_SE_SE_NS0_19identity_decomposerEEE10hipError_tT1_T2_T3_T4_jRjT5_jjP12ihipStream_tbEUlT_E_NS1_11comp_targetILNS1_3genE3ELNS1_11target_archE908ELNS1_3gpuE7ELNS1_3repE0EEENS1_44radix_sort_block_sort_config_static_selectorELNS0_4arch9wavefront6targetE1EEEvSH_.numbered_sgpr, 0
	.set _ZN7rocprim17ROCPRIM_400000_NS6detail17trampoline_kernelINS0_13kernel_configILj256ELj4ELj4294967295EEENS1_37radix_sort_block_sort_config_selectorIiiEEZNS1_21radix_sort_block_sortIS4_Lb0EN6thrust23THRUST_200600_302600_NS6detail15normal_iteratorINS9_10device_ptrIiEEEESE_SE_SE_NS0_19identity_decomposerEEE10hipError_tT1_T2_T3_T4_jRjT5_jjP12ihipStream_tbEUlT_E_NS1_11comp_targetILNS1_3genE3ELNS1_11target_archE908ELNS1_3gpuE7ELNS1_3repE0EEENS1_44radix_sort_block_sort_config_static_selectorELNS0_4arch9wavefront6targetE1EEEvSH_.num_named_barrier, 0
	.set _ZN7rocprim17ROCPRIM_400000_NS6detail17trampoline_kernelINS0_13kernel_configILj256ELj4ELj4294967295EEENS1_37radix_sort_block_sort_config_selectorIiiEEZNS1_21radix_sort_block_sortIS4_Lb0EN6thrust23THRUST_200600_302600_NS6detail15normal_iteratorINS9_10device_ptrIiEEEESE_SE_SE_NS0_19identity_decomposerEEE10hipError_tT1_T2_T3_T4_jRjT5_jjP12ihipStream_tbEUlT_E_NS1_11comp_targetILNS1_3genE3ELNS1_11target_archE908ELNS1_3gpuE7ELNS1_3repE0EEENS1_44radix_sort_block_sort_config_static_selectorELNS0_4arch9wavefront6targetE1EEEvSH_.private_seg_size, 0
	.set _ZN7rocprim17ROCPRIM_400000_NS6detail17trampoline_kernelINS0_13kernel_configILj256ELj4ELj4294967295EEENS1_37radix_sort_block_sort_config_selectorIiiEEZNS1_21radix_sort_block_sortIS4_Lb0EN6thrust23THRUST_200600_302600_NS6detail15normal_iteratorINS9_10device_ptrIiEEEESE_SE_SE_NS0_19identity_decomposerEEE10hipError_tT1_T2_T3_T4_jRjT5_jjP12ihipStream_tbEUlT_E_NS1_11comp_targetILNS1_3genE3ELNS1_11target_archE908ELNS1_3gpuE7ELNS1_3repE0EEENS1_44radix_sort_block_sort_config_static_selectorELNS0_4arch9wavefront6targetE1EEEvSH_.uses_vcc, 0
	.set _ZN7rocprim17ROCPRIM_400000_NS6detail17trampoline_kernelINS0_13kernel_configILj256ELj4ELj4294967295EEENS1_37radix_sort_block_sort_config_selectorIiiEEZNS1_21radix_sort_block_sortIS4_Lb0EN6thrust23THRUST_200600_302600_NS6detail15normal_iteratorINS9_10device_ptrIiEEEESE_SE_SE_NS0_19identity_decomposerEEE10hipError_tT1_T2_T3_T4_jRjT5_jjP12ihipStream_tbEUlT_E_NS1_11comp_targetILNS1_3genE3ELNS1_11target_archE908ELNS1_3gpuE7ELNS1_3repE0EEENS1_44radix_sort_block_sort_config_static_selectorELNS0_4arch9wavefront6targetE1EEEvSH_.uses_flat_scratch, 0
	.set _ZN7rocprim17ROCPRIM_400000_NS6detail17trampoline_kernelINS0_13kernel_configILj256ELj4ELj4294967295EEENS1_37radix_sort_block_sort_config_selectorIiiEEZNS1_21radix_sort_block_sortIS4_Lb0EN6thrust23THRUST_200600_302600_NS6detail15normal_iteratorINS9_10device_ptrIiEEEESE_SE_SE_NS0_19identity_decomposerEEE10hipError_tT1_T2_T3_T4_jRjT5_jjP12ihipStream_tbEUlT_E_NS1_11comp_targetILNS1_3genE3ELNS1_11target_archE908ELNS1_3gpuE7ELNS1_3repE0EEENS1_44radix_sort_block_sort_config_static_selectorELNS0_4arch9wavefront6targetE1EEEvSH_.has_dyn_sized_stack, 0
	.set _ZN7rocprim17ROCPRIM_400000_NS6detail17trampoline_kernelINS0_13kernel_configILj256ELj4ELj4294967295EEENS1_37radix_sort_block_sort_config_selectorIiiEEZNS1_21radix_sort_block_sortIS4_Lb0EN6thrust23THRUST_200600_302600_NS6detail15normal_iteratorINS9_10device_ptrIiEEEESE_SE_SE_NS0_19identity_decomposerEEE10hipError_tT1_T2_T3_T4_jRjT5_jjP12ihipStream_tbEUlT_E_NS1_11comp_targetILNS1_3genE3ELNS1_11target_archE908ELNS1_3gpuE7ELNS1_3repE0EEENS1_44radix_sort_block_sort_config_static_selectorELNS0_4arch9wavefront6targetE1EEEvSH_.has_recursion, 0
	.set _ZN7rocprim17ROCPRIM_400000_NS6detail17trampoline_kernelINS0_13kernel_configILj256ELj4ELj4294967295EEENS1_37radix_sort_block_sort_config_selectorIiiEEZNS1_21radix_sort_block_sortIS4_Lb0EN6thrust23THRUST_200600_302600_NS6detail15normal_iteratorINS9_10device_ptrIiEEEESE_SE_SE_NS0_19identity_decomposerEEE10hipError_tT1_T2_T3_T4_jRjT5_jjP12ihipStream_tbEUlT_E_NS1_11comp_targetILNS1_3genE3ELNS1_11target_archE908ELNS1_3gpuE7ELNS1_3repE0EEENS1_44radix_sort_block_sort_config_static_selectorELNS0_4arch9wavefront6targetE1EEEvSH_.has_indirect_call, 0
	.section	.AMDGPU.csdata,"",@progbits
; Kernel info:
; codeLenInByte = 0
; TotalNumSgprs: 6
; NumVgprs: 0
; NumAgprs: 0
; TotalNumVgprs: 0
; ScratchSize: 0
; MemoryBound: 0
; FloatMode: 240
; IeeeMode: 1
; LDSByteSize: 0 bytes/workgroup (compile time only)
; SGPRBlocks: 0
; VGPRBlocks: 0
; NumSGPRsForWavesPerEU: 6
; NumVGPRsForWavesPerEU: 1
; AccumOffset: 4
; Occupancy: 8
; WaveLimiterHint : 0
; COMPUTE_PGM_RSRC2:SCRATCH_EN: 0
; COMPUTE_PGM_RSRC2:USER_SGPR: 2
; COMPUTE_PGM_RSRC2:TRAP_HANDLER: 0
; COMPUTE_PGM_RSRC2:TGID_X_EN: 1
; COMPUTE_PGM_RSRC2:TGID_Y_EN: 0
; COMPUTE_PGM_RSRC2:TGID_Z_EN: 0
; COMPUTE_PGM_RSRC2:TIDIG_COMP_CNT: 0
; COMPUTE_PGM_RSRC3_GFX90A:ACCUM_OFFSET: 0
; COMPUTE_PGM_RSRC3_GFX90A:TG_SPLIT: 0
	.section	.text._ZN7rocprim17ROCPRIM_400000_NS6detail17trampoline_kernelINS0_13kernel_configILj256ELj4ELj4294967295EEENS1_37radix_sort_block_sort_config_selectorIiiEEZNS1_21radix_sort_block_sortIS4_Lb0EN6thrust23THRUST_200600_302600_NS6detail15normal_iteratorINS9_10device_ptrIiEEEESE_SE_SE_NS0_19identity_decomposerEEE10hipError_tT1_T2_T3_T4_jRjT5_jjP12ihipStream_tbEUlT_E_NS1_11comp_targetILNS1_3genE2ELNS1_11target_archE906ELNS1_3gpuE6ELNS1_3repE0EEENS1_44radix_sort_block_sort_config_static_selectorELNS0_4arch9wavefront6targetE1EEEvSH_,"axG",@progbits,_ZN7rocprim17ROCPRIM_400000_NS6detail17trampoline_kernelINS0_13kernel_configILj256ELj4ELj4294967295EEENS1_37radix_sort_block_sort_config_selectorIiiEEZNS1_21radix_sort_block_sortIS4_Lb0EN6thrust23THRUST_200600_302600_NS6detail15normal_iteratorINS9_10device_ptrIiEEEESE_SE_SE_NS0_19identity_decomposerEEE10hipError_tT1_T2_T3_T4_jRjT5_jjP12ihipStream_tbEUlT_E_NS1_11comp_targetILNS1_3genE2ELNS1_11target_archE906ELNS1_3gpuE6ELNS1_3repE0EEENS1_44radix_sort_block_sort_config_static_selectorELNS0_4arch9wavefront6targetE1EEEvSH_,comdat
	.protected	_ZN7rocprim17ROCPRIM_400000_NS6detail17trampoline_kernelINS0_13kernel_configILj256ELj4ELj4294967295EEENS1_37radix_sort_block_sort_config_selectorIiiEEZNS1_21radix_sort_block_sortIS4_Lb0EN6thrust23THRUST_200600_302600_NS6detail15normal_iteratorINS9_10device_ptrIiEEEESE_SE_SE_NS0_19identity_decomposerEEE10hipError_tT1_T2_T3_T4_jRjT5_jjP12ihipStream_tbEUlT_E_NS1_11comp_targetILNS1_3genE2ELNS1_11target_archE906ELNS1_3gpuE6ELNS1_3repE0EEENS1_44radix_sort_block_sort_config_static_selectorELNS0_4arch9wavefront6targetE1EEEvSH_ ; -- Begin function _ZN7rocprim17ROCPRIM_400000_NS6detail17trampoline_kernelINS0_13kernel_configILj256ELj4ELj4294967295EEENS1_37radix_sort_block_sort_config_selectorIiiEEZNS1_21radix_sort_block_sortIS4_Lb0EN6thrust23THRUST_200600_302600_NS6detail15normal_iteratorINS9_10device_ptrIiEEEESE_SE_SE_NS0_19identity_decomposerEEE10hipError_tT1_T2_T3_T4_jRjT5_jjP12ihipStream_tbEUlT_E_NS1_11comp_targetILNS1_3genE2ELNS1_11target_archE906ELNS1_3gpuE6ELNS1_3repE0EEENS1_44radix_sort_block_sort_config_static_selectorELNS0_4arch9wavefront6targetE1EEEvSH_
	.globl	_ZN7rocprim17ROCPRIM_400000_NS6detail17trampoline_kernelINS0_13kernel_configILj256ELj4ELj4294967295EEENS1_37radix_sort_block_sort_config_selectorIiiEEZNS1_21radix_sort_block_sortIS4_Lb0EN6thrust23THRUST_200600_302600_NS6detail15normal_iteratorINS9_10device_ptrIiEEEESE_SE_SE_NS0_19identity_decomposerEEE10hipError_tT1_T2_T3_T4_jRjT5_jjP12ihipStream_tbEUlT_E_NS1_11comp_targetILNS1_3genE2ELNS1_11target_archE906ELNS1_3gpuE6ELNS1_3repE0EEENS1_44radix_sort_block_sort_config_static_selectorELNS0_4arch9wavefront6targetE1EEEvSH_
	.p2align	8
	.type	_ZN7rocprim17ROCPRIM_400000_NS6detail17trampoline_kernelINS0_13kernel_configILj256ELj4ELj4294967295EEENS1_37radix_sort_block_sort_config_selectorIiiEEZNS1_21radix_sort_block_sortIS4_Lb0EN6thrust23THRUST_200600_302600_NS6detail15normal_iteratorINS9_10device_ptrIiEEEESE_SE_SE_NS0_19identity_decomposerEEE10hipError_tT1_T2_T3_T4_jRjT5_jjP12ihipStream_tbEUlT_E_NS1_11comp_targetILNS1_3genE2ELNS1_11target_archE906ELNS1_3gpuE6ELNS1_3repE0EEENS1_44radix_sort_block_sort_config_static_selectorELNS0_4arch9wavefront6targetE1EEEvSH_,@function
_ZN7rocprim17ROCPRIM_400000_NS6detail17trampoline_kernelINS0_13kernel_configILj256ELj4ELj4294967295EEENS1_37radix_sort_block_sort_config_selectorIiiEEZNS1_21radix_sort_block_sortIS4_Lb0EN6thrust23THRUST_200600_302600_NS6detail15normal_iteratorINS9_10device_ptrIiEEEESE_SE_SE_NS0_19identity_decomposerEEE10hipError_tT1_T2_T3_T4_jRjT5_jjP12ihipStream_tbEUlT_E_NS1_11comp_targetILNS1_3genE2ELNS1_11target_archE906ELNS1_3gpuE6ELNS1_3repE0EEENS1_44radix_sort_block_sort_config_static_selectorELNS0_4arch9wavefront6targetE1EEEvSH_: ; @_ZN7rocprim17ROCPRIM_400000_NS6detail17trampoline_kernelINS0_13kernel_configILj256ELj4ELj4294967295EEENS1_37radix_sort_block_sort_config_selectorIiiEEZNS1_21radix_sort_block_sortIS4_Lb0EN6thrust23THRUST_200600_302600_NS6detail15normal_iteratorINS9_10device_ptrIiEEEESE_SE_SE_NS0_19identity_decomposerEEE10hipError_tT1_T2_T3_T4_jRjT5_jjP12ihipStream_tbEUlT_E_NS1_11comp_targetILNS1_3genE2ELNS1_11target_archE906ELNS1_3gpuE6ELNS1_3repE0EEENS1_44radix_sort_block_sort_config_static_selectorELNS0_4arch9wavefront6targetE1EEEvSH_
; %bb.0:
	.section	.rodata,"a",@progbits
	.p2align	6, 0x0
	.amdhsa_kernel _ZN7rocprim17ROCPRIM_400000_NS6detail17trampoline_kernelINS0_13kernel_configILj256ELj4ELj4294967295EEENS1_37radix_sort_block_sort_config_selectorIiiEEZNS1_21radix_sort_block_sortIS4_Lb0EN6thrust23THRUST_200600_302600_NS6detail15normal_iteratorINS9_10device_ptrIiEEEESE_SE_SE_NS0_19identity_decomposerEEE10hipError_tT1_T2_T3_T4_jRjT5_jjP12ihipStream_tbEUlT_E_NS1_11comp_targetILNS1_3genE2ELNS1_11target_archE906ELNS1_3gpuE6ELNS1_3repE0EEENS1_44radix_sort_block_sort_config_static_selectorELNS0_4arch9wavefront6targetE1EEEvSH_
		.amdhsa_group_segment_fixed_size 0
		.amdhsa_private_segment_fixed_size 0
		.amdhsa_kernarg_size 48
		.amdhsa_user_sgpr_count 2
		.amdhsa_user_sgpr_dispatch_ptr 0
		.amdhsa_user_sgpr_queue_ptr 0
		.amdhsa_user_sgpr_kernarg_segment_ptr 1
		.amdhsa_user_sgpr_dispatch_id 0
		.amdhsa_user_sgpr_kernarg_preload_length 0
		.amdhsa_user_sgpr_kernarg_preload_offset 0
		.amdhsa_user_sgpr_private_segment_size 0
		.amdhsa_uses_dynamic_stack 0
		.amdhsa_enable_private_segment 0
		.amdhsa_system_sgpr_workgroup_id_x 1
		.amdhsa_system_sgpr_workgroup_id_y 0
		.amdhsa_system_sgpr_workgroup_id_z 0
		.amdhsa_system_sgpr_workgroup_info 0
		.amdhsa_system_vgpr_workitem_id 0
		.amdhsa_next_free_vgpr 1
		.amdhsa_next_free_sgpr 0
		.amdhsa_accum_offset 4
		.amdhsa_reserve_vcc 0
		.amdhsa_float_round_mode_32 0
		.amdhsa_float_round_mode_16_64 0
		.amdhsa_float_denorm_mode_32 3
		.amdhsa_float_denorm_mode_16_64 3
		.amdhsa_dx10_clamp 1
		.amdhsa_ieee_mode 1
		.amdhsa_fp16_overflow 0
		.amdhsa_tg_split 0
		.amdhsa_exception_fp_ieee_invalid_op 0
		.amdhsa_exception_fp_denorm_src 0
		.amdhsa_exception_fp_ieee_div_zero 0
		.amdhsa_exception_fp_ieee_overflow 0
		.amdhsa_exception_fp_ieee_underflow 0
		.amdhsa_exception_fp_ieee_inexact 0
		.amdhsa_exception_int_div_zero 0
	.end_amdhsa_kernel
	.section	.text._ZN7rocprim17ROCPRIM_400000_NS6detail17trampoline_kernelINS0_13kernel_configILj256ELj4ELj4294967295EEENS1_37radix_sort_block_sort_config_selectorIiiEEZNS1_21radix_sort_block_sortIS4_Lb0EN6thrust23THRUST_200600_302600_NS6detail15normal_iteratorINS9_10device_ptrIiEEEESE_SE_SE_NS0_19identity_decomposerEEE10hipError_tT1_T2_T3_T4_jRjT5_jjP12ihipStream_tbEUlT_E_NS1_11comp_targetILNS1_3genE2ELNS1_11target_archE906ELNS1_3gpuE6ELNS1_3repE0EEENS1_44radix_sort_block_sort_config_static_selectorELNS0_4arch9wavefront6targetE1EEEvSH_,"axG",@progbits,_ZN7rocprim17ROCPRIM_400000_NS6detail17trampoline_kernelINS0_13kernel_configILj256ELj4ELj4294967295EEENS1_37radix_sort_block_sort_config_selectorIiiEEZNS1_21radix_sort_block_sortIS4_Lb0EN6thrust23THRUST_200600_302600_NS6detail15normal_iteratorINS9_10device_ptrIiEEEESE_SE_SE_NS0_19identity_decomposerEEE10hipError_tT1_T2_T3_T4_jRjT5_jjP12ihipStream_tbEUlT_E_NS1_11comp_targetILNS1_3genE2ELNS1_11target_archE906ELNS1_3gpuE6ELNS1_3repE0EEENS1_44radix_sort_block_sort_config_static_selectorELNS0_4arch9wavefront6targetE1EEEvSH_,comdat
.Lfunc_end694:
	.size	_ZN7rocprim17ROCPRIM_400000_NS6detail17trampoline_kernelINS0_13kernel_configILj256ELj4ELj4294967295EEENS1_37radix_sort_block_sort_config_selectorIiiEEZNS1_21radix_sort_block_sortIS4_Lb0EN6thrust23THRUST_200600_302600_NS6detail15normal_iteratorINS9_10device_ptrIiEEEESE_SE_SE_NS0_19identity_decomposerEEE10hipError_tT1_T2_T3_T4_jRjT5_jjP12ihipStream_tbEUlT_E_NS1_11comp_targetILNS1_3genE2ELNS1_11target_archE906ELNS1_3gpuE6ELNS1_3repE0EEENS1_44radix_sort_block_sort_config_static_selectorELNS0_4arch9wavefront6targetE1EEEvSH_, .Lfunc_end694-_ZN7rocprim17ROCPRIM_400000_NS6detail17trampoline_kernelINS0_13kernel_configILj256ELj4ELj4294967295EEENS1_37radix_sort_block_sort_config_selectorIiiEEZNS1_21radix_sort_block_sortIS4_Lb0EN6thrust23THRUST_200600_302600_NS6detail15normal_iteratorINS9_10device_ptrIiEEEESE_SE_SE_NS0_19identity_decomposerEEE10hipError_tT1_T2_T3_T4_jRjT5_jjP12ihipStream_tbEUlT_E_NS1_11comp_targetILNS1_3genE2ELNS1_11target_archE906ELNS1_3gpuE6ELNS1_3repE0EEENS1_44radix_sort_block_sort_config_static_selectorELNS0_4arch9wavefront6targetE1EEEvSH_
                                        ; -- End function
	.set _ZN7rocprim17ROCPRIM_400000_NS6detail17trampoline_kernelINS0_13kernel_configILj256ELj4ELj4294967295EEENS1_37radix_sort_block_sort_config_selectorIiiEEZNS1_21radix_sort_block_sortIS4_Lb0EN6thrust23THRUST_200600_302600_NS6detail15normal_iteratorINS9_10device_ptrIiEEEESE_SE_SE_NS0_19identity_decomposerEEE10hipError_tT1_T2_T3_T4_jRjT5_jjP12ihipStream_tbEUlT_E_NS1_11comp_targetILNS1_3genE2ELNS1_11target_archE906ELNS1_3gpuE6ELNS1_3repE0EEENS1_44radix_sort_block_sort_config_static_selectorELNS0_4arch9wavefront6targetE1EEEvSH_.num_vgpr, 0
	.set _ZN7rocprim17ROCPRIM_400000_NS6detail17trampoline_kernelINS0_13kernel_configILj256ELj4ELj4294967295EEENS1_37radix_sort_block_sort_config_selectorIiiEEZNS1_21radix_sort_block_sortIS4_Lb0EN6thrust23THRUST_200600_302600_NS6detail15normal_iteratorINS9_10device_ptrIiEEEESE_SE_SE_NS0_19identity_decomposerEEE10hipError_tT1_T2_T3_T4_jRjT5_jjP12ihipStream_tbEUlT_E_NS1_11comp_targetILNS1_3genE2ELNS1_11target_archE906ELNS1_3gpuE6ELNS1_3repE0EEENS1_44radix_sort_block_sort_config_static_selectorELNS0_4arch9wavefront6targetE1EEEvSH_.num_agpr, 0
	.set _ZN7rocprim17ROCPRIM_400000_NS6detail17trampoline_kernelINS0_13kernel_configILj256ELj4ELj4294967295EEENS1_37radix_sort_block_sort_config_selectorIiiEEZNS1_21radix_sort_block_sortIS4_Lb0EN6thrust23THRUST_200600_302600_NS6detail15normal_iteratorINS9_10device_ptrIiEEEESE_SE_SE_NS0_19identity_decomposerEEE10hipError_tT1_T2_T3_T4_jRjT5_jjP12ihipStream_tbEUlT_E_NS1_11comp_targetILNS1_3genE2ELNS1_11target_archE906ELNS1_3gpuE6ELNS1_3repE0EEENS1_44radix_sort_block_sort_config_static_selectorELNS0_4arch9wavefront6targetE1EEEvSH_.numbered_sgpr, 0
	.set _ZN7rocprim17ROCPRIM_400000_NS6detail17trampoline_kernelINS0_13kernel_configILj256ELj4ELj4294967295EEENS1_37radix_sort_block_sort_config_selectorIiiEEZNS1_21radix_sort_block_sortIS4_Lb0EN6thrust23THRUST_200600_302600_NS6detail15normal_iteratorINS9_10device_ptrIiEEEESE_SE_SE_NS0_19identity_decomposerEEE10hipError_tT1_T2_T3_T4_jRjT5_jjP12ihipStream_tbEUlT_E_NS1_11comp_targetILNS1_3genE2ELNS1_11target_archE906ELNS1_3gpuE6ELNS1_3repE0EEENS1_44radix_sort_block_sort_config_static_selectorELNS0_4arch9wavefront6targetE1EEEvSH_.num_named_barrier, 0
	.set _ZN7rocprim17ROCPRIM_400000_NS6detail17trampoline_kernelINS0_13kernel_configILj256ELj4ELj4294967295EEENS1_37radix_sort_block_sort_config_selectorIiiEEZNS1_21radix_sort_block_sortIS4_Lb0EN6thrust23THRUST_200600_302600_NS6detail15normal_iteratorINS9_10device_ptrIiEEEESE_SE_SE_NS0_19identity_decomposerEEE10hipError_tT1_T2_T3_T4_jRjT5_jjP12ihipStream_tbEUlT_E_NS1_11comp_targetILNS1_3genE2ELNS1_11target_archE906ELNS1_3gpuE6ELNS1_3repE0EEENS1_44radix_sort_block_sort_config_static_selectorELNS0_4arch9wavefront6targetE1EEEvSH_.private_seg_size, 0
	.set _ZN7rocprim17ROCPRIM_400000_NS6detail17trampoline_kernelINS0_13kernel_configILj256ELj4ELj4294967295EEENS1_37radix_sort_block_sort_config_selectorIiiEEZNS1_21radix_sort_block_sortIS4_Lb0EN6thrust23THRUST_200600_302600_NS6detail15normal_iteratorINS9_10device_ptrIiEEEESE_SE_SE_NS0_19identity_decomposerEEE10hipError_tT1_T2_T3_T4_jRjT5_jjP12ihipStream_tbEUlT_E_NS1_11comp_targetILNS1_3genE2ELNS1_11target_archE906ELNS1_3gpuE6ELNS1_3repE0EEENS1_44radix_sort_block_sort_config_static_selectorELNS0_4arch9wavefront6targetE1EEEvSH_.uses_vcc, 0
	.set _ZN7rocprim17ROCPRIM_400000_NS6detail17trampoline_kernelINS0_13kernel_configILj256ELj4ELj4294967295EEENS1_37radix_sort_block_sort_config_selectorIiiEEZNS1_21radix_sort_block_sortIS4_Lb0EN6thrust23THRUST_200600_302600_NS6detail15normal_iteratorINS9_10device_ptrIiEEEESE_SE_SE_NS0_19identity_decomposerEEE10hipError_tT1_T2_T3_T4_jRjT5_jjP12ihipStream_tbEUlT_E_NS1_11comp_targetILNS1_3genE2ELNS1_11target_archE906ELNS1_3gpuE6ELNS1_3repE0EEENS1_44radix_sort_block_sort_config_static_selectorELNS0_4arch9wavefront6targetE1EEEvSH_.uses_flat_scratch, 0
	.set _ZN7rocprim17ROCPRIM_400000_NS6detail17trampoline_kernelINS0_13kernel_configILj256ELj4ELj4294967295EEENS1_37radix_sort_block_sort_config_selectorIiiEEZNS1_21radix_sort_block_sortIS4_Lb0EN6thrust23THRUST_200600_302600_NS6detail15normal_iteratorINS9_10device_ptrIiEEEESE_SE_SE_NS0_19identity_decomposerEEE10hipError_tT1_T2_T3_T4_jRjT5_jjP12ihipStream_tbEUlT_E_NS1_11comp_targetILNS1_3genE2ELNS1_11target_archE906ELNS1_3gpuE6ELNS1_3repE0EEENS1_44radix_sort_block_sort_config_static_selectorELNS0_4arch9wavefront6targetE1EEEvSH_.has_dyn_sized_stack, 0
	.set _ZN7rocprim17ROCPRIM_400000_NS6detail17trampoline_kernelINS0_13kernel_configILj256ELj4ELj4294967295EEENS1_37radix_sort_block_sort_config_selectorIiiEEZNS1_21radix_sort_block_sortIS4_Lb0EN6thrust23THRUST_200600_302600_NS6detail15normal_iteratorINS9_10device_ptrIiEEEESE_SE_SE_NS0_19identity_decomposerEEE10hipError_tT1_T2_T3_T4_jRjT5_jjP12ihipStream_tbEUlT_E_NS1_11comp_targetILNS1_3genE2ELNS1_11target_archE906ELNS1_3gpuE6ELNS1_3repE0EEENS1_44radix_sort_block_sort_config_static_selectorELNS0_4arch9wavefront6targetE1EEEvSH_.has_recursion, 0
	.set _ZN7rocprim17ROCPRIM_400000_NS6detail17trampoline_kernelINS0_13kernel_configILj256ELj4ELj4294967295EEENS1_37radix_sort_block_sort_config_selectorIiiEEZNS1_21radix_sort_block_sortIS4_Lb0EN6thrust23THRUST_200600_302600_NS6detail15normal_iteratorINS9_10device_ptrIiEEEESE_SE_SE_NS0_19identity_decomposerEEE10hipError_tT1_T2_T3_T4_jRjT5_jjP12ihipStream_tbEUlT_E_NS1_11comp_targetILNS1_3genE2ELNS1_11target_archE906ELNS1_3gpuE6ELNS1_3repE0EEENS1_44radix_sort_block_sort_config_static_selectorELNS0_4arch9wavefront6targetE1EEEvSH_.has_indirect_call, 0
	.section	.AMDGPU.csdata,"",@progbits
; Kernel info:
; codeLenInByte = 0
; TotalNumSgprs: 6
; NumVgprs: 0
; NumAgprs: 0
; TotalNumVgprs: 0
; ScratchSize: 0
; MemoryBound: 0
; FloatMode: 240
; IeeeMode: 1
; LDSByteSize: 0 bytes/workgroup (compile time only)
; SGPRBlocks: 0
; VGPRBlocks: 0
; NumSGPRsForWavesPerEU: 6
; NumVGPRsForWavesPerEU: 1
; AccumOffset: 4
; Occupancy: 8
; WaveLimiterHint : 0
; COMPUTE_PGM_RSRC2:SCRATCH_EN: 0
; COMPUTE_PGM_RSRC2:USER_SGPR: 2
; COMPUTE_PGM_RSRC2:TRAP_HANDLER: 0
; COMPUTE_PGM_RSRC2:TGID_X_EN: 1
; COMPUTE_PGM_RSRC2:TGID_Y_EN: 0
; COMPUTE_PGM_RSRC2:TGID_Z_EN: 0
; COMPUTE_PGM_RSRC2:TIDIG_COMP_CNT: 0
; COMPUTE_PGM_RSRC3_GFX90A:ACCUM_OFFSET: 0
; COMPUTE_PGM_RSRC3_GFX90A:TG_SPLIT: 0
	.section	.text._ZN7rocprim17ROCPRIM_400000_NS6detail17trampoline_kernelINS0_13kernel_configILj256ELj4ELj4294967295EEENS1_37radix_sort_block_sort_config_selectorIiiEEZNS1_21radix_sort_block_sortIS4_Lb0EN6thrust23THRUST_200600_302600_NS6detail15normal_iteratorINS9_10device_ptrIiEEEESE_SE_SE_NS0_19identity_decomposerEEE10hipError_tT1_T2_T3_T4_jRjT5_jjP12ihipStream_tbEUlT_E_NS1_11comp_targetILNS1_3genE10ELNS1_11target_archE1201ELNS1_3gpuE5ELNS1_3repE0EEENS1_44radix_sort_block_sort_config_static_selectorELNS0_4arch9wavefront6targetE1EEEvSH_,"axG",@progbits,_ZN7rocprim17ROCPRIM_400000_NS6detail17trampoline_kernelINS0_13kernel_configILj256ELj4ELj4294967295EEENS1_37radix_sort_block_sort_config_selectorIiiEEZNS1_21radix_sort_block_sortIS4_Lb0EN6thrust23THRUST_200600_302600_NS6detail15normal_iteratorINS9_10device_ptrIiEEEESE_SE_SE_NS0_19identity_decomposerEEE10hipError_tT1_T2_T3_T4_jRjT5_jjP12ihipStream_tbEUlT_E_NS1_11comp_targetILNS1_3genE10ELNS1_11target_archE1201ELNS1_3gpuE5ELNS1_3repE0EEENS1_44radix_sort_block_sort_config_static_selectorELNS0_4arch9wavefront6targetE1EEEvSH_,comdat
	.protected	_ZN7rocprim17ROCPRIM_400000_NS6detail17trampoline_kernelINS0_13kernel_configILj256ELj4ELj4294967295EEENS1_37radix_sort_block_sort_config_selectorIiiEEZNS1_21radix_sort_block_sortIS4_Lb0EN6thrust23THRUST_200600_302600_NS6detail15normal_iteratorINS9_10device_ptrIiEEEESE_SE_SE_NS0_19identity_decomposerEEE10hipError_tT1_T2_T3_T4_jRjT5_jjP12ihipStream_tbEUlT_E_NS1_11comp_targetILNS1_3genE10ELNS1_11target_archE1201ELNS1_3gpuE5ELNS1_3repE0EEENS1_44radix_sort_block_sort_config_static_selectorELNS0_4arch9wavefront6targetE1EEEvSH_ ; -- Begin function _ZN7rocprim17ROCPRIM_400000_NS6detail17trampoline_kernelINS0_13kernel_configILj256ELj4ELj4294967295EEENS1_37radix_sort_block_sort_config_selectorIiiEEZNS1_21radix_sort_block_sortIS4_Lb0EN6thrust23THRUST_200600_302600_NS6detail15normal_iteratorINS9_10device_ptrIiEEEESE_SE_SE_NS0_19identity_decomposerEEE10hipError_tT1_T2_T3_T4_jRjT5_jjP12ihipStream_tbEUlT_E_NS1_11comp_targetILNS1_3genE10ELNS1_11target_archE1201ELNS1_3gpuE5ELNS1_3repE0EEENS1_44radix_sort_block_sort_config_static_selectorELNS0_4arch9wavefront6targetE1EEEvSH_
	.globl	_ZN7rocprim17ROCPRIM_400000_NS6detail17trampoline_kernelINS0_13kernel_configILj256ELj4ELj4294967295EEENS1_37radix_sort_block_sort_config_selectorIiiEEZNS1_21radix_sort_block_sortIS4_Lb0EN6thrust23THRUST_200600_302600_NS6detail15normal_iteratorINS9_10device_ptrIiEEEESE_SE_SE_NS0_19identity_decomposerEEE10hipError_tT1_T2_T3_T4_jRjT5_jjP12ihipStream_tbEUlT_E_NS1_11comp_targetILNS1_3genE10ELNS1_11target_archE1201ELNS1_3gpuE5ELNS1_3repE0EEENS1_44radix_sort_block_sort_config_static_selectorELNS0_4arch9wavefront6targetE1EEEvSH_
	.p2align	8
	.type	_ZN7rocprim17ROCPRIM_400000_NS6detail17trampoline_kernelINS0_13kernel_configILj256ELj4ELj4294967295EEENS1_37radix_sort_block_sort_config_selectorIiiEEZNS1_21radix_sort_block_sortIS4_Lb0EN6thrust23THRUST_200600_302600_NS6detail15normal_iteratorINS9_10device_ptrIiEEEESE_SE_SE_NS0_19identity_decomposerEEE10hipError_tT1_T2_T3_T4_jRjT5_jjP12ihipStream_tbEUlT_E_NS1_11comp_targetILNS1_3genE10ELNS1_11target_archE1201ELNS1_3gpuE5ELNS1_3repE0EEENS1_44radix_sort_block_sort_config_static_selectorELNS0_4arch9wavefront6targetE1EEEvSH_,@function
_ZN7rocprim17ROCPRIM_400000_NS6detail17trampoline_kernelINS0_13kernel_configILj256ELj4ELj4294967295EEENS1_37radix_sort_block_sort_config_selectorIiiEEZNS1_21radix_sort_block_sortIS4_Lb0EN6thrust23THRUST_200600_302600_NS6detail15normal_iteratorINS9_10device_ptrIiEEEESE_SE_SE_NS0_19identity_decomposerEEE10hipError_tT1_T2_T3_T4_jRjT5_jjP12ihipStream_tbEUlT_E_NS1_11comp_targetILNS1_3genE10ELNS1_11target_archE1201ELNS1_3gpuE5ELNS1_3repE0EEENS1_44radix_sort_block_sort_config_static_selectorELNS0_4arch9wavefront6targetE1EEEvSH_: ; @_ZN7rocprim17ROCPRIM_400000_NS6detail17trampoline_kernelINS0_13kernel_configILj256ELj4ELj4294967295EEENS1_37radix_sort_block_sort_config_selectorIiiEEZNS1_21radix_sort_block_sortIS4_Lb0EN6thrust23THRUST_200600_302600_NS6detail15normal_iteratorINS9_10device_ptrIiEEEESE_SE_SE_NS0_19identity_decomposerEEE10hipError_tT1_T2_T3_T4_jRjT5_jjP12ihipStream_tbEUlT_E_NS1_11comp_targetILNS1_3genE10ELNS1_11target_archE1201ELNS1_3gpuE5ELNS1_3repE0EEENS1_44radix_sort_block_sort_config_static_selectorELNS0_4arch9wavefront6targetE1EEEvSH_
; %bb.0:
	.section	.rodata,"a",@progbits
	.p2align	6, 0x0
	.amdhsa_kernel _ZN7rocprim17ROCPRIM_400000_NS6detail17trampoline_kernelINS0_13kernel_configILj256ELj4ELj4294967295EEENS1_37radix_sort_block_sort_config_selectorIiiEEZNS1_21radix_sort_block_sortIS4_Lb0EN6thrust23THRUST_200600_302600_NS6detail15normal_iteratorINS9_10device_ptrIiEEEESE_SE_SE_NS0_19identity_decomposerEEE10hipError_tT1_T2_T3_T4_jRjT5_jjP12ihipStream_tbEUlT_E_NS1_11comp_targetILNS1_3genE10ELNS1_11target_archE1201ELNS1_3gpuE5ELNS1_3repE0EEENS1_44radix_sort_block_sort_config_static_selectorELNS0_4arch9wavefront6targetE1EEEvSH_
		.amdhsa_group_segment_fixed_size 0
		.amdhsa_private_segment_fixed_size 0
		.amdhsa_kernarg_size 48
		.amdhsa_user_sgpr_count 2
		.amdhsa_user_sgpr_dispatch_ptr 0
		.amdhsa_user_sgpr_queue_ptr 0
		.amdhsa_user_sgpr_kernarg_segment_ptr 1
		.amdhsa_user_sgpr_dispatch_id 0
		.amdhsa_user_sgpr_kernarg_preload_length 0
		.amdhsa_user_sgpr_kernarg_preload_offset 0
		.amdhsa_user_sgpr_private_segment_size 0
		.amdhsa_uses_dynamic_stack 0
		.amdhsa_enable_private_segment 0
		.amdhsa_system_sgpr_workgroup_id_x 1
		.amdhsa_system_sgpr_workgroup_id_y 0
		.amdhsa_system_sgpr_workgroup_id_z 0
		.amdhsa_system_sgpr_workgroup_info 0
		.amdhsa_system_vgpr_workitem_id 0
		.amdhsa_next_free_vgpr 1
		.amdhsa_next_free_sgpr 0
		.amdhsa_accum_offset 4
		.amdhsa_reserve_vcc 0
		.amdhsa_float_round_mode_32 0
		.amdhsa_float_round_mode_16_64 0
		.amdhsa_float_denorm_mode_32 3
		.amdhsa_float_denorm_mode_16_64 3
		.amdhsa_dx10_clamp 1
		.amdhsa_ieee_mode 1
		.amdhsa_fp16_overflow 0
		.amdhsa_tg_split 0
		.amdhsa_exception_fp_ieee_invalid_op 0
		.amdhsa_exception_fp_denorm_src 0
		.amdhsa_exception_fp_ieee_div_zero 0
		.amdhsa_exception_fp_ieee_overflow 0
		.amdhsa_exception_fp_ieee_underflow 0
		.amdhsa_exception_fp_ieee_inexact 0
		.amdhsa_exception_int_div_zero 0
	.end_amdhsa_kernel
	.section	.text._ZN7rocprim17ROCPRIM_400000_NS6detail17trampoline_kernelINS0_13kernel_configILj256ELj4ELj4294967295EEENS1_37radix_sort_block_sort_config_selectorIiiEEZNS1_21radix_sort_block_sortIS4_Lb0EN6thrust23THRUST_200600_302600_NS6detail15normal_iteratorINS9_10device_ptrIiEEEESE_SE_SE_NS0_19identity_decomposerEEE10hipError_tT1_T2_T3_T4_jRjT5_jjP12ihipStream_tbEUlT_E_NS1_11comp_targetILNS1_3genE10ELNS1_11target_archE1201ELNS1_3gpuE5ELNS1_3repE0EEENS1_44radix_sort_block_sort_config_static_selectorELNS0_4arch9wavefront6targetE1EEEvSH_,"axG",@progbits,_ZN7rocprim17ROCPRIM_400000_NS6detail17trampoline_kernelINS0_13kernel_configILj256ELj4ELj4294967295EEENS1_37radix_sort_block_sort_config_selectorIiiEEZNS1_21radix_sort_block_sortIS4_Lb0EN6thrust23THRUST_200600_302600_NS6detail15normal_iteratorINS9_10device_ptrIiEEEESE_SE_SE_NS0_19identity_decomposerEEE10hipError_tT1_T2_T3_T4_jRjT5_jjP12ihipStream_tbEUlT_E_NS1_11comp_targetILNS1_3genE10ELNS1_11target_archE1201ELNS1_3gpuE5ELNS1_3repE0EEENS1_44radix_sort_block_sort_config_static_selectorELNS0_4arch9wavefront6targetE1EEEvSH_,comdat
.Lfunc_end695:
	.size	_ZN7rocprim17ROCPRIM_400000_NS6detail17trampoline_kernelINS0_13kernel_configILj256ELj4ELj4294967295EEENS1_37radix_sort_block_sort_config_selectorIiiEEZNS1_21radix_sort_block_sortIS4_Lb0EN6thrust23THRUST_200600_302600_NS6detail15normal_iteratorINS9_10device_ptrIiEEEESE_SE_SE_NS0_19identity_decomposerEEE10hipError_tT1_T2_T3_T4_jRjT5_jjP12ihipStream_tbEUlT_E_NS1_11comp_targetILNS1_3genE10ELNS1_11target_archE1201ELNS1_3gpuE5ELNS1_3repE0EEENS1_44radix_sort_block_sort_config_static_selectorELNS0_4arch9wavefront6targetE1EEEvSH_, .Lfunc_end695-_ZN7rocprim17ROCPRIM_400000_NS6detail17trampoline_kernelINS0_13kernel_configILj256ELj4ELj4294967295EEENS1_37radix_sort_block_sort_config_selectorIiiEEZNS1_21radix_sort_block_sortIS4_Lb0EN6thrust23THRUST_200600_302600_NS6detail15normal_iteratorINS9_10device_ptrIiEEEESE_SE_SE_NS0_19identity_decomposerEEE10hipError_tT1_T2_T3_T4_jRjT5_jjP12ihipStream_tbEUlT_E_NS1_11comp_targetILNS1_3genE10ELNS1_11target_archE1201ELNS1_3gpuE5ELNS1_3repE0EEENS1_44radix_sort_block_sort_config_static_selectorELNS0_4arch9wavefront6targetE1EEEvSH_
                                        ; -- End function
	.set _ZN7rocprim17ROCPRIM_400000_NS6detail17trampoline_kernelINS0_13kernel_configILj256ELj4ELj4294967295EEENS1_37radix_sort_block_sort_config_selectorIiiEEZNS1_21radix_sort_block_sortIS4_Lb0EN6thrust23THRUST_200600_302600_NS6detail15normal_iteratorINS9_10device_ptrIiEEEESE_SE_SE_NS0_19identity_decomposerEEE10hipError_tT1_T2_T3_T4_jRjT5_jjP12ihipStream_tbEUlT_E_NS1_11comp_targetILNS1_3genE10ELNS1_11target_archE1201ELNS1_3gpuE5ELNS1_3repE0EEENS1_44radix_sort_block_sort_config_static_selectorELNS0_4arch9wavefront6targetE1EEEvSH_.num_vgpr, 0
	.set _ZN7rocprim17ROCPRIM_400000_NS6detail17trampoline_kernelINS0_13kernel_configILj256ELj4ELj4294967295EEENS1_37radix_sort_block_sort_config_selectorIiiEEZNS1_21radix_sort_block_sortIS4_Lb0EN6thrust23THRUST_200600_302600_NS6detail15normal_iteratorINS9_10device_ptrIiEEEESE_SE_SE_NS0_19identity_decomposerEEE10hipError_tT1_T2_T3_T4_jRjT5_jjP12ihipStream_tbEUlT_E_NS1_11comp_targetILNS1_3genE10ELNS1_11target_archE1201ELNS1_3gpuE5ELNS1_3repE0EEENS1_44radix_sort_block_sort_config_static_selectorELNS0_4arch9wavefront6targetE1EEEvSH_.num_agpr, 0
	.set _ZN7rocprim17ROCPRIM_400000_NS6detail17trampoline_kernelINS0_13kernel_configILj256ELj4ELj4294967295EEENS1_37radix_sort_block_sort_config_selectorIiiEEZNS1_21radix_sort_block_sortIS4_Lb0EN6thrust23THRUST_200600_302600_NS6detail15normal_iteratorINS9_10device_ptrIiEEEESE_SE_SE_NS0_19identity_decomposerEEE10hipError_tT1_T2_T3_T4_jRjT5_jjP12ihipStream_tbEUlT_E_NS1_11comp_targetILNS1_3genE10ELNS1_11target_archE1201ELNS1_3gpuE5ELNS1_3repE0EEENS1_44radix_sort_block_sort_config_static_selectorELNS0_4arch9wavefront6targetE1EEEvSH_.numbered_sgpr, 0
	.set _ZN7rocprim17ROCPRIM_400000_NS6detail17trampoline_kernelINS0_13kernel_configILj256ELj4ELj4294967295EEENS1_37radix_sort_block_sort_config_selectorIiiEEZNS1_21radix_sort_block_sortIS4_Lb0EN6thrust23THRUST_200600_302600_NS6detail15normal_iteratorINS9_10device_ptrIiEEEESE_SE_SE_NS0_19identity_decomposerEEE10hipError_tT1_T2_T3_T4_jRjT5_jjP12ihipStream_tbEUlT_E_NS1_11comp_targetILNS1_3genE10ELNS1_11target_archE1201ELNS1_3gpuE5ELNS1_3repE0EEENS1_44radix_sort_block_sort_config_static_selectorELNS0_4arch9wavefront6targetE1EEEvSH_.num_named_barrier, 0
	.set _ZN7rocprim17ROCPRIM_400000_NS6detail17trampoline_kernelINS0_13kernel_configILj256ELj4ELj4294967295EEENS1_37radix_sort_block_sort_config_selectorIiiEEZNS1_21radix_sort_block_sortIS4_Lb0EN6thrust23THRUST_200600_302600_NS6detail15normal_iteratorINS9_10device_ptrIiEEEESE_SE_SE_NS0_19identity_decomposerEEE10hipError_tT1_T2_T3_T4_jRjT5_jjP12ihipStream_tbEUlT_E_NS1_11comp_targetILNS1_3genE10ELNS1_11target_archE1201ELNS1_3gpuE5ELNS1_3repE0EEENS1_44radix_sort_block_sort_config_static_selectorELNS0_4arch9wavefront6targetE1EEEvSH_.private_seg_size, 0
	.set _ZN7rocprim17ROCPRIM_400000_NS6detail17trampoline_kernelINS0_13kernel_configILj256ELj4ELj4294967295EEENS1_37radix_sort_block_sort_config_selectorIiiEEZNS1_21radix_sort_block_sortIS4_Lb0EN6thrust23THRUST_200600_302600_NS6detail15normal_iteratorINS9_10device_ptrIiEEEESE_SE_SE_NS0_19identity_decomposerEEE10hipError_tT1_T2_T3_T4_jRjT5_jjP12ihipStream_tbEUlT_E_NS1_11comp_targetILNS1_3genE10ELNS1_11target_archE1201ELNS1_3gpuE5ELNS1_3repE0EEENS1_44radix_sort_block_sort_config_static_selectorELNS0_4arch9wavefront6targetE1EEEvSH_.uses_vcc, 0
	.set _ZN7rocprim17ROCPRIM_400000_NS6detail17trampoline_kernelINS0_13kernel_configILj256ELj4ELj4294967295EEENS1_37radix_sort_block_sort_config_selectorIiiEEZNS1_21radix_sort_block_sortIS4_Lb0EN6thrust23THRUST_200600_302600_NS6detail15normal_iteratorINS9_10device_ptrIiEEEESE_SE_SE_NS0_19identity_decomposerEEE10hipError_tT1_T2_T3_T4_jRjT5_jjP12ihipStream_tbEUlT_E_NS1_11comp_targetILNS1_3genE10ELNS1_11target_archE1201ELNS1_3gpuE5ELNS1_3repE0EEENS1_44radix_sort_block_sort_config_static_selectorELNS0_4arch9wavefront6targetE1EEEvSH_.uses_flat_scratch, 0
	.set _ZN7rocprim17ROCPRIM_400000_NS6detail17trampoline_kernelINS0_13kernel_configILj256ELj4ELj4294967295EEENS1_37radix_sort_block_sort_config_selectorIiiEEZNS1_21radix_sort_block_sortIS4_Lb0EN6thrust23THRUST_200600_302600_NS6detail15normal_iteratorINS9_10device_ptrIiEEEESE_SE_SE_NS0_19identity_decomposerEEE10hipError_tT1_T2_T3_T4_jRjT5_jjP12ihipStream_tbEUlT_E_NS1_11comp_targetILNS1_3genE10ELNS1_11target_archE1201ELNS1_3gpuE5ELNS1_3repE0EEENS1_44radix_sort_block_sort_config_static_selectorELNS0_4arch9wavefront6targetE1EEEvSH_.has_dyn_sized_stack, 0
	.set _ZN7rocprim17ROCPRIM_400000_NS6detail17trampoline_kernelINS0_13kernel_configILj256ELj4ELj4294967295EEENS1_37radix_sort_block_sort_config_selectorIiiEEZNS1_21radix_sort_block_sortIS4_Lb0EN6thrust23THRUST_200600_302600_NS6detail15normal_iteratorINS9_10device_ptrIiEEEESE_SE_SE_NS0_19identity_decomposerEEE10hipError_tT1_T2_T3_T4_jRjT5_jjP12ihipStream_tbEUlT_E_NS1_11comp_targetILNS1_3genE10ELNS1_11target_archE1201ELNS1_3gpuE5ELNS1_3repE0EEENS1_44radix_sort_block_sort_config_static_selectorELNS0_4arch9wavefront6targetE1EEEvSH_.has_recursion, 0
	.set _ZN7rocprim17ROCPRIM_400000_NS6detail17trampoline_kernelINS0_13kernel_configILj256ELj4ELj4294967295EEENS1_37radix_sort_block_sort_config_selectorIiiEEZNS1_21radix_sort_block_sortIS4_Lb0EN6thrust23THRUST_200600_302600_NS6detail15normal_iteratorINS9_10device_ptrIiEEEESE_SE_SE_NS0_19identity_decomposerEEE10hipError_tT1_T2_T3_T4_jRjT5_jjP12ihipStream_tbEUlT_E_NS1_11comp_targetILNS1_3genE10ELNS1_11target_archE1201ELNS1_3gpuE5ELNS1_3repE0EEENS1_44radix_sort_block_sort_config_static_selectorELNS0_4arch9wavefront6targetE1EEEvSH_.has_indirect_call, 0
	.section	.AMDGPU.csdata,"",@progbits
; Kernel info:
; codeLenInByte = 0
; TotalNumSgprs: 6
; NumVgprs: 0
; NumAgprs: 0
; TotalNumVgprs: 0
; ScratchSize: 0
; MemoryBound: 0
; FloatMode: 240
; IeeeMode: 1
; LDSByteSize: 0 bytes/workgroup (compile time only)
; SGPRBlocks: 0
; VGPRBlocks: 0
; NumSGPRsForWavesPerEU: 6
; NumVGPRsForWavesPerEU: 1
; AccumOffset: 4
; Occupancy: 8
; WaveLimiterHint : 0
; COMPUTE_PGM_RSRC2:SCRATCH_EN: 0
; COMPUTE_PGM_RSRC2:USER_SGPR: 2
; COMPUTE_PGM_RSRC2:TRAP_HANDLER: 0
; COMPUTE_PGM_RSRC2:TGID_X_EN: 1
; COMPUTE_PGM_RSRC2:TGID_Y_EN: 0
; COMPUTE_PGM_RSRC2:TGID_Z_EN: 0
; COMPUTE_PGM_RSRC2:TIDIG_COMP_CNT: 0
; COMPUTE_PGM_RSRC3_GFX90A:ACCUM_OFFSET: 0
; COMPUTE_PGM_RSRC3_GFX90A:TG_SPLIT: 0
	.section	.text._ZN7rocprim17ROCPRIM_400000_NS6detail17trampoline_kernelINS0_13kernel_configILj256ELj4ELj4294967295EEENS1_37radix_sort_block_sort_config_selectorIiiEEZNS1_21radix_sort_block_sortIS4_Lb0EN6thrust23THRUST_200600_302600_NS6detail15normal_iteratorINS9_10device_ptrIiEEEESE_SE_SE_NS0_19identity_decomposerEEE10hipError_tT1_T2_T3_T4_jRjT5_jjP12ihipStream_tbEUlT_E_NS1_11comp_targetILNS1_3genE10ELNS1_11target_archE1200ELNS1_3gpuE4ELNS1_3repE0EEENS1_44radix_sort_block_sort_config_static_selectorELNS0_4arch9wavefront6targetE1EEEvSH_,"axG",@progbits,_ZN7rocprim17ROCPRIM_400000_NS6detail17trampoline_kernelINS0_13kernel_configILj256ELj4ELj4294967295EEENS1_37radix_sort_block_sort_config_selectorIiiEEZNS1_21radix_sort_block_sortIS4_Lb0EN6thrust23THRUST_200600_302600_NS6detail15normal_iteratorINS9_10device_ptrIiEEEESE_SE_SE_NS0_19identity_decomposerEEE10hipError_tT1_T2_T3_T4_jRjT5_jjP12ihipStream_tbEUlT_E_NS1_11comp_targetILNS1_3genE10ELNS1_11target_archE1200ELNS1_3gpuE4ELNS1_3repE0EEENS1_44radix_sort_block_sort_config_static_selectorELNS0_4arch9wavefront6targetE1EEEvSH_,comdat
	.protected	_ZN7rocprim17ROCPRIM_400000_NS6detail17trampoline_kernelINS0_13kernel_configILj256ELj4ELj4294967295EEENS1_37radix_sort_block_sort_config_selectorIiiEEZNS1_21radix_sort_block_sortIS4_Lb0EN6thrust23THRUST_200600_302600_NS6detail15normal_iteratorINS9_10device_ptrIiEEEESE_SE_SE_NS0_19identity_decomposerEEE10hipError_tT1_T2_T3_T4_jRjT5_jjP12ihipStream_tbEUlT_E_NS1_11comp_targetILNS1_3genE10ELNS1_11target_archE1200ELNS1_3gpuE4ELNS1_3repE0EEENS1_44radix_sort_block_sort_config_static_selectorELNS0_4arch9wavefront6targetE1EEEvSH_ ; -- Begin function _ZN7rocprim17ROCPRIM_400000_NS6detail17trampoline_kernelINS0_13kernel_configILj256ELj4ELj4294967295EEENS1_37radix_sort_block_sort_config_selectorIiiEEZNS1_21radix_sort_block_sortIS4_Lb0EN6thrust23THRUST_200600_302600_NS6detail15normal_iteratorINS9_10device_ptrIiEEEESE_SE_SE_NS0_19identity_decomposerEEE10hipError_tT1_T2_T3_T4_jRjT5_jjP12ihipStream_tbEUlT_E_NS1_11comp_targetILNS1_3genE10ELNS1_11target_archE1200ELNS1_3gpuE4ELNS1_3repE0EEENS1_44radix_sort_block_sort_config_static_selectorELNS0_4arch9wavefront6targetE1EEEvSH_
	.globl	_ZN7rocprim17ROCPRIM_400000_NS6detail17trampoline_kernelINS0_13kernel_configILj256ELj4ELj4294967295EEENS1_37radix_sort_block_sort_config_selectorIiiEEZNS1_21radix_sort_block_sortIS4_Lb0EN6thrust23THRUST_200600_302600_NS6detail15normal_iteratorINS9_10device_ptrIiEEEESE_SE_SE_NS0_19identity_decomposerEEE10hipError_tT1_T2_T3_T4_jRjT5_jjP12ihipStream_tbEUlT_E_NS1_11comp_targetILNS1_3genE10ELNS1_11target_archE1200ELNS1_3gpuE4ELNS1_3repE0EEENS1_44radix_sort_block_sort_config_static_selectorELNS0_4arch9wavefront6targetE1EEEvSH_
	.p2align	8
	.type	_ZN7rocprim17ROCPRIM_400000_NS6detail17trampoline_kernelINS0_13kernel_configILj256ELj4ELj4294967295EEENS1_37radix_sort_block_sort_config_selectorIiiEEZNS1_21radix_sort_block_sortIS4_Lb0EN6thrust23THRUST_200600_302600_NS6detail15normal_iteratorINS9_10device_ptrIiEEEESE_SE_SE_NS0_19identity_decomposerEEE10hipError_tT1_T2_T3_T4_jRjT5_jjP12ihipStream_tbEUlT_E_NS1_11comp_targetILNS1_3genE10ELNS1_11target_archE1200ELNS1_3gpuE4ELNS1_3repE0EEENS1_44radix_sort_block_sort_config_static_selectorELNS0_4arch9wavefront6targetE1EEEvSH_,@function
_ZN7rocprim17ROCPRIM_400000_NS6detail17trampoline_kernelINS0_13kernel_configILj256ELj4ELj4294967295EEENS1_37radix_sort_block_sort_config_selectorIiiEEZNS1_21radix_sort_block_sortIS4_Lb0EN6thrust23THRUST_200600_302600_NS6detail15normal_iteratorINS9_10device_ptrIiEEEESE_SE_SE_NS0_19identity_decomposerEEE10hipError_tT1_T2_T3_T4_jRjT5_jjP12ihipStream_tbEUlT_E_NS1_11comp_targetILNS1_3genE10ELNS1_11target_archE1200ELNS1_3gpuE4ELNS1_3repE0EEENS1_44radix_sort_block_sort_config_static_selectorELNS0_4arch9wavefront6targetE1EEEvSH_: ; @_ZN7rocprim17ROCPRIM_400000_NS6detail17trampoline_kernelINS0_13kernel_configILj256ELj4ELj4294967295EEENS1_37radix_sort_block_sort_config_selectorIiiEEZNS1_21radix_sort_block_sortIS4_Lb0EN6thrust23THRUST_200600_302600_NS6detail15normal_iteratorINS9_10device_ptrIiEEEESE_SE_SE_NS0_19identity_decomposerEEE10hipError_tT1_T2_T3_T4_jRjT5_jjP12ihipStream_tbEUlT_E_NS1_11comp_targetILNS1_3genE10ELNS1_11target_archE1200ELNS1_3gpuE4ELNS1_3repE0EEENS1_44radix_sort_block_sort_config_static_selectorELNS0_4arch9wavefront6targetE1EEEvSH_
; %bb.0:
	.section	.rodata,"a",@progbits
	.p2align	6, 0x0
	.amdhsa_kernel _ZN7rocprim17ROCPRIM_400000_NS6detail17trampoline_kernelINS0_13kernel_configILj256ELj4ELj4294967295EEENS1_37radix_sort_block_sort_config_selectorIiiEEZNS1_21radix_sort_block_sortIS4_Lb0EN6thrust23THRUST_200600_302600_NS6detail15normal_iteratorINS9_10device_ptrIiEEEESE_SE_SE_NS0_19identity_decomposerEEE10hipError_tT1_T2_T3_T4_jRjT5_jjP12ihipStream_tbEUlT_E_NS1_11comp_targetILNS1_3genE10ELNS1_11target_archE1200ELNS1_3gpuE4ELNS1_3repE0EEENS1_44radix_sort_block_sort_config_static_selectorELNS0_4arch9wavefront6targetE1EEEvSH_
		.amdhsa_group_segment_fixed_size 0
		.amdhsa_private_segment_fixed_size 0
		.amdhsa_kernarg_size 48
		.amdhsa_user_sgpr_count 2
		.amdhsa_user_sgpr_dispatch_ptr 0
		.amdhsa_user_sgpr_queue_ptr 0
		.amdhsa_user_sgpr_kernarg_segment_ptr 1
		.amdhsa_user_sgpr_dispatch_id 0
		.amdhsa_user_sgpr_kernarg_preload_length 0
		.amdhsa_user_sgpr_kernarg_preload_offset 0
		.amdhsa_user_sgpr_private_segment_size 0
		.amdhsa_uses_dynamic_stack 0
		.amdhsa_enable_private_segment 0
		.amdhsa_system_sgpr_workgroup_id_x 1
		.amdhsa_system_sgpr_workgroup_id_y 0
		.amdhsa_system_sgpr_workgroup_id_z 0
		.amdhsa_system_sgpr_workgroup_info 0
		.amdhsa_system_vgpr_workitem_id 0
		.amdhsa_next_free_vgpr 1
		.amdhsa_next_free_sgpr 0
		.amdhsa_accum_offset 4
		.amdhsa_reserve_vcc 0
		.amdhsa_float_round_mode_32 0
		.amdhsa_float_round_mode_16_64 0
		.amdhsa_float_denorm_mode_32 3
		.amdhsa_float_denorm_mode_16_64 3
		.amdhsa_dx10_clamp 1
		.amdhsa_ieee_mode 1
		.amdhsa_fp16_overflow 0
		.amdhsa_tg_split 0
		.amdhsa_exception_fp_ieee_invalid_op 0
		.amdhsa_exception_fp_denorm_src 0
		.amdhsa_exception_fp_ieee_div_zero 0
		.amdhsa_exception_fp_ieee_overflow 0
		.amdhsa_exception_fp_ieee_underflow 0
		.amdhsa_exception_fp_ieee_inexact 0
		.amdhsa_exception_int_div_zero 0
	.end_amdhsa_kernel
	.section	.text._ZN7rocprim17ROCPRIM_400000_NS6detail17trampoline_kernelINS0_13kernel_configILj256ELj4ELj4294967295EEENS1_37radix_sort_block_sort_config_selectorIiiEEZNS1_21radix_sort_block_sortIS4_Lb0EN6thrust23THRUST_200600_302600_NS6detail15normal_iteratorINS9_10device_ptrIiEEEESE_SE_SE_NS0_19identity_decomposerEEE10hipError_tT1_T2_T3_T4_jRjT5_jjP12ihipStream_tbEUlT_E_NS1_11comp_targetILNS1_3genE10ELNS1_11target_archE1200ELNS1_3gpuE4ELNS1_3repE0EEENS1_44radix_sort_block_sort_config_static_selectorELNS0_4arch9wavefront6targetE1EEEvSH_,"axG",@progbits,_ZN7rocprim17ROCPRIM_400000_NS6detail17trampoline_kernelINS0_13kernel_configILj256ELj4ELj4294967295EEENS1_37radix_sort_block_sort_config_selectorIiiEEZNS1_21radix_sort_block_sortIS4_Lb0EN6thrust23THRUST_200600_302600_NS6detail15normal_iteratorINS9_10device_ptrIiEEEESE_SE_SE_NS0_19identity_decomposerEEE10hipError_tT1_T2_T3_T4_jRjT5_jjP12ihipStream_tbEUlT_E_NS1_11comp_targetILNS1_3genE10ELNS1_11target_archE1200ELNS1_3gpuE4ELNS1_3repE0EEENS1_44radix_sort_block_sort_config_static_selectorELNS0_4arch9wavefront6targetE1EEEvSH_,comdat
.Lfunc_end696:
	.size	_ZN7rocprim17ROCPRIM_400000_NS6detail17trampoline_kernelINS0_13kernel_configILj256ELj4ELj4294967295EEENS1_37radix_sort_block_sort_config_selectorIiiEEZNS1_21radix_sort_block_sortIS4_Lb0EN6thrust23THRUST_200600_302600_NS6detail15normal_iteratorINS9_10device_ptrIiEEEESE_SE_SE_NS0_19identity_decomposerEEE10hipError_tT1_T2_T3_T4_jRjT5_jjP12ihipStream_tbEUlT_E_NS1_11comp_targetILNS1_3genE10ELNS1_11target_archE1200ELNS1_3gpuE4ELNS1_3repE0EEENS1_44radix_sort_block_sort_config_static_selectorELNS0_4arch9wavefront6targetE1EEEvSH_, .Lfunc_end696-_ZN7rocprim17ROCPRIM_400000_NS6detail17trampoline_kernelINS0_13kernel_configILj256ELj4ELj4294967295EEENS1_37radix_sort_block_sort_config_selectorIiiEEZNS1_21radix_sort_block_sortIS4_Lb0EN6thrust23THRUST_200600_302600_NS6detail15normal_iteratorINS9_10device_ptrIiEEEESE_SE_SE_NS0_19identity_decomposerEEE10hipError_tT1_T2_T3_T4_jRjT5_jjP12ihipStream_tbEUlT_E_NS1_11comp_targetILNS1_3genE10ELNS1_11target_archE1200ELNS1_3gpuE4ELNS1_3repE0EEENS1_44radix_sort_block_sort_config_static_selectorELNS0_4arch9wavefront6targetE1EEEvSH_
                                        ; -- End function
	.set _ZN7rocprim17ROCPRIM_400000_NS6detail17trampoline_kernelINS0_13kernel_configILj256ELj4ELj4294967295EEENS1_37radix_sort_block_sort_config_selectorIiiEEZNS1_21radix_sort_block_sortIS4_Lb0EN6thrust23THRUST_200600_302600_NS6detail15normal_iteratorINS9_10device_ptrIiEEEESE_SE_SE_NS0_19identity_decomposerEEE10hipError_tT1_T2_T3_T4_jRjT5_jjP12ihipStream_tbEUlT_E_NS1_11comp_targetILNS1_3genE10ELNS1_11target_archE1200ELNS1_3gpuE4ELNS1_3repE0EEENS1_44radix_sort_block_sort_config_static_selectorELNS0_4arch9wavefront6targetE1EEEvSH_.num_vgpr, 0
	.set _ZN7rocprim17ROCPRIM_400000_NS6detail17trampoline_kernelINS0_13kernel_configILj256ELj4ELj4294967295EEENS1_37radix_sort_block_sort_config_selectorIiiEEZNS1_21radix_sort_block_sortIS4_Lb0EN6thrust23THRUST_200600_302600_NS6detail15normal_iteratorINS9_10device_ptrIiEEEESE_SE_SE_NS0_19identity_decomposerEEE10hipError_tT1_T2_T3_T4_jRjT5_jjP12ihipStream_tbEUlT_E_NS1_11comp_targetILNS1_3genE10ELNS1_11target_archE1200ELNS1_3gpuE4ELNS1_3repE0EEENS1_44radix_sort_block_sort_config_static_selectorELNS0_4arch9wavefront6targetE1EEEvSH_.num_agpr, 0
	.set _ZN7rocprim17ROCPRIM_400000_NS6detail17trampoline_kernelINS0_13kernel_configILj256ELj4ELj4294967295EEENS1_37radix_sort_block_sort_config_selectorIiiEEZNS1_21radix_sort_block_sortIS4_Lb0EN6thrust23THRUST_200600_302600_NS6detail15normal_iteratorINS9_10device_ptrIiEEEESE_SE_SE_NS0_19identity_decomposerEEE10hipError_tT1_T2_T3_T4_jRjT5_jjP12ihipStream_tbEUlT_E_NS1_11comp_targetILNS1_3genE10ELNS1_11target_archE1200ELNS1_3gpuE4ELNS1_3repE0EEENS1_44radix_sort_block_sort_config_static_selectorELNS0_4arch9wavefront6targetE1EEEvSH_.numbered_sgpr, 0
	.set _ZN7rocprim17ROCPRIM_400000_NS6detail17trampoline_kernelINS0_13kernel_configILj256ELj4ELj4294967295EEENS1_37radix_sort_block_sort_config_selectorIiiEEZNS1_21radix_sort_block_sortIS4_Lb0EN6thrust23THRUST_200600_302600_NS6detail15normal_iteratorINS9_10device_ptrIiEEEESE_SE_SE_NS0_19identity_decomposerEEE10hipError_tT1_T2_T3_T4_jRjT5_jjP12ihipStream_tbEUlT_E_NS1_11comp_targetILNS1_3genE10ELNS1_11target_archE1200ELNS1_3gpuE4ELNS1_3repE0EEENS1_44radix_sort_block_sort_config_static_selectorELNS0_4arch9wavefront6targetE1EEEvSH_.num_named_barrier, 0
	.set _ZN7rocprim17ROCPRIM_400000_NS6detail17trampoline_kernelINS0_13kernel_configILj256ELj4ELj4294967295EEENS1_37radix_sort_block_sort_config_selectorIiiEEZNS1_21radix_sort_block_sortIS4_Lb0EN6thrust23THRUST_200600_302600_NS6detail15normal_iteratorINS9_10device_ptrIiEEEESE_SE_SE_NS0_19identity_decomposerEEE10hipError_tT1_T2_T3_T4_jRjT5_jjP12ihipStream_tbEUlT_E_NS1_11comp_targetILNS1_3genE10ELNS1_11target_archE1200ELNS1_3gpuE4ELNS1_3repE0EEENS1_44radix_sort_block_sort_config_static_selectorELNS0_4arch9wavefront6targetE1EEEvSH_.private_seg_size, 0
	.set _ZN7rocprim17ROCPRIM_400000_NS6detail17trampoline_kernelINS0_13kernel_configILj256ELj4ELj4294967295EEENS1_37radix_sort_block_sort_config_selectorIiiEEZNS1_21radix_sort_block_sortIS4_Lb0EN6thrust23THRUST_200600_302600_NS6detail15normal_iteratorINS9_10device_ptrIiEEEESE_SE_SE_NS0_19identity_decomposerEEE10hipError_tT1_T2_T3_T4_jRjT5_jjP12ihipStream_tbEUlT_E_NS1_11comp_targetILNS1_3genE10ELNS1_11target_archE1200ELNS1_3gpuE4ELNS1_3repE0EEENS1_44radix_sort_block_sort_config_static_selectorELNS0_4arch9wavefront6targetE1EEEvSH_.uses_vcc, 0
	.set _ZN7rocprim17ROCPRIM_400000_NS6detail17trampoline_kernelINS0_13kernel_configILj256ELj4ELj4294967295EEENS1_37radix_sort_block_sort_config_selectorIiiEEZNS1_21radix_sort_block_sortIS4_Lb0EN6thrust23THRUST_200600_302600_NS6detail15normal_iteratorINS9_10device_ptrIiEEEESE_SE_SE_NS0_19identity_decomposerEEE10hipError_tT1_T2_T3_T4_jRjT5_jjP12ihipStream_tbEUlT_E_NS1_11comp_targetILNS1_3genE10ELNS1_11target_archE1200ELNS1_3gpuE4ELNS1_3repE0EEENS1_44radix_sort_block_sort_config_static_selectorELNS0_4arch9wavefront6targetE1EEEvSH_.uses_flat_scratch, 0
	.set _ZN7rocprim17ROCPRIM_400000_NS6detail17trampoline_kernelINS0_13kernel_configILj256ELj4ELj4294967295EEENS1_37radix_sort_block_sort_config_selectorIiiEEZNS1_21radix_sort_block_sortIS4_Lb0EN6thrust23THRUST_200600_302600_NS6detail15normal_iteratorINS9_10device_ptrIiEEEESE_SE_SE_NS0_19identity_decomposerEEE10hipError_tT1_T2_T3_T4_jRjT5_jjP12ihipStream_tbEUlT_E_NS1_11comp_targetILNS1_3genE10ELNS1_11target_archE1200ELNS1_3gpuE4ELNS1_3repE0EEENS1_44radix_sort_block_sort_config_static_selectorELNS0_4arch9wavefront6targetE1EEEvSH_.has_dyn_sized_stack, 0
	.set _ZN7rocprim17ROCPRIM_400000_NS6detail17trampoline_kernelINS0_13kernel_configILj256ELj4ELj4294967295EEENS1_37radix_sort_block_sort_config_selectorIiiEEZNS1_21radix_sort_block_sortIS4_Lb0EN6thrust23THRUST_200600_302600_NS6detail15normal_iteratorINS9_10device_ptrIiEEEESE_SE_SE_NS0_19identity_decomposerEEE10hipError_tT1_T2_T3_T4_jRjT5_jjP12ihipStream_tbEUlT_E_NS1_11comp_targetILNS1_3genE10ELNS1_11target_archE1200ELNS1_3gpuE4ELNS1_3repE0EEENS1_44radix_sort_block_sort_config_static_selectorELNS0_4arch9wavefront6targetE1EEEvSH_.has_recursion, 0
	.set _ZN7rocprim17ROCPRIM_400000_NS6detail17trampoline_kernelINS0_13kernel_configILj256ELj4ELj4294967295EEENS1_37radix_sort_block_sort_config_selectorIiiEEZNS1_21radix_sort_block_sortIS4_Lb0EN6thrust23THRUST_200600_302600_NS6detail15normal_iteratorINS9_10device_ptrIiEEEESE_SE_SE_NS0_19identity_decomposerEEE10hipError_tT1_T2_T3_T4_jRjT5_jjP12ihipStream_tbEUlT_E_NS1_11comp_targetILNS1_3genE10ELNS1_11target_archE1200ELNS1_3gpuE4ELNS1_3repE0EEENS1_44radix_sort_block_sort_config_static_selectorELNS0_4arch9wavefront6targetE1EEEvSH_.has_indirect_call, 0
	.section	.AMDGPU.csdata,"",@progbits
; Kernel info:
; codeLenInByte = 0
; TotalNumSgprs: 6
; NumVgprs: 0
; NumAgprs: 0
; TotalNumVgprs: 0
; ScratchSize: 0
; MemoryBound: 0
; FloatMode: 240
; IeeeMode: 1
; LDSByteSize: 0 bytes/workgroup (compile time only)
; SGPRBlocks: 0
; VGPRBlocks: 0
; NumSGPRsForWavesPerEU: 6
; NumVGPRsForWavesPerEU: 1
; AccumOffset: 4
; Occupancy: 8
; WaveLimiterHint : 0
; COMPUTE_PGM_RSRC2:SCRATCH_EN: 0
; COMPUTE_PGM_RSRC2:USER_SGPR: 2
; COMPUTE_PGM_RSRC2:TRAP_HANDLER: 0
; COMPUTE_PGM_RSRC2:TGID_X_EN: 1
; COMPUTE_PGM_RSRC2:TGID_Y_EN: 0
; COMPUTE_PGM_RSRC2:TGID_Z_EN: 0
; COMPUTE_PGM_RSRC2:TIDIG_COMP_CNT: 0
; COMPUTE_PGM_RSRC3_GFX90A:ACCUM_OFFSET: 0
; COMPUTE_PGM_RSRC3_GFX90A:TG_SPLIT: 0
	.section	.text._ZN7rocprim17ROCPRIM_400000_NS6detail17trampoline_kernelINS0_13kernel_configILj256ELj4ELj4294967295EEENS1_37radix_sort_block_sort_config_selectorIiiEEZNS1_21radix_sort_block_sortIS4_Lb0EN6thrust23THRUST_200600_302600_NS6detail15normal_iteratorINS9_10device_ptrIiEEEESE_SE_SE_NS0_19identity_decomposerEEE10hipError_tT1_T2_T3_T4_jRjT5_jjP12ihipStream_tbEUlT_E_NS1_11comp_targetILNS1_3genE9ELNS1_11target_archE1100ELNS1_3gpuE3ELNS1_3repE0EEENS1_44radix_sort_block_sort_config_static_selectorELNS0_4arch9wavefront6targetE1EEEvSH_,"axG",@progbits,_ZN7rocprim17ROCPRIM_400000_NS6detail17trampoline_kernelINS0_13kernel_configILj256ELj4ELj4294967295EEENS1_37radix_sort_block_sort_config_selectorIiiEEZNS1_21radix_sort_block_sortIS4_Lb0EN6thrust23THRUST_200600_302600_NS6detail15normal_iteratorINS9_10device_ptrIiEEEESE_SE_SE_NS0_19identity_decomposerEEE10hipError_tT1_T2_T3_T4_jRjT5_jjP12ihipStream_tbEUlT_E_NS1_11comp_targetILNS1_3genE9ELNS1_11target_archE1100ELNS1_3gpuE3ELNS1_3repE0EEENS1_44radix_sort_block_sort_config_static_selectorELNS0_4arch9wavefront6targetE1EEEvSH_,comdat
	.protected	_ZN7rocprim17ROCPRIM_400000_NS6detail17trampoline_kernelINS0_13kernel_configILj256ELj4ELj4294967295EEENS1_37radix_sort_block_sort_config_selectorIiiEEZNS1_21radix_sort_block_sortIS4_Lb0EN6thrust23THRUST_200600_302600_NS6detail15normal_iteratorINS9_10device_ptrIiEEEESE_SE_SE_NS0_19identity_decomposerEEE10hipError_tT1_T2_T3_T4_jRjT5_jjP12ihipStream_tbEUlT_E_NS1_11comp_targetILNS1_3genE9ELNS1_11target_archE1100ELNS1_3gpuE3ELNS1_3repE0EEENS1_44radix_sort_block_sort_config_static_selectorELNS0_4arch9wavefront6targetE1EEEvSH_ ; -- Begin function _ZN7rocprim17ROCPRIM_400000_NS6detail17trampoline_kernelINS0_13kernel_configILj256ELj4ELj4294967295EEENS1_37radix_sort_block_sort_config_selectorIiiEEZNS1_21radix_sort_block_sortIS4_Lb0EN6thrust23THRUST_200600_302600_NS6detail15normal_iteratorINS9_10device_ptrIiEEEESE_SE_SE_NS0_19identity_decomposerEEE10hipError_tT1_T2_T3_T4_jRjT5_jjP12ihipStream_tbEUlT_E_NS1_11comp_targetILNS1_3genE9ELNS1_11target_archE1100ELNS1_3gpuE3ELNS1_3repE0EEENS1_44radix_sort_block_sort_config_static_selectorELNS0_4arch9wavefront6targetE1EEEvSH_
	.globl	_ZN7rocprim17ROCPRIM_400000_NS6detail17trampoline_kernelINS0_13kernel_configILj256ELj4ELj4294967295EEENS1_37radix_sort_block_sort_config_selectorIiiEEZNS1_21radix_sort_block_sortIS4_Lb0EN6thrust23THRUST_200600_302600_NS6detail15normal_iteratorINS9_10device_ptrIiEEEESE_SE_SE_NS0_19identity_decomposerEEE10hipError_tT1_T2_T3_T4_jRjT5_jjP12ihipStream_tbEUlT_E_NS1_11comp_targetILNS1_3genE9ELNS1_11target_archE1100ELNS1_3gpuE3ELNS1_3repE0EEENS1_44radix_sort_block_sort_config_static_selectorELNS0_4arch9wavefront6targetE1EEEvSH_
	.p2align	8
	.type	_ZN7rocprim17ROCPRIM_400000_NS6detail17trampoline_kernelINS0_13kernel_configILj256ELj4ELj4294967295EEENS1_37radix_sort_block_sort_config_selectorIiiEEZNS1_21radix_sort_block_sortIS4_Lb0EN6thrust23THRUST_200600_302600_NS6detail15normal_iteratorINS9_10device_ptrIiEEEESE_SE_SE_NS0_19identity_decomposerEEE10hipError_tT1_T2_T3_T4_jRjT5_jjP12ihipStream_tbEUlT_E_NS1_11comp_targetILNS1_3genE9ELNS1_11target_archE1100ELNS1_3gpuE3ELNS1_3repE0EEENS1_44radix_sort_block_sort_config_static_selectorELNS0_4arch9wavefront6targetE1EEEvSH_,@function
_ZN7rocprim17ROCPRIM_400000_NS6detail17trampoline_kernelINS0_13kernel_configILj256ELj4ELj4294967295EEENS1_37radix_sort_block_sort_config_selectorIiiEEZNS1_21radix_sort_block_sortIS4_Lb0EN6thrust23THRUST_200600_302600_NS6detail15normal_iteratorINS9_10device_ptrIiEEEESE_SE_SE_NS0_19identity_decomposerEEE10hipError_tT1_T2_T3_T4_jRjT5_jjP12ihipStream_tbEUlT_E_NS1_11comp_targetILNS1_3genE9ELNS1_11target_archE1100ELNS1_3gpuE3ELNS1_3repE0EEENS1_44radix_sort_block_sort_config_static_selectorELNS0_4arch9wavefront6targetE1EEEvSH_: ; @_ZN7rocprim17ROCPRIM_400000_NS6detail17trampoline_kernelINS0_13kernel_configILj256ELj4ELj4294967295EEENS1_37radix_sort_block_sort_config_selectorIiiEEZNS1_21radix_sort_block_sortIS4_Lb0EN6thrust23THRUST_200600_302600_NS6detail15normal_iteratorINS9_10device_ptrIiEEEESE_SE_SE_NS0_19identity_decomposerEEE10hipError_tT1_T2_T3_T4_jRjT5_jjP12ihipStream_tbEUlT_E_NS1_11comp_targetILNS1_3genE9ELNS1_11target_archE1100ELNS1_3gpuE3ELNS1_3repE0EEENS1_44radix_sort_block_sort_config_static_selectorELNS0_4arch9wavefront6targetE1EEEvSH_
; %bb.0:
	.section	.rodata,"a",@progbits
	.p2align	6, 0x0
	.amdhsa_kernel _ZN7rocprim17ROCPRIM_400000_NS6detail17trampoline_kernelINS0_13kernel_configILj256ELj4ELj4294967295EEENS1_37radix_sort_block_sort_config_selectorIiiEEZNS1_21radix_sort_block_sortIS4_Lb0EN6thrust23THRUST_200600_302600_NS6detail15normal_iteratorINS9_10device_ptrIiEEEESE_SE_SE_NS0_19identity_decomposerEEE10hipError_tT1_T2_T3_T4_jRjT5_jjP12ihipStream_tbEUlT_E_NS1_11comp_targetILNS1_3genE9ELNS1_11target_archE1100ELNS1_3gpuE3ELNS1_3repE0EEENS1_44radix_sort_block_sort_config_static_selectorELNS0_4arch9wavefront6targetE1EEEvSH_
		.amdhsa_group_segment_fixed_size 0
		.amdhsa_private_segment_fixed_size 0
		.amdhsa_kernarg_size 48
		.amdhsa_user_sgpr_count 2
		.amdhsa_user_sgpr_dispatch_ptr 0
		.amdhsa_user_sgpr_queue_ptr 0
		.amdhsa_user_sgpr_kernarg_segment_ptr 1
		.amdhsa_user_sgpr_dispatch_id 0
		.amdhsa_user_sgpr_kernarg_preload_length 0
		.amdhsa_user_sgpr_kernarg_preload_offset 0
		.amdhsa_user_sgpr_private_segment_size 0
		.amdhsa_uses_dynamic_stack 0
		.amdhsa_enable_private_segment 0
		.amdhsa_system_sgpr_workgroup_id_x 1
		.amdhsa_system_sgpr_workgroup_id_y 0
		.amdhsa_system_sgpr_workgroup_id_z 0
		.amdhsa_system_sgpr_workgroup_info 0
		.amdhsa_system_vgpr_workitem_id 0
		.amdhsa_next_free_vgpr 1
		.amdhsa_next_free_sgpr 0
		.amdhsa_accum_offset 4
		.amdhsa_reserve_vcc 0
		.amdhsa_float_round_mode_32 0
		.amdhsa_float_round_mode_16_64 0
		.amdhsa_float_denorm_mode_32 3
		.amdhsa_float_denorm_mode_16_64 3
		.amdhsa_dx10_clamp 1
		.amdhsa_ieee_mode 1
		.amdhsa_fp16_overflow 0
		.amdhsa_tg_split 0
		.amdhsa_exception_fp_ieee_invalid_op 0
		.amdhsa_exception_fp_denorm_src 0
		.amdhsa_exception_fp_ieee_div_zero 0
		.amdhsa_exception_fp_ieee_overflow 0
		.amdhsa_exception_fp_ieee_underflow 0
		.amdhsa_exception_fp_ieee_inexact 0
		.amdhsa_exception_int_div_zero 0
	.end_amdhsa_kernel
	.section	.text._ZN7rocprim17ROCPRIM_400000_NS6detail17trampoline_kernelINS0_13kernel_configILj256ELj4ELj4294967295EEENS1_37radix_sort_block_sort_config_selectorIiiEEZNS1_21radix_sort_block_sortIS4_Lb0EN6thrust23THRUST_200600_302600_NS6detail15normal_iteratorINS9_10device_ptrIiEEEESE_SE_SE_NS0_19identity_decomposerEEE10hipError_tT1_T2_T3_T4_jRjT5_jjP12ihipStream_tbEUlT_E_NS1_11comp_targetILNS1_3genE9ELNS1_11target_archE1100ELNS1_3gpuE3ELNS1_3repE0EEENS1_44radix_sort_block_sort_config_static_selectorELNS0_4arch9wavefront6targetE1EEEvSH_,"axG",@progbits,_ZN7rocprim17ROCPRIM_400000_NS6detail17trampoline_kernelINS0_13kernel_configILj256ELj4ELj4294967295EEENS1_37radix_sort_block_sort_config_selectorIiiEEZNS1_21radix_sort_block_sortIS4_Lb0EN6thrust23THRUST_200600_302600_NS6detail15normal_iteratorINS9_10device_ptrIiEEEESE_SE_SE_NS0_19identity_decomposerEEE10hipError_tT1_T2_T3_T4_jRjT5_jjP12ihipStream_tbEUlT_E_NS1_11comp_targetILNS1_3genE9ELNS1_11target_archE1100ELNS1_3gpuE3ELNS1_3repE0EEENS1_44radix_sort_block_sort_config_static_selectorELNS0_4arch9wavefront6targetE1EEEvSH_,comdat
.Lfunc_end697:
	.size	_ZN7rocprim17ROCPRIM_400000_NS6detail17trampoline_kernelINS0_13kernel_configILj256ELj4ELj4294967295EEENS1_37radix_sort_block_sort_config_selectorIiiEEZNS1_21radix_sort_block_sortIS4_Lb0EN6thrust23THRUST_200600_302600_NS6detail15normal_iteratorINS9_10device_ptrIiEEEESE_SE_SE_NS0_19identity_decomposerEEE10hipError_tT1_T2_T3_T4_jRjT5_jjP12ihipStream_tbEUlT_E_NS1_11comp_targetILNS1_3genE9ELNS1_11target_archE1100ELNS1_3gpuE3ELNS1_3repE0EEENS1_44radix_sort_block_sort_config_static_selectorELNS0_4arch9wavefront6targetE1EEEvSH_, .Lfunc_end697-_ZN7rocprim17ROCPRIM_400000_NS6detail17trampoline_kernelINS0_13kernel_configILj256ELj4ELj4294967295EEENS1_37radix_sort_block_sort_config_selectorIiiEEZNS1_21radix_sort_block_sortIS4_Lb0EN6thrust23THRUST_200600_302600_NS6detail15normal_iteratorINS9_10device_ptrIiEEEESE_SE_SE_NS0_19identity_decomposerEEE10hipError_tT1_T2_T3_T4_jRjT5_jjP12ihipStream_tbEUlT_E_NS1_11comp_targetILNS1_3genE9ELNS1_11target_archE1100ELNS1_3gpuE3ELNS1_3repE0EEENS1_44radix_sort_block_sort_config_static_selectorELNS0_4arch9wavefront6targetE1EEEvSH_
                                        ; -- End function
	.set _ZN7rocprim17ROCPRIM_400000_NS6detail17trampoline_kernelINS0_13kernel_configILj256ELj4ELj4294967295EEENS1_37radix_sort_block_sort_config_selectorIiiEEZNS1_21radix_sort_block_sortIS4_Lb0EN6thrust23THRUST_200600_302600_NS6detail15normal_iteratorINS9_10device_ptrIiEEEESE_SE_SE_NS0_19identity_decomposerEEE10hipError_tT1_T2_T3_T4_jRjT5_jjP12ihipStream_tbEUlT_E_NS1_11comp_targetILNS1_3genE9ELNS1_11target_archE1100ELNS1_3gpuE3ELNS1_3repE0EEENS1_44radix_sort_block_sort_config_static_selectorELNS0_4arch9wavefront6targetE1EEEvSH_.num_vgpr, 0
	.set _ZN7rocprim17ROCPRIM_400000_NS6detail17trampoline_kernelINS0_13kernel_configILj256ELj4ELj4294967295EEENS1_37radix_sort_block_sort_config_selectorIiiEEZNS1_21radix_sort_block_sortIS4_Lb0EN6thrust23THRUST_200600_302600_NS6detail15normal_iteratorINS9_10device_ptrIiEEEESE_SE_SE_NS0_19identity_decomposerEEE10hipError_tT1_T2_T3_T4_jRjT5_jjP12ihipStream_tbEUlT_E_NS1_11comp_targetILNS1_3genE9ELNS1_11target_archE1100ELNS1_3gpuE3ELNS1_3repE0EEENS1_44radix_sort_block_sort_config_static_selectorELNS0_4arch9wavefront6targetE1EEEvSH_.num_agpr, 0
	.set _ZN7rocprim17ROCPRIM_400000_NS6detail17trampoline_kernelINS0_13kernel_configILj256ELj4ELj4294967295EEENS1_37radix_sort_block_sort_config_selectorIiiEEZNS1_21radix_sort_block_sortIS4_Lb0EN6thrust23THRUST_200600_302600_NS6detail15normal_iteratorINS9_10device_ptrIiEEEESE_SE_SE_NS0_19identity_decomposerEEE10hipError_tT1_T2_T3_T4_jRjT5_jjP12ihipStream_tbEUlT_E_NS1_11comp_targetILNS1_3genE9ELNS1_11target_archE1100ELNS1_3gpuE3ELNS1_3repE0EEENS1_44radix_sort_block_sort_config_static_selectorELNS0_4arch9wavefront6targetE1EEEvSH_.numbered_sgpr, 0
	.set _ZN7rocprim17ROCPRIM_400000_NS6detail17trampoline_kernelINS0_13kernel_configILj256ELj4ELj4294967295EEENS1_37radix_sort_block_sort_config_selectorIiiEEZNS1_21radix_sort_block_sortIS4_Lb0EN6thrust23THRUST_200600_302600_NS6detail15normal_iteratorINS9_10device_ptrIiEEEESE_SE_SE_NS0_19identity_decomposerEEE10hipError_tT1_T2_T3_T4_jRjT5_jjP12ihipStream_tbEUlT_E_NS1_11comp_targetILNS1_3genE9ELNS1_11target_archE1100ELNS1_3gpuE3ELNS1_3repE0EEENS1_44radix_sort_block_sort_config_static_selectorELNS0_4arch9wavefront6targetE1EEEvSH_.num_named_barrier, 0
	.set _ZN7rocprim17ROCPRIM_400000_NS6detail17trampoline_kernelINS0_13kernel_configILj256ELj4ELj4294967295EEENS1_37radix_sort_block_sort_config_selectorIiiEEZNS1_21radix_sort_block_sortIS4_Lb0EN6thrust23THRUST_200600_302600_NS6detail15normal_iteratorINS9_10device_ptrIiEEEESE_SE_SE_NS0_19identity_decomposerEEE10hipError_tT1_T2_T3_T4_jRjT5_jjP12ihipStream_tbEUlT_E_NS1_11comp_targetILNS1_3genE9ELNS1_11target_archE1100ELNS1_3gpuE3ELNS1_3repE0EEENS1_44radix_sort_block_sort_config_static_selectorELNS0_4arch9wavefront6targetE1EEEvSH_.private_seg_size, 0
	.set _ZN7rocprim17ROCPRIM_400000_NS6detail17trampoline_kernelINS0_13kernel_configILj256ELj4ELj4294967295EEENS1_37radix_sort_block_sort_config_selectorIiiEEZNS1_21radix_sort_block_sortIS4_Lb0EN6thrust23THRUST_200600_302600_NS6detail15normal_iteratorINS9_10device_ptrIiEEEESE_SE_SE_NS0_19identity_decomposerEEE10hipError_tT1_T2_T3_T4_jRjT5_jjP12ihipStream_tbEUlT_E_NS1_11comp_targetILNS1_3genE9ELNS1_11target_archE1100ELNS1_3gpuE3ELNS1_3repE0EEENS1_44radix_sort_block_sort_config_static_selectorELNS0_4arch9wavefront6targetE1EEEvSH_.uses_vcc, 0
	.set _ZN7rocprim17ROCPRIM_400000_NS6detail17trampoline_kernelINS0_13kernel_configILj256ELj4ELj4294967295EEENS1_37radix_sort_block_sort_config_selectorIiiEEZNS1_21radix_sort_block_sortIS4_Lb0EN6thrust23THRUST_200600_302600_NS6detail15normal_iteratorINS9_10device_ptrIiEEEESE_SE_SE_NS0_19identity_decomposerEEE10hipError_tT1_T2_T3_T4_jRjT5_jjP12ihipStream_tbEUlT_E_NS1_11comp_targetILNS1_3genE9ELNS1_11target_archE1100ELNS1_3gpuE3ELNS1_3repE0EEENS1_44radix_sort_block_sort_config_static_selectorELNS0_4arch9wavefront6targetE1EEEvSH_.uses_flat_scratch, 0
	.set _ZN7rocprim17ROCPRIM_400000_NS6detail17trampoline_kernelINS0_13kernel_configILj256ELj4ELj4294967295EEENS1_37radix_sort_block_sort_config_selectorIiiEEZNS1_21radix_sort_block_sortIS4_Lb0EN6thrust23THRUST_200600_302600_NS6detail15normal_iteratorINS9_10device_ptrIiEEEESE_SE_SE_NS0_19identity_decomposerEEE10hipError_tT1_T2_T3_T4_jRjT5_jjP12ihipStream_tbEUlT_E_NS1_11comp_targetILNS1_3genE9ELNS1_11target_archE1100ELNS1_3gpuE3ELNS1_3repE0EEENS1_44radix_sort_block_sort_config_static_selectorELNS0_4arch9wavefront6targetE1EEEvSH_.has_dyn_sized_stack, 0
	.set _ZN7rocprim17ROCPRIM_400000_NS6detail17trampoline_kernelINS0_13kernel_configILj256ELj4ELj4294967295EEENS1_37radix_sort_block_sort_config_selectorIiiEEZNS1_21radix_sort_block_sortIS4_Lb0EN6thrust23THRUST_200600_302600_NS6detail15normal_iteratorINS9_10device_ptrIiEEEESE_SE_SE_NS0_19identity_decomposerEEE10hipError_tT1_T2_T3_T4_jRjT5_jjP12ihipStream_tbEUlT_E_NS1_11comp_targetILNS1_3genE9ELNS1_11target_archE1100ELNS1_3gpuE3ELNS1_3repE0EEENS1_44radix_sort_block_sort_config_static_selectorELNS0_4arch9wavefront6targetE1EEEvSH_.has_recursion, 0
	.set _ZN7rocprim17ROCPRIM_400000_NS6detail17trampoline_kernelINS0_13kernel_configILj256ELj4ELj4294967295EEENS1_37radix_sort_block_sort_config_selectorIiiEEZNS1_21radix_sort_block_sortIS4_Lb0EN6thrust23THRUST_200600_302600_NS6detail15normal_iteratorINS9_10device_ptrIiEEEESE_SE_SE_NS0_19identity_decomposerEEE10hipError_tT1_T2_T3_T4_jRjT5_jjP12ihipStream_tbEUlT_E_NS1_11comp_targetILNS1_3genE9ELNS1_11target_archE1100ELNS1_3gpuE3ELNS1_3repE0EEENS1_44radix_sort_block_sort_config_static_selectorELNS0_4arch9wavefront6targetE1EEEvSH_.has_indirect_call, 0
	.section	.AMDGPU.csdata,"",@progbits
; Kernel info:
; codeLenInByte = 0
; TotalNumSgprs: 6
; NumVgprs: 0
; NumAgprs: 0
; TotalNumVgprs: 0
; ScratchSize: 0
; MemoryBound: 0
; FloatMode: 240
; IeeeMode: 1
; LDSByteSize: 0 bytes/workgroup (compile time only)
; SGPRBlocks: 0
; VGPRBlocks: 0
; NumSGPRsForWavesPerEU: 6
; NumVGPRsForWavesPerEU: 1
; AccumOffset: 4
; Occupancy: 8
; WaveLimiterHint : 0
; COMPUTE_PGM_RSRC2:SCRATCH_EN: 0
; COMPUTE_PGM_RSRC2:USER_SGPR: 2
; COMPUTE_PGM_RSRC2:TRAP_HANDLER: 0
; COMPUTE_PGM_RSRC2:TGID_X_EN: 1
; COMPUTE_PGM_RSRC2:TGID_Y_EN: 0
; COMPUTE_PGM_RSRC2:TGID_Z_EN: 0
; COMPUTE_PGM_RSRC2:TIDIG_COMP_CNT: 0
; COMPUTE_PGM_RSRC3_GFX90A:ACCUM_OFFSET: 0
; COMPUTE_PGM_RSRC3_GFX90A:TG_SPLIT: 0
	.section	.text._ZN7rocprim17ROCPRIM_400000_NS6detail17trampoline_kernelINS0_13kernel_configILj256ELj4ELj4294967295EEENS1_37radix_sort_block_sort_config_selectorIiiEEZNS1_21radix_sort_block_sortIS4_Lb0EN6thrust23THRUST_200600_302600_NS6detail15normal_iteratorINS9_10device_ptrIiEEEESE_SE_SE_NS0_19identity_decomposerEEE10hipError_tT1_T2_T3_T4_jRjT5_jjP12ihipStream_tbEUlT_E_NS1_11comp_targetILNS1_3genE8ELNS1_11target_archE1030ELNS1_3gpuE2ELNS1_3repE0EEENS1_44radix_sort_block_sort_config_static_selectorELNS0_4arch9wavefront6targetE1EEEvSH_,"axG",@progbits,_ZN7rocprim17ROCPRIM_400000_NS6detail17trampoline_kernelINS0_13kernel_configILj256ELj4ELj4294967295EEENS1_37radix_sort_block_sort_config_selectorIiiEEZNS1_21radix_sort_block_sortIS4_Lb0EN6thrust23THRUST_200600_302600_NS6detail15normal_iteratorINS9_10device_ptrIiEEEESE_SE_SE_NS0_19identity_decomposerEEE10hipError_tT1_T2_T3_T4_jRjT5_jjP12ihipStream_tbEUlT_E_NS1_11comp_targetILNS1_3genE8ELNS1_11target_archE1030ELNS1_3gpuE2ELNS1_3repE0EEENS1_44radix_sort_block_sort_config_static_selectorELNS0_4arch9wavefront6targetE1EEEvSH_,comdat
	.protected	_ZN7rocprim17ROCPRIM_400000_NS6detail17trampoline_kernelINS0_13kernel_configILj256ELj4ELj4294967295EEENS1_37radix_sort_block_sort_config_selectorIiiEEZNS1_21radix_sort_block_sortIS4_Lb0EN6thrust23THRUST_200600_302600_NS6detail15normal_iteratorINS9_10device_ptrIiEEEESE_SE_SE_NS0_19identity_decomposerEEE10hipError_tT1_T2_T3_T4_jRjT5_jjP12ihipStream_tbEUlT_E_NS1_11comp_targetILNS1_3genE8ELNS1_11target_archE1030ELNS1_3gpuE2ELNS1_3repE0EEENS1_44radix_sort_block_sort_config_static_selectorELNS0_4arch9wavefront6targetE1EEEvSH_ ; -- Begin function _ZN7rocprim17ROCPRIM_400000_NS6detail17trampoline_kernelINS0_13kernel_configILj256ELj4ELj4294967295EEENS1_37radix_sort_block_sort_config_selectorIiiEEZNS1_21radix_sort_block_sortIS4_Lb0EN6thrust23THRUST_200600_302600_NS6detail15normal_iteratorINS9_10device_ptrIiEEEESE_SE_SE_NS0_19identity_decomposerEEE10hipError_tT1_T2_T3_T4_jRjT5_jjP12ihipStream_tbEUlT_E_NS1_11comp_targetILNS1_3genE8ELNS1_11target_archE1030ELNS1_3gpuE2ELNS1_3repE0EEENS1_44radix_sort_block_sort_config_static_selectorELNS0_4arch9wavefront6targetE1EEEvSH_
	.globl	_ZN7rocprim17ROCPRIM_400000_NS6detail17trampoline_kernelINS0_13kernel_configILj256ELj4ELj4294967295EEENS1_37radix_sort_block_sort_config_selectorIiiEEZNS1_21radix_sort_block_sortIS4_Lb0EN6thrust23THRUST_200600_302600_NS6detail15normal_iteratorINS9_10device_ptrIiEEEESE_SE_SE_NS0_19identity_decomposerEEE10hipError_tT1_T2_T3_T4_jRjT5_jjP12ihipStream_tbEUlT_E_NS1_11comp_targetILNS1_3genE8ELNS1_11target_archE1030ELNS1_3gpuE2ELNS1_3repE0EEENS1_44radix_sort_block_sort_config_static_selectorELNS0_4arch9wavefront6targetE1EEEvSH_
	.p2align	8
	.type	_ZN7rocprim17ROCPRIM_400000_NS6detail17trampoline_kernelINS0_13kernel_configILj256ELj4ELj4294967295EEENS1_37radix_sort_block_sort_config_selectorIiiEEZNS1_21radix_sort_block_sortIS4_Lb0EN6thrust23THRUST_200600_302600_NS6detail15normal_iteratorINS9_10device_ptrIiEEEESE_SE_SE_NS0_19identity_decomposerEEE10hipError_tT1_T2_T3_T4_jRjT5_jjP12ihipStream_tbEUlT_E_NS1_11comp_targetILNS1_3genE8ELNS1_11target_archE1030ELNS1_3gpuE2ELNS1_3repE0EEENS1_44radix_sort_block_sort_config_static_selectorELNS0_4arch9wavefront6targetE1EEEvSH_,@function
_ZN7rocprim17ROCPRIM_400000_NS6detail17trampoline_kernelINS0_13kernel_configILj256ELj4ELj4294967295EEENS1_37radix_sort_block_sort_config_selectorIiiEEZNS1_21radix_sort_block_sortIS4_Lb0EN6thrust23THRUST_200600_302600_NS6detail15normal_iteratorINS9_10device_ptrIiEEEESE_SE_SE_NS0_19identity_decomposerEEE10hipError_tT1_T2_T3_T4_jRjT5_jjP12ihipStream_tbEUlT_E_NS1_11comp_targetILNS1_3genE8ELNS1_11target_archE1030ELNS1_3gpuE2ELNS1_3repE0EEENS1_44radix_sort_block_sort_config_static_selectorELNS0_4arch9wavefront6targetE1EEEvSH_: ; @_ZN7rocprim17ROCPRIM_400000_NS6detail17trampoline_kernelINS0_13kernel_configILj256ELj4ELj4294967295EEENS1_37radix_sort_block_sort_config_selectorIiiEEZNS1_21radix_sort_block_sortIS4_Lb0EN6thrust23THRUST_200600_302600_NS6detail15normal_iteratorINS9_10device_ptrIiEEEESE_SE_SE_NS0_19identity_decomposerEEE10hipError_tT1_T2_T3_T4_jRjT5_jjP12ihipStream_tbEUlT_E_NS1_11comp_targetILNS1_3genE8ELNS1_11target_archE1030ELNS1_3gpuE2ELNS1_3repE0EEENS1_44radix_sort_block_sort_config_static_selectorELNS0_4arch9wavefront6targetE1EEEvSH_
; %bb.0:
	.section	.rodata,"a",@progbits
	.p2align	6, 0x0
	.amdhsa_kernel _ZN7rocprim17ROCPRIM_400000_NS6detail17trampoline_kernelINS0_13kernel_configILj256ELj4ELj4294967295EEENS1_37radix_sort_block_sort_config_selectorIiiEEZNS1_21radix_sort_block_sortIS4_Lb0EN6thrust23THRUST_200600_302600_NS6detail15normal_iteratorINS9_10device_ptrIiEEEESE_SE_SE_NS0_19identity_decomposerEEE10hipError_tT1_T2_T3_T4_jRjT5_jjP12ihipStream_tbEUlT_E_NS1_11comp_targetILNS1_3genE8ELNS1_11target_archE1030ELNS1_3gpuE2ELNS1_3repE0EEENS1_44radix_sort_block_sort_config_static_selectorELNS0_4arch9wavefront6targetE1EEEvSH_
		.amdhsa_group_segment_fixed_size 0
		.amdhsa_private_segment_fixed_size 0
		.amdhsa_kernarg_size 48
		.amdhsa_user_sgpr_count 2
		.amdhsa_user_sgpr_dispatch_ptr 0
		.amdhsa_user_sgpr_queue_ptr 0
		.amdhsa_user_sgpr_kernarg_segment_ptr 1
		.amdhsa_user_sgpr_dispatch_id 0
		.amdhsa_user_sgpr_kernarg_preload_length 0
		.amdhsa_user_sgpr_kernarg_preload_offset 0
		.amdhsa_user_sgpr_private_segment_size 0
		.amdhsa_uses_dynamic_stack 0
		.amdhsa_enable_private_segment 0
		.amdhsa_system_sgpr_workgroup_id_x 1
		.amdhsa_system_sgpr_workgroup_id_y 0
		.amdhsa_system_sgpr_workgroup_id_z 0
		.amdhsa_system_sgpr_workgroup_info 0
		.amdhsa_system_vgpr_workitem_id 0
		.amdhsa_next_free_vgpr 1
		.amdhsa_next_free_sgpr 0
		.amdhsa_accum_offset 4
		.amdhsa_reserve_vcc 0
		.amdhsa_float_round_mode_32 0
		.amdhsa_float_round_mode_16_64 0
		.amdhsa_float_denorm_mode_32 3
		.amdhsa_float_denorm_mode_16_64 3
		.amdhsa_dx10_clamp 1
		.amdhsa_ieee_mode 1
		.amdhsa_fp16_overflow 0
		.amdhsa_tg_split 0
		.amdhsa_exception_fp_ieee_invalid_op 0
		.amdhsa_exception_fp_denorm_src 0
		.amdhsa_exception_fp_ieee_div_zero 0
		.amdhsa_exception_fp_ieee_overflow 0
		.amdhsa_exception_fp_ieee_underflow 0
		.amdhsa_exception_fp_ieee_inexact 0
		.amdhsa_exception_int_div_zero 0
	.end_amdhsa_kernel
	.section	.text._ZN7rocprim17ROCPRIM_400000_NS6detail17trampoline_kernelINS0_13kernel_configILj256ELj4ELj4294967295EEENS1_37radix_sort_block_sort_config_selectorIiiEEZNS1_21radix_sort_block_sortIS4_Lb0EN6thrust23THRUST_200600_302600_NS6detail15normal_iteratorINS9_10device_ptrIiEEEESE_SE_SE_NS0_19identity_decomposerEEE10hipError_tT1_T2_T3_T4_jRjT5_jjP12ihipStream_tbEUlT_E_NS1_11comp_targetILNS1_3genE8ELNS1_11target_archE1030ELNS1_3gpuE2ELNS1_3repE0EEENS1_44radix_sort_block_sort_config_static_selectorELNS0_4arch9wavefront6targetE1EEEvSH_,"axG",@progbits,_ZN7rocprim17ROCPRIM_400000_NS6detail17trampoline_kernelINS0_13kernel_configILj256ELj4ELj4294967295EEENS1_37radix_sort_block_sort_config_selectorIiiEEZNS1_21radix_sort_block_sortIS4_Lb0EN6thrust23THRUST_200600_302600_NS6detail15normal_iteratorINS9_10device_ptrIiEEEESE_SE_SE_NS0_19identity_decomposerEEE10hipError_tT1_T2_T3_T4_jRjT5_jjP12ihipStream_tbEUlT_E_NS1_11comp_targetILNS1_3genE8ELNS1_11target_archE1030ELNS1_3gpuE2ELNS1_3repE0EEENS1_44radix_sort_block_sort_config_static_selectorELNS0_4arch9wavefront6targetE1EEEvSH_,comdat
.Lfunc_end698:
	.size	_ZN7rocprim17ROCPRIM_400000_NS6detail17trampoline_kernelINS0_13kernel_configILj256ELj4ELj4294967295EEENS1_37radix_sort_block_sort_config_selectorIiiEEZNS1_21radix_sort_block_sortIS4_Lb0EN6thrust23THRUST_200600_302600_NS6detail15normal_iteratorINS9_10device_ptrIiEEEESE_SE_SE_NS0_19identity_decomposerEEE10hipError_tT1_T2_T3_T4_jRjT5_jjP12ihipStream_tbEUlT_E_NS1_11comp_targetILNS1_3genE8ELNS1_11target_archE1030ELNS1_3gpuE2ELNS1_3repE0EEENS1_44radix_sort_block_sort_config_static_selectorELNS0_4arch9wavefront6targetE1EEEvSH_, .Lfunc_end698-_ZN7rocprim17ROCPRIM_400000_NS6detail17trampoline_kernelINS0_13kernel_configILj256ELj4ELj4294967295EEENS1_37radix_sort_block_sort_config_selectorIiiEEZNS1_21radix_sort_block_sortIS4_Lb0EN6thrust23THRUST_200600_302600_NS6detail15normal_iteratorINS9_10device_ptrIiEEEESE_SE_SE_NS0_19identity_decomposerEEE10hipError_tT1_T2_T3_T4_jRjT5_jjP12ihipStream_tbEUlT_E_NS1_11comp_targetILNS1_3genE8ELNS1_11target_archE1030ELNS1_3gpuE2ELNS1_3repE0EEENS1_44radix_sort_block_sort_config_static_selectorELNS0_4arch9wavefront6targetE1EEEvSH_
                                        ; -- End function
	.set _ZN7rocprim17ROCPRIM_400000_NS6detail17trampoline_kernelINS0_13kernel_configILj256ELj4ELj4294967295EEENS1_37radix_sort_block_sort_config_selectorIiiEEZNS1_21radix_sort_block_sortIS4_Lb0EN6thrust23THRUST_200600_302600_NS6detail15normal_iteratorINS9_10device_ptrIiEEEESE_SE_SE_NS0_19identity_decomposerEEE10hipError_tT1_T2_T3_T4_jRjT5_jjP12ihipStream_tbEUlT_E_NS1_11comp_targetILNS1_3genE8ELNS1_11target_archE1030ELNS1_3gpuE2ELNS1_3repE0EEENS1_44radix_sort_block_sort_config_static_selectorELNS0_4arch9wavefront6targetE1EEEvSH_.num_vgpr, 0
	.set _ZN7rocprim17ROCPRIM_400000_NS6detail17trampoline_kernelINS0_13kernel_configILj256ELj4ELj4294967295EEENS1_37radix_sort_block_sort_config_selectorIiiEEZNS1_21radix_sort_block_sortIS4_Lb0EN6thrust23THRUST_200600_302600_NS6detail15normal_iteratorINS9_10device_ptrIiEEEESE_SE_SE_NS0_19identity_decomposerEEE10hipError_tT1_T2_T3_T4_jRjT5_jjP12ihipStream_tbEUlT_E_NS1_11comp_targetILNS1_3genE8ELNS1_11target_archE1030ELNS1_3gpuE2ELNS1_3repE0EEENS1_44radix_sort_block_sort_config_static_selectorELNS0_4arch9wavefront6targetE1EEEvSH_.num_agpr, 0
	.set _ZN7rocprim17ROCPRIM_400000_NS6detail17trampoline_kernelINS0_13kernel_configILj256ELj4ELj4294967295EEENS1_37radix_sort_block_sort_config_selectorIiiEEZNS1_21radix_sort_block_sortIS4_Lb0EN6thrust23THRUST_200600_302600_NS6detail15normal_iteratorINS9_10device_ptrIiEEEESE_SE_SE_NS0_19identity_decomposerEEE10hipError_tT1_T2_T3_T4_jRjT5_jjP12ihipStream_tbEUlT_E_NS1_11comp_targetILNS1_3genE8ELNS1_11target_archE1030ELNS1_3gpuE2ELNS1_3repE0EEENS1_44radix_sort_block_sort_config_static_selectorELNS0_4arch9wavefront6targetE1EEEvSH_.numbered_sgpr, 0
	.set _ZN7rocprim17ROCPRIM_400000_NS6detail17trampoline_kernelINS0_13kernel_configILj256ELj4ELj4294967295EEENS1_37radix_sort_block_sort_config_selectorIiiEEZNS1_21radix_sort_block_sortIS4_Lb0EN6thrust23THRUST_200600_302600_NS6detail15normal_iteratorINS9_10device_ptrIiEEEESE_SE_SE_NS0_19identity_decomposerEEE10hipError_tT1_T2_T3_T4_jRjT5_jjP12ihipStream_tbEUlT_E_NS1_11comp_targetILNS1_3genE8ELNS1_11target_archE1030ELNS1_3gpuE2ELNS1_3repE0EEENS1_44radix_sort_block_sort_config_static_selectorELNS0_4arch9wavefront6targetE1EEEvSH_.num_named_barrier, 0
	.set _ZN7rocprim17ROCPRIM_400000_NS6detail17trampoline_kernelINS0_13kernel_configILj256ELj4ELj4294967295EEENS1_37radix_sort_block_sort_config_selectorIiiEEZNS1_21radix_sort_block_sortIS4_Lb0EN6thrust23THRUST_200600_302600_NS6detail15normal_iteratorINS9_10device_ptrIiEEEESE_SE_SE_NS0_19identity_decomposerEEE10hipError_tT1_T2_T3_T4_jRjT5_jjP12ihipStream_tbEUlT_E_NS1_11comp_targetILNS1_3genE8ELNS1_11target_archE1030ELNS1_3gpuE2ELNS1_3repE0EEENS1_44radix_sort_block_sort_config_static_selectorELNS0_4arch9wavefront6targetE1EEEvSH_.private_seg_size, 0
	.set _ZN7rocprim17ROCPRIM_400000_NS6detail17trampoline_kernelINS0_13kernel_configILj256ELj4ELj4294967295EEENS1_37radix_sort_block_sort_config_selectorIiiEEZNS1_21radix_sort_block_sortIS4_Lb0EN6thrust23THRUST_200600_302600_NS6detail15normal_iteratorINS9_10device_ptrIiEEEESE_SE_SE_NS0_19identity_decomposerEEE10hipError_tT1_T2_T3_T4_jRjT5_jjP12ihipStream_tbEUlT_E_NS1_11comp_targetILNS1_3genE8ELNS1_11target_archE1030ELNS1_3gpuE2ELNS1_3repE0EEENS1_44radix_sort_block_sort_config_static_selectorELNS0_4arch9wavefront6targetE1EEEvSH_.uses_vcc, 0
	.set _ZN7rocprim17ROCPRIM_400000_NS6detail17trampoline_kernelINS0_13kernel_configILj256ELj4ELj4294967295EEENS1_37radix_sort_block_sort_config_selectorIiiEEZNS1_21radix_sort_block_sortIS4_Lb0EN6thrust23THRUST_200600_302600_NS6detail15normal_iteratorINS9_10device_ptrIiEEEESE_SE_SE_NS0_19identity_decomposerEEE10hipError_tT1_T2_T3_T4_jRjT5_jjP12ihipStream_tbEUlT_E_NS1_11comp_targetILNS1_3genE8ELNS1_11target_archE1030ELNS1_3gpuE2ELNS1_3repE0EEENS1_44radix_sort_block_sort_config_static_selectorELNS0_4arch9wavefront6targetE1EEEvSH_.uses_flat_scratch, 0
	.set _ZN7rocprim17ROCPRIM_400000_NS6detail17trampoline_kernelINS0_13kernel_configILj256ELj4ELj4294967295EEENS1_37radix_sort_block_sort_config_selectorIiiEEZNS1_21radix_sort_block_sortIS4_Lb0EN6thrust23THRUST_200600_302600_NS6detail15normal_iteratorINS9_10device_ptrIiEEEESE_SE_SE_NS0_19identity_decomposerEEE10hipError_tT1_T2_T3_T4_jRjT5_jjP12ihipStream_tbEUlT_E_NS1_11comp_targetILNS1_3genE8ELNS1_11target_archE1030ELNS1_3gpuE2ELNS1_3repE0EEENS1_44radix_sort_block_sort_config_static_selectorELNS0_4arch9wavefront6targetE1EEEvSH_.has_dyn_sized_stack, 0
	.set _ZN7rocprim17ROCPRIM_400000_NS6detail17trampoline_kernelINS0_13kernel_configILj256ELj4ELj4294967295EEENS1_37radix_sort_block_sort_config_selectorIiiEEZNS1_21radix_sort_block_sortIS4_Lb0EN6thrust23THRUST_200600_302600_NS6detail15normal_iteratorINS9_10device_ptrIiEEEESE_SE_SE_NS0_19identity_decomposerEEE10hipError_tT1_T2_T3_T4_jRjT5_jjP12ihipStream_tbEUlT_E_NS1_11comp_targetILNS1_3genE8ELNS1_11target_archE1030ELNS1_3gpuE2ELNS1_3repE0EEENS1_44radix_sort_block_sort_config_static_selectorELNS0_4arch9wavefront6targetE1EEEvSH_.has_recursion, 0
	.set _ZN7rocprim17ROCPRIM_400000_NS6detail17trampoline_kernelINS0_13kernel_configILj256ELj4ELj4294967295EEENS1_37radix_sort_block_sort_config_selectorIiiEEZNS1_21radix_sort_block_sortIS4_Lb0EN6thrust23THRUST_200600_302600_NS6detail15normal_iteratorINS9_10device_ptrIiEEEESE_SE_SE_NS0_19identity_decomposerEEE10hipError_tT1_T2_T3_T4_jRjT5_jjP12ihipStream_tbEUlT_E_NS1_11comp_targetILNS1_3genE8ELNS1_11target_archE1030ELNS1_3gpuE2ELNS1_3repE0EEENS1_44radix_sort_block_sort_config_static_selectorELNS0_4arch9wavefront6targetE1EEEvSH_.has_indirect_call, 0
	.section	.AMDGPU.csdata,"",@progbits
; Kernel info:
; codeLenInByte = 0
; TotalNumSgprs: 6
; NumVgprs: 0
; NumAgprs: 0
; TotalNumVgprs: 0
; ScratchSize: 0
; MemoryBound: 0
; FloatMode: 240
; IeeeMode: 1
; LDSByteSize: 0 bytes/workgroup (compile time only)
; SGPRBlocks: 0
; VGPRBlocks: 0
; NumSGPRsForWavesPerEU: 6
; NumVGPRsForWavesPerEU: 1
; AccumOffset: 4
; Occupancy: 8
; WaveLimiterHint : 0
; COMPUTE_PGM_RSRC2:SCRATCH_EN: 0
; COMPUTE_PGM_RSRC2:USER_SGPR: 2
; COMPUTE_PGM_RSRC2:TRAP_HANDLER: 0
; COMPUTE_PGM_RSRC2:TGID_X_EN: 1
; COMPUTE_PGM_RSRC2:TGID_Y_EN: 0
; COMPUTE_PGM_RSRC2:TGID_Z_EN: 0
; COMPUTE_PGM_RSRC2:TIDIG_COMP_CNT: 0
; COMPUTE_PGM_RSRC3_GFX90A:ACCUM_OFFSET: 0
; COMPUTE_PGM_RSRC3_GFX90A:TG_SPLIT: 0
	.section	.text._ZN7rocprim17ROCPRIM_400000_NS6detail44device_merge_sort_compile_time_verifier_archINS1_11comp_targetILNS1_3genE0ELNS1_11target_archE4294967295ELNS1_3gpuE0ELNS1_3repE0EEES8_NS1_28merge_sort_block_sort_configILj256ELj4ELNS0_20block_sort_algorithmE0EEENS0_14default_configENS1_37merge_sort_block_sort_config_selectorIiiEENS1_38merge_sort_block_merge_config_selectorIiiEEEEvv,"axG",@progbits,_ZN7rocprim17ROCPRIM_400000_NS6detail44device_merge_sort_compile_time_verifier_archINS1_11comp_targetILNS1_3genE0ELNS1_11target_archE4294967295ELNS1_3gpuE0ELNS1_3repE0EEES8_NS1_28merge_sort_block_sort_configILj256ELj4ELNS0_20block_sort_algorithmE0EEENS0_14default_configENS1_37merge_sort_block_sort_config_selectorIiiEENS1_38merge_sort_block_merge_config_selectorIiiEEEEvv,comdat
	.protected	_ZN7rocprim17ROCPRIM_400000_NS6detail44device_merge_sort_compile_time_verifier_archINS1_11comp_targetILNS1_3genE0ELNS1_11target_archE4294967295ELNS1_3gpuE0ELNS1_3repE0EEES8_NS1_28merge_sort_block_sort_configILj256ELj4ELNS0_20block_sort_algorithmE0EEENS0_14default_configENS1_37merge_sort_block_sort_config_selectorIiiEENS1_38merge_sort_block_merge_config_selectorIiiEEEEvv ; -- Begin function _ZN7rocprim17ROCPRIM_400000_NS6detail44device_merge_sort_compile_time_verifier_archINS1_11comp_targetILNS1_3genE0ELNS1_11target_archE4294967295ELNS1_3gpuE0ELNS1_3repE0EEES8_NS1_28merge_sort_block_sort_configILj256ELj4ELNS0_20block_sort_algorithmE0EEENS0_14default_configENS1_37merge_sort_block_sort_config_selectorIiiEENS1_38merge_sort_block_merge_config_selectorIiiEEEEvv
	.globl	_ZN7rocprim17ROCPRIM_400000_NS6detail44device_merge_sort_compile_time_verifier_archINS1_11comp_targetILNS1_3genE0ELNS1_11target_archE4294967295ELNS1_3gpuE0ELNS1_3repE0EEES8_NS1_28merge_sort_block_sort_configILj256ELj4ELNS0_20block_sort_algorithmE0EEENS0_14default_configENS1_37merge_sort_block_sort_config_selectorIiiEENS1_38merge_sort_block_merge_config_selectorIiiEEEEvv
	.p2align	8
	.type	_ZN7rocprim17ROCPRIM_400000_NS6detail44device_merge_sort_compile_time_verifier_archINS1_11comp_targetILNS1_3genE0ELNS1_11target_archE4294967295ELNS1_3gpuE0ELNS1_3repE0EEES8_NS1_28merge_sort_block_sort_configILj256ELj4ELNS0_20block_sort_algorithmE0EEENS0_14default_configENS1_37merge_sort_block_sort_config_selectorIiiEENS1_38merge_sort_block_merge_config_selectorIiiEEEEvv,@function
_ZN7rocprim17ROCPRIM_400000_NS6detail44device_merge_sort_compile_time_verifier_archINS1_11comp_targetILNS1_3genE0ELNS1_11target_archE4294967295ELNS1_3gpuE0ELNS1_3repE0EEES8_NS1_28merge_sort_block_sort_configILj256ELj4ELNS0_20block_sort_algorithmE0EEENS0_14default_configENS1_37merge_sort_block_sort_config_selectorIiiEENS1_38merge_sort_block_merge_config_selectorIiiEEEEvv: ; @_ZN7rocprim17ROCPRIM_400000_NS6detail44device_merge_sort_compile_time_verifier_archINS1_11comp_targetILNS1_3genE0ELNS1_11target_archE4294967295ELNS1_3gpuE0ELNS1_3repE0EEES8_NS1_28merge_sort_block_sort_configILj256ELj4ELNS0_20block_sort_algorithmE0EEENS0_14default_configENS1_37merge_sort_block_sort_config_selectorIiiEENS1_38merge_sort_block_merge_config_selectorIiiEEEEvv
; %bb.0:
	s_endpgm
	.section	.rodata,"a",@progbits
	.p2align	6, 0x0
	.amdhsa_kernel _ZN7rocprim17ROCPRIM_400000_NS6detail44device_merge_sort_compile_time_verifier_archINS1_11comp_targetILNS1_3genE0ELNS1_11target_archE4294967295ELNS1_3gpuE0ELNS1_3repE0EEES8_NS1_28merge_sort_block_sort_configILj256ELj4ELNS0_20block_sort_algorithmE0EEENS0_14default_configENS1_37merge_sort_block_sort_config_selectorIiiEENS1_38merge_sort_block_merge_config_selectorIiiEEEEvv
		.amdhsa_group_segment_fixed_size 0
		.amdhsa_private_segment_fixed_size 0
		.amdhsa_kernarg_size 0
		.amdhsa_user_sgpr_count 0
		.amdhsa_user_sgpr_dispatch_ptr 0
		.amdhsa_user_sgpr_queue_ptr 0
		.amdhsa_user_sgpr_kernarg_segment_ptr 0
		.amdhsa_user_sgpr_dispatch_id 0
		.amdhsa_user_sgpr_kernarg_preload_length 0
		.amdhsa_user_sgpr_kernarg_preload_offset 0
		.amdhsa_user_sgpr_private_segment_size 0
		.amdhsa_uses_dynamic_stack 0
		.amdhsa_enable_private_segment 0
		.amdhsa_system_sgpr_workgroup_id_x 1
		.amdhsa_system_sgpr_workgroup_id_y 0
		.amdhsa_system_sgpr_workgroup_id_z 0
		.amdhsa_system_sgpr_workgroup_info 0
		.amdhsa_system_vgpr_workitem_id 0
		.amdhsa_next_free_vgpr 1
		.amdhsa_next_free_sgpr 0
		.amdhsa_accum_offset 4
		.amdhsa_reserve_vcc 0
		.amdhsa_float_round_mode_32 0
		.amdhsa_float_round_mode_16_64 0
		.amdhsa_float_denorm_mode_32 3
		.amdhsa_float_denorm_mode_16_64 3
		.amdhsa_dx10_clamp 1
		.amdhsa_ieee_mode 1
		.amdhsa_fp16_overflow 0
		.amdhsa_tg_split 0
		.amdhsa_exception_fp_ieee_invalid_op 0
		.amdhsa_exception_fp_denorm_src 0
		.amdhsa_exception_fp_ieee_div_zero 0
		.amdhsa_exception_fp_ieee_overflow 0
		.amdhsa_exception_fp_ieee_underflow 0
		.amdhsa_exception_fp_ieee_inexact 0
		.amdhsa_exception_int_div_zero 0
	.end_amdhsa_kernel
	.section	.text._ZN7rocprim17ROCPRIM_400000_NS6detail44device_merge_sort_compile_time_verifier_archINS1_11comp_targetILNS1_3genE0ELNS1_11target_archE4294967295ELNS1_3gpuE0ELNS1_3repE0EEES8_NS1_28merge_sort_block_sort_configILj256ELj4ELNS0_20block_sort_algorithmE0EEENS0_14default_configENS1_37merge_sort_block_sort_config_selectorIiiEENS1_38merge_sort_block_merge_config_selectorIiiEEEEvv,"axG",@progbits,_ZN7rocprim17ROCPRIM_400000_NS6detail44device_merge_sort_compile_time_verifier_archINS1_11comp_targetILNS1_3genE0ELNS1_11target_archE4294967295ELNS1_3gpuE0ELNS1_3repE0EEES8_NS1_28merge_sort_block_sort_configILj256ELj4ELNS0_20block_sort_algorithmE0EEENS0_14default_configENS1_37merge_sort_block_sort_config_selectorIiiEENS1_38merge_sort_block_merge_config_selectorIiiEEEEvv,comdat
.Lfunc_end699:
	.size	_ZN7rocprim17ROCPRIM_400000_NS6detail44device_merge_sort_compile_time_verifier_archINS1_11comp_targetILNS1_3genE0ELNS1_11target_archE4294967295ELNS1_3gpuE0ELNS1_3repE0EEES8_NS1_28merge_sort_block_sort_configILj256ELj4ELNS0_20block_sort_algorithmE0EEENS0_14default_configENS1_37merge_sort_block_sort_config_selectorIiiEENS1_38merge_sort_block_merge_config_selectorIiiEEEEvv, .Lfunc_end699-_ZN7rocprim17ROCPRIM_400000_NS6detail44device_merge_sort_compile_time_verifier_archINS1_11comp_targetILNS1_3genE0ELNS1_11target_archE4294967295ELNS1_3gpuE0ELNS1_3repE0EEES8_NS1_28merge_sort_block_sort_configILj256ELj4ELNS0_20block_sort_algorithmE0EEENS0_14default_configENS1_37merge_sort_block_sort_config_selectorIiiEENS1_38merge_sort_block_merge_config_selectorIiiEEEEvv
                                        ; -- End function
	.set _ZN7rocprim17ROCPRIM_400000_NS6detail44device_merge_sort_compile_time_verifier_archINS1_11comp_targetILNS1_3genE0ELNS1_11target_archE4294967295ELNS1_3gpuE0ELNS1_3repE0EEES8_NS1_28merge_sort_block_sort_configILj256ELj4ELNS0_20block_sort_algorithmE0EEENS0_14default_configENS1_37merge_sort_block_sort_config_selectorIiiEENS1_38merge_sort_block_merge_config_selectorIiiEEEEvv.num_vgpr, 0
	.set _ZN7rocprim17ROCPRIM_400000_NS6detail44device_merge_sort_compile_time_verifier_archINS1_11comp_targetILNS1_3genE0ELNS1_11target_archE4294967295ELNS1_3gpuE0ELNS1_3repE0EEES8_NS1_28merge_sort_block_sort_configILj256ELj4ELNS0_20block_sort_algorithmE0EEENS0_14default_configENS1_37merge_sort_block_sort_config_selectorIiiEENS1_38merge_sort_block_merge_config_selectorIiiEEEEvv.num_agpr, 0
	.set _ZN7rocprim17ROCPRIM_400000_NS6detail44device_merge_sort_compile_time_verifier_archINS1_11comp_targetILNS1_3genE0ELNS1_11target_archE4294967295ELNS1_3gpuE0ELNS1_3repE0EEES8_NS1_28merge_sort_block_sort_configILj256ELj4ELNS0_20block_sort_algorithmE0EEENS0_14default_configENS1_37merge_sort_block_sort_config_selectorIiiEENS1_38merge_sort_block_merge_config_selectorIiiEEEEvv.numbered_sgpr, 0
	.set _ZN7rocprim17ROCPRIM_400000_NS6detail44device_merge_sort_compile_time_verifier_archINS1_11comp_targetILNS1_3genE0ELNS1_11target_archE4294967295ELNS1_3gpuE0ELNS1_3repE0EEES8_NS1_28merge_sort_block_sort_configILj256ELj4ELNS0_20block_sort_algorithmE0EEENS0_14default_configENS1_37merge_sort_block_sort_config_selectorIiiEENS1_38merge_sort_block_merge_config_selectorIiiEEEEvv.num_named_barrier, 0
	.set _ZN7rocprim17ROCPRIM_400000_NS6detail44device_merge_sort_compile_time_verifier_archINS1_11comp_targetILNS1_3genE0ELNS1_11target_archE4294967295ELNS1_3gpuE0ELNS1_3repE0EEES8_NS1_28merge_sort_block_sort_configILj256ELj4ELNS0_20block_sort_algorithmE0EEENS0_14default_configENS1_37merge_sort_block_sort_config_selectorIiiEENS1_38merge_sort_block_merge_config_selectorIiiEEEEvv.private_seg_size, 0
	.set _ZN7rocprim17ROCPRIM_400000_NS6detail44device_merge_sort_compile_time_verifier_archINS1_11comp_targetILNS1_3genE0ELNS1_11target_archE4294967295ELNS1_3gpuE0ELNS1_3repE0EEES8_NS1_28merge_sort_block_sort_configILj256ELj4ELNS0_20block_sort_algorithmE0EEENS0_14default_configENS1_37merge_sort_block_sort_config_selectorIiiEENS1_38merge_sort_block_merge_config_selectorIiiEEEEvv.uses_vcc, 0
	.set _ZN7rocprim17ROCPRIM_400000_NS6detail44device_merge_sort_compile_time_verifier_archINS1_11comp_targetILNS1_3genE0ELNS1_11target_archE4294967295ELNS1_3gpuE0ELNS1_3repE0EEES8_NS1_28merge_sort_block_sort_configILj256ELj4ELNS0_20block_sort_algorithmE0EEENS0_14default_configENS1_37merge_sort_block_sort_config_selectorIiiEENS1_38merge_sort_block_merge_config_selectorIiiEEEEvv.uses_flat_scratch, 0
	.set _ZN7rocprim17ROCPRIM_400000_NS6detail44device_merge_sort_compile_time_verifier_archINS1_11comp_targetILNS1_3genE0ELNS1_11target_archE4294967295ELNS1_3gpuE0ELNS1_3repE0EEES8_NS1_28merge_sort_block_sort_configILj256ELj4ELNS0_20block_sort_algorithmE0EEENS0_14default_configENS1_37merge_sort_block_sort_config_selectorIiiEENS1_38merge_sort_block_merge_config_selectorIiiEEEEvv.has_dyn_sized_stack, 0
	.set _ZN7rocprim17ROCPRIM_400000_NS6detail44device_merge_sort_compile_time_verifier_archINS1_11comp_targetILNS1_3genE0ELNS1_11target_archE4294967295ELNS1_3gpuE0ELNS1_3repE0EEES8_NS1_28merge_sort_block_sort_configILj256ELj4ELNS0_20block_sort_algorithmE0EEENS0_14default_configENS1_37merge_sort_block_sort_config_selectorIiiEENS1_38merge_sort_block_merge_config_selectorIiiEEEEvv.has_recursion, 0
	.set _ZN7rocprim17ROCPRIM_400000_NS6detail44device_merge_sort_compile_time_verifier_archINS1_11comp_targetILNS1_3genE0ELNS1_11target_archE4294967295ELNS1_3gpuE0ELNS1_3repE0EEES8_NS1_28merge_sort_block_sort_configILj256ELj4ELNS0_20block_sort_algorithmE0EEENS0_14default_configENS1_37merge_sort_block_sort_config_selectorIiiEENS1_38merge_sort_block_merge_config_selectorIiiEEEEvv.has_indirect_call, 0
	.section	.AMDGPU.csdata,"",@progbits
; Kernel info:
; codeLenInByte = 4
; TotalNumSgprs: 6
; NumVgprs: 0
; NumAgprs: 0
; TotalNumVgprs: 0
; ScratchSize: 0
; MemoryBound: 0
; FloatMode: 240
; IeeeMode: 1
; LDSByteSize: 0 bytes/workgroup (compile time only)
; SGPRBlocks: 0
; VGPRBlocks: 0
; NumSGPRsForWavesPerEU: 6
; NumVGPRsForWavesPerEU: 1
; AccumOffset: 4
; Occupancy: 8
; WaveLimiterHint : 0
; COMPUTE_PGM_RSRC2:SCRATCH_EN: 0
; COMPUTE_PGM_RSRC2:USER_SGPR: 0
; COMPUTE_PGM_RSRC2:TRAP_HANDLER: 0
; COMPUTE_PGM_RSRC2:TGID_X_EN: 1
; COMPUTE_PGM_RSRC2:TGID_Y_EN: 0
; COMPUTE_PGM_RSRC2:TGID_Z_EN: 0
; COMPUTE_PGM_RSRC2:TIDIG_COMP_CNT: 0
; COMPUTE_PGM_RSRC3_GFX90A:ACCUM_OFFSET: 0
; COMPUTE_PGM_RSRC3_GFX90A:TG_SPLIT: 0
	.section	.text._ZN7rocprim17ROCPRIM_400000_NS6detail44device_merge_sort_compile_time_verifier_archINS1_11comp_targetILNS1_3genE5ELNS1_11target_archE942ELNS1_3gpuE9ELNS1_3repE0EEES8_NS1_28merge_sort_block_sort_configILj256ELj4ELNS0_20block_sort_algorithmE0EEENS0_14default_configENS1_37merge_sort_block_sort_config_selectorIiiEENS1_38merge_sort_block_merge_config_selectorIiiEEEEvv,"axG",@progbits,_ZN7rocprim17ROCPRIM_400000_NS6detail44device_merge_sort_compile_time_verifier_archINS1_11comp_targetILNS1_3genE5ELNS1_11target_archE942ELNS1_3gpuE9ELNS1_3repE0EEES8_NS1_28merge_sort_block_sort_configILj256ELj4ELNS0_20block_sort_algorithmE0EEENS0_14default_configENS1_37merge_sort_block_sort_config_selectorIiiEENS1_38merge_sort_block_merge_config_selectorIiiEEEEvv,comdat
	.protected	_ZN7rocprim17ROCPRIM_400000_NS6detail44device_merge_sort_compile_time_verifier_archINS1_11comp_targetILNS1_3genE5ELNS1_11target_archE942ELNS1_3gpuE9ELNS1_3repE0EEES8_NS1_28merge_sort_block_sort_configILj256ELj4ELNS0_20block_sort_algorithmE0EEENS0_14default_configENS1_37merge_sort_block_sort_config_selectorIiiEENS1_38merge_sort_block_merge_config_selectorIiiEEEEvv ; -- Begin function _ZN7rocprim17ROCPRIM_400000_NS6detail44device_merge_sort_compile_time_verifier_archINS1_11comp_targetILNS1_3genE5ELNS1_11target_archE942ELNS1_3gpuE9ELNS1_3repE0EEES8_NS1_28merge_sort_block_sort_configILj256ELj4ELNS0_20block_sort_algorithmE0EEENS0_14default_configENS1_37merge_sort_block_sort_config_selectorIiiEENS1_38merge_sort_block_merge_config_selectorIiiEEEEvv
	.globl	_ZN7rocprim17ROCPRIM_400000_NS6detail44device_merge_sort_compile_time_verifier_archINS1_11comp_targetILNS1_3genE5ELNS1_11target_archE942ELNS1_3gpuE9ELNS1_3repE0EEES8_NS1_28merge_sort_block_sort_configILj256ELj4ELNS0_20block_sort_algorithmE0EEENS0_14default_configENS1_37merge_sort_block_sort_config_selectorIiiEENS1_38merge_sort_block_merge_config_selectorIiiEEEEvv
	.p2align	8
	.type	_ZN7rocprim17ROCPRIM_400000_NS6detail44device_merge_sort_compile_time_verifier_archINS1_11comp_targetILNS1_3genE5ELNS1_11target_archE942ELNS1_3gpuE9ELNS1_3repE0EEES8_NS1_28merge_sort_block_sort_configILj256ELj4ELNS0_20block_sort_algorithmE0EEENS0_14default_configENS1_37merge_sort_block_sort_config_selectorIiiEENS1_38merge_sort_block_merge_config_selectorIiiEEEEvv,@function
_ZN7rocprim17ROCPRIM_400000_NS6detail44device_merge_sort_compile_time_verifier_archINS1_11comp_targetILNS1_3genE5ELNS1_11target_archE942ELNS1_3gpuE9ELNS1_3repE0EEES8_NS1_28merge_sort_block_sort_configILj256ELj4ELNS0_20block_sort_algorithmE0EEENS0_14default_configENS1_37merge_sort_block_sort_config_selectorIiiEENS1_38merge_sort_block_merge_config_selectorIiiEEEEvv: ; @_ZN7rocprim17ROCPRIM_400000_NS6detail44device_merge_sort_compile_time_verifier_archINS1_11comp_targetILNS1_3genE5ELNS1_11target_archE942ELNS1_3gpuE9ELNS1_3repE0EEES8_NS1_28merge_sort_block_sort_configILj256ELj4ELNS0_20block_sort_algorithmE0EEENS0_14default_configENS1_37merge_sort_block_sort_config_selectorIiiEENS1_38merge_sort_block_merge_config_selectorIiiEEEEvv
; %bb.0:
	s_endpgm
	.section	.rodata,"a",@progbits
	.p2align	6, 0x0
	.amdhsa_kernel _ZN7rocprim17ROCPRIM_400000_NS6detail44device_merge_sort_compile_time_verifier_archINS1_11comp_targetILNS1_3genE5ELNS1_11target_archE942ELNS1_3gpuE9ELNS1_3repE0EEES8_NS1_28merge_sort_block_sort_configILj256ELj4ELNS0_20block_sort_algorithmE0EEENS0_14default_configENS1_37merge_sort_block_sort_config_selectorIiiEENS1_38merge_sort_block_merge_config_selectorIiiEEEEvv
		.amdhsa_group_segment_fixed_size 0
		.amdhsa_private_segment_fixed_size 0
		.amdhsa_kernarg_size 0
		.amdhsa_user_sgpr_count 0
		.amdhsa_user_sgpr_dispatch_ptr 0
		.amdhsa_user_sgpr_queue_ptr 0
		.amdhsa_user_sgpr_kernarg_segment_ptr 0
		.amdhsa_user_sgpr_dispatch_id 0
		.amdhsa_user_sgpr_kernarg_preload_length 0
		.amdhsa_user_sgpr_kernarg_preload_offset 0
		.amdhsa_user_sgpr_private_segment_size 0
		.amdhsa_uses_dynamic_stack 0
		.amdhsa_enable_private_segment 0
		.amdhsa_system_sgpr_workgroup_id_x 1
		.amdhsa_system_sgpr_workgroup_id_y 0
		.amdhsa_system_sgpr_workgroup_id_z 0
		.amdhsa_system_sgpr_workgroup_info 0
		.amdhsa_system_vgpr_workitem_id 0
		.amdhsa_next_free_vgpr 1
		.amdhsa_next_free_sgpr 0
		.amdhsa_accum_offset 4
		.amdhsa_reserve_vcc 0
		.amdhsa_float_round_mode_32 0
		.amdhsa_float_round_mode_16_64 0
		.amdhsa_float_denorm_mode_32 3
		.amdhsa_float_denorm_mode_16_64 3
		.amdhsa_dx10_clamp 1
		.amdhsa_ieee_mode 1
		.amdhsa_fp16_overflow 0
		.amdhsa_tg_split 0
		.amdhsa_exception_fp_ieee_invalid_op 0
		.amdhsa_exception_fp_denorm_src 0
		.amdhsa_exception_fp_ieee_div_zero 0
		.amdhsa_exception_fp_ieee_overflow 0
		.amdhsa_exception_fp_ieee_underflow 0
		.amdhsa_exception_fp_ieee_inexact 0
		.amdhsa_exception_int_div_zero 0
	.end_amdhsa_kernel
	.section	.text._ZN7rocprim17ROCPRIM_400000_NS6detail44device_merge_sort_compile_time_verifier_archINS1_11comp_targetILNS1_3genE5ELNS1_11target_archE942ELNS1_3gpuE9ELNS1_3repE0EEES8_NS1_28merge_sort_block_sort_configILj256ELj4ELNS0_20block_sort_algorithmE0EEENS0_14default_configENS1_37merge_sort_block_sort_config_selectorIiiEENS1_38merge_sort_block_merge_config_selectorIiiEEEEvv,"axG",@progbits,_ZN7rocprim17ROCPRIM_400000_NS6detail44device_merge_sort_compile_time_verifier_archINS1_11comp_targetILNS1_3genE5ELNS1_11target_archE942ELNS1_3gpuE9ELNS1_3repE0EEES8_NS1_28merge_sort_block_sort_configILj256ELj4ELNS0_20block_sort_algorithmE0EEENS0_14default_configENS1_37merge_sort_block_sort_config_selectorIiiEENS1_38merge_sort_block_merge_config_selectorIiiEEEEvv,comdat
.Lfunc_end700:
	.size	_ZN7rocprim17ROCPRIM_400000_NS6detail44device_merge_sort_compile_time_verifier_archINS1_11comp_targetILNS1_3genE5ELNS1_11target_archE942ELNS1_3gpuE9ELNS1_3repE0EEES8_NS1_28merge_sort_block_sort_configILj256ELj4ELNS0_20block_sort_algorithmE0EEENS0_14default_configENS1_37merge_sort_block_sort_config_selectorIiiEENS1_38merge_sort_block_merge_config_selectorIiiEEEEvv, .Lfunc_end700-_ZN7rocprim17ROCPRIM_400000_NS6detail44device_merge_sort_compile_time_verifier_archINS1_11comp_targetILNS1_3genE5ELNS1_11target_archE942ELNS1_3gpuE9ELNS1_3repE0EEES8_NS1_28merge_sort_block_sort_configILj256ELj4ELNS0_20block_sort_algorithmE0EEENS0_14default_configENS1_37merge_sort_block_sort_config_selectorIiiEENS1_38merge_sort_block_merge_config_selectorIiiEEEEvv
                                        ; -- End function
	.set _ZN7rocprim17ROCPRIM_400000_NS6detail44device_merge_sort_compile_time_verifier_archINS1_11comp_targetILNS1_3genE5ELNS1_11target_archE942ELNS1_3gpuE9ELNS1_3repE0EEES8_NS1_28merge_sort_block_sort_configILj256ELj4ELNS0_20block_sort_algorithmE0EEENS0_14default_configENS1_37merge_sort_block_sort_config_selectorIiiEENS1_38merge_sort_block_merge_config_selectorIiiEEEEvv.num_vgpr, 0
	.set _ZN7rocprim17ROCPRIM_400000_NS6detail44device_merge_sort_compile_time_verifier_archINS1_11comp_targetILNS1_3genE5ELNS1_11target_archE942ELNS1_3gpuE9ELNS1_3repE0EEES8_NS1_28merge_sort_block_sort_configILj256ELj4ELNS0_20block_sort_algorithmE0EEENS0_14default_configENS1_37merge_sort_block_sort_config_selectorIiiEENS1_38merge_sort_block_merge_config_selectorIiiEEEEvv.num_agpr, 0
	.set _ZN7rocprim17ROCPRIM_400000_NS6detail44device_merge_sort_compile_time_verifier_archINS1_11comp_targetILNS1_3genE5ELNS1_11target_archE942ELNS1_3gpuE9ELNS1_3repE0EEES8_NS1_28merge_sort_block_sort_configILj256ELj4ELNS0_20block_sort_algorithmE0EEENS0_14default_configENS1_37merge_sort_block_sort_config_selectorIiiEENS1_38merge_sort_block_merge_config_selectorIiiEEEEvv.numbered_sgpr, 0
	.set _ZN7rocprim17ROCPRIM_400000_NS6detail44device_merge_sort_compile_time_verifier_archINS1_11comp_targetILNS1_3genE5ELNS1_11target_archE942ELNS1_3gpuE9ELNS1_3repE0EEES8_NS1_28merge_sort_block_sort_configILj256ELj4ELNS0_20block_sort_algorithmE0EEENS0_14default_configENS1_37merge_sort_block_sort_config_selectorIiiEENS1_38merge_sort_block_merge_config_selectorIiiEEEEvv.num_named_barrier, 0
	.set _ZN7rocprim17ROCPRIM_400000_NS6detail44device_merge_sort_compile_time_verifier_archINS1_11comp_targetILNS1_3genE5ELNS1_11target_archE942ELNS1_3gpuE9ELNS1_3repE0EEES8_NS1_28merge_sort_block_sort_configILj256ELj4ELNS0_20block_sort_algorithmE0EEENS0_14default_configENS1_37merge_sort_block_sort_config_selectorIiiEENS1_38merge_sort_block_merge_config_selectorIiiEEEEvv.private_seg_size, 0
	.set _ZN7rocprim17ROCPRIM_400000_NS6detail44device_merge_sort_compile_time_verifier_archINS1_11comp_targetILNS1_3genE5ELNS1_11target_archE942ELNS1_3gpuE9ELNS1_3repE0EEES8_NS1_28merge_sort_block_sort_configILj256ELj4ELNS0_20block_sort_algorithmE0EEENS0_14default_configENS1_37merge_sort_block_sort_config_selectorIiiEENS1_38merge_sort_block_merge_config_selectorIiiEEEEvv.uses_vcc, 0
	.set _ZN7rocprim17ROCPRIM_400000_NS6detail44device_merge_sort_compile_time_verifier_archINS1_11comp_targetILNS1_3genE5ELNS1_11target_archE942ELNS1_3gpuE9ELNS1_3repE0EEES8_NS1_28merge_sort_block_sort_configILj256ELj4ELNS0_20block_sort_algorithmE0EEENS0_14default_configENS1_37merge_sort_block_sort_config_selectorIiiEENS1_38merge_sort_block_merge_config_selectorIiiEEEEvv.uses_flat_scratch, 0
	.set _ZN7rocprim17ROCPRIM_400000_NS6detail44device_merge_sort_compile_time_verifier_archINS1_11comp_targetILNS1_3genE5ELNS1_11target_archE942ELNS1_3gpuE9ELNS1_3repE0EEES8_NS1_28merge_sort_block_sort_configILj256ELj4ELNS0_20block_sort_algorithmE0EEENS0_14default_configENS1_37merge_sort_block_sort_config_selectorIiiEENS1_38merge_sort_block_merge_config_selectorIiiEEEEvv.has_dyn_sized_stack, 0
	.set _ZN7rocprim17ROCPRIM_400000_NS6detail44device_merge_sort_compile_time_verifier_archINS1_11comp_targetILNS1_3genE5ELNS1_11target_archE942ELNS1_3gpuE9ELNS1_3repE0EEES8_NS1_28merge_sort_block_sort_configILj256ELj4ELNS0_20block_sort_algorithmE0EEENS0_14default_configENS1_37merge_sort_block_sort_config_selectorIiiEENS1_38merge_sort_block_merge_config_selectorIiiEEEEvv.has_recursion, 0
	.set _ZN7rocprim17ROCPRIM_400000_NS6detail44device_merge_sort_compile_time_verifier_archINS1_11comp_targetILNS1_3genE5ELNS1_11target_archE942ELNS1_3gpuE9ELNS1_3repE0EEES8_NS1_28merge_sort_block_sort_configILj256ELj4ELNS0_20block_sort_algorithmE0EEENS0_14default_configENS1_37merge_sort_block_sort_config_selectorIiiEENS1_38merge_sort_block_merge_config_selectorIiiEEEEvv.has_indirect_call, 0
	.section	.AMDGPU.csdata,"",@progbits
; Kernel info:
; codeLenInByte = 4
; TotalNumSgprs: 6
; NumVgprs: 0
; NumAgprs: 0
; TotalNumVgprs: 0
; ScratchSize: 0
; MemoryBound: 0
; FloatMode: 240
; IeeeMode: 1
; LDSByteSize: 0 bytes/workgroup (compile time only)
; SGPRBlocks: 0
; VGPRBlocks: 0
; NumSGPRsForWavesPerEU: 6
; NumVGPRsForWavesPerEU: 1
; AccumOffset: 4
; Occupancy: 8
; WaveLimiterHint : 0
; COMPUTE_PGM_RSRC2:SCRATCH_EN: 0
; COMPUTE_PGM_RSRC2:USER_SGPR: 0
; COMPUTE_PGM_RSRC2:TRAP_HANDLER: 0
; COMPUTE_PGM_RSRC2:TGID_X_EN: 1
; COMPUTE_PGM_RSRC2:TGID_Y_EN: 0
; COMPUTE_PGM_RSRC2:TGID_Z_EN: 0
; COMPUTE_PGM_RSRC2:TIDIG_COMP_CNT: 0
; COMPUTE_PGM_RSRC3_GFX90A:ACCUM_OFFSET: 0
; COMPUTE_PGM_RSRC3_GFX90A:TG_SPLIT: 0
	.section	.text._ZN7rocprim17ROCPRIM_400000_NS6detail44device_merge_sort_compile_time_verifier_archINS1_11comp_targetILNS1_3genE4ELNS1_11target_archE910ELNS1_3gpuE8ELNS1_3repE0EEES8_NS1_28merge_sort_block_sort_configILj256ELj4ELNS0_20block_sort_algorithmE0EEENS0_14default_configENS1_37merge_sort_block_sort_config_selectorIiiEENS1_38merge_sort_block_merge_config_selectorIiiEEEEvv,"axG",@progbits,_ZN7rocprim17ROCPRIM_400000_NS6detail44device_merge_sort_compile_time_verifier_archINS1_11comp_targetILNS1_3genE4ELNS1_11target_archE910ELNS1_3gpuE8ELNS1_3repE0EEES8_NS1_28merge_sort_block_sort_configILj256ELj4ELNS0_20block_sort_algorithmE0EEENS0_14default_configENS1_37merge_sort_block_sort_config_selectorIiiEENS1_38merge_sort_block_merge_config_selectorIiiEEEEvv,comdat
	.protected	_ZN7rocprim17ROCPRIM_400000_NS6detail44device_merge_sort_compile_time_verifier_archINS1_11comp_targetILNS1_3genE4ELNS1_11target_archE910ELNS1_3gpuE8ELNS1_3repE0EEES8_NS1_28merge_sort_block_sort_configILj256ELj4ELNS0_20block_sort_algorithmE0EEENS0_14default_configENS1_37merge_sort_block_sort_config_selectorIiiEENS1_38merge_sort_block_merge_config_selectorIiiEEEEvv ; -- Begin function _ZN7rocprim17ROCPRIM_400000_NS6detail44device_merge_sort_compile_time_verifier_archINS1_11comp_targetILNS1_3genE4ELNS1_11target_archE910ELNS1_3gpuE8ELNS1_3repE0EEES8_NS1_28merge_sort_block_sort_configILj256ELj4ELNS0_20block_sort_algorithmE0EEENS0_14default_configENS1_37merge_sort_block_sort_config_selectorIiiEENS1_38merge_sort_block_merge_config_selectorIiiEEEEvv
	.globl	_ZN7rocprim17ROCPRIM_400000_NS6detail44device_merge_sort_compile_time_verifier_archINS1_11comp_targetILNS1_3genE4ELNS1_11target_archE910ELNS1_3gpuE8ELNS1_3repE0EEES8_NS1_28merge_sort_block_sort_configILj256ELj4ELNS0_20block_sort_algorithmE0EEENS0_14default_configENS1_37merge_sort_block_sort_config_selectorIiiEENS1_38merge_sort_block_merge_config_selectorIiiEEEEvv
	.p2align	8
	.type	_ZN7rocprim17ROCPRIM_400000_NS6detail44device_merge_sort_compile_time_verifier_archINS1_11comp_targetILNS1_3genE4ELNS1_11target_archE910ELNS1_3gpuE8ELNS1_3repE0EEES8_NS1_28merge_sort_block_sort_configILj256ELj4ELNS0_20block_sort_algorithmE0EEENS0_14default_configENS1_37merge_sort_block_sort_config_selectorIiiEENS1_38merge_sort_block_merge_config_selectorIiiEEEEvv,@function
_ZN7rocprim17ROCPRIM_400000_NS6detail44device_merge_sort_compile_time_verifier_archINS1_11comp_targetILNS1_3genE4ELNS1_11target_archE910ELNS1_3gpuE8ELNS1_3repE0EEES8_NS1_28merge_sort_block_sort_configILj256ELj4ELNS0_20block_sort_algorithmE0EEENS0_14default_configENS1_37merge_sort_block_sort_config_selectorIiiEENS1_38merge_sort_block_merge_config_selectorIiiEEEEvv: ; @_ZN7rocprim17ROCPRIM_400000_NS6detail44device_merge_sort_compile_time_verifier_archINS1_11comp_targetILNS1_3genE4ELNS1_11target_archE910ELNS1_3gpuE8ELNS1_3repE0EEES8_NS1_28merge_sort_block_sort_configILj256ELj4ELNS0_20block_sort_algorithmE0EEENS0_14default_configENS1_37merge_sort_block_sort_config_selectorIiiEENS1_38merge_sort_block_merge_config_selectorIiiEEEEvv
; %bb.0:
	s_endpgm
	.section	.rodata,"a",@progbits
	.p2align	6, 0x0
	.amdhsa_kernel _ZN7rocprim17ROCPRIM_400000_NS6detail44device_merge_sort_compile_time_verifier_archINS1_11comp_targetILNS1_3genE4ELNS1_11target_archE910ELNS1_3gpuE8ELNS1_3repE0EEES8_NS1_28merge_sort_block_sort_configILj256ELj4ELNS0_20block_sort_algorithmE0EEENS0_14default_configENS1_37merge_sort_block_sort_config_selectorIiiEENS1_38merge_sort_block_merge_config_selectorIiiEEEEvv
		.amdhsa_group_segment_fixed_size 0
		.amdhsa_private_segment_fixed_size 0
		.amdhsa_kernarg_size 0
		.amdhsa_user_sgpr_count 0
		.amdhsa_user_sgpr_dispatch_ptr 0
		.amdhsa_user_sgpr_queue_ptr 0
		.amdhsa_user_sgpr_kernarg_segment_ptr 0
		.amdhsa_user_sgpr_dispatch_id 0
		.amdhsa_user_sgpr_kernarg_preload_length 0
		.amdhsa_user_sgpr_kernarg_preload_offset 0
		.amdhsa_user_sgpr_private_segment_size 0
		.amdhsa_uses_dynamic_stack 0
		.amdhsa_enable_private_segment 0
		.amdhsa_system_sgpr_workgroup_id_x 1
		.amdhsa_system_sgpr_workgroup_id_y 0
		.amdhsa_system_sgpr_workgroup_id_z 0
		.amdhsa_system_sgpr_workgroup_info 0
		.amdhsa_system_vgpr_workitem_id 0
		.amdhsa_next_free_vgpr 1
		.amdhsa_next_free_sgpr 0
		.amdhsa_accum_offset 4
		.amdhsa_reserve_vcc 0
		.amdhsa_float_round_mode_32 0
		.amdhsa_float_round_mode_16_64 0
		.amdhsa_float_denorm_mode_32 3
		.amdhsa_float_denorm_mode_16_64 3
		.amdhsa_dx10_clamp 1
		.amdhsa_ieee_mode 1
		.amdhsa_fp16_overflow 0
		.amdhsa_tg_split 0
		.amdhsa_exception_fp_ieee_invalid_op 0
		.amdhsa_exception_fp_denorm_src 0
		.amdhsa_exception_fp_ieee_div_zero 0
		.amdhsa_exception_fp_ieee_overflow 0
		.amdhsa_exception_fp_ieee_underflow 0
		.amdhsa_exception_fp_ieee_inexact 0
		.amdhsa_exception_int_div_zero 0
	.end_amdhsa_kernel
	.section	.text._ZN7rocprim17ROCPRIM_400000_NS6detail44device_merge_sort_compile_time_verifier_archINS1_11comp_targetILNS1_3genE4ELNS1_11target_archE910ELNS1_3gpuE8ELNS1_3repE0EEES8_NS1_28merge_sort_block_sort_configILj256ELj4ELNS0_20block_sort_algorithmE0EEENS0_14default_configENS1_37merge_sort_block_sort_config_selectorIiiEENS1_38merge_sort_block_merge_config_selectorIiiEEEEvv,"axG",@progbits,_ZN7rocprim17ROCPRIM_400000_NS6detail44device_merge_sort_compile_time_verifier_archINS1_11comp_targetILNS1_3genE4ELNS1_11target_archE910ELNS1_3gpuE8ELNS1_3repE0EEES8_NS1_28merge_sort_block_sort_configILj256ELj4ELNS0_20block_sort_algorithmE0EEENS0_14default_configENS1_37merge_sort_block_sort_config_selectorIiiEENS1_38merge_sort_block_merge_config_selectorIiiEEEEvv,comdat
.Lfunc_end701:
	.size	_ZN7rocprim17ROCPRIM_400000_NS6detail44device_merge_sort_compile_time_verifier_archINS1_11comp_targetILNS1_3genE4ELNS1_11target_archE910ELNS1_3gpuE8ELNS1_3repE0EEES8_NS1_28merge_sort_block_sort_configILj256ELj4ELNS0_20block_sort_algorithmE0EEENS0_14default_configENS1_37merge_sort_block_sort_config_selectorIiiEENS1_38merge_sort_block_merge_config_selectorIiiEEEEvv, .Lfunc_end701-_ZN7rocprim17ROCPRIM_400000_NS6detail44device_merge_sort_compile_time_verifier_archINS1_11comp_targetILNS1_3genE4ELNS1_11target_archE910ELNS1_3gpuE8ELNS1_3repE0EEES8_NS1_28merge_sort_block_sort_configILj256ELj4ELNS0_20block_sort_algorithmE0EEENS0_14default_configENS1_37merge_sort_block_sort_config_selectorIiiEENS1_38merge_sort_block_merge_config_selectorIiiEEEEvv
                                        ; -- End function
	.set _ZN7rocprim17ROCPRIM_400000_NS6detail44device_merge_sort_compile_time_verifier_archINS1_11comp_targetILNS1_3genE4ELNS1_11target_archE910ELNS1_3gpuE8ELNS1_3repE0EEES8_NS1_28merge_sort_block_sort_configILj256ELj4ELNS0_20block_sort_algorithmE0EEENS0_14default_configENS1_37merge_sort_block_sort_config_selectorIiiEENS1_38merge_sort_block_merge_config_selectorIiiEEEEvv.num_vgpr, 0
	.set _ZN7rocprim17ROCPRIM_400000_NS6detail44device_merge_sort_compile_time_verifier_archINS1_11comp_targetILNS1_3genE4ELNS1_11target_archE910ELNS1_3gpuE8ELNS1_3repE0EEES8_NS1_28merge_sort_block_sort_configILj256ELj4ELNS0_20block_sort_algorithmE0EEENS0_14default_configENS1_37merge_sort_block_sort_config_selectorIiiEENS1_38merge_sort_block_merge_config_selectorIiiEEEEvv.num_agpr, 0
	.set _ZN7rocprim17ROCPRIM_400000_NS6detail44device_merge_sort_compile_time_verifier_archINS1_11comp_targetILNS1_3genE4ELNS1_11target_archE910ELNS1_3gpuE8ELNS1_3repE0EEES8_NS1_28merge_sort_block_sort_configILj256ELj4ELNS0_20block_sort_algorithmE0EEENS0_14default_configENS1_37merge_sort_block_sort_config_selectorIiiEENS1_38merge_sort_block_merge_config_selectorIiiEEEEvv.numbered_sgpr, 0
	.set _ZN7rocprim17ROCPRIM_400000_NS6detail44device_merge_sort_compile_time_verifier_archINS1_11comp_targetILNS1_3genE4ELNS1_11target_archE910ELNS1_3gpuE8ELNS1_3repE0EEES8_NS1_28merge_sort_block_sort_configILj256ELj4ELNS0_20block_sort_algorithmE0EEENS0_14default_configENS1_37merge_sort_block_sort_config_selectorIiiEENS1_38merge_sort_block_merge_config_selectorIiiEEEEvv.num_named_barrier, 0
	.set _ZN7rocprim17ROCPRIM_400000_NS6detail44device_merge_sort_compile_time_verifier_archINS1_11comp_targetILNS1_3genE4ELNS1_11target_archE910ELNS1_3gpuE8ELNS1_3repE0EEES8_NS1_28merge_sort_block_sort_configILj256ELj4ELNS0_20block_sort_algorithmE0EEENS0_14default_configENS1_37merge_sort_block_sort_config_selectorIiiEENS1_38merge_sort_block_merge_config_selectorIiiEEEEvv.private_seg_size, 0
	.set _ZN7rocprim17ROCPRIM_400000_NS6detail44device_merge_sort_compile_time_verifier_archINS1_11comp_targetILNS1_3genE4ELNS1_11target_archE910ELNS1_3gpuE8ELNS1_3repE0EEES8_NS1_28merge_sort_block_sort_configILj256ELj4ELNS0_20block_sort_algorithmE0EEENS0_14default_configENS1_37merge_sort_block_sort_config_selectorIiiEENS1_38merge_sort_block_merge_config_selectorIiiEEEEvv.uses_vcc, 0
	.set _ZN7rocprim17ROCPRIM_400000_NS6detail44device_merge_sort_compile_time_verifier_archINS1_11comp_targetILNS1_3genE4ELNS1_11target_archE910ELNS1_3gpuE8ELNS1_3repE0EEES8_NS1_28merge_sort_block_sort_configILj256ELj4ELNS0_20block_sort_algorithmE0EEENS0_14default_configENS1_37merge_sort_block_sort_config_selectorIiiEENS1_38merge_sort_block_merge_config_selectorIiiEEEEvv.uses_flat_scratch, 0
	.set _ZN7rocprim17ROCPRIM_400000_NS6detail44device_merge_sort_compile_time_verifier_archINS1_11comp_targetILNS1_3genE4ELNS1_11target_archE910ELNS1_3gpuE8ELNS1_3repE0EEES8_NS1_28merge_sort_block_sort_configILj256ELj4ELNS0_20block_sort_algorithmE0EEENS0_14default_configENS1_37merge_sort_block_sort_config_selectorIiiEENS1_38merge_sort_block_merge_config_selectorIiiEEEEvv.has_dyn_sized_stack, 0
	.set _ZN7rocprim17ROCPRIM_400000_NS6detail44device_merge_sort_compile_time_verifier_archINS1_11comp_targetILNS1_3genE4ELNS1_11target_archE910ELNS1_3gpuE8ELNS1_3repE0EEES8_NS1_28merge_sort_block_sort_configILj256ELj4ELNS0_20block_sort_algorithmE0EEENS0_14default_configENS1_37merge_sort_block_sort_config_selectorIiiEENS1_38merge_sort_block_merge_config_selectorIiiEEEEvv.has_recursion, 0
	.set _ZN7rocprim17ROCPRIM_400000_NS6detail44device_merge_sort_compile_time_verifier_archINS1_11comp_targetILNS1_3genE4ELNS1_11target_archE910ELNS1_3gpuE8ELNS1_3repE0EEES8_NS1_28merge_sort_block_sort_configILj256ELj4ELNS0_20block_sort_algorithmE0EEENS0_14default_configENS1_37merge_sort_block_sort_config_selectorIiiEENS1_38merge_sort_block_merge_config_selectorIiiEEEEvv.has_indirect_call, 0
	.section	.AMDGPU.csdata,"",@progbits
; Kernel info:
; codeLenInByte = 4
; TotalNumSgprs: 6
; NumVgprs: 0
; NumAgprs: 0
; TotalNumVgprs: 0
; ScratchSize: 0
; MemoryBound: 0
; FloatMode: 240
; IeeeMode: 1
; LDSByteSize: 0 bytes/workgroup (compile time only)
; SGPRBlocks: 0
; VGPRBlocks: 0
; NumSGPRsForWavesPerEU: 6
; NumVGPRsForWavesPerEU: 1
; AccumOffset: 4
; Occupancy: 8
; WaveLimiterHint : 0
; COMPUTE_PGM_RSRC2:SCRATCH_EN: 0
; COMPUTE_PGM_RSRC2:USER_SGPR: 0
; COMPUTE_PGM_RSRC2:TRAP_HANDLER: 0
; COMPUTE_PGM_RSRC2:TGID_X_EN: 1
; COMPUTE_PGM_RSRC2:TGID_Y_EN: 0
; COMPUTE_PGM_RSRC2:TGID_Z_EN: 0
; COMPUTE_PGM_RSRC2:TIDIG_COMP_CNT: 0
; COMPUTE_PGM_RSRC3_GFX90A:ACCUM_OFFSET: 0
; COMPUTE_PGM_RSRC3_GFX90A:TG_SPLIT: 0
	.section	.text._ZN7rocprim17ROCPRIM_400000_NS6detail44device_merge_sort_compile_time_verifier_archINS1_11comp_targetILNS1_3genE3ELNS1_11target_archE908ELNS1_3gpuE7ELNS1_3repE0EEES8_NS1_28merge_sort_block_sort_configILj256ELj4ELNS0_20block_sort_algorithmE0EEENS0_14default_configENS1_37merge_sort_block_sort_config_selectorIiiEENS1_38merge_sort_block_merge_config_selectorIiiEEEEvv,"axG",@progbits,_ZN7rocprim17ROCPRIM_400000_NS6detail44device_merge_sort_compile_time_verifier_archINS1_11comp_targetILNS1_3genE3ELNS1_11target_archE908ELNS1_3gpuE7ELNS1_3repE0EEES8_NS1_28merge_sort_block_sort_configILj256ELj4ELNS0_20block_sort_algorithmE0EEENS0_14default_configENS1_37merge_sort_block_sort_config_selectorIiiEENS1_38merge_sort_block_merge_config_selectorIiiEEEEvv,comdat
	.protected	_ZN7rocprim17ROCPRIM_400000_NS6detail44device_merge_sort_compile_time_verifier_archINS1_11comp_targetILNS1_3genE3ELNS1_11target_archE908ELNS1_3gpuE7ELNS1_3repE0EEES8_NS1_28merge_sort_block_sort_configILj256ELj4ELNS0_20block_sort_algorithmE0EEENS0_14default_configENS1_37merge_sort_block_sort_config_selectorIiiEENS1_38merge_sort_block_merge_config_selectorIiiEEEEvv ; -- Begin function _ZN7rocprim17ROCPRIM_400000_NS6detail44device_merge_sort_compile_time_verifier_archINS1_11comp_targetILNS1_3genE3ELNS1_11target_archE908ELNS1_3gpuE7ELNS1_3repE0EEES8_NS1_28merge_sort_block_sort_configILj256ELj4ELNS0_20block_sort_algorithmE0EEENS0_14default_configENS1_37merge_sort_block_sort_config_selectorIiiEENS1_38merge_sort_block_merge_config_selectorIiiEEEEvv
	.globl	_ZN7rocprim17ROCPRIM_400000_NS6detail44device_merge_sort_compile_time_verifier_archINS1_11comp_targetILNS1_3genE3ELNS1_11target_archE908ELNS1_3gpuE7ELNS1_3repE0EEES8_NS1_28merge_sort_block_sort_configILj256ELj4ELNS0_20block_sort_algorithmE0EEENS0_14default_configENS1_37merge_sort_block_sort_config_selectorIiiEENS1_38merge_sort_block_merge_config_selectorIiiEEEEvv
	.p2align	8
	.type	_ZN7rocprim17ROCPRIM_400000_NS6detail44device_merge_sort_compile_time_verifier_archINS1_11comp_targetILNS1_3genE3ELNS1_11target_archE908ELNS1_3gpuE7ELNS1_3repE0EEES8_NS1_28merge_sort_block_sort_configILj256ELj4ELNS0_20block_sort_algorithmE0EEENS0_14default_configENS1_37merge_sort_block_sort_config_selectorIiiEENS1_38merge_sort_block_merge_config_selectorIiiEEEEvv,@function
_ZN7rocprim17ROCPRIM_400000_NS6detail44device_merge_sort_compile_time_verifier_archINS1_11comp_targetILNS1_3genE3ELNS1_11target_archE908ELNS1_3gpuE7ELNS1_3repE0EEES8_NS1_28merge_sort_block_sort_configILj256ELj4ELNS0_20block_sort_algorithmE0EEENS0_14default_configENS1_37merge_sort_block_sort_config_selectorIiiEENS1_38merge_sort_block_merge_config_selectorIiiEEEEvv: ; @_ZN7rocprim17ROCPRIM_400000_NS6detail44device_merge_sort_compile_time_verifier_archINS1_11comp_targetILNS1_3genE3ELNS1_11target_archE908ELNS1_3gpuE7ELNS1_3repE0EEES8_NS1_28merge_sort_block_sort_configILj256ELj4ELNS0_20block_sort_algorithmE0EEENS0_14default_configENS1_37merge_sort_block_sort_config_selectorIiiEENS1_38merge_sort_block_merge_config_selectorIiiEEEEvv
; %bb.0:
	s_endpgm
	.section	.rodata,"a",@progbits
	.p2align	6, 0x0
	.amdhsa_kernel _ZN7rocprim17ROCPRIM_400000_NS6detail44device_merge_sort_compile_time_verifier_archINS1_11comp_targetILNS1_3genE3ELNS1_11target_archE908ELNS1_3gpuE7ELNS1_3repE0EEES8_NS1_28merge_sort_block_sort_configILj256ELj4ELNS0_20block_sort_algorithmE0EEENS0_14default_configENS1_37merge_sort_block_sort_config_selectorIiiEENS1_38merge_sort_block_merge_config_selectorIiiEEEEvv
		.amdhsa_group_segment_fixed_size 0
		.amdhsa_private_segment_fixed_size 0
		.amdhsa_kernarg_size 0
		.amdhsa_user_sgpr_count 0
		.amdhsa_user_sgpr_dispatch_ptr 0
		.amdhsa_user_sgpr_queue_ptr 0
		.amdhsa_user_sgpr_kernarg_segment_ptr 0
		.amdhsa_user_sgpr_dispatch_id 0
		.amdhsa_user_sgpr_kernarg_preload_length 0
		.amdhsa_user_sgpr_kernarg_preload_offset 0
		.amdhsa_user_sgpr_private_segment_size 0
		.amdhsa_uses_dynamic_stack 0
		.amdhsa_enable_private_segment 0
		.amdhsa_system_sgpr_workgroup_id_x 1
		.amdhsa_system_sgpr_workgroup_id_y 0
		.amdhsa_system_sgpr_workgroup_id_z 0
		.amdhsa_system_sgpr_workgroup_info 0
		.amdhsa_system_vgpr_workitem_id 0
		.amdhsa_next_free_vgpr 1
		.amdhsa_next_free_sgpr 0
		.amdhsa_accum_offset 4
		.amdhsa_reserve_vcc 0
		.amdhsa_float_round_mode_32 0
		.amdhsa_float_round_mode_16_64 0
		.amdhsa_float_denorm_mode_32 3
		.amdhsa_float_denorm_mode_16_64 3
		.amdhsa_dx10_clamp 1
		.amdhsa_ieee_mode 1
		.amdhsa_fp16_overflow 0
		.amdhsa_tg_split 0
		.amdhsa_exception_fp_ieee_invalid_op 0
		.amdhsa_exception_fp_denorm_src 0
		.amdhsa_exception_fp_ieee_div_zero 0
		.amdhsa_exception_fp_ieee_overflow 0
		.amdhsa_exception_fp_ieee_underflow 0
		.amdhsa_exception_fp_ieee_inexact 0
		.amdhsa_exception_int_div_zero 0
	.end_amdhsa_kernel
	.section	.text._ZN7rocprim17ROCPRIM_400000_NS6detail44device_merge_sort_compile_time_verifier_archINS1_11comp_targetILNS1_3genE3ELNS1_11target_archE908ELNS1_3gpuE7ELNS1_3repE0EEES8_NS1_28merge_sort_block_sort_configILj256ELj4ELNS0_20block_sort_algorithmE0EEENS0_14default_configENS1_37merge_sort_block_sort_config_selectorIiiEENS1_38merge_sort_block_merge_config_selectorIiiEEEEvv,"axG",@progbits,_ZN7rocprim17ROCPRIM_400000_NS6detail44device_merge_sort_compile_time_verifier_archINS1_11comp_targetILNS1_3genE3ELNS1_11target_archE908ELNS1_3gpuE7ELNS1_3repE0EEES8_NS1_28merge_sort_block_sort_configILj256ELj4ELNS0_20block_sort_algorithmE0EEENS0_14default_configENS1_37merge_sort_block_sort_config_selectorIiiEENS1_38merge_sort_block_merge_config_selectorIiiEEEEvv,comdat
.Lfunc_end702:
	.size	_ZN7rocprim17ROCPRIM_400000_NS6detail44device_merge_sort_compile_time_verifier_archINS1_11comp_targetILNS1_3genE3ELNS1_11target_archE908ELNS1_3gpuE7ELNS1_3repE0EEES8_NS1_28merge_sort_block_sort_configILj256ELj4ELNS0_20block_sort_algorithmE0EEENS0_14default_configENS1_37merge_sort_block_sort_config_selectorIiiEENS1_38merge_sort_block_merge_config_selectorIiiEEEEvv, .Lfunc_end702-_ZN7rocprim17ROCPRIM_400000_NS6detail44device_merge_sort_compile_time_verifier_archINS1_11comp_targetILNS1_3genE3ELNS1_11target_archE908ELNS1_3gpuE7ELNS1_3repE0EEES8_NS1_28merge_sort_block_sort_configILj256ELj4ELNS0_20block_sort_algorithmE0EEENS0_14default_configENS1_37merge_sort_block_sort_config_selectorIiiEENS1_38merge_sort_block_merge_config_selectorIiiEEEEvv
                                        ; -- End function
	.set _ZN7rocprim17ROCPRIM_400000_NS6detail44device_merge_sort_compile_time_verifier_archINS1_11comp_targetILNS1_3genE3ELNS1_11target_archE908ELNS1_3gpuE7ELNS1_3repE0EEES8_NS1_28merge_sort_block_sort_configILj256ELj4ELNS0_20block_sort_algorithmE0EEENS0_14default_configENS1_37merge_sort_block_sort_config_selectorIiiEENS1_38merge_sort_block_merge_config_selectorIiiEEEEvv.num_vgpr, 0
	.set _ZN7rocprim17ROCPRIM_400000_NS6detail44device_merge_sort_compile_time_verifier_archINS1_11comp_targetILNS1_3genE3ELNS1_11target_archE908ELNS1_3gpuE7ELNS1_3repE0EEES8_NS1_28merge_sort_block_sort_configILj256ELj4ELNS0_20block_sort_algorithmE0EEENS0_14default_configENS1_37merge_sort_block_sort_config_selectorIiiEENS1_38merge_sort_block_merge_config_selectorIiiEEEEvv.num_agpr, 0
	.set _ZN7rocprim17ROCPRIM_400000_NS6detail44device_merge_sort_compile_time_verifier_archINS1_11comp_targetILNS1_3genE3ELNS1_11target_archE908ELNS1_3gpuE7ELNS1_3repE0EEES8_NS1_28merge_sort_block_sort_configILj256ELj4ELNS0_20block_sort_algorithmE0EEENS0_14default_configENS1_37merge_sort_block_sort_config_selectorIiiEENS1_38merge_sort_block_merge_config_selectorIiiEEEEvv.numbered_sgpr, 0
	.set _ZN7rocprim17ROCPRIM_400000_NS6detail44device_merge_sort_compile_time_verifier_archINS1_11comp_targetILNS1_3genE3ELNS1_11target_archE908ELNS1_3gpuE7ELNS1_3repE0EEES8_NS1_28merge_sort_block_sort_configILj256ELj4ELNS0_20block_sort_algorithmE0EEENS0_14default_configENS1_37merge_sort_block_sort_config_selectorIiiEENS1_38merge_sort_block_merge_config_selectorIiiEEEEvv.num_named_barrier, 0
	.set _ZN7rocprim17ROCPRIM_400000_NS6detail44device_merge_sort_compile_time_verifier_archINS1_11comp_targetILNS1_3genE3ELNS1_11target_archE908ELNS1_3gpuE7ELNS1_3repE0EEES8_NS1_28merge_sort_block_sort_configILj256ELj4ELNS0_20block_sort_algorithmE0EEENS0_14default_configENS1_37merge_sort_block_sort_config_selectorIiiEENS1_38merge_sort_block_merge_config_selectorIiiEEEEvv.private_seg_size, 0
	.set _ZN7rocprim17ROCPRIM_400000_NS6detail44device_merge_sort_compile_time_verifier_archINS1_11comp_targetILNS1_3genE3ELNS1_11target_archE908ELNS1_3gpuE7ELNS1_3repE0EEES8_NS1_28merge_sort_block_sort_configILj256ELj4ELNS0_20block_sort_algorithmE0EEENS0_14default_configENS1_37merge_sort_block_sort_config_selectorIiiEENS1_38merge_sort_block_merge_config_selectorIiiEEEEvv.uses_vcc, 0
	.set _ZN7rocprim17ROCPRIM_400000_NS6detail44device_merge_sort_compile_time_verifier_archINS1_11comp_targetILNS1_3genE3ELNS1_11target_archE908ELNS1_3gpuE7ELNS1_3repE0EEES8_NS1_28merge_sort_block_sort_configILj256ELj4ELNS0_20block_sort_algorithmE0EEENS0_14default_configENS1_37merge_sort_block_sort_config_selectorIiiEENS1_38merge_sort_block_merge_config_selectorIiiEEEEvv.uses_flat_scratch, 0
	.set _ZN7rocprim17ROCPRIM_400000_NS6detail44device_merge_sort_compile_time_verifier_archINS1_11comp_targetILNS1_3genE3ELNS1_11target_archE908ELNS1_3gpuE7ELNS1_3repE0EEES8_NS1_28merge_sort_block_sort_configILj256ELj4ELNS0_20block_sort_algorithmE0EEENS0_14default_configENS1_37merge_sort_block_sort_config_selectorIiiEENS1_38merge_sort_block_merge_config_selectorIiiEEEEvv.has_dyn_sized_stack, 0
	.set _ZN7rocprim17ROCPRIM_400000_NS6detail44device_merge_sort_compile_time_verifier_archINS1_11comp_targetILNS1_3genE3ELNS1_11target_archE908ELNS1_3gpuE7ELNS1_3repE0EEES8_NS1_28merge_sort_block_sort_configILj256ELj4ELNS0_20block_sort_algorithmE0EEENS0_14default_configENS1_37merge_sort_block_sort_config_selectorIiiEENS1_38merge_sort_block_merge_config_selectorIiiEEEEvv.has_recursion, 0
	.set _ZN7rocprim17ROCPRIM_400000_NS6detail44device_merge_sort_compile_time_verifier_archINS1_11comp_targetILNS1_3genE3ELNS1_11target_archE908ELNS1_3gpuE7ELNS1_3repE0EEES8_NS1_28merge_sort_block_sort_configILj256ELj4ELNS0_20block_sort_algorithmE0EEENS0_14default_configENS1_37merge_sort_block_sort_config_selectorIiiEENS1_38merge_sort_block_merge_config_selectorIiiEEEEvv.has_indirect_call, 0
	.section	.AMDGPU.csdata,"",@progbits
; Kernel info:
; codeLenInByte = 4
; TotalNumSgprs: 6
; NumVgprs: 0
; NumAgprs: 0
; TotalNumVgprs: 0
; ScratchSize: 0
; MemoryBound: 0
; FloatMode: 240
; IeeeMode: 1
; LDSByteSize: 0 bytes/workgroup (compile time only)
; SGPRBlocks: 0
; VGPRBlocks: 0
; NumSGPRsForWavesPerEU: 6
; NumVGPRsForWavesPerEU: 1
; AccumOffset: 4
; Occupancy: 8
; WaveLimiterHint : 0
; COMPUTE_PGM_RSRC2:SCRATCH_EN: 0
; COMPUTE_PGM_RSRC2:USER_SGPR: 0
; COMPUTE_PGM_RSRC2:TRAP_HANDLER: 0
; COMPUTE_PGM_RSRC2:TGID_X_EN: 1
; COMPUTE_PGM_RSRC2:TGID_Y_EN: 0
; COMPUTE_PGM_RSRC2:TGID_Z_EN: 0
; COMPUTE_PGM_RSRC2:TIDIG_COMP_CNT: 0
; COMPUTE_PGM_RSRC3_GFX90A:ACCUM_OFFSET: 0
; COMPUTE_PGM_RSRC3_GFX90A:TG_SPLIT: 0
	.section	.text._ZN7rocprim17ROCPRIM_400000_NS6detail44device_merge_sort_compile_time_verifier_archINS1_11comp_targetILNS1_3genE2ELNS1_11target_archE906ELNS1_3gpuE6ELNS1_3repE0EEES8_NS1_28merge_sort_block_sort_configILj256ELj4ELNS0_20block_sort_algorithmE0EEENS0_14default_configENS1_37merge_sort_block_sort_config_selectorIiiEENS1_38merge_sort_block_merge_config_selectorIiiEEEEvv,"axG",@progbits,_ZN7rocprim17ROCPRIM_400000_NS6detail44device_merge_sort_compile_time_verifier_archINS1_11comp_targetILNS1_3genE2ELNS1_11target_archE906ELNS1_3gpuE6ELNS1_3repE0EEES8_NS1_28merge_sort_block_sort_configILj256ELj4ELNS0_20block_sort_algorithmE0EEENS0_14default_configENS1_37merge_sort_block_sort_config_selectorIiiEENS1_38merge_sort_block_merge_config_selectorIiiEEEEvv,comdat
	.protected	_ZN7rocprim17ROCPRIM_400000_NS6detail44device_merge_sort_compile_time_verifier_archINS1_11comp_targetILNS1_3genE2ELNS1_11target_archE906ELNS1_3gpuE6ELNS1_3repE0EEES8_NS1_28merge_sort_block_sort_configILj256ELj4ELNS0_20block_sort_algorithmE0EEENS0_14default_configENS1_37merge_sort_block_sort_config_selectorIiiEENS1_38merge_sort_block_merge_config_selectorIiiEEEEvv ; -- Begin function _ZN7rocprim17ROCPRIM_400000_NS6detail44device_merge_sort_compile_time_verifier_archINS1_11comp_targetILNS1_3genE2ELNS1_11target_archE906ELNS1_3gpuE6ELNS1_3repE0EEES8_NS1_28merge_sort_block_sort_configILj256ELj4ELNS0_20block_sort_algorithmE0EEENS0_14default_configENS1_37merge_sort_block_sort_config_selectorIiiEENS1_38merge_sort_block_merge_config_selectorIiiEEEEvv
	.globl	_ZN7rocprim17ROCPRIM_400000_NS6detail44device_merge_sort_compile_time_verifier_archINS1_11comp_targetILNS1_3genE2ELNS1_11target_archE906ELNS1_3gpuE6ELNS1_3repE0EEES8_NS1_28merge_sort_block_sort_configILj256ELj4ELNS0_20block_sort_algorithmE0EEENS0_14default_configENS1_37merge_sort_block_sort_config_selectorIiiEENS1_38merge_sort_block_merge_config_selectorIiiEEEEvv
	.p2align	8
	.type	_ZN7rocprim17ROCPRIM_400000_NS6detail44device_merge_sort_compile_time_verifier_archINS1_11comp_targetILNS1_3genE2ELNS1_11target_archE906ELNS1_3gpuE6ELNS1_3repE0EEES8_NS1_28merge_sort_block_sort_configILj256ELj4ELNS0_20block_sort_algorithmE0EEENS0_14default_configENS1_37merge_sort_block_sort_config_selectorIiiEENS1_38merge_sort_block_merge_config_selectorIiiEEEEvv,@function
_ZN7rocprim17ROCPRIM_400000_NS6detail44device_merge_sort_compile_time_verifier_archINS1_11comp_targetILNS1_3genE2ELNS1_11target_archE906ELNS1_3gpuE6ELNS1_3repE0EEES8_NS1_28merge_sort_block_sort_configILj256ELj4ELNS0_20block_sort_algorithmE0EEENS0_14default_configENS1_37merge_sort_block_sort_config_selectorIiiEENS1_38merge_sort_block_merge_config_selectorIiiEEEEvv: ; @_ZN7rocprim17ROCPRIM_400000_NS6detail44device_merge_sort_compile_time_verifier_archINS1_11comp_targetILNS1_3genE2ELNS1_11target_archE906ELNS1_3gpuE6ELNS1_3repE0EEES8_NS1_28merge_sort_block_sort_configILj256ELj4ELNS0_20block_sort_algorithmE0EEENS0_14default_configENS1_37merge_sort_block_sort_config_selectorIiiEENS1_38merge_sort_block_merge_config_selectorIiiEEEEvv
; %bb.0:
	s_endpgm
	.section	.rodata,"a",@progbits
	.p2align	6, 0x0
	.amdhsa_kernel _ZN7rocprim17ROCPRIM_400000_NS6detail44device_merge_sort_compile_time_verifier_archINS1_11comp_targetILNS1_3genE2ELNS1_11target_archE906ELNS1_3gpuE6ELNS1_3repE0EEES8_NS1_28merge_sort_block_sort_configILj256ELj4ELNS0_20block_sort_algorithmE0EEENS0_14default_configENS1_37merge_sort_block_sort_config_selectorIiiEENS1_38merge_sort_block_merge_config_selectorIiiEEEEvv
		.amdhsa_group_segment_fixed_size 0
		.amdhsa_private_segment_fixed_size 0
		.amdhsa_kernarg_size 0
		.amdhsa_user_sgpr_count 0
		.amdhsa_user_sgpr_dispatch_ptr 0
		.amdhsa_user_sgpr_queue_ptr 0
		.amdhsa_user_sgpr_kernarg_segment_ptr 0
		.amdhsa_user_sgpr_dispatch_id 0
		.amdhsa_user_sgpr_kernarg_preload_length 0
		.amdhsa_user_sgpr_kernarg_preload_offset 0
		.amdhsa_user_sgpr_private_segment_size 0
		.amdhsa_uses_dynamic_stack 0
		.amdhsa_enable_private_segment 0
		.amdhsa_system_sgpr_workgroup_id_x 1
		.amdhsa_system_sgpr_workgroup_id_y 0
		.amdhsa_system_sgpr_workgroup_id_z 0
		.amdhsa_system_sgpr_workgroup_info 0
		.amdhsa_system_vgpr_workitem_id 0
		.amdhsa_next_free_vgpr 1
		.amdhsa_next_free_sgpr 0
		.amdhsa_accum_offset 4
		.amdhsa_reserve_vcc 0
		.amdhsa_float_round_mode_32 0
		.amdhsa_float_round_mode_16_64 0
		.amdhsa_float_denorm_mode_32 3
		.amdhsa_float_denorm_mode_16_64 3
		.amdhsa_dx10_clamp 1
		.amdhsa_ieee_mode 1
		.amdhsa_fp16_overflow 0
		.amdhsa_tg_split 0
		.amdhsa_exception_fp_ieee_invalid_op 0
		.amdhsa_exception_fp_denorm_src 0
		.amdhsa_exception_fp_ieee_div_zero 0
		.amdhsa_exception_fp_ieee_overflow 0
		.amdhsa_exception_fp_ieee_underflow 0
		.amdhsa_exception_fp_ieee_inexact 0
		.amdhsa_exception_int_div_zero 0
	.end_amdhsa_kernel
	.section	.text._ZN7rocprim17ROCPRIM_400000_NS6detail44device_merge_sort_compile_time_verifier_archINS1_11comp_targetILNS1_3genE2ELNS1_11target_archE906ELNS1_3gpuE6ELNS1_3repE0EEES8_NS1_28merge_sort_block_sort_configILj256ELj4ELNS0_20block_sort_algorithmE0EEENS0_14default_configENS1_37merge_sort_block_sort_config_selectorIiiEENS1_38merge_sort_block_merge_config_selectorIiiEEEEvv,"axG",@progbits,_ZN7rocprim17ROCPRIM_400000_NS6detail44device_merge_sort_compile_time_verifier_archINS1_11comp_targetILNS1_3genE2ELNS1_11target_archE906ELNS1_3gpuE6ELNS1_3repE0EEES8_NS1_28merge_sort_block_sort_configILj256ELj4ELNS0_20block_sort_algorithmE0EEENS0_14default_configENS1_37merge_sort_block_sort_config_selectorIiiEENS1_38merge_sort_block_merge_config_selectorIiiEEEEvv,comdat
.Lfunc_end703:
	.size	_ZN7rocprim17ROCPRIM_400000_NS6detail44device_merge_sort_compile_time_verifier_archINS1_11comp_targetILNS1_3genE2ELNS1_11target_archE906ELNS1_3gpuE6ELNS1_3repE0EEES8_NS1_28merge_sort_block_sort_configILj256ELj4ELNS0_20block_sort_algorithmE0EEENS0_14default_configENS1_37merge_sort_block_sort_config_selectorIiiEENS1_38merge_sort_block_merge_config_selectorIiiEEEEvv, .Lfunc_end703-_ZN7rocprim17ROCPRIM_400000_NS6detail44device_merge_sort_compile_time_verifier_archINS1_11comp_targetILNS1_3genE2ELNS1_11target_archE906ELNS1_3gpuE6ELNS1_3repE0EEES8_NS1_28merge_sort_block_sort_configILj256ELj4ELNS0_20block_sort_algorithmE0EEENS0_14default_configENS1_37merge_sort_block_sort_config_selectorIiiEENS1_38merge_sort_block_merge_config_selectorIiiEEEEvv
                                        ; -- End function
	.set _ZN7rocprim17ROCPRIM_400000_NS6detail44device_merge_sort_compile_time_verifier_archINS1_11comp_targetILNS1_3genE2ELNS1_11target_archE906ELNS1_3gpuE6ELNS1_3repE0EEES8_NS1_28merge_sort_block_sort_configILj256ELj4ELNS0_20block_sort_algorithmE0EEENS0_14default_configENS1_37merge_sort_block_sort_config_selectorIiiEENS1_38merge_sort_block_merge_config_selectorIiiEEEEvv.num_vgpr, 0
	.set _ZN7rocprim17ROCPRIM_400000_NS6detail44device_merge_sort_compile_time_verifier_archINS1_11comp_targetILNS1_3genE2ELNS1_11target_archE906ELNS1_3gpuE6ELNS1_3repE0EEES8_NS1_28merge_sort_block_sort_configILj256ELj4ELNS0_20block_sort_algorithmE0EEENS0_14default_configENS1_37merge_sort_block_sort_config_selectorIiiEENS1_38merge_sort_block_merge_config_selectorIiiEEEEvv.num_agpr, 0
	.set _ZN7rocprim17ROCPRIM_400000_NS6detail44device_merge_sort_compile_time_verifier_archINS1_11comp_targetILNS1_3genE2ELNS1_11target_archE906ELNS1_3gpuE6ELNS1_3repE0EEES8_NS1_28merge_sort_block_sort_configILj256ELj4ELNS0_20block_sort_algorithmE0EEENS0_14default_configENS1_37merge_sort_block_sort_config_selectorIiiEENS1_38merge_sort_block_merge_config_selectorIiiEEEEvv.numbered_sgpr, 0
	.set _ZN7rocprim17ROCPRIM_400000_NS6detail44device_merge_sort_compile_time_verifier_archINS1_11comp_targetILNS1_3genE2ELNS1_11target_archE906ELNS1_3gpuE6ELNS1_3repE0EEES8_NS1_28merge_sort_block_sort_configILj256ELj4ELNS0_20block_sort_algorithmE0EEENS0_14default_configENS1_37merge_sort_block_sort_config_selectorIiiEENS1_38merge_sort_block_merge_config_selectorIiiEEEEvv.num_named_barrier, 0
	.set _ZN7rocprim17ROCPRIM_400000_NS6detail44device_merge_sort_compile_time_verifier_archINS1_11comp_targetILNS1_3genE2ELNS1_11target_archE906ELNS1_3gpuE6ELNS1_3repE0EEES8_NS1_28merge_sort_block_sort_configILj256ELj4ELNS0_20block_sort_algorithmE0EEENS0_14default_configENS1_37merge_sort_block_sort_config_selectorIiiEENS1_38merge_sort_block_merge_config_selectorIiiEEEEvv.private_seg_size, 0
	.set _ZN7rocprim17ROCPRIM_400000_NS6detail44device_merge_sort_compile_time_verifier_archINS1_11comp_targetILNS1_3genE2ELNS1_11target_archE906ELNS1_3gpuE6ELNS1_3repE0EEES8_NS1_28merge_sort_block_sort_configILj256ELj4ELNS0_20block_sort_algorithmE0EEENS0_14default_configENS1_37merge_sort_block_sort_config_selectorIiiEENS1_38merge_sort_block_merge_config_selectorIiiEEEEvv.uses_vcc, 0
	.set _ZN7rocprim17ROCPRIM_400000_NS6detail44device_merge_sort_compile_time_verifier_archINS1_11comp_targetILNS1_3genE2ELNS1_11target_archE906ELNS1_3gpuE6ELNS1_3repE0EEES8_NS1_28merge_sort_block_sort_configILj256ELj4ELNS0_20block_sort_algorithmE0EEENS0_14default_configENS1_37merge_sort_block_sort_config_selectorIiiEENS1_38merge_sort_block_merge_config_selectorIiiEEEEvv.uses_flat_scratch, 0
	.set _ZN7rocprim17ROCPRIM_400000_NS6detail44device_merge_sort_compile_time_verifier_archINS1_11comp_targetILNS1_3genE2ELNS1_11target_archE906ELNS1_3gpuE6ELNS1_3repE0EEES8_NS1_28merge_sort_block_sort_configILj256ELj4ELNS0_20block_sort_algorithmE0EEENS0_14default_configENS1_37merge_sort_block_sort_config_selectorIiiEENS1_38merge_sort_block_merge_config_selectorIiiEEEEvv.has_dyn_sized_stack, 0
	.set _ZN7rocprim17ROCPRIM_400000_NS6detail44device_merge_sort_compile_time_verifier_archINS1_11comp_targetILNS1_3genE2ELNS1_11target_archE906ELNS1_3gpuE6ELNS1_3repE0EEES8_NS1_28merge_sort_block_sort_configILj256ELj4ELNS0_20block_sort_algorithmE0EEENS0_14default_configENS1_37merge_sort_block_sort_config_selectorIiiEENS1_38merge_sort_block_merge_config_selectorIiiEEEEvv.has_recursion, 0
	.set _ZN7rocprim17ROCPRIM_400000_NS6detail44device_merge_sort_compile_time_verifier_archINS1_11comp_targetILNS1_3genE2ELNS1_11target_archE906ELNS1_3gpuE6ELNS1_3repE0EEES8_NS1_28merge_sort_block_sort_configILj256ELj4ELNS0_20block_sort_algorithmE0EEENS0_14default_configENS1_37merge_sort_block_sort_config_selectorIiiEENS1_38merge_sort_block_merge_config_selectorIiiEEEEvv.has_indirect_call, 0
	.section	.AMDGPU.csdata,"",@progbits
; Kernel info:
; codeLenInByte = 4
; TotalNumSgprs: 6
; NumVgprs: 0
; NumAgprs: 0
; TotalNumVgprs: 0
; ScratchSize: 0
; MemoryBound: 0
; FloatMode: 240
; IeeeMode: 1
; LDSByteSize: 0 bytes/workgroup (compile time only)
; SGPRBlocks: 0
; VGPRBlocks: 0
; NumSGPRsForWavesPerEU: 6
; NumVGPRsForWavesPerEU: 1
; AccumOffset: 4
; Occupancy: 8
; WaveLimiterHint : 0
; COMPUTE_PGM_RSRC2:SCRATCH_EN: 0
; COMPUTE_PGM_RSRC2:USER_SGPR: 0
; COMPUTE_PGM_RSRC2:TRAP_HANDLER: 0
; COMPUTE_PGM_RSRC2:TGID_X_EN: 1
; COMPUTE_PGM_RSRC2:TGID_Y_EN: 0
; COMPUTE_PGM_RSRC2:TGID_Z_EN: 0
; COMPUTE_PGM_RSRC2:TIDIG_COMP_CNT: 0
; COMPUTE_PGM_RSRC3_GFX90A:ACCUM_OFFSET: 0
; COMPUTE_PGM_RSRC3_GFX90A:TG_SPLIT: 0
	.section	.text._ZN7rocprim17ROCPRIM_400000_NS6detail44device_merge_sort_compile_time_verifier_archINS1_11comp_targetILNS1_3genE10ELNS1_11target_archE1201ELNS1_3gpuE5ELNS1_3repE0EEES8_NS1_28merge_sort_block_sort_configILj256ELj4ELNS0_20block_sort_algorithmE0EEENS0_14default_configENS1_37merge_sort_block_sort_config_selectorIiiEENS1_38merge_sort_block_merge_config_selectorIiiEEEEvv,"axG",@progbits,_ZN7rocprim17ROCPRIM_400000_NS6detail44device_merge_sort_compile_time_verifier_archINS1_11comp_targetILNS1_3genE10ELNS1_11target_archE1201ELNS1_3gpuE5ELNS1_3repE0EEES8_NS1_28merge_sort_block_sort_configILj256ELj4ELNS0_20block_sort_algorithmE0EEENS0_14default_configENS1_37merge_sort_block_sort_config_selectorIiiEENS1_38merge_sort_block_merge_config_selectorIiiEEEEvv,comdat
	.protected	_ZN7rocprim17ROCPRIM_400000_NS6detail44device_merge_sort_compile_time_verifier_archINS1_11comp_targetILNS1_3genE10ELNS1_11target_archE1201ELNS1_3gpuE5ELNS1_3repE0EEES8_NS1_28merge_sort_block_sort_configILj256ELj4ELNS0_20block_sort_algorithmE0EEENS0_14default_configENS1_37merge_sort_block_sort_config_selectorIiiEENS1_38merge_sort_block_merge_config_selectorIiiEEEEvv ; -- Begin function _ZN7rocprim17ROCPRIM_400000_NS6detail44device_merge_sort_compile_time_verifier_archINS1_11comp_targetILNS1_3genE10ELNS1_11target_archE1201ELNS1_3gpuE5ELNS1_3repE0EEES8_NS1_28merge_sort_block_sort_configILj256ELj4ELNS0_20block_sort_algorithmE0EEENS0_14default_configENS1_37merge_sort_block_sort_config_selectorIiiEENS1_38merge_sort_block_merge_config_selectorIiiEEEEvv
	.globl	_ZN7rocprim17ROCPRIM_400000_NS6detail44device_merge_sort_compile_time_verifier_archINS1_11comp_targetILNS1_3genE10ELNS1_11target_archE1201ELNS1_3gpuE5ELNS1_3repE0EEES8_NS1_28merge_sort_block_sort_configILj256ELj4ELNS0_20block_sort_algorithmE0EEENS0_14default_configENS1_37merge_sort_block_sort_config_selectorIiiEENS1_38merge_sort_block_merge_config_selectorIiiEEEEvv
	.p2align	8
	.type	_ZN7rocprim17ROCPRIM_400000_NS6detail44device_merge_sort_compile_time_verifier_archINS1_11comp_targetILNS1_3genE10ELNS1_11target_archE1201ELNS1_3gpuE5ELNS1_3repE0EEES8_NS1_28merge_sort_block_sort_configILj256ELj4ELNS0_20block_sort_algorithmE0EEENS0_14default_configENS1_37merge_sort_block_sort_config_selectorIiiEENS1_38merge_sort_block_merge_config_selectorIiiEEEEvv,@function
_ZN7rocprim17ROCPRIM_400000_NS6detail44device_merge_sort_compile_time_verifier_archINS1_11comp_targetILNS1_3genE10ELNS1_11target_archE1201ELNS1_3gpuE5ELNS1_3repE0EEES8_NS1_28merge_sort_block_sort_configILj256ELj4ELNS0_20block_sort_algorithmE0EEENS0_14default_configENS1_37merge_sort_block_sort_config_selectorIiiEENS1_38merge_sort_block_merge_config_selectorIiiEEEEvv: ; @_ZN7rocprim17ROCPRIM_400000_NS6detail44device_merge_sort_compile_time_verifier_archINS1_11comp_targetILNS1_3genE10ELNS1_11target_archE1201ELNS1_3gpuE5ELNS1_3repE0EEES8_NS1_28merge_sort_block_sort_configILj256ELj4ELNS0_20block_sort_algorithmE0EEENS0_14default_configENS1_37merge_sort_block_sort_config_selectorIiiEENS1_38merge_sort_block_merge_config_selectorIiiEEEEvv
; %bb.0:
	s_endpgm
	.section	.rodata,"a",@progbits
	.p2align	6, 0x0
	.amdhsa_kernel _ZN7rocprim17ROCPRIM_400000_NS6detail44device_merge_sort_compile_time_verifier_archINS1_11comp_targetILNS1_3genE10ELNS1_11target_archE1201ELNS1_3gpuE5ELNS1_3repE0EEES8_NS1_28merge_sort_block_sort_configILj256ELj4ELNS0_20block_sort_algorithmE0EEENS0_14default_configENS1_37merge_sort_block_sort_config_selectorIiiEENS1_38merge_sort_block_merge_config_selectorIiiEEEEvv
		.amdhsa_group_segment_fixed_size 0
		.amdhsa_private_segment_fixed_size 0
		.amdhsa_kernarg_size 0
		.amdhsa_user_sgpr_count 0
		.amdhsa_user_sgpr_dispatch_ptr 0
		.amdhsa_user_sgpr_queue_ptr 0
		.amdhsa_user_sgpr_kernarg_segment_ptr 0
		.amdhsa_user_sgpr_dispatch_id 0
		.amdhsa_user_sgpr_kernarg_preload_length 0
		.amdhsa_user_sgpr_kernarg_preload_offset 0
		.amdhsa_user_sgpr_private_segment_size 0
		.amdhsa_uses_dynamic_stack 0
		.amdhsa_enable_private_segment 0
		.amdhsa_system_sgpr_workgroup_id_x 1
		.amdhsa_system_sgpr_workgroup_id_y 0
		.amdhsa_system_sgpr_workgroup_id_z 0
		.amdhsa_system_sgpr_workgroup_info 0
		.amdhsa_system_vgpr_workitem_id 0
		.amdhsa_next_free_vgpr 1
		.amdhsa_next_free_sgpr 0
		.amdhsa_accum_offset 4
		.amdhsa_reserve_vcc 0
		.amdhsa_float_round_mode_32 0
		.amdhsa_float_round_mode_16_64 0
		.amdhsa_float_denorm_mode_32 3
		.amdhsa_float_denorm_mode_16_64 3
		.amdhsa_dx10_clamp 1
		.amdhsa_ieee_mode 1
		.amdhsa_fp16_overflow 0
		.amdhsa_tg_split 0
		.amdhsa_exception_fp_ieee_invalid_op 0
		.amdhsa_exception_fp_denorm_src 0
		.amdhsa_exception_fp_ieee_div_zero 0
		.amdhsa_exception_fp_ieee_overflow 0
		.amdhsa_exception_fp_ieee_underflow 0
		.amdhsa_exception_fp_ieee_inexact 0
		.amdhsa_exception_int_div_zero 0
	.end_amdhsa_kernel
	.section	.text._ZN7rocprim17ROCPRIM_400000_NS6detail44device_merge_sort_compile_time_verifier_archINS1_11comp_targetILNS1_3genE10ELNS1_11target_archE1201ELNS1_3gpuE5ELNS1_3repE0EEES8_NS1_28merge_sort_block_sort_configILj256ELj4ELNS0_20block_sort_algorithmE0EEENS0_14default_configENS1_37merge_sort_block_sort_config_selectorIiiEENS1_38merge_sort_block_merge_config_selectorIiiEEEEvv,"axG",@progbits,_ZN7rocprim17ROCPRIM_400000_NS6detail44device_merge_sort_compile_time_verifier_archINS1_11comp_targetILNS1_3genE10ELNS1_11target_archE1201ELNS1_3gpuE5ELNS1_3repE0EEES8_NS1_28merge_sort_block_sort_configILj256ELj4ELNS0_20block_sort_algorithmE0EEENS0_14default_configENS1_37merge_sort_block_sort_config_selectorIiiEENS1_38merge_sort_block_merge_config_selectorIiiEEEEvv,comdat
.Lfunc_end704:
	.size	_ZN7rocprim17ROCPRIM_400000_NS6detail44device_merge_sort_compile_time_verifier_archINS1_11comp_targetILNS1_3genE10ELNS1_11target_archE1201ELNS1_3gpuE5ELNS1_3repE0EEES8_NS1_28merge_sort_block_sort_configILj256ELj4ELNS0_20block_sort_algorithmE0EEENS0_14default_configENS1_37merge_sort_block_sort_config_selectorIiiEENS1_38merge_sort_block_merge_config_selectorIiiEEEEvv, .Lfunc_end704-_ZN7rocprim17ROCPRIM_400000_NS6detail44device_merge_sort_compile_time_verifier_archINS1_11comp_targetILNS1_3genE10ELNS1_11target_archE1201ELNS1_3gpuE5ELNS1_3repE0EEES8_NS1_28merge_sort_block_sort_configILj256ELj4ELNS0_20block_sort_algorithmE0EEENS0_14default_configENS1_37merge_sort_block_sort_config_selectorIiiEENS1_38merge_sort_block_merge_config_selectorIiiEEEEvv
                                        ; -- End function
	.set _ZN7rocprim17ROCPRIM_400000_NS6detail44device_merge_sort_compile_time_verifier_archINS1_11comp_targetILNS1_3genE10ELNS1_11target_archE1201ELNS1_3gpuE5ELNS1_3repE0EEES8_NS1_28merge_sort_block_sort_configILj256ELj4ELNS0_20block_sort_algorithmE0EEENS0_14default_configENS1_37merge_sort_block_sort_config_selectorIiiEENS1_38merge_sort_block_merge_config_selectorIiiEEEEvv.num_vgpr, 0
	.set _ZN7rocprim17ROCPRIM_400000_NS6detail44device_merge_sort_compile_time_verifier_archINS1_11comp_targetILNS1_3genE10ELNS1_11target_archE1201ELNS1_3gpuE5ELNS1_3repE0EEES8_NS1_28merge_sort_block_sort_configILj256ELj4ELNS0_20block_sort_algorithmE0EEENS0_14default_configENS1_37merge_sort_block_sort_config_selectorIiiEENS1_38merge_sort_block_merge_config_selectorIiiEEEEvv.num_agpr, 0
	.set _ZN7rocprim17ROCPRIM_400000_NS6detail44device_merge_sort_compile_time_verifier_archINS1_11comp_targetILNS1_3genE10ELNS1_11target_archE1201ELNS1_3gpuE5ELNS1_3repE0EEES8_NS1_28merge_sort_block_sort_configILj256ELj4ELNS0_20block_sort_algorithmE0EEENS0_14default_configENS1_37merge_sort_block_sort_config_selectorIiiEENS1_38merge_sort_block_merge_config_selectorIiiEEEEvv.numbered_sgpr, 0
	.set _ZN7rocprim17ROCPRIM_400000_NS6detail44device_merge_sort_compile_time_verifier_archINS1_11comp_targetILNS1_3genE10ELNS1_11target_archE1201ELNS1_3gpuE5ELNS1_3repE0EEES8_NS1_28merge_sort_block_sort_configILj256ELj4ELNS0_20block_sort_algorithmE0EEENS0_14default_configENS1_37merge_sort_block_sort_config_selectorIiiEENS1_38merge_sort_block_merge_config_selectorIiiEEEEvv.num_named_barrier, 0
	.set _ZN7rocprim17ROCPRIM_400000_NS6detail44device_merge_sort_compile_time_verifier_archINS1_11comp_targetILNS1_3genE10ELNS1_11target_archE1201ELNS1_3gpuE5ELNS1_3repE0EEES8_NS1_28merge_sort_block_sort_configILj256ELj4ELNS0_20block_sort_algorithmE0EEENS0_14default_configENS1_37merge_sort_block_sort_config_selectorIiiEENS1_38merge_sort_block_merge_config_selectorIiiEEEEvv.private_seg_size, 0
	.set _ZN7rocprim17ROCPRIM_400000_NS6detail44device_merge_sort_compile_time_verifier_archINS1_11comp_targetILNS1_3genE10ELNS1_11target_archE1201ELNS1_3gpuE5ELNS1_3repE0EEES8_NS1_28merge_sort_block_sort_configILj256ELj4ELNS0_20block_sort_algorithmE0EEENS0_14default_configENS1_37merge_sort_block_sort_config_selectorIiiEENS1_38merge_sort_block_merge_config_selectorIiiEEEEvv.uses_vcc, 0
	.set _ZN7rocprim17ROCPRIM_400000_NS6detail44device_merge_sort_compile_time_verifier_archINS1_11comp_targetILNS1_3genE10ELNS1_11target_archE1201ELNS1_3gpuE5ELNS1_3repE0EEES8_NS1_28merge_sort_block_sort_configILj256ELj4ELNS0_20block_sort_algorithmE0EEENS0_14default_configENS1_37merge_sort_block_sort_config_selectorIiiEENS1_38merge_sort_block_merge_config_selectorIiiEEEEvv.uses_flat_scratch, 0
	.set _ZN7rocprim17ROCPRIM_400000_NS6detail44device_merge_sort_compile_time_verifier_archINS1_11comp_targetILNS1_3genE10ELNS1_11target_archE1201ELNS1_3gpuE5ELNS1_3repE0EEES8_NS1_28merge_sort_block_sort_configILj256ELj4ELNS0_20block_sort_algorithmE0EEENS0_14default_configENS1_37merge_sort_block_sort_config_selectorIiiEENS1_38merge_sort_block_merge_config_selectorIiiEEEEvv.has_dyn_sized_stack, 0
	.set _ZN7rocprim17ROCPRIM_400000_NS6detail44device_merge_sort_compile_time_verifier_archINS1_11comp_targetILNS1_3genE10ELNS1_11target_archE1201ELNS1_3gpuE5ELNS1_3repE0EEES8_NS1_28merge_sort_block_sort_configILj256ELj4ELNS0_20block_sort_algorithmE0EEENS0_14default_configENS1_37merge_sort_block_sort_config_selectorIiiEENS1_38merge_sort_block_merge_config_selectorIiiEEEEvv.has_recursion, 0
	.set _ZN7rocprim17ROCPRIM_400000_NS6detail44device_merge_sort_compile_time_verifier_archINS1_11comp_targetILNS1_3genE10ELNS1_11target_archE1201ELNS1_3gpuE5ELNS1_3repE0EEES8_NS1_28merge_sort_block_sort_configILj256ELj4ELNS0_20block_sort_algorithmE0EEENS0_14default_configENS1_37merge_sort_block_sort_config_selectorIiiEENS1_38merge_sort_block_merge_config_selectorIiiEEEEvv.has_indirect_call, 0
	.section	.AMDGPU.csdata,"",@progbits
; Kernel info:
; codeLenInByte = 4
; TotalNumSgprs: 6
; NumVgprs: 0
; NumAgprs: 0
; TotalNumVgprs: 0
; ScratchSize: 0
; MemoryBound: 0
; FloatMode: 240
; IeeeMode: 1
; LDSByteSize: 0 bytes/workgroup (compile time only)
; SGPRBlocks: 0
; VGPRBlocks: 0
; NumSGPRsForWavesPerEU: 6
; NumVGPRsForWavesPerEU: 1
; AccumOffset: 4
; Occupancy: 8
; WaveLimiterHint : 0
; COMPUTE_PGM_RSRC2:SCRATCH_EN: 0
; COMPUTE_PGM_RSRC2:USER_SGPR: 0
; COMPUTE_PGM_RSRC2:TRAP_HANDLER: 0
; COMPUTE_PGM_RSRC2:TGID_X_EN: 1
; COMPUTE_PGM_RSRC2:TGID_Y_EN: 0
; COMPUTE_PGM_RSRC2:TGID_Z_EN: 0
; COMPUTE_PGM_RSRC2:TIDIG_COMP_CNT: 0
; COMPUTE_PGM_RSRC3_GFX90A:ACCUM_OFFSET: 0
; COMPUTE_PGM_RSRC3_GFX90A:TG_SPLIT: 0
	.section	.text._ZN7rocprim17ROCPRIM_400000_NS6detail44device_merge_sort_compile_time_verifier_archINS1_11comp_targetILNS1_3genE10ELNS1_11target_archE1200ELNS1_3gpuE4ELNS1_3repE0EEENS3_ILS4_10ELS5_1201ELS6_5ELS7_0EEENS1_28merge_sort_block_sort_configILj256ELj4ELNS0_20block_sort_algorithmE0EEENS0_14default_configENS1_37merge_sort_block_sort_config_selectorIiiEENS1_38merge_sort_block_merge_config_selectorIiiEEEEvv,"axG",@progbits,_ZN7rocprim17ROCPRIM_400000_NS6detail44device_merge_sort_compile_time_verifier_archINS1_11comp_targetILNS1_3genE10ELNS1_11target_archE1200ELNS1_3gpuE4ELNS1_3repE0EEENS3_ILS4_10ELS5_1201ELS6_5ELS7_0EEENS1_28merge_sort_block_sort_configILj256ELj4ELNS0_20block_sort_algorithmE0EEENS0_14default_configENS1_37merge_sort_block_sort_config_selectorIiiEENS1_38merge_sort_block_merge_config_selectorIiiEEEEvv,comdat
	.protected	_ZN7rocprim17ROCPRIM_400000_NS6detail44device_merge_sort_compile_time_verifier_archINS1_11comp_targetILNS1_3genE10ELNS1_11target_archE1200ELNS1_3gpuE4ELNS1_3repE0EEENS3_ILS4_10ELS5_1201ELS6_5ELS7_0EEENS1_28merge_sort_block_sort_configILj256ELj4ELNS0_20block_sort_algorithmE0EEENS0_14default_configENS1_37merge_sort_block_sort_config_selectorIiiEENS1_38merge_sort_block_merge_config_selectorIiiEEEEvv ; -- Begin function _ZN7rocprim17ROCPRIM_400000_NS6detail44device_merge_sort_compile_time_verifier_archINS1_11comp_targetILNS1_3genE10ELNS1_11target_archE1200ELNS1_3gpuE4ELNS1_3repE0EEENS3_ILS4_10ELS5_1201ELS6_5ELS7_0EEENS1_28merge_sort_block_sort_configILj256ELj4ELNS0_20block_sort_algorithmE0EEENS0_14default_configENS1_37merge_sort_block_sort_config_selectorIiiEENS1_38merge_sort_block_merge_config_selectorIiiEEEEvv
	.globl	_ZN7rocprim17ROCPRIM_400000_NS6detail44device_merge_sort_compile_time_verifier_archINS1_11comp_targetILNS1_3genE10ELNS1_11target_archE1200ELNS1_3gpuE4ELNS1_3repE0EEENS3_ILS4_10ELS5_1201ELS6_5ELS7_0EEENS1_28merge_sort_block_sort_configILj256ELj4ELNS0_20block_sort_algorithmE0EEENS0_14default_configENS1_37merge_sort_block_sort_config_selectorIiiEENS1_38merge_sort_block_merge_config_selectorIiiEEEEvv
	.p2align	8
	.type	_ZN7rocprim17ROCPRIM_400000_NS6detail44device_merge_sort_compile_time_verifier_archINS1_11comp_targetILNS1_3genE10ELNS1_11target_archE1200ELNS1_3gpuE4ELNS1_3repE0EEENS3_ILS4_10ELS5_1201ELS6_5ELS7_0EEENS1_28merge_sort_block_sort_configILj256ELj4ELNS0_20block_sort_algorithmE0EEENS0_14default_configENS1_37merge_sort_block_sort_config_selectorIiiEENS1_38merge_sort_block_merge_config_selectorIiiEEEEvv,@function
_ZN7rocprim17ROCPRIM_400000_NS6detail44device_merge_sort_compile_time_verifier_archINS1_11comp_targetILNS1_3genE10ELNS1_11target_archE1200ELNS1_3gpuE4ELNS1_3repE0EEENS3_ILS4_10ELS5_1201ELS6_5ELS7_0EEENS1_28merge_sort_block_sort_configILj256ELj4ELNS0_20block_sort_algorithmE0EEENS0_14default_configENS1_37merge_sort_block_sort_config_selectorIiiEENS1_38merge_sort_block_merge_config_selectorIiiEEEEvv: ; @_ZN7rocprim17ROCPRIM_400000_NS6detail44device_merge_sort_compile_time_verifier_archINS1_11comp_targetILNS1_3genE10ELNS1_11target_archE1200ELNS1_3gpuE4ELNS1_3repE0EEENS3_ILS4_10ELS5_1201ELS6_5ELS7_0EEENS1_28merge_sort_block_sort_configILj256ELj4ELNS0_20block_sort_algorithmE0EEENS0_14default_configENS1_37merge_sort_block_sort_config_selectorIiiEENS1_38merge_sort_block_merge_config_selectorIiiEEEEvv
; %bb.0:
	s_endpgm
	.section	.rodata,"a",@progbits
	.p2align	6, 0x0
	.amdhsa_kernel _ZN7rocprim17ROCPRIM_400000_NS6detail44device_merge_sort_compile_time_verifier_archINS1_11comp_targetILNS1_3genE10ELNS1_11target_archE1200ELNS1_3gpuE4ELNS1_3repE0EEENS3_ILS4_10ELS5_1201ELS6_5ELS7_0EEENS1_28merge_sort_block_sort_configILj256ELj4ELNS0_20block_sort_algorithmE0EEENS0_14default_configENS1_37merge_sort_block_sort_config_selectorIiiEENS1_38merge_sort_block_merge_config_selectorIiiEEEEvv
		.amdhsa_group_segment_fixed_size 0
		.amdhsa_private_segment_fixed_size 0
		.amdhsa_kernarg_size 0
		.amdhsa_user_sgpr_count 0
		.amdhsa_user_sgpr_dispatch_ptr 0
		.amdhsa_user_sgpr_queue_ptr 0
		.amdhsa_user_sgpr_kernarg_segment_ptr 0
		.amdhsa_user_sgpr_dispatch_id 0
		.amdhsa_user_sgpr_kernarg_preload_length 0
		.amdhsa_user_sgpr_kernarg_preload_offset 0
		.amdhsa_user_sgpr_private_segment_size 0
		.amdhsa_uses_dynamic_stack 0
		.amdhsa_enable_private_segment 0
		.amdhsa_system_sgpr_workgroup_id_x 1
		.amdhsa_system_sgpr_workgroup_id_y 0
		.amdhsa_system_sgpr_workgroup_id_z 0
		.amdhsa_system_sgpr_workgroup_info 0
		.amdhsa_system_vgpr_workitem_id 0
		.amdhsa_next_free_vgpr 1
		.amdhsa_next_free_sgpr 0
		.amdhsa_accum_offset 4
		.amdhsa_reserve_vcc 0
		.amdhsa_float_round_mode_32 0
		.amdhsa_float_round_mode_16_64 0
		.amdhsa_float_denorm_mode_32 3
		.amdhsa_float_denorm_mode_16_64 3
		.amdhsa_dx10_clamp 1
		.amdhsa_ieee_mode 1
		.amdhsa_fp16_overflow 0
		.amdhsa_tg_split 0
		.amdhsa_exception_fp_ieee_invalid_op 0
		.amdhsa_exception_fp_denorm_src 0
		.amdhsa_exception_fp_ieee_div_zero 0
		.amdhsa_exception_fp_ieee_overflow 0
		.amdhsa_exception_fp_ieee_underflow 0
		.amdhsa_exception_fp_ieee_inexact 0
		.amdhsa_exception_int_div_zero 0
	.end_amdhsa_kernel
	.section	.text._ZN7rocprim17ROCPRIM_400000_NS6detail44device_merge_sort_compile_time_verifier_archINS1_11comp_targetILNS1_3genE10ELNS1_11target_archE1200ELNS1_3gpuE4ELNS1_3repE0EEENS3_ILS4_10ELS5_1201ELS6_5ELS7_0EEENS1_28merge_sort_block_sort_configILj256ELj4ELNS0_20block_sort_algorithmE0EEENS0_14default_configENS1_37merge_sort_block_sort_config_selectorIiiEENS1_38merge_sort_block_merge_config_selectorIiiEEEEvv,"axG",@progbits,_ZN7rocprim17ROCPRIM_400000_NS6detail44device_merge_sort_compile_time_verifier_archINS1_11comp_targetILNS1_3genE10ELNS1_11target_archE1200ELNS1_3gpuE4ELNS1_3repE0EEENS3_ILS4_10ELS5_1201ELS6_5ELS7_0EEENS1_28merge_sort_block_sort_configILj256ELj4ELNS0_20block_sort_algorithmE0EEENS0_14default_configENS1_37merge_sort_block_sort_config_selectorIiiEENS1_38merge_sort_block_merge_config_selectorIiiEEEEvv,comdat
.Lfunc_end705:
	.size	_ZN7rocprim17ROCPRIM_400000_NS6detail44device_merge_sort_compile_time_verifier_archINS1_11comp_targetILNS1_3genE10ELNS1_11target_archE1200ELNS1_3gpuE4ELNS1_3repE0EEENS3_ILS4_10ELS5_1201ELS6_5ELS7_0EEENS1_28merge_sort_block_sort_configILj256ELj4ELNS0_20block_sort_algorithmE0EEENS0_14default_configENS1_37merge_sort_block_sort_config_selectorIiiEENS1_38merge_sort_block_merge_config_selectorIiiEEEEvv, .Lfunc_end705-_ZN7rocprim17ROCPRIM_400000_NS6detail44device_merge_sort_compile_time_verifier_archINS1_11comp_targetILNS1_3genE10ELNS1_11target_archE1200ELNS1_3gpuE4ELNS1_3repE0EEENS3_ILS4_10ELS5_1201ELS6_5ELS7_0EEENS1_28merge_sort_block_sort_configILj256ELj4ELNS0_20block_sort_algorithmE0EEENS0_14default_configENS1_37merge_sort_block_sort_config_selectorIiiEENS1_38merge_sort_block_merge_config_selectorIiiEEEEvv
                                        ; -- End function
	.set _ZN7rocprim17ROCPRIM_400000_NS6detail44device_merge_sort_compile_time_verifier_archINS1_11comp_targetILNS1_3genE10ELNS1_11target_archE1200ELNS1_3gpuE4ELNS1_3repE0EEENS3_ILS4_10ELS5_1201ELS6_5ELS7_0EEENS1_28merge_sort_block_sort_configILj256ELj4ELNS0_20block_sort_algorithmE0EEENS0_14default_configENS1_37merge_sort_block_sort_config_selectorIiiEENS1_38merge_sort_block_merge_config_selectorIiiEEEEvv.num_vgpr, 0
	.set _ZN7rocprim17ROCPRIM_400000_NS6detail44device_merge_sort_compile_time_verifier_archINS1_11comp_targetILNS1_3genE10ELNS1_11target_archE1200ELNS1_3gpuE4ELNS1_3repE0EEENS3_ILS4_10ELS5_1201ELS6_5ELS7_0EEENS1_28merge_sort_block_sort_configILj256ELj4ELNS0_20block_sort_algorithmE0EEENS0_14default_configENS1_37merge_sort_block_sort_config_selectorIiiEENS1_38merge_sort_block_merge_config_selectorIiiEEEEvv.num_agpr, 0
	.set _ZN7rocprim17ROCPRIM_400000_NS6detail44device_merge_sort_compile_time_verifier_archINS1_11comp_targetILNS1_3genE10ELNS1_11target_archE1200ELNS1_3gpuE4ELNS1_3repE0EEENS3_ILS4_10ELS5_1201ELS6_5ELS7_0EEENS1_28merge_sort_block_sort_configILj256ELj4ELNS0_20block_sort_algorithmE0EEENS0_14default_configENS1_37merge_sort_block_sort_config_selectorIiiEENS1_38merge_sort_block_merge_config_selectorIiiEEEEvv.numbered_sgpr, 0
	.set _ZN7rocprim17ROCPRIM_400000_NS6detail44device_merge_sort_compile_time_verifier_archINS1_11comp_targetILNS1_3genE10ELNS1_11target_archE1200ELNS1_3gpuE4ELNS1_3repE0EEENS3_ILS4_10ELS5_1201ELS6_5ELS7_0EEENS1_28merge_sort_block_sort_configILj256ELj4ELNS0_20block_sort_algorithmE0EEENS0_14default_configENS1_37merge_sort_block_sort_config_selectorIiiEENS1_38merge_sort_block_merge_config_selectorIiiEEEEvv.num_named_barrier, 0
	.set _ZN7rocprim17ROCPRIM_400000_NS6detail44device_merge_sort_compile_time_verifier_archINS1_11comp_targetILNS1_3genE10ELNS1_11target_archE1200ELNS1_3gpuE4ELNS1_3repE0EEENS3_ILS4_10ELS5_1201ELS6_5ELS7_0EEENS1_28merge_sort_block_sort_configILj256ELj4ELNS0_20block_sort_algorithmE0EEENS0_14default_configENS1_37merge_sort_block_sort_config_selectorIiiEENS1_38merge_sort_block_merge_config_selectorIiiEEEEvv.private_seg_size, 0
	.set _ZN7rocprim17ROCPRIM_400000_NS6detail44device_merge_sort_compile_time_verifier_archINS1_11comp_targetILNS1_3genE10ELNS1_11target_archE1200ELNS1_3gpuE4ELNS1_3repE0EEENS3_ILS4_10ELS5_1201ELS6_5ELS7_0EEENS1_28merge_sort_block_sort_configILj256ELj4ELNS0_20block_sort_algorithmE0EEENS0_14default_configENS1_37merge_sort_block_sort_config_selectorIiiEENS1_38merge_sort_block_merge_config_selectorIiiEEEEvv.uses_vcc, 0
	.set _ZN7rocprim17ROCPRIM_400000_NS6detail44device_merge_sort_compile_time_verifier_archINS1_11comp_targetILNS1_3genE10ELNS1_11target_archE1200ELNS1_3gpuE4ELNS1_3repE0EEENS3_ILS4_10ELS5_1201ELS6_5ELS7_0EEENS1_28merge_sort_block_sort_configILj256ELj4ELNS0_20block_sort_algorithmE0EEENS0_14default_configENS1_37merge_sort_block_sort_config_selectorIiiEENS1_38merge_sort_block_merge_config_selectorIiiEEEEvv.uses_flat_scratch, 0
	.set _ZN7rocprim17ROCPRIM_400000_NS6detail44device_merge_sort_compile_time_verifier_archINS1_11comp_targetILNS1_3genE10ELNS1_11target_archE1200ELNS1_3gpuE4ELNS1_3repE0EEENS3_ILS4_10ELS5_1201ELS6_5ELS7_0EEENS1_28merge_sort_block_sort_configILj256ELj4ELNS0_20block_sort_algorithmE0EEENS0_14default_configENS1_37merge_sort_block_sort_config_selectorIiiEENS1_38merge_sort_block_merge_config_selectorIiiEEEEvv.has_dyn_sized_stack, 0
	.set _ZN7rocprim17ROCPRIM_400000_NS6detail44device_merge_sort_compile_time_verifier_archINS1_11comp_targetILNS1_3genE10ELNS1_11target_archE1200ELNS1_3gpuE4ELNS1_3repE0EEENS3_ILS4_10ELS5_1201ELS6_5ELS7_0EEENS1_28merge_sort_block_sort_configILj256ELj4ELNS0_20block_sort_algorithmE0EEENS0_14default_configENS1_37merge_sort_block_sort_config_selectorIiiEENS1_38merge_sort_block_merge_config_selectorIiiEEEEvv.has_recursion, 0
	.set _ZN7rocprim17ROCPRIM_400000_NS6detail44device_merge_sort_compile_time_verifier_archINS1_11comp_targetILNS1_3genE10ELNS1_11target_archE1200ELNS1_3gpuE4ELNS1_3repE0EEENS3_ILS4_10ELS5_1201ELS6_5ELS7_0EEENS1_28merge_sort_block_sort_configILj256ELj4ELNS0_20block_sort_algorithmE0EEENS0_14default_configENS1_37merge_sort_block_sort_config_selectorIiiEENS1_38merge_sort_block_merge_config_selectorIiiEEEEvv.has_indirect_call, 0
	.section	.AMDGPU.csdata,"",@progbits
; Kernel info:
; codeLenInByte = 4
; TotalNumSgprs: 6
; NumVgprs: 0
; NumAgprs: 0
; TotalNumVgprs: 0
; ScratchSize: 0
; MemoryBound: 0
; FloatMode: 240
; IeeeMode: 1
; LDSByteSize: 0 bytes/workgroup (compile time only)
; SGPRBlocks: 0
; VGPRBlocks: 0
; NumSGPRsForWavesPerEU: 6
; NumVGPRsForWavesPerEU: 1
; AccumOffset: 4
; Occupancy: 8
; WaveLimiterHint : 0
; COMPUTE_PGM_RSRC2:SCRATCH_EN: 0
; COMPUTE_PGM_RSRC2:USER_SGPR: 0
; COMPUTE_PGM_RSRC2:TRAP_HANDLER: 0
; COMPUTE_PGM_RSRC2:TGID_X_EN: 1
; COMPUTE_PGM_RSRC2:TGID_Y_EN: 0
; COMPUTE_PGM_RSRC2:TGID_Z_EN: 0
; COMPUTE_PGM_RSRC2:TIDIG_COMP_CNT: 0
; COMPUTE_PGM_RSRC3_GFX90A:ACCUM_OFFSET: 0
; COMPUTE_PGM_RSRC3_GFX90A:TG_SPLIT: 0
	.section	.text._ZN7rocprim17ROCPRIM_400000_NS6detail44device_merge_sort_compile_time_verifier_archINS1_11comp_targetILNS1_3genE9ELNS1_11target_archE1100ELNS1_3gpuE3ELNS1_3repE0EEES8_NS1_28merge_sort_block_sort_configILj256ELj4ELNS0_20block_sort_algorithmE0EEENS0_14default_configENS1_37merge_sort_block_sort_config_selectorIiiEENS1_38merge_sort_block_merge_config_selectorIiiEEEEvv,"axG",@progbits,_ZN7rocprim17ROCPRIM_400000_NS6detail44device_merge_sort_compile_time_verifier_archINS1_11comp_targetILNS1_3genE9ELNS1_11target_archE1100ELNS1_3gpuE3ELNS1_3repE0EEES8_NS1_28merge_sort_block_sort_configILj256ELj4ELNS0_20block_sort_algorithmE0EEENS0_14default_configENS1_37merge_sort_block_sort_config_selectorIiiEENS1_38merge_sort_block_merge_config_selectorIiiEEEEvv,comdat
	.protected	_ZN7rocprim17ROCPRIM_400000_NS6detail44device_merge_sort_compile_time_verifier_archINS1_11comp_targetILNS1_3genE9ELNS1_11target_archE1100ELNS1_3gpuE3ELNS1_3repE0EEES8_NS1_28merge_sort_block_sort_configILj256ELj4ELNS0_20block_sort_algorithmE0EEENS0_14default_configENS1_37merge_sort_block_sort_config_selectorIiiEENS1_38merge_sort_block_merge_config_selectorIiiEEEEvv ; -- Begin function _ZN7rocprim17ROCPRIM_400000_NS6detail44device_merge_sort_compile_time_verifier_archINS1_11comp_targetILNS1_3genE9ELNS1_11target_archE1100ELNS1_3gpuE3ELNS1_3repE0EEES8_NS1_28merge_sort_block_sort_configILj256ELj4ELNS0_20block_sort_algorithmE0EEENS0_14default_configENS1_37merge_sort_block_sort_config_selectorIiiEENS1_38merge_sort_block_merge_config_selectorIiiEEEEvv
	.globl	_ZN7rocprim17ROCPRIM_400000_NS6detail44device_merge_sort_compile_time_verifier_archINS1_11comp_targetILNS1_3genE9ELNS1_11target_archE1100ELNS1_3gpuE3ELNS1_3repE0EEES8_NS1_28merge_sort_block_sort_configILj256ELj4ELNS0_20block_sort_algorithmE0EEENS0_14default_configENS1_37merge_sort_block_sort_config_selectorIiiEENS1_38merge_sort_block_merge_config_selectorIiiEEEEvv
	.p2align	8
	.type	_ZN7rocprim17ROCPRIM_400000_NS6detail44device_merge_sort_compile_time_verifier_archINS1_11comp_targetILNS1_3genE9ELNS1_11target_archE1100ELNS1_3gpuE3ELNS1_3repE0EEES8_NS1_28merge_sort_block_sort_configILj256ELj4ELNS0_20block_sort_algorithmE0EEENS0_14default_configENS1_37merge_sort_block_sort_config_selectorIiiEENS1_38merge_sort_block_merge_config_selectorIiiEEEEvv,@function
_ZN7rocprim17ROCPRIM_400000_NS6detail44device_merge_sort_compile_time_verifier_archINS1_11comp_targetILNS1_3genE9ELNS1_11target_archE1100ELNS1_3gpuE3ELNS1_3repE0EEES8_NS1_28merge_sort_block_sort_configILj256ELj4ELNS0_20block_sort_algorithmE0EEENS0_14default_configENS1_37merge_sort_block_sort_config_selectorIiiEENS1_38merge_sort_block_merge_config_selectorIiiEEEEvv: ; @_ZN7rocprim17ROCPRIM_400000_NS6detail44device_merge_sort_compile_time_verifier_archINS1_11comp_targetILNS1_3genE9ELNS1_11target_archE1100ELNS1_3gpuE3ELNS1_3repE0EEES8_NS1_28merge_sort_block_sort_configILj256ELj4ELNS0_20block_sort_algorithmE0EEENS0_14default_configENS1_37merge_sort_block_sort_config_selectorIiiEENS1_38merge_sort_block_merge_config_selectorIiiEEEEvv
; %bb.0:
	s_endpgm
	.section	.rodata,"a",@progbits
	.p2align	6, 0x0
	.amdhsa_kernel _ZN7rocprim17ROCPRIM_400000_NS6detail44device_merge_sort_compile_time_verifier_archINS1_11comp_targetILNS1_3genE9ELNS1_11target_archE1100ELNS1_3gpuE3ELNS1_3repE0EEES8_NS1_28merge_sort_block_sort_configILj256ELj4ELNS0_20block_sort_algorithmE0EEENS0_14default_configENS1_37merge_sort_block_sort_config_selectorIiiEENS1_38merge_sort_block_merge_config_selectorIiiEEEEvv
		.amdhsa_group_segment_fixed_size 0
		.amdhsa_private_segment_fixed_size 0
		.amdhsa_kernarg_size 0
		.amdhsa_user_sgpr_count 0
		.amdhsa_user_sgpr_dispatch_ptr 0
		.amdhsa_user_sgpr_queue_ptr 0
		.amdhsa_user_sgpr_kernarg_segment_ptr 0
		.amdhsa_user_sgpr_dispatch_id 0
		.amdhsa_user_sgpr_kernarg_preload_length 0
		.amdhsa_user_sgpr_kernarg_preload_offset 0
		.amdhsa_user_sgpr_private_segment_size 0
		.amdhsa_uses_dynamic_stack 0
		.amdhsa_enable_private_segment 0
		.amdhsa_system_sgpr_workgroup_id_x 1
		.amdhsa_system_sgpr_workgroup_id_y 0
		.amdhsa_system_sgpr_workgroup_id_z 0
		.amdhsa_system_sgpr_workgroup_info 0
		.amdhsa_system_vgpr_workitem_id 0
		.amdhsa_next_free_vgpr 1
		.amdhsa_next_free_sgpr 0
		.amdhsa_accum_offset 4
		.amdhsa_reserve_vcc 0
		.amdhsa_float_round_mode_32 0
		.amdhsa_float_round_mode_16_64 0
		.amdhsa_float_denorm_mode_32 3
		.amdhsa_float_denorm_mode_16_64 3
		.amdhsa_dx10_clamp 1
		.amdhsa_ieee_mode 1
		.amdhsa_fp16_overflow 0
		.amdhsa_tg_split 0
		.amdhsa_exception_fp_ieee_invalid_op 0
		.amdhsa_exception_fp_denorm_src 0
		.amdhsa_exception_fp_ieee_div_zero 0
		.amdhsa_exception_fp_ieee_overflow 0
		.amdhsa_exception_fp_ieee_underflow 0
		.amdhsa_exception_fp_ieee_inexact 0
		.amdhsa_exception_int_div_zero 0
	.end_amdhsa_kernel
	.section	.text._ZN7rocprim17ROCPRIM_400000_NS6detail44device_merge_sort_compile_time_verifier_archINS1_11comp_targetILNS1_3genE9ELNS1_11target_archE1100ELNS1_3gpuE3ELNS1_3repE0EEES8_NS1_28merge_sort_block_sort_configILj256ELj4ELNS0_20block_sort_algorithmE0EEENS0_14default_configENS1_37merge_sort_block_sort_config_selectorIiiEENS1_38merge_sort_block_merge_config_selectorIiiEEEEvv,"axG",@progbits,_ZN7rocprim17ROCPRIM_400000_NS6detail44device_merge_sort_compile_time_verifier_archINS1_11comp_targetILNS1_3genE9ELNS1_11target_archE1100ELNS1_3gpuE3ELNS1_3repE0EEES8_NS1_28merge_sort_block_sort_configILj256ELj4ELNS0_20block_sort_algorithmE0EEENS0_14default_configENS1_37merge_sort_block_sort_config_selectorIiiEENS1_38merge_sort_block_merge_config_selectorIiiEEEEvv,comdat
.Lfunc_end706:
	.size	_ZN7rocprim17ROCPRIM_400000_NS6detail44device_merge_sort_compile_time_verifier_archINS1_11comp_targetILNS1_3genE9ELNS1_11target_archE1100ELNS1_3gpuE3ELNS1_3repE0EEES8_NS1_28merge_sort_block_sort_configILj256ELj4ELNS0_20block_sort_algorithmE0EEENS0_14default_configENS1_37merge_sort_block_sort_config_selectorIiiEENS1_38merge_sort_block_merge_config_selectorIiiEEEEvv, .Lfunc_end706-_ZN7rocprim17ROCPRIM_400000_NS6detail44device_merge_sort_compile_time_verifier_archINS1_11comp_targetILNS1_3genE9ELNS1_11target_archE1100ELNS1_3gpuE3ELNS1_3repE0EEES8_NS1_28merge_sort_block_sort_configILj256ELj4ELNS0_20block_sort_algorithmE0EEENS0_14default_configENS1_37merge_sort_block_sort_config_selectorIiiEENS1_38merge_sort_block_merge_config_selectorIiiEEEEvv
                                        ; -- End function
	.set _ZN7rocprim17ROCPRIM_400000_NS6detail44device_merge_sort_compile_time_verifier_archINS1_11comp_targetILNS1_3genE9ELNS1_11target_archE1100ELNS1_3gpuE3ELNS1_3repE0EEES8_NS1_28merge_sort_block_sort_configILj256ELj4ELNS0_20block_sort_algorithmE0EEENS0_14default_configENS1_37merge_sort_block_sort_config_selectorIiiEENS1_38merge_sort_block_merge_config_selectorIiiEEEEvv.num_vgpr, 0
	.set _ZN7rocprim17ROCPRIM_400000_NS6detail44device_merge_sort_compile_time_verifier_archINS1_11comp_targetILNS1_3genE9ELNS1_11target_archE1100ELNS1_3gpuE3ELNS1_3repE0EEES8_NS1_28merge_sort_block_sort_configILj256ELj4ELNS0_20block_sort_algorithmE0EEENS0_14default_configENS1_37merge_sort_block_sort_config_selectorIiiEENS1_38merge_sort_block_merge_config_selectorIiiEEEEvv.num_agpr, 0
	.set _ZN7rocprim17ROCPRIM_400000_NS6detail44device_merge_sort_compile_time_verifier_archINS1_11comp_targetILNS1_3genE9ELNS1_11target_archE1100ELNS1_3gpuE3ELNS1_3repE0EEES8_NS1_28merge_sort_block_sort_configILj256ELj4ELNS0_20block_sort_algorithmE0EEENS0_14default_configENS1_37merge_sort_block_sort_config_selectorIiiEENS1_38merge_sort_block_merge_config_selectorIiiEEEEvv.numbered_sgpr, 0
	.set _ZN7rocprim17ROCPRIM_400000_NS6detail44device_merge_sort_compile_time_verifier_archINS1_11comp_targetILNS1_3genE9ELNS1_11target_archE1100ELNS1_3gpuE3ELNS1_3repE0EEES8_NS1_28merge_sort_block_sort_configILj256ELj4ELNS0_20block_sort_algorithmE0EEENS0_14default_configENS1_37merge_sort_block_sort_config_selectorIiiEENS1_38merge_sort_block_merge_config_selectorIiiEEEEvv.num_named_barrier, 0
	.set _ZN7rocprim17ROCPRIM_400000_NS6detail44device_merge_sort_compile_time_verifier_archINS1_11comp_targetILNS1_3genE9ELNS1_11target_archE1100ELNS1_3gpuE3ELNS1_3repE0EEES8_NS1_28merge_sort_block_sort_configILj256ELj4ELNS0_20block_sort_algorithmE0EEENS0_14default_configENS1_37merge_sort_block_sort_config_selectorIiiEENS1_38merge_sort_block_merge_config_selectorIiiEEEEvv.private_seg_size, 0
	.set _ZN7rocprim17ROCPRIM_400000_NS6detail44device_merge_sort_compile_time_verifier_archINS1_11comp_targetILNS1_3genE9ELNS1_11target_archE1100ELNS1_3gpuE3ELNS1_3repE0EEES8_NS1_28merge_sort_block_sort_configILj256ELj4ELNS0_20block_sort_algorithmE0EEENS0_14default_configENS1_37merge_sort_block_sort_config_selectorIiiEENS1_38merge_sort_block_merge_config_selectorIiiEEEEvv.uses_vcc, 0
	.set _ZN7rocprim17ROCPRIM_400000_NS6detail44device_merge_sort_compile_time_verifier_archINS1_11comp_targetILNS1_3genE9ELNS1_11target_archE1100ELNS1_3gpuE3ELNS1_3repE0EEES8_NS1_28merge_sort_block_sort_configILj256ELj4ELNS0_20block_sort_algorithmE0EEENS0_14default_configENS1_37merge_sort_block_sort_config_selectorIiiEENS1_38merge_sort_block_merge_config_selectorIiiEEEEvv.uses_flat_scratch, 0
	.set _ZN7rocprim17ROCPRIM_400000_NS6detail44device_merge_sort_compile_time_verifier_archINS1_11comp_targetILNS1_3genE9ELNS1_11target_archE1100ELNS1_3gpuE3ELNS1_3repE0EEES8_NS1_28merge_sort_block_sort_configILj256ELj4ELNS0_20block_sort_algorithmE0EEENS0_14default_configENS1_37merge_sort_block_sort_config_selectorIiiEENS1_38merge_sort_block_merge_config_selectorIiiEEEEvv.has_dyn_sized_stack, 0
	.set _ZN7rocprim17ROCPRIM_400000_NS6detail44device_merge_sort_compile_time_verifier_archINS1_11comp_targetILNS1_3genE9ELNS1_11target_archE1100ELNS1_3gpuE3ELNS1_3repE0EEES8_NS1_28merge_sort_block_sort_configILj256ELj4ELNS0_20block_sort_algorithmE0EEENS0_14default_configENS1_37merge_sort_block_sort_config_selectorIiiEENS1_38merge_sort_block_merge_config_selectorIiiEEEEvv.has_recursion, 0
	.set _ZN7rocprim17ROCPRIM_400000_NS6detail44device_merge_sort_compile_time_verifier_archINS1_11comp_targetILNS1_3genE9ELNS1_11target_archE1100ELNS1_3gpuE3ELNS1_3repE0EEES8_NS1_28merge_sort_block_sort_configILj256ELj4ELNS0_20block_sort_algorithmE0EEENS0_14default_configENS1_37merge_sort_block_sort_config_selectorIiiEENS1_38merge_sort_block_merge_config_selectorIiiEEEEvv.has_indirect_call, 0
	.section	.AMDGPU.csdata,"",@progbits
; Kernel info:
; codeLenInByte = 4
; TotalNumSgprs: 6
; NumVgprs: 0
; NumAgprs: 0
; TotalNumVgprs: 0
; ScratchSize: 0
; MemoryBound: 0
; FloatMode: 240
; IeeeMode: 1
; LDSByteSize: 0 bytes/workgroup (compile time only)
; SGPRBlocks: 0
; VGPRBlocks: 0
; NumSGPRsForWavesPerEU: 6
; NumVGPRsForWavesPerEU: 1
; AccumOffset: 4
; Occupancy: 8
; WaveLimiterHint : 0
; COMPUTE_PGM_RSRC2:SCRATCH_EN: 0
; COMPUTE_PGM_RSRC2:USER_SGPR: 0
; COMPUTE_PGM_RSRC2:TRAP_HANDLER: 0
; COMPUTE_PGM_RSRC2:TGID_X_EN: 1
; COMPUTE_PGM_RSRC2:TGID_Y_EN: 0
; COMPUTE_PGM_RSRC2:TGID_Z_EN: 0
; COMPUTE_PGM_RSRC2:TIDIG_COMP_CNT: 0
; COMPUTE_PGM_RSRC3_GFX90A:ACCUM_OFFSET: 0
; COMPUTE_PGM_RSRC3_GFX90A:TG_SPLIT: 0
	.section	.text._ZN7rocprim17ROCPRIM_400000_NS6detail44device_merge_sort_compile_time_verifier_archINS1_11comp_targetILNS1_3genE8ELNS1_11target_archE1030ELNS1_3gpuE2ELNS1_3repE0EEES8_NS1_28merge_sort_block_sort_configILj256ELj4ELNS0_20block_sort_algorithmE0EEENS0_14default_configENS1_37merge_sort_block_sort_config_selectorIiiEENS1_38merge_sort_block_merge_config_selectorIiiEEEEvv,"axG",@progbits,_ZN7rocprim17ROCPRIM_400000_NS6detail44device_merge_sort_compile_time_verifier_archINS1_11comp_targetILNS1_3genE8ELNS1_11target_archE1030ELNS1_3gpuE2ELNS1_3repE0EEES8_NS1_28merge_sort_block_sort_configILj256ELj4ELNS0_20block_sort_algorithmE0EEENS0_14default_configENS1_37merge_sort_block_sort_config_selectorIiiEENS1_38merge_sort_block_merge_config_selectorIiiEEEEvv,comdat
	.protected	_ZN7rocprim17ROCPRIM_400000_NS6detail44device_merge_sort_compile_time_verifier_archINS1_11comp_targetILNS1_3genE8ELNS1_11target_archE1030ELNS1_3gpuE2ELNS1_3repE0EEES8_NS1_28merge_sort_block_sort_configILj256ELj4ELNS0_20block_sort_algorithmE0EEENS0_14default_configENS1_37merge_sort_block_sort_config_selectorIiiEENS1_38merge_sort_block_merge_config_selectorIiiEEEEvv ; -- Begin function _ZN7rocprim17ROCPRIM_400000_NS6detail44device_merge_sort_compile_time_verifier_archINS1_11comp_targetILNS1_3genE8ELNS1_11target_archE1030ELNS1_3gpuE2ELNS1_3repE0EEES8_NS1_28merge_sort_block_sort_configILj256ELj4ELNS0_20block_sort_algorithmE0EEENS0_14default_configENS1_37merge_sort_block_sort_config_selectorIiiEENS1_38merge_sort_block_merge_config_selectorIiiEEEEvv
	.globl	_ZN7rocprim17ROCPRIM_400000_NS6detail44device_merge_sort_compile_time_verifier_archINS1_11comp_targetILNS1_3genE8ELNS1_11target_archE1030ELNS1_3gpuE2ELNS1_3repE0EEES8_NS1_28merge_sort_block_sort_configILj256ELj4ELNS0_20block_sort_algorithmE0EEENS0_14default_configENS1_37merge_sort_block_sort_config_selectorIiiEENS1_38merge_sort_block_merge_config_selectorIiiEEEEvv
	.p2align	8
	.type	_ZN7rocprim17ROCPRIM_400000_NS6detail44device_merge_sort_compile_time_verifier_archINS1_11comp_targetILNS1_3genE8ELNS1_11target_archE1030ELNS1_3gpuE2ELNS1_3repE0EEES8_NS1_28merge_sort_block_sort_configILj256ELj4ELNS0_20block_sort_algorithmE0EEENS0_14default_configENS1_37merge_sort_block_sort_config_selectorIiiEENS1_38merge_sort_block_merge_config_selectorIiiEEEEvv,@function
_ZN7rocprim17ROCPRIM_400000_NS6detail44device_merge_sort_compile_time_verifier_archINS1_11comp_targetILNS1_3genE8ELNS1_11target_archE1030ELNS1_3gpuE2ELNS1_3repE0EEES8_NS1_28merge_sort_block_sort_configILj256ELj4ELNS0_20block_sort_algorithmE0EEENS0_14default_configENS1_37merge_sort_block_sort_config_selectorIiiEENS1_38merge_sort_block_merge_config_selectorIiiEEEEvv: ; @_ZN7rocprim17ROCPRIM_400000_NS6detail44device_merge_sort_compile_time_verifier_archINS1_11comp_targetILNS1_3genE8ELNS1_11target_archE1030ELNS1_3gpuE2ELNS1_3repE0EEES8_NS1_28merge_sort_block_sort_configILj256ELj4ELNS0_20block_sort_algorithmE0EEENS0_14default_configENS1_37merge_sort_block_sort_config_selectorIiiEENS1_38merge_sort_block_merge_config_selectorIiiEEEEvv
; %bb.0:
	s_endpgm
	.section	.rodata,"a",@progbits
	.p2align	6, 0x0
	.amdhsa_kernel _ZN7rocprim17ROCPRIM_400000_NS6detail44device_merge_sort_compile_time_verifier_archINS1_11comp_targetILNS1_3genE8ELNS1_11target_archE1030ELNS1_3gpuE2ELNS1_3repE0EEES8_NS1_28merge_sort_block_sort_configILj256ELj4ELNS0_20block_sort_algorithmE0EEENS0_14default_configENS1_37merge_sort_block_sort_config_selectorIiiEENS1_38merge_sort_block_merge_config_selectorIiiEEEEvv
		.amdhsa_group_segment_fixed_size 0
		.amdhsa_private_segment_fixed_size 0
		.amdhsa_kernarg_size 0
		.amdhsa_user_sgpr_count 0
		.amdhsa_user_sgpr_dispatch_ptr 0
		.amdhsa_user_sgpr_queue_ptr 0
		.amdhsa_user_sgpr_kernarg_segment_ptr 0
		.amdhsa_user_sgpr_dispatch_id 0
		.amdhsa_user_sgpr_kernarg_preload_length 0
		.amdhsa_user_sgpr_kernarg_preload_offset 0
		.amdhsa_user_sgpr_private_segment_size 0
		.amdhsa_uses_dynamic_stack 0
		.amdhsa_enable_private_segment 0
		.amdhsa_system_sgpr_workgroup_id_x 1
		.amdhsa_system_sgpr_workgroup_id_y 0
		.amdhsa_system_sgpr_workgroup_id_z 0
		.amdhsa_system_sgpr_workgroup_info 0
		.amdhsa_system_vgpr_workitem_id 0
		.amdhsa_next_free_vgpr 1
		.amdhsa_next_free_sgpr 0
		.amdhsa_accum_offset 4
		.amdhsa_reserve_vcc 0
		.amdhsa_float_round_mode_32 0
		.amdhsa_float_round_mode_16_64 0
		.amdhsa_float_denorm_mode_32 3
		.amdhsa_float_denorm_mode_16_64 3
		.amdhsa_dx10_clamp 1
		.amdhsa_ieee_mode 1
		.amdhsa_fp16_overflow 0
		.amdhsa_tg_split 0
		.amdhsa_exception_fp_ieee_invalid_op 0
		.amdhsa_exception_fp_denorm_src 0
		.amdhsa_exception_fp_ieee_div_zero 0
		.amdhsa_exception_fp_ieee_overflow 0
		.amdhsa_exception_fp_ieee_underflow 0
		.amdhsa_exception_fp_ieee_inexact 0
		.amdhsa_exception_int_div_zero 0
	.end_amdhsa_kernel
	.section	.text._ZN7rocprim17ROCPRIM_400000_NS6detail44device_merge_sort_compile_time_verifier_archINS1_11comp_targetILNS1_3genE8ELNS1_11target_archE1030ELNS1_3gpuE2ELNS1_3repE0EEES8_NS1_28merge_sort_block_sort_configILj256ELj4ELNS0_20block_sort_algorithmE0EEENS0_14default_configENS1_37merge_sort_block_sort_config_selectorIiiEENS1_38merge_sort_block_merge_config_selectorIiiEEEEvv,"axG",@progbits,_ZN7rocprim17ROCPRIM_400000_NS6detail44device_merge_sort_compile_time_verifier_archINS1_11comp_targetILNS1_3genE8ELNS1_11target_archE1030ELNS1_3gpuE2ELNS1_3repE0EEES8_NS1_28merge_sort_block_sort_configILj256ELj4ELNS0_20block_sort_algorithmE0EEENS0_14default_configENS1_37merge_sort_block_sort_config_selectorIiiEENS1_38merge_sort_block_merge_config_selectorIiiEEEEvv,comdat
.Lfunc_end707:
	.size	_ZN7rocprim17ROCPRIM_400000_NS6detail44device_merge_sort_compile_time_verifier_archINS1_11comp_targetILNS1_3genE8ELNS1_11target_archE1030ELNS1_3gpuE2ELNS1_3repE0EEES8_NS1_28merge_sort_block_sort_configILj256ELj4ELNS0_20block_sort_algorithmE0EEENS0_14default_configENS1_37merge_sort_block_sort_config_selectorIiiEENS1_38merge_sort_block_merge_config_selectorIiiEEEEvv, .Lfunc_end707-_ZN7rocprim17ROCPRIM_400000_NS6detail44device_merge_sort_compile_time_verifier_archINS1_11comp_targetILNS1_3genE8ELNS1_11target_archE1030ELNS1_3gpuE2ELNS1_3repE0EEES8_NS1_28merge_sort_block_sort_configILj256ELj4ELNS0_20block_sort_algorithmE0EEENS0_14default_configENS1_37merge_sort_block_sort_config_selectorIiiEENS1_38merge_sort_block_merge_config_selectorIiiEEEEvv
                                        ; -- End function
	.set _ZN7rocprim17ROCPRIM_400000_NS6detail44device_merge_sort_compile_time_verifier_archINS1_11comp_targetILNS1_3genE8ELNS1_11target_archE1030ELNS1_3gpuE2ELNS1_3repE0EEES8_NS1_28merge_sort_block_sort_configILj256ELj4ELNS0_20block_sort_algorithmE0EEENS0_14default_configENS1_37merge_sort_block_sort_config_selectorIiiEENS1_38merge_sort_block_merge_config_selectorIiiEEEEvv.num_vgpr, 0
	.set _ZN7rocprim17ROCPRIM_400000_NS6detail44device_merge_sort_compile_time_verifier_archINS1_11comp_targetILNS1_3genE8ELNS1_11target_archE1030ELNS1_3gpuE2ELNS1_3repE0EEES8_NS1_28merge_sort_block_sort_configILj256ELj4ELNS0_20block_sort_algorithmE0EEENS0_14default_configENS1_37merge_sort_block_sort_config_selectorIiiEENS1_38merge_sort_block_merge_config_selectorIiiEEEEvv.num_agpr, 0
	.set _ZN7rocprim17ROCPRIM_400000_NS6detail44device_merge_sort_compile_time_verifier_archINS1_11comp_targetILNS1_3genE8ELNS1_11target_archE1030ELNS1_3gpuE2ELNS1_3repE0EEES8_NS1_28merge_sort_block_sort_configILj256ELj4ELNS0_20block_sort_algorithmE0EEENS0_14default_configENS1_37merge_sort_block_sort_config_selectorIiiEENS1_38merge_sort_block_merge_config_selectorIiiEEEEvv.numbered_sgpr, 0
	.set _ZN7rocprim17ROCPRIM_400000_NS6detail44device_merge_sort_compile_time_verifier_archINS1_11comp_targetILNS1_3genE8ELNS1_11target_archE1030ELNS1_3gpuE2ELNS1_3repE0EEES8_NS1_28merge_sort_block_sort_configILj256ELj4ELNS0_20block_sort_algorithmE0EEENS0_14default_configENS1_37merge_sort_block_sort_config_selectorIiiEENS1_38merge_sort_block_merge_config_selectorIiiEEEEvv.num_named_barrier, 0
	.set _ZN7rocprim17ROCPRIM_400000_NS6detail44device_merge_sort_compile_time_verifier_archINS1_11comp_targetILNS1_3genE8ELNS1_11target_archE1030ELNS1_3gpuE2ELNS1_3repE0EEES8_NS1_28merge_sort_block_sort_configILj256ELj4ELNS0_20block_sort_algorithmE0EEENS0_14default_configENS1_37merge_sort_block_sort_config_selectorIiiEENS1_38merge_sort_block_merge_config_selectorIiiEEEEvv.private_seg_size, 0
	.set _ZN7rocprim17ROCPRIM_400000_NS6detail44device_merge_sort_compile_time_verifier_archINS1_11comp_targetILNS1_3genE8ELNS1_11target_archE1030ELNS1_3gpuE2ELNS1_3repE0EEES8_NS1_28merge_sort_block_sort_configILj256ELj4ELNS0_20block_sort_algorithmE0EEENS0_14default_configENS1_37merge_sort_block_sort_config_selectorIiiEENS1_38merge_sort_block_merge_config_selectorIiiEEEEvv.uses_vcc, 0
	.set _ZN7rocprim17ROCPRIM_400000_NS6detail44device_merge_sort_compile_time_verifier_archINS1_11comp_targetILNS1_3genE8ELNS1_11target_archE1030ELNS1_3gpuE2ELNS1_3repE0EEES8_NS1_28merge_sort_block_sort_configILj256ELj4ELNS0_20block_sort_algorithmE0EEENS0_14default_configENS1_37merge_sort_block_sort_config_selectorIiiEENS1_38merge_sort_block_merge_config_selectorIiiEEEEvv.uses_flat_scratch, 0
	.set _ZN7rocprim17ROCPRIM_400000_NS6detail44device_merge_sort_compile_time_verifier_archINS1_11comp_targetILNS1_3genE8ELNS1_11target_archE1030ELNS1_3gpuE2ELNS1_3repE0EEES8_NS1_28merge_sort_block_sort_configILj256ELj4ELNS0_20block_sort_algorithmE0EEENS0_14default_configENS1_37merge_sort_block_sort_config_selectorIiiEENS1_38merge_sort_block_merge_config_selectorIiiEEEEvv.has_dyn_sized_stack, 0
	.set _ZN7rocprim17ROCPRIM_400000_NS6detail44device_merge_sort_compile_time_verifier_archINS1_11comp_targetILNS1_3genE8ELNS1_11target_archE1030ELNS1_3gpuE2ELNS1_3repE0EEES8_NS1_28merge_sort_block_sort_configILj256ELj4ELNS0_20block_sort_algorithmE0EEENS0_14default_configENS1_37merge_sort_block_sort_config_selectorIiiEENS1_38merge_sort_block_merge_config_selectorIiiEEEEvv.has_recursion, 0
	.set _ZN7rocprim17ROCPRIM_400000_NS6detail44device_merge_sort_compile_time_verifier_archINS1_11comp_targetILNS1_3genE8ELNS1_11target_archE1030ELNS1_3gpuE2ELNS1_3repE0EEES8_NS1_28merge_sort_block_sort_configILj256ELj4ELNS0_20block_sort_algorithmE0EEENS0_14default_configENS1_37merge_sort_block_sort_config_selectorIiiEENS1_38merge_sort_block_merge_config_selectorIiiEEEEvv.has_indirect_call, 0
	.section	.AMDGPU.csdata,"",@progbits
; Kernel info:
; codeLenInByte = 4
; TotalNumSgprs: 6
; NumVgprs: 0
; NumAgprs: 0
; TotalNumVgprs: 0
; ScratchSize: 0
; MemoryBound: 0
; FloatMode: 240
; IeeeMode: 1
; LDSByteSize: 0 bytes/workgroup (compile time only)
; SGPRBlocks: 0
; VGPRBlocks: 0
; NumSGPRsForWavesPerEU: 6
; NumVGPRsForWavesPerEU: 1
; AccumOffset: 4
; Occupancy: 8
; WaveLimiterHint : 0
; COMPUTE_PGM_RSRC2:SCRATCH_EN: 0
; COMPUTE_PGM_RSRC2:USER_SGPR: 0
; COMPUTE_PGM_RSRC2:TRAP_HANDLER: 0
; COMPUTE_PGM_RSRC2:TGID_X_EN: 1
; COMPUTE_PGM_RSRC2:TGID_Y_EN: 0
; COMPUTE_PGM_RSRC2:TGID_Z_EN: 0
; COMPUTE_PGM_RSRC2:TIDIG_COMP_CNT: 0
; COMPUTE_PGM_RSRC3_GFX90A:ACCUM_OFFSET: 0
; COMPUTE_PGM_RSRC3_GFX90A:TG_SPLIT: 0
	.section	.text._ZN7rocprim17ROCPRIM_400000_NS6detail17trampoline_kernelINS0_14default_configENS1_38merge_sort_block_merge_config_selectorIiiEEZZNS1_27merge_sort_block_merge_implIS3_N6thrust23THRUST_200600_302600_NS6detail15normal_iteratorINS8_10device_ptrIiEEEESD_jNS1_19radix_merge_compareILb0ELb0EiNS0_19identity_decomposerEEEEE10hipError_tT0_T1_T2_jT3_P12ihipStream_tbPNSt15iterator_traitsISI_E10value_typeEPNSO_ISJ_E10value_typeEPSK_NS1_7vsmem_tEENKUlT_SI_SJ_SK_E_clIPiSD_S10_SD_EESH_SX_SI_SJ_SK_EUlSX_E_NS1_11comp_targetILNS1_3genE0ELNS1_11target_archE4294967295ELNS1_3gpuE0ELNS1_3repE0EEENS1_48merge_mergepath_partition_config_static_selectorELNS0_4arch9wavefront6targetE1EEEvSJ_,"axG",@progbits,_ZN7rocprim17ROCPRIM_400000_NS6detail17trampoline_kernelINS0_14default_configENS1_38merge_sort_block_merge_config_selectorIiiEEZZNS1_27merge_sort_block_merge_implIS3_N6thrust23THRUST_200600_302600_NS6detail15normal_iteratorINS8_10device_ptrIiEEEESD_jNS1_19radix_merge_compareILb0ELb0EiNS0_19identity_decomposerEEEEE10hipError_tT0_T1_T2_jT3_P12ihipStream_tbPNSt15iterator_traitsISI_E10value_typeEPNSO_ISJ_E10value_typeEPSK_NS1_7vsmem_tEENKUlT_SI_SJ_SK_E_clIPiSD_S10_SD_EESH_SX_SI_SJ_SK_EUlSX_E_NS1_11comp_targetILNS1_3genE0ELNS1_11target_archE4294967295ELNS1_3gpuE0ELNS1_3repE0EEENS1_48merge_mergepath_partition_config_static_selectorELNS0_4arch9wavefront6targetE1EEEvSJ_,comdat
	.protected	_ZN7rocprim17ROCPRIM_400000_NS6detail17trampoline_kernelINS0_14default_configENS1_38merge_sort_block_merge_config_selectorIiiEEZZNS1_27merge_sort_block_merge_implIS3_N6thrust23THRUST_200600_302600_NS6detail15normal_iteratorINS8_10device_ptrIiEEEESD_jNS1_19radix_merge_compareILb0ELb0EiNS0_19identity_decomposerEEEEE10hipError_tT0_T1_T2_jT3_P12ihipStream_tbPNSt15iterator_traitsISI_E10value_typeEPNSO_ISJ_E10value_typeEPSK_NS1_7vsmem_tEENKUlT_SI_SJ_SK_E_clIPiSD_S10_SD_EESH_SX_SI_SJ_SK_EUlSX_E_NS1_11comp_targetILNS1_3genE0ELNS1_11target_archE4294967295ELNS1_3gpuE0ELNS1_3repE0EEENS1_48merge_mergepath_partition_config_static_selectorELNS0_4arch9wavefront6targetE1EEEvSJ_ ; -- Begin function _ZN7rocprim17ROCPRIM_400000_NS6detail17trampoline_kernelINS0_14default_configENS1_38merge_sort_block_merge_config_selectorIiiEEZZNS1_27merge_sort_block_merge_implIS3_N6thrust23THRUST_200600_302600_NS6detail15normal_iteratorINS8_10device_ptrIiEEEESD_jNS1_19radix_merge_compareILb0ELb0EiNS0_19identity_decomposerEEEEE10hipError_tT0_T1_T2_jT3_P12ihipStream_tbPNSt15iterator_traitsISI_E10value_typeEPNSO_ISJ_E10value_typeEPSK_NS1_7vsmem_tEENKUlT_SI_SJ_SK_E_clIPiSD_S10_SD_EESH_SX_SI_SJ_SK_EUlSX_E_NS1_11comp_targetILNS1_3genE0ELNS1_11target_archE4294967295ELNS1_3gpuE0ELNS1_3repE0EEENS1_48merge_mergepath_partition_config_static_selectorELNS0_4arch9wavefront6targetE1EEEvSJ_
	.globl	_ZN7rocprim17ROCPRIM_400000_NS6detail17trampoline_kernelINS0_14default_configENS1_38merge_sort_block_merge_config_selectorIiiEEZZNS1_27merge_sort_block_merge_implIS3_N6thrust23THRUST_200600_302600_NS6detail15normal_iteratorINS8_10device_ptrIiEEEESD_jNS1_19radix_merge_compareILb0ELb0EiNS0_19identity_decomposerEEEEE10hipError_tT0_T1_T2_jT3_P12ihipStream_tbPNSt15iterator_traitsISI_E10value_typeEPNSO_ISJ_E10value_typeEPSK_NS1_7vsmem_tEENKUlT_SI_SJ_SK_E_clIPiSD_S10_SD_EESH_SX_SI_SJ_SK_EUlSX_E_NS1_11comp_targetILNS1_3genE0ELNS1_11target_archE4294967295ELNS1_3gpuE0ELNS1_3repE0EEENS1_48merge_mergepath_partition_config_static_selectorELNS0_4arch9wavefront6targetE1EEEvSJ_
	.p2align	8
	.type	_ZN7rocprim17ROCPRIM_400000_NS6detail17trampoline_kernelINS0_14default_configENS1_38merge_sort_block_merge_config_selectorIiiEEZZNS1_27merge_sort_block_merge_implIS3_N6thrust23THRUST_200600_302600_NS6detail15normal_iteratorINS8_10device_ptrIiEEEESD_jNS1_19radix_merge_compareILb0ELb0EiNS0_19identity_decomposerEEEEE10hipError_tT0_T1_T2_jT3_P12ihipStream_tbPNSt15iterator_traitsISI_E10value_typeEPNSO_ISJ_E10value_typeEPSK_NS1_7vsmem_tEENKUlT_SI_SJ_SK_E_clIPiSD_S10_SD_EESH_SX_SI_SJ_SK_EUlSX_E_NS1_11comp_targetILNS1_3genE0ELNS1_11target_archE4294967295ELNS1_3gpuE0ELNS1_3repE0EEENS1_48merge_mergepath_partition_config_static_selectorELNS0_4arch9wavefront6targetE1EEEvSJ_,@function
_ZN7rocprim17ROCPRIM_400000_NS6detail17trampoline_kernelINS0_14default_configENS1_38merge_sort_block_merge_config_selectorIiiEEZZNS1_27merge_sort_block_merge_implIS3_N6thrust23THRUST_200600_302600_NS6detail15normal_iteratorINS8_10device_ptrIiEEEESD_jNS1_19radix_merge_compareILb0ELb0EiNS0_19identity_decomposerEEEEE10hipError_tT0_T1_T2_jT3_P12ihipStream_tbPNSt15iterator_traitsISI_E10value_typeEPNSO_ISJ_E10value_typeEPSK_NS1_7vsmem_tEENKUlT_SI_SJ_SK_E_clIPiSD_S10_SD_EESH_SX_SI_SJ_SK_EUlSX_E_NS1_11comp_targetILNS1_3genE0ELNS1_11target_archE4294967295ELNS1_3gpuE0ELNS1_3repE0EEENS1_48merge_mergepath_partition_config_static_selectorELNS0_4arch9wavefront6targetE1EEEvSJ_: ; @_ZN7rocprim17ROCPRIM_400000_NS6detail17trampoline_kernelINS0_14default_configENS1_38merge_sort_block_merge_config_selectorIiiEEZZNS1_27merge_sort_block_merge_implIS3_N6thrust23THRUST_200600_302600_NS6detail15normal_iteratorINS8_10device_ptrIiEEEESD_jNS1_19radix_merge_compareILb0ELb0EiNS0_19identity_decomposerEEEEE10hipError_tT0_T1_T2_jT3_P12ihipStream_tbPNSt15iterator_traitsISI_E10value_typeEPNSO_ISJ_E10value_typeEPSK_NS1_7vsmem_tEENKUlT_SI_SJ_SK_E_clIPiSD_S10_SD_EESH_SX_SI_SJ_SK_EUlSX_E_NS1_11comp_targetILNS1_3genE0ELNS1_11target_archE4294967295ELNS1_3gpuE0ELNS1_3repE0EEENS1_48merge_mergepath_partition_config_static_selectorELNS0_4arch9wavefront6targetE1EEEvSJ_
; %bb.0:
	s_load_dword s3, s[0:1], 0x0
	v_lshl_or_b32 v0, s2, 7, v0
	s_waitcnt lgkmcnt(0)
	v_cmp_gt_u32_e32 vcc, s3, v0
	s_and_saveexec_b64 s[2:3], vcc
	s_cbranch_execz .LBB708_6
; %bb.1:
	s_load_dwordx2 s[4:5], s[0:1], 0x4
	s_load_dwordx2 s[2:3], s[0:1], 0x20
	s_waitcnt lgkmcnt(0)
	s_lshr_b32 s6, s4, 9
	s_and_b32 s6, s6, 0x7ffffe
	s_add_i32 s7, s6, -1
	s_sub_i32 s6, 0, s6
	v_and_b32_e32 v1, s6, v0
	v_lshlrev_b32_e32 v1, 10, v1
	v_min_u32_e32 v2, s5, v1
	v_add_u32_e32 v1, s4, v1
	v_min_u32_e32 v4, s5, v1
	v_add_u32_e32 v1, s4, v4
	v_and_b32_e32 v3, s7, v0
	v_min_u32_e32 v1, s5, v1
	v_sub_u32_e32 v5, v1, v2
	v_lshlrev_b32_e32 v3, 10, v3
	v_min_u32_e32 v10, v5, v3
	v_sub_u32_e32 v3, v4, v2
	v_sub_u32_e32 v1, v1, v4
	v_sub_u32_e64 v1, v10, v1 clamp
	v_min_u32_e32 v11, v10, v3
	v_cmp_lt_u32_e32 vcc, v1, v11
	s_and_saveexec_b64 s[4:5], vcc
	s_cbranch_execz .LBB708_5
; %bb.2:
	s_load_dwordx2 s[0:1], s[0:1], 0x10
	v_mov_b32_e32 v5, 0
	v_mov_b32_e32 v3, v5
	s_waitcnt lgkmcnt(0)
	v_lshl_add_u64 v[6:7], v[2:3], 2, s[0:1]
	v_lshl_add_u64 v[8:9], v[4:5], 2, s[0:1]
	s_mov_b64 s[0:1], 0
.LBB708_3:                              ; =>This Inner Loop Header: Depth=1
	v_add_u32_e32 v3, v11, v1
	v_lshrrev_b32_e32 v4, 1, v3
	v_mov_b32_e32 v13, v5
	v_xad_u32 v12, v4, -1, v10
	v_lshl_add_u64 v[14:15], v[4:5], 2, v[6:7]
	v_lshl_add_u64 v[12:13], v[12:13], 2, v[8:9]
	global_load_dword v3, v[14:15], off
	global_load_dword v16, v[12:13], off
	v_add_u32_e32 v12, 1, v4
	s_waitcnt vmcnt(0)
	v_cmp_gt_i32_e32 vcc, v3, v16
	s_nop 1
	v_cndmask_b32_e32 v11, v11, v4, vcc
	v_cndmask_b32_e32 v1, v12, v1, vcc
	v_cmp_ge_u32_e32 vcc, v1, v11
	s_or_b64 s[0:1], vcc, s[0:1]
	s_andn2_b64 exec, exec, s[0:1]
	s_cbranch_execnz .LBB708_3
; %bb.4:
	s_or_b64 exec, exec, s[0:1]
.LBB708_5:
	s_or_b64 exec, exec, s[4:5]
	v_add_u32_e32 v2, v1, v2
	v_mov_b32_e32 v1, 0
	v_lshl_add_u64 v[0:1], v[0:1], 2, s[2:3]
	global_store_dword v[0:1], v2, off
.LBB708_6:
	s_endpgm
	.section	.rodata,"a",@progbits
	.p2align	6, 0x0
	.amdhsa_kernel _ZN7rocprim17ROCPRIM_400000_NS6detail17trampoline_kernelINS0_14default_configENS1_38merge_sort_block_merge_config_selectorIiiEEZZNS1_27merge_sort_block_merge_implIS3_N6thrust23THRUST_200600_302600_NS6detail15normal_iteratorINS8_10device_ptrIiEEEESD_jNS1_19radix_merge_compareILb0ELb0EiNS0_19identity_decomposerEEEEE10hipError_tT0_T1_T2_jT3_P12ihipStream_tbPNSt15iterator_traitsISI_E10value_typeEPNSO_ISJ_E10value_typeEPSK_NS1_7vsmem_tEENKUlT_SI_SJ_SK_E_clIPiSD_S10_SD_EESH_SX_SI_SJ_SK_EUlSX_E_NS1_11comp_targetILNS1_3genE0ELNS1_11target_archE4294967295ELNS1_3gpuE0ELNS1_3repE0EEENS1_48merge_mergepath_partition_config_static_selectorELNS0_4arch9wavefront6targetE1EEEvSJ_
		.amdhsa_group_segment_fixed_size 0
		.amdhsa_private_segment_fixed_size 0
		.amdhsa_kernarg_size 40
		.amdhsa_user_sgpr_count 2
		.amdhsa_user_sgpr_dispatch_ptr 0
		.amdhsa_user_sgpr_queue_ptr 0
		.amdhsa_user_sgpr_kernarg_segment_ptr 1
		.amdhsa_user_sgpr_dispatch_id 0
		.amdhsa_user_sgpr_kernarg_preload_length 0
		.amdhsa_user_sgpr_kernarg_preload_offset 0
		.amdhsa_user_sgpr_private_segment_size 0
		.amdhsa_uses_dynamic_stack 0
		.amdhsa_enable_private_segment 0
		.amdhsa_system_sgpr_workgroup_id_x 1
		.amdhsa_system_sgpr_workgroup_id_y 0
		.amdhsa_system_sgpr_workgroup_id_z 0
		.amdhsa_system_sgpr_workgroup_info 0
		.amdhsa_system_vgpr_workitem_id 0
		.amdhsa_next_free_vgpr 17
		.amdhsa_next_free_sgpr 8
		.amdhsa_accum_offset 20
		.amdhsa_reserve_vcc 1
		.amdhsa_float_round_mode_32 0
		.amdhsa_float_round_mode_16_64 0
		.amdhsa_float_denorm_mode_32 3
		.amdhsa_float_denorm_mode_16_64 3
		.amdhsa_dx10_clamp 1
		.amdhsa_ieee_mode 1
		.amdhsa_fp16_overflow 0
		.amdhsa_tg_split 0
		.amdhsa_exception_fp_ieee_invalid_op 0
		.amdhsa_exception_fp_denorm_src 0
		.amdhsa_exception_fp_ieee_div_zero 0
		.amdhsa_exception_fp_ieee_overflow 0
		.amdhsa_exception_fp_ieee_underflow 0
		.amdhsa_exception_fp_ieee_inexact 0
		.amdhsa_exception_int_div_zero 0
	.end_amdhsa_kernel
	.section	.text._ZN7rocprim17ROCPRIM_400000_NS6detail17trampoline_kernelINS0_14default_configENS1_38merge_sort_block_merge_config_selectorIiiEEZZNS1_27merge_sort_block_merge_implIS3_N6thrust23THRUST_200600_302600_NS6detail15normal_iteratorINS8_10device_ptrIiEEEESD_jNS1_19radix_merge_compareILb0ELb0EiNS0_19identity_decomposerEEEEE10hipError_tT0_T1_T2_jT3_P12ihipStream_tbPNSt15iterator_traitsISI_E10value_typeEPNSO_ISJ_E10value_typeEPSK_NS1_7vsmem_tEENKUlT_SI_SJ_SK_E_clIPiSD_S10_SD_EESH_SX_SI_SJ_SK_EUlSX_E_NS1_11comp_targetILNS1_3genE0ELNS1_11target_archE4294967295ELNS1_3gpuE0ELNS1_3repE0EEENS1_48merge_mergepath_partition_config_static_selectorELNS0_4arch9wavefront6targetE1EEEvSJ_,"axG",@progbits,_ZN7rocprim17ROCPRIM_400000_NS6detail17trampoline_kernelINS0_14default_configENS1_38merge_sort_block_merge_config_selectorIiiEEZZNS1_27merge_sort_block_merge_implIS3_N6thrust23THRUST_200600_302600_NS6detail15normal_iteratorINS8_10device_ptrIiEEEESD_jNS1_19radix_merge_compareILb0ELb0EiNS0_19identity_decomposerEEEEE10hipError_tT0_T1_T2_jT3_P12ihipStream_tbPNSt15iterator_traitsISI_E10value_typeEPNSO_ISJ_E10value_typeEPSK_NS1_7vsmem_tEENKUlT_SI_SJ_SK_E_clIPiSD_S10_SD_EESH_SX_SI_SJ_SK_EUlSX_E_NS1_11comp_targetILNS1_3genE0ELNS1_11target_archE4294967295ELNS1_3gpuE0ELNS1_3repE0EEENS1_48merge_mergepath_partition_config_static_selectorELNS0_4arch9wavefront6targetE1EEEvSJ_,comdat
.Lfunc_end708:
	.size	_ZN7rocprim17ROCPRIM_400000_NS6detail17trampoline_kernelINS0_14default_configENS1_38merge_sort_block_merge_config_selectorIiiEEZZNS1_27merge_sort_block_merge_implIS3_N6thrust23THRUST_200600_302600_NS6detail15normal_iteratorINS8_10device_ptrIiEEEESD_jNS1_19radix_merge_compareILb0ELb0EiNS0_19identity_decomposerEEEEE10hipError_tT0_T1_T2_jT3_P12ihipStream_tbPNSt15iterator_traitsISI_E10value_typeEPNSO_ISJ_E10value_typeEPSK_NS1_7vsmem_tEENKUlT_SI_SJ_SK_E_clIPiSD_S10_SD_EESH_SX_SI_SJ_SK_EUlSX_E_NS1_11comp_targetILNS1_3genE0ELNS1_11target_archE4294967295ELNS1_3gpuE0ELNS1_3repE0EEENS1_48merge_mergepath_partition_config_static_selectorELNS0_4arch9wavefront6targetE1EEEvSJ_, .Lfunc_end708-_ZN7rocprim17ROCPRIM_400000_NS6detail17trampoline_kernelINS0_14default_configENS1_38merge_sort_block_merge_config_selectorIiiEEZZNS1_27merge_sort_block_merge_implIS3_N6thrust23THRUST_200600_302600_NS6detail15normal_iteratorINS8_10device_ptrIiEEEESD_jNS1_19radix_merge_compareILb0ELb0EiNS0_19identity_decomposerEEEEE10hipError_tT0_T1_T2_jT3_P12ihipStream_tbPNSt15iterator_traitsISI_E10value_typeEPNSO_ISJ_E10value_typeEPSK_NS1_7vsmem_tEENKUlT_SI_SJ_SK_E_clIPiSD_S10_SD_EESH_SX_SI_SJ_SK_EUlSX_E_NS1_11comp_targetILNS1_3genE0ELNS1_11target_archE4294967295ELNS1_3gpuE0ELNS1_3repE0EEENS1_48merge_mergepath_partition_config_static_selectorELNS0_4arch9wavefront6targetE1EEEvSJ_
                                        ; -- End function
	.set _ZN7rocprim17ROCPRIM_400000_NS6detail17trampoline_kernelINS0_14default_configENS1_38merge_sort_block_merge_config_selectorIiiEEZZNS1_27merge_sort_block_merge_implIS3_N6thrust23THRUST_200600_302600_NS6detail15normal_iteratorINS8_10device_ptrIiEEEESD_jNS1_19radix_merge_compareILb0ELb0EiNS0_19identity_decomposerEEEEE10hipError_tT0_T1_T2_jT3_P12ihipStream_tbPNSt15iterator_traitsISI_E10value_typeEPNSO_ISJ_E10value_typeEPSK_NS1_7vsmem_tEENKUlT_SI_SJ_SK_E_clIPiSD_S10_SD_EESH_SX_SI_SJ_SK_EUlSX_E_NS1_11comp_targetILNS1_3genE0ELNS1_11target_archE4294967295ELNS1_3gpuE0ELNS1_3repE0EEENS1_48merge_mergepath_partition_config_static_selectorELNS0_4arch9wavefront6targetE1EEEvSJ_.num_vgpr, 17
	.set _ZN7rocprim17ROCPRIM_400000_NS6detail17trampoline_kernelINS0_14default_configENS1_38merge_sort_block_merge_config_selectorIiiEEZZNS1_27merge_sort_block_merge_implIS3_N6thrust23THRUST_200600_302600_NS6detail15normal_iteratorINS8_10device_ptrIiEEEESD_jNS1_19radix_merge_compareILb0ELb0EiNS0_19identity_decomposerEEEEE10hipError_tT0_T1_T2_jT3_P12ihipStream_tbPNSt15iterator_traitsISI_E10value_typeEPNSO_ISJ_E10value_typeEPSK_NS1_7vsmem_tEENKUlT_SI_SJ_SK_E_clIPiSD_S10_SD_EESH_SX_SI_SJ_SK_EUlSX_E_NS1_11comp_targetILNS1_3genE0ELNS1_11target_archE4294967295ELNS1_3gpuE0ELNS1_3repE0EEENS1_48merge_mergepath_partition_config_static_selectorELNS0_4arch9wavefront6targetE1EEEvSJ_.num_agpr, 0
	.set _ZN7rocprim17ROCPRIM_400000_NS6detail17trampoline_kernelINS0_14default_configENS1_38merge_sort_block_merge_config_selectorIiiEEZZNS1_27merge_sort_block_merge_implIS3_N6thrust23THRUST_200600_302600_NS6detail15normal_iteratorINS8_10device_ptrIiEEEESD_jNS1_19radix_merge_compareILb0ELb0EiNS0_19identity_decomposerEEEEE10hipError_tT0_T1_T2_jT3_P12ihipStream_tbPNSt15iterator_traitsISI_E10value_typeEPNSO_ISJ_E10value_typeEPSK_NS1_7vsmem_tEENKUlT_SI_SJ_SK_E_clIPiSD_S10_SD_EESH_SX_SI_SJ_SK_EUlSX_E_NS1_11comp_targetILNS1_3genE0ELNS1_11target_archE4294967295ELNS1_3gpuE0ELNS1_3repE0EEENS1_48merge_mergepath_partition_config_static_selectorELNS0_4arch9wavefront6targetE1EEEvSJ_.numbered_sgpr, 8
	.set _ZN7rocprim17ROCPRIM_400000_NS6detail17trampoline_kernelINS0_14default_configENS1_38merge_sort_block_merge_config_selectorIiiEEZZNS1_27merge_sort_block_merge_implIS3_N6thrust23THRUST_200600_302600_NS6detail15normal_iteratorINS8_10device_ptrIiEEEESD_jNS1_19radix_merge_compareILb0ELb0EiNS0_19identity_decomposerEEEEE10hipError_tT0_T1_T2_jT3_P12ihipStream_tbPNSt15iterator_traitsISI_E10value_typeEPNSO_ISJ_E10value_typeEPSK_NS1_7vsmem_tEENKUlT_SI_SJ_SK_E_clIPiSD_S10_SD_EESH_SX_SI_SJ_SK_EUlSX_E_NS1_11comp_targetILNS1_3genE0ELNS1_11target_archE4294967295ELNS1_3gpuE0ELNS1_3repE0EEENS1_48merge_mergepath_partition_config_static_selectorELNS0_4arch9wavefront6targetE1EEEvSJ_.num_named_barrier, 0
	.set _ZN7rocprim17ROCPRIM_400000_NS6detail17trampoline_kernelINS0_14default_configENS1_38merge_sort_block_merge_config_selectorIiiEEZZNS1_27merge_sort_block_merge_implIS3_N6thrust23THRUST_200600_302600_NS6detail15normal_iteratorINS8_10device_ptrIiEEEESD_jNS1_19radix_merge_compareILb0ELb0EiNS0_19identity_decomposerEEEEE10hipError_tT0_T1_T2_jT3_P12ihipStream_tbPNSt15iterator_traitsISI_E10value_typeEPNSO_ISJ_E10value_typeEPSK_NS1_7vsmem_tEENKUlT_SI_SJ_SK_E_clIPiSD_S10_SD_EESH_SX_SI_SJ_SK_EUlSX_E_NS1_11comp_targetILNS1_3genE0ELNS1_11target_archE4294967295ELNS1_3gpuE0ELNS1_3repE0EEENS1_48merge_mergepath_partition_config_static_selectorELNS0_4arch9wavefront6targetE1EEEvSJ_.private_seg_size, 0
	.set _ZN7rocprim17ROCPRIM_400000_NS6detail17trampoline_kernelINS0_14default_configENS1_38merge_sort_block_merge_config_selectorIiiEEZZNS1_27merge_sort_block_merge_implIS3_N6thrust23THRUST_200600_302600_NS6detail15normal_iteratorINS8_10device_ptrIiEEEESD_jNS1_19radix_merge_compareILb0ELb0EiNS0_19identity_decomposerEEEEE10hipError_tT0_T1_T2_jT3_P12ihipStream_tbPNSt15iterator_traitsISI_E10value_typeEPNSO_ISJ_E10value_typeEPSK_NS1_7vsmem_tEENKUlT_SI_SJ_SK_E_clIPiSD_S10_SD_EESH_SX_SI_SJ_SK_EUlSX_E_NS1_11comp_targetILNS1_3genE0ELNS1_11target_archE4294967295ELNS1_3gpuE0ELNS1_3repE0EEENS1_48merge_mergepath_partition_config_static_selectorELNS0_4arch9wavefront6targetE1EEEvSJ_.uses_vcc, 1
	.set _ZN7rocprim17ROCPRIM_400000_NS6detail17trampoline_kernelINS0_14default_configENS1_38merge_sort_block_merge_config_selectorIiiEEZZNS1_27merge_sort_block_merge_implIS3_N6thrust23THRUST_200600_302600_NS6detail15normal_iteratorINS8_10device_ptrIiEEEESD_jNS1_19radix_merge_compareILb0ELb0EiNS0_19identity_decomposerEEEEE10hipError_tT0_T1_T2_jT3_P12ihipStream_tbPNSt15iterator_traitsISI_E10value_typeEPNSO_ISJ_E10value_typeEPSK_NS1_7vsmem_tEENKUlT_SI_SJ_SK_E_clIPiSD_S10_SD_EESH_SX_SI_SJ_SK_EUlSX_E_NS1_11comp_targetILNS1_3genE0ELNS1_11target_archE4294967295ELNS1_3gpuE0ELNS1_3repE0EEENS1_48merge_mergepath_partition_config_static_selectorELNS0_4arch9wavefront6targetE1EEEvSJ_.uses_flat_scratch, 0
	.set _ZN7rocprim17ROCPRIM_400000_NS6detail17trampoline_kernelINS0_14default_configENS1_38merge_sort_block_merge_config_selectorIiiEEZZNS1_27merge_sort_block_merge_implIS3_N6thrust23THRUST_200600_302600_NS6detail15normal_iteratorINS8_10device_ptrIiEEEESD_jNS1_19radix_merge_compareILb0ELb0EiNS0_19identity_decomposerEEEEE10hipError_tT0_T1_T2_jT3_P12ihipStream_tbPNSt15iterator_traitsISI_E10value_typeEPNSO_ISJ_E10value_typeEPSK_NS1_7vsmem_tEENKUlT_SI_SJ_SK_E_clIPiSD_S10_SD_EESH_SX_SI_SJ_SK_EUlSX_E_NS1_11comp_targetILNS1_3genE0ELNS1_11target_archE4294967295ELNS1_3gpuE0ELNS1_3repE0EEENS1_48merge_mergepath_partition_config_static_selectorELNS0_4arch9wavefront6targetE1EEEvSJ_.has_dyn_sized_stack, 0
	.set _ZN7rocprim17ROCPRIM_400000_NS6detail17trampoline_kernelINS0_14default_configENS1_38merge_sort_block_merge_config_selectorIiiEEZZNS1_27merge_sort_block_merge_implIS3_N6thrust23THRUST_200600_302600_NS6detail15normal_iteratorINS8_10device_ptrIiEEEESD_jNS1_19radix_merge_compareILb0ELb0EiNS0_19identity_decomposerEEEEE10hipError_tT0_T1_T2_jT3_P12ihipStream_tbPNSt15iterator_traitsISI_E10value_typeEPNSO_ISJ_E10value_typeEPSK_NS1_7vsmem_tEENKUlT_SI_SJ_SK_E_clIPiSD_S10_SD_EESH_SX_SI_SJ_SK_EUlSX_E_NS1_11comp_targetILNS1_3genE0ELNS1_11target_archE4294967295ELNS1_3gpuE0ELNS1_3repE0EEENS1_48merge_mergepath_partition_config_static_selectorELNS0_4arch9wavefront6targetE1EEEvSJ_.has_recursion, 0
	.set _ZN7rocprim17ROCPRIM_400000_NS6detail17trampoline_kernelINS0_14default_configENS1_38merge_sort_block_merge_config_selectorIiiEEZZNS1_27merge_sort_block_merge_implIS3_N6thrust23THRUST_200600_302600_NS6detail15normal_iteratorINS8_10device_ptrIiEEEESD_jNS1_19radix_merge_compareILb0ELb0EiNS0_19identity_decomposerEEEEE10hipError_tT0_T1_T2_jT3_P12ihipStream_tbPNSt15iterator_traitsISI_E10value_typeEPNSO_ISJ_E10value_typeEPSK_NS1_7vsmem_tEENKUlT_SI_SJ_SK_E_clIPiSD_S10_SD_EESH_SX_SI_SJ_SK_EUlSX_E_NS1_11comp_targetILNS1_3genE0ELNS1_11target_archE4294967295ELNS1_3gpuE0ELNS1_3repE0EEENS1_48merge_mergepath_partition_config_static_selectorELNS0_4arch9wavefront6targetE1EEEvSJ_.has_indirect_call, 0
	.section	.AMDGPU.csdata,"",@progbits
; Kernel info:
; codeLenInByte = 316
; TotalNumSgprs: 14
; NumVgprs: 17
; NumAgprs: 0
; TotalNumVgprs: 17
; ScratchSize: 0
; MemoryBound: 0
; FloatMode: 240
; IeeeMode: 1
; LDSByteSize: 0 bytes/workgroup (compile time only)
; SGPRBlocks: 1
; VGPRBlocks: 2
; NumSGPRsForWavesPerEU: 14
; NumVGPRsForWavesPerEU: 17
; AccumOffset: 20
; Occupancy: 8
; WaveLimiterHint : 0
; COMPUTE_PGM_RSRC2:SCRATCH_EN: 0
; COMPUTE_PGM_RSRC2:USER_SGPR: 2
; COMPUTE_PGM_RSRC2:TRAP_HANDLER: 0
; COMPUTE_PGM_RSRC2:TGID_X_EN: 1
; COMPUTE_PGM_RSRC2:TGID_Y_EN: 0
; COMPUTE_PGM_RSRC2:TGID_Z_EN: 0
; COMPUTE_PGM_RSRC2:TIDIG_COMP_CNT: 0
; COMPUTE_PGM_RSRC3_GFX90A:ACCUM_OFFSET: 4
; COMPUTE_PGM_RSRC3_GFX90A:TG_SPLIT: 0
	.section	.text._ZN7rocprim17ROCPRIM_400000_NS6detail17trampoline_kernelINS0_14default_configENS1_38merge_sort_block_merge_config_selectorIiiEEZZNS1_27merge_sort_block_merge_implIS3_N6thrust23THRUST_200600_302600_NS6detail15normal_iteratorINS8_10device_ptrIiEEEESD_jNS1_19radix_merge_compareILb0ELb0EiNS0_19identity_decomposerEEEEE10hipError_tT0_T1_T2_jT3_P12ihipStream_tbPNSt15iterator_traitsISI_E10value_typeEPNSO_ISJ_E10value_typeEPSK_NS1_7vsmem_tEENKUlT_SI_SJ_SK_E_clIPiSD_S10_SD_EESH_SX_SI_SJ_SK_EUlSX_E_NS1_11comp_targetILNS1_3genE10ELNS1_11target_archE1201ELNS1_3gpuE5ELNS1_3repE0EEENS1_48merge_mergepath_partition_config_static_selectorELNS0_4arch9wavefront6targetE1EEEvSJ_,"axG",@progbits,_ZN7rocprim17ROCPRIM_400000_NS6detail17trampoline_kernelINS0_14default_configENS1_38merge_sort_block_merge_config_selectorIiiEEZZNS1_27merge_sort_block_merge_implIS3_N6thrust23THRUST_200600_302600_NS6detail15normal_iteratorINS8_10device_ptrIiEEEESD_jNS1_19radix_merge_compareILb0ELb0EiNS0_19identity_decomposerEEEEE10hipError_tT0_T1_T2_jT3_P12ihipStream_tbPNSt15iterator_traitsISI_E10value_typeEPNSO_ISJ_E10value_typeEPSK_NS1_7vsmem_tEENKUlT_SI_SJ_SK_E_clIPiSD_S10_SD_EESH_SX_SI_SJ_SK_EUlSX_E_NS1_11comp_targetILNS1_3genE10ELNS1_11target_archE1201ELNS1_3gpuE5ELNS1_3repE0EEENS1_48merge_mergepath_partition_config_static_selectorELNS0_4arch9wavefront6targetE1EEEvSJ_,comdat
	.protected	_ZN7rocprim17ROCPRIM_400000_NS6detail17trampoline_kernelINS0_14default_configENS1_38merge_sort_block_merge_config_selectorIiiEEZZNS1_27merge_sort_block_merge_implIS3_N6thrust23THRUST_200600_302600_NS6detail15normal_iteratorINS8_10device_ptrIiEEEESD_jNS1_19radix_merge_compareILb0ELb0EiNS0_19identity_decomposerEEEEE10hipError_tT0_T1_T2_jT3_P12ihipStream_tbPNSt15iterator_traitsISI_E10value_typeEPNSO_ISJ_E10value_typeEPSK_NS1_7vsmem_tEENKUlT_SI_SJ_SK_E_clIPiSD_S10_SD_EESH_SX_SI_SJ_SK_EUlSX_E_NS1_11comp_targetILNS1_3genE10ELNS1_11target_archE1201ELNS1_3gpuE5ELNS1_3repE0EEENS1_48merge_mergepath_partition_config_static_selectorELNS0_4arch9wavefront6targetE1EEEvSJ_ ; -- Begin function _ZN7rocprim17ROCPRIM_400000_NS6detail17trampoline_kernelINS0_14default_configENS1_38merge_sort_block_merge_config_selectorIiiEEZZNS1_27merge_sort_block_merge_implIS3_N6thrust23THRUST_200600_302600_NS6detail15normal_iteratorINS8_10device_ptrIiEEEESD_jNS1_19radix_merge_compareILb0ELb0EiNS0_19identity_decomposerEEEEE10hipError_tT0_T1_T2_jT3_P12ihipStream_tbPNSt15iterator_traitsISI_E10value_typeEPNSO_ISJ_E10value_typeEPSK_NS1_7vsmem_tEENKUlT_SI_SJ_SK_E_clIPiSD_S10_SD_EESH_SX_SI_SJ_SK_EUlSX_E_NS1_11comp_targetILNS1_3genE10ELNS1_11target_archE1201ELNS1_3gpuE5ELNS1_3repE0EEENS1_48merge_mergepath_partition_config_static_selectorELNS0_4arch9wavefront6targetE1EEEvSJ_
	.globl	_ZN7rocprim17ROCPRIM_400000_NS6detail17trampoline_kernelINS0_14default_configENS1_38merge_sort_block_merge_config_selectorIiiEEZZNS1_27merge_sort_block_merge_implIS3_N6thrust23THRUST_200600_302600_NS6detail15normal_iteratorINS8_10device_ptrIiEEEESD_jNS1_19radix_merge_compareILb0ELb0EiNS0_19identity_decomposerEEEEE10hipError_tT0_T1_T2_jT3_P12ihipStream_tbPNSt15iterator_traitsISI_E10value_typeEPNSO_ISJ_E10value_typeEPSK_NS1_7vsmem_tEENKUlT_SI_SJ_SK_E_clIPiSD_S10_SD_EESH_SX_SI_SJ_SK_EUlSX_E_NS1_11comp_targetILNS1_3genE10ELNS1_11target_archE1201ELNS1_3gpuE5ELNS1_3repE0EEENS1_48merge_mergepath_partition_config_static_selectorELNS0_4arch9wavefront6targetE1EEEvSJ_
	.p2align	8
	.type	_ZN7rocprim17ROCPRIM_400000_NS6detail17trampoline_kernelINS0_14default_configENS1_38merge_sort_block_merge_config_selectorIiiEEZZNS1_27merge_sort_block_merge_implIS3_N6thrust23THRUST_200600_302600_NS6detail15normal_iteratorINS8_10device_ptrIiEEEESD_jNS1_19radix_merge_compareILb0ELb0EiNS0_19identity_decomposerEEEEE10hipError_tT0_T1_T2_jT3_P12ihipStream_tbPNSt15iterator_traitsISI_E10value_typeEPNSO_ISJ_E10value_typeEPSK_NS1_7vsmem_tEENKUlT_SI_SJ_SK_E_clIPiSD_S10_SD_EESH_SX_SI_SJ_SK_EUlSX_E_NS1_11comp_targetILNS1_3genE10ELNS1_11target_archE1201ELNS1_3gpuE5ELNS1_3repE0EEENS1_48merge_mergepath_partition_config_static_selectorELNS0_4arch9wavefront6targetE1EEEvSJ_,@function
_ZN7rocprim17ROCPRIM_400000_NS6detail17trampoline_kernelINS0_14default_configENS1_38merge_sort_block_merge_config_selectorIiiEEZZNS1_27merge_sort_block_merge_implIS3_N6thrust23THRUST_200600_302600_NS6detail15normal_iteratorINS8_10device_ptrIiEEEESD_jNS1_19radix_merge_compareILb0ELb0EiNS0_19identity_decomposerEEEEE10hipError_tT0_T1_T2_jT3_P12ihipStream_tbPNSt15iterator_traitsISI_E10value_typeEPNSO_ISJ_E10value_typeEPSK_NS1_7vsmem_tEENKUlT_SI_SJ_SK_E_clIPiSD_S10_SD_EESH_SX_SI_SJ_SK_EUlSX_E_NS1_11comp_targetILNS1_3genE10ELNS1_11target_archE1201ELNS1_3gpuE5ELNS1_3repE0EEENS1_48merge_mergepath_partition_config_static_selectorELNS0_4arch9wavefront6targetE1EEEvSJ_: ; @_ZN7rocprim17ROCPRIM_400000_NS6detail17trampoline_kernelINS0_14default_configENS1_38merge_sort_block_merge_config_selectorIiiEEZZNS1_27merge_sort_block_merge_implIS3_N6thrust23THRUST_200600_302600_NS6detail15normal_iteratorINS8_10device_ptrIiEEEESD_jNS1_19radix_merge_compareILb0ELb0EiNS0_19identity_decomposerEEEEE10hipError_tT0_T1_T2_jT3_P12ihipStream_tbPNSt15iterator_traitsISI_E10value_typeEPNSO_ISJ_E10value_typeEPSK_NS1_7vsmem_tEENKUlT_SI_SJ_SK_E_clIPiSD_S10_SD_EESH_SX_SI_SJ_SK_EUlSX_E_NS1_11comp_targetILNS1_3genE10ELNS1_11target_archE1201ELNS1_3gpuE5ELNS1_3repE0EEENS1_48merge_mergepath_partition_config_static_selectorELNS0_4arch9wavefront6targetE1EEEvSJ_
; %bb.0:
	.section	.rodata,"a",@progbits
	.p2align	6, 0x0
	.amdhsa_kernel _ZN7rocprim17ROCPRIM_400000_NS6detail17trampoline_kernelINS0_14default_configENS1_38merge_sort_block_merge_config_selectorIiiEEZZNS1_27merge_sort_block_merge_implIS3_N6thrust23THRUST_200600_302600_NS6detail15normal_iteratorINS8_10device_ptrIiEEEESD_jNS1_19radix_merge_compareILb0ELb0EiNS0_19identity_decomposerEEEEE10hipError_tT0_T1_T2_jT3_P12ihipStream_tbPNSt15iterator_traitsISI_E10value_typeEPNSO_ISJ_E10value_typeEPSK_NS1_7vsmem_tEENKUlT_SI_SJ_SK_E_clIPiSD_S10_SD_EESH_SX_SI_SJ_SK_EUlSX_E_NS1_11comp_targetILNS1_3genE10ELNS1_11target_archE1201ELNS1_3gpuE5ELNS1_3repE0EEENS1_48merge_mergepath_partition_config_static_selectorELNS0_4arch9wavefront6targetE1EEEvSJ_
		.amdhsa_group_segment_fixed_size 0
		.amdhsa_private_segment_fixed_size 0
		.amdhsa_kernarg_size 40
		.amdhsa_user_sgpr_count 2
		.amdhsa_user_sgpr_dispatch_ptr 0
		.amdhsa_user_sgpr_queue_ptr 0
		.amdhsa_user_sgpr_kernarg_segment_ptr 1
		.amdhsa_user_sgpr_dispatch_id 0
		.amdhsa_user_sgpr_kernarg_preload_length 0
		.amdhsa_user_sgpr_kernarg_preload_offset 0
		.amdhsa_user_sgpr_private_segment_size 0
		.amdhsa_uses_dynamic_stack 0
		.amdhsa_enable_private_segment 0
		.amdhsa_system_sgpr_workgroup_id_x 1
		.amdhsa_system_sgpr_workgroup_id_y 0
		.amdhsa_system_sgpr_workgroup_id_z 0
		.amdhsa_system_sgpr_workgroup_info 0
		.amdhsa_system_vgpr_workitem_id 0
		.amdhsa_next_free_vgpr 1
		.amdhsa_next_free_sgpr 0
		.amdhsa_accum_offset 4
		.amdhsa_reserve_vcc 0
		.amdhsa_float_round_mode_32 0
		.amdhsa_float_round_mode_16_64 0
		.amdhsa_float_denorm_mode_32 3
		.amdhsa_float_denorm_mode_16_64 3
		.amdhsa_dx10_clamp 1
		.amdhsa_ieee_mode 1
		.amdhsa_fp16_overflow 0
		.amdhsa_tg_split 0
		.amdhsa_exception_fp_ieee_invalid_op 0
		.amdhsa_exception_fp_denorm_src 0
		.amdhsa_exception_fp_ieee_div_zero 0
		.amdhsa_exception_fp_ieee_overflow 0
		.amdhsa_exception_fp_ieee_underflow 0
		.amdhsa_exception_fp_ieee_inexact 0
		.amdhsa_exception_int_div_zero 0
	.end_amdhsa_kernel
	.section	.text._ZN7rocprim17ROCPRIM_400000_NS6detail17trampoline_kernelINS0_14default_configENS1_38merge_sort_block_merge_config_selectorIiiEEZZNS1_27merge_sort_block_merge_implIS3_N6thrust23THRUST_200600_302600_NS6detail15normal_iteratorINS8_10device_ptrIiEEEESD_jNS1_19radix_merge_compareILb0ELb0EiNS0_19identity_decomposerEEEEE10hipError_tT0_T1_T2_jT3_P12ihipStream_tbPNSt15iterator_traitsISI_E10value_typeEPNSO_ISJ_E10value_typeEPSK_NS1_7vsmem_tEENKUlT_SI_SJ_SK_E_clIPiSD_S10_SD_EESH_SX_SI_SJ_SK_EUlSX_E_NS1_11comp_targetILNS1_3genE10ELNS1_11target_archE1201ELNS1_3gpuE5ELNS1_3repE0EEENS1_48merge_mergepath_partition_config_static_selectorELNS0_4arch9wavefront6targetE1EEEvSJ_,"axG",@progbits,_ZN7rocprim17ROCPRIM_400000_NS6detail17trampoline_kernelINS0_14default_configENS1_38merge_sort_block_merge_config_selectorIiiEEZZNS1_27merge_sort_block_merge_implIS3_N6thrust23THRUST_200600_302600_NS6detail15normal_iteratorINS8_10device_ptrIiEEEESD_jNS1_19radix_merge_compareILb0ELb0EiNS0_19identity_decomposerEEEEE10hipError_tT0_T1_T2_jT3_P12ihipStream_tbPNSt15iterator_traitsISI_E10value_typeEPNSO_ISJ_E10value_typeEPSK_NS1_7vsmem_tEENKUlT_SI_SJ_SK_E_clIPiSD_S10_SD_EESH_SX_SI_SJ_SK_EUlSX_E_NS1_11comp_targetILNS1_3genE10ELNS1_11target_archE1201ELNS1_3gpuE5ELNS1_3repE0EEENS1_48merge_mergepath_partition_config_static_selectorELNS0_4arch9wavefront6targetE1EEEvSJ_,comdat
.Lfunc_end709:
	.size	_ZN7rocprim17ROCPRIM_400000_NS6detail17trampoline_kernelINS0_14default_configENS1_38merge_sort_block_merge_config_selectorIiiEEZZNS1_27merge_sort_block_merge_implIS3_N6thrust23THRUST_200600_302600_NS6detail15normal_iteratorINS8_10device_ptrIiEEEESD_jNS1_19radix_merge_compareILb0ELb0EiNS0_19identity_decomposerEEEEE10hipError_tT0_T1_T2_jT3_P12ihipStream_tbPNSt15iterator_traitsISI_E10value_typeEPNSO_ISJ_E10value_typeEPSK_NS1_7vsmem_tEENKUlT_SI_SJ_SK_E_clIPiSD_S10_SD_EESH_SX_SI_SJ_SK_EUlSX_E_NS1_11comp_targetILNS1_3genE10ELNS1_11target_archE1201ELNS1_3gpuE5ELNS1_3repE0EEENS1_48merge_mergepath_partition_config_static_selectorELNS0_4arch9wavefront6targetE1EEEvSJ_, .Lfunc_end709-_ZN7rocprim17ROCPRIM_400000_NS6detail17trampoline_kernelINS0_14default_configENS1_38merge_sort_block_merge_config_selectorIiiEEZZNS1_27merge_sort_block_merge_implIS3_N6thrust23THRUST_200600_302600_NS6detail15normal_iteratorINS8_10device_ptrIiEEEESD_jNS1_19radix_merge_compareILb0ELb0EiNS0_19identity_decomposerEEEEE10hipError_tT0_T1_T2_jT3_P12ihipStream_tbPNSt15iterator_traitsISI_E10value_typeEPNSO_ISJ_E10value_typeEPSK_NS1_7vsmem_tEENKUlT_SI_SJ_SK_E_clIPiSD_S10_SD_EESH_SX_SI_SJ_SK_EUlSX_E_NS1_11comp_targetILNS1_3genE10ELNS1_11target_archE1201ELNS1_3gpuE5ELNS1_3repE0EEENS1_48merge_mergepath_partition_config_static_selectorELNS0_4arch9wavefront6targetE1EEEvSJ_
                                        ; -- End function
	.set _ZN7rocprim17ROCPRIM_400000_NS6detail17trampoline_kernelINS0_14default_configENS1_38merge_sort_block_merge_config_selectorIiiEEZZNS1_27merge_sort_block_merge_implIS3_N6thrust23THRUST_200600_302600_NS6detail15normal_iteratorINS8_10device_ptrIiEEEESD_jNS1_19radix_merge_compareILb0ELb0EiNS0_19identity_decomposerEEEEE10hipError_tT0_T1_T2_jT3_P12ihipStream_tbPNSt15iterator_traitsISI_E10value_typeEPNSO_ISJ_E10value_typeEPSK_NS1_7vsmem_tEENKUlT_SI_SJ_SK_E_clIPiSD_S10_SD_EESH_SX_SI_SJ_SK_EUlSX_E_NS1_11comp_targetILNS1_3genE10ELNS1_11target_archE1201ELNS1_3gpuE5ELNS1_3repE0EEENS1_48merge_mergepath_partition_config_static_selectorELNS0_4arch9wavefront6targetE1EEEvSJ_.num_vgpr, 0
	.set _ZN7rocprim17ROCPRIM_400000_NS6detail17trampoline_kernelINS0_14default_configENS1_38merge_sort_block_merge_config_selectorIiiEEZZNS1_27merge_sort_block_merge_implIS3_N6thrust23THRUST_200600_302600_NS6detail15normal_iteratorINS8_10device_ptrIiEEEESD_jNS1_19radix_merge_compareILb0ELb0EiNS0_19identity_decomposerEEEEE10hipError_tT0_T1_T2_jT3_P12ihipStream_tbPNSt15iterator_traitsISI_E10value_typeEPNSO_ISJ_E10value_typeEPSK_NS1_7vsmem_tEENKUlT_SI_SJ_SK_E_clIPiSD_S10_SD_EESH_SX_SI_SJ_SK_EUlSX_E_NS1_11comp_targetILNS1_3genE10ELNS1_11target_archE1201ELNS1_3gpuE5ELNS1_3repE0EEENS1_48merge_mergepath_partition_config_static_selectorELNS0_4arch9wavefront6targetE1EEEvSJ_.num_agpr, 0
	.set _ZN7rocprim17ROCPRIM_400000_NS6detail17trampoline_kernelINS0_14default_configENS1_38merge_sort_block_merge_config_selectorIiiEEZZNS1_27merge_sort_block_merge_implIS3_N6thrust23THRUST_200600_302600_NS6detail15normal_iteratorINS8_10device_ptrIiEEEESD_jNS1_19radix_merge_compareILb0ELb0EiNS0_19identity_decomposerEEEEE10hipError_tT0_T1_T2_jT3_P12ihipStream_tbPNSt15iterator_traitsISI_E10value_typeEPNSO_ISJ_E10value_typeEPSK_NS1_7vsmem_tEENKUlT_SI_SJ_SK_E_clIPiSD_S10_SD_EESH_SX_SI_SJ_SK_EUlSX_E_NS1_11comp_targetILNS1_3genE10ELNS1_11target_archE1201ELNS1_3gpuE5ELNS1_3repE0EEENS1_48merge_mergepath_partition_config_static_selectorELNS0_4arch9wavefront6targetE1EEEvSJ_.numbered_sgpr, 0
	.set _ZN7rocprim17ROCPRIM_400000_NS6detail17trampoline_kernelINS0_14default_configENS1_38merge_sort_block_merge_config_selectorIiiEEZZNS1_27merge_sort_block_merge_implIS3_N6thrust23THRUST_200600_302600_NS6detail15normal_iteratorINS8_10device_ptrIiEEEESD_jNS1_19radix_merge_compareILb0ELb0EiNS0_19identity_decomposerEEEEE10hipError_tT0_T1_T2_jT3_P12ihipStream_tbPNSt15iterator_traitsISI_E10value_typeEPNSO_ISJ_E10value_typeEPSK_NS1_7vsmem_tEENKUlT_SI_SJ_SK_E_clIPiSD_S10_SD_EESH_SX_SI_SJ_SK_EUlSX_E_NS1_11comp_targetILNS1_3genE10ELNS1_11target_archE1201ELNS1_3gpuE5ELNS1_3repE0EEENS1_48merge_mergepath_partition_config_static_selectorELNS0_4arch9wavefront6targetE1EEEvSJ_.num_named_barrier, 0
	.set _ZN7rocprim17ROCPRIM_400000_NS6detail17trampoline_kernelINS0_14default_configENS1_38merge_sort_block_merge_config_selectorIiiEEZZNS1_27merge_sort_block_merge_implIS3_N6thrust23THRUST_200600_302600_NS6detail15normal_iteratorINS8_10device_ptrIiEEEESD_jNS1_19radix_merge_compareILb0ELb0EiNS0_19identity_decomposerEEEEE10hipError_tT0_T1_T2_jT3_P12ihipStream_tbPNSt15iterator_traitsISI_E10value_typeEPNSO_ISJ_E10value_typeEPSK_NS1_7vsmem_tEENKUlT_SI_SJ_SK_E_clIPiSD_S10_SD_EESH_SX_SI_SJ_SK_EUlSX_E_NS1_11comp_targetILNS1_3genE10ELNS1_11target_archE1201ELNS1_3gpuE5ELNS1_3repE0EEENS1_48merge_mergepath_partition_config_static_selectorELNS0_4arch9wavefront6targetE1EEEvSJ_.private_seg_size, 0
	.set _ZN7rocprim17ROCPRIM_400000_NS6detail17trampoline_kernelINS0_14default_configENS1_38merge_sort_block_merge_config_selectorIiiEEZZNS1_27merge_sort_block_merge_implIS3_N6thrust23THRUST_200600_302600_NS6detail15normal_iteratorINS8_10device_ptrIiEEEESD_jNS1_19radix_merge_compareILb0ELb0EiNS0_19identity_decomposerEEEEE10hipError_tT0_T1_T2_jT3_P12ihipStream_tbPNSt15iterator_traitsISI_E10value_typeEPNSO_ISJ_E10value_typeEPSK_NS1_7vsmem_tEENKUlT_SI_SJ_SK_E_clIPiSD_S10_SD_EESH_SX_SI_SJ_SK_EUlSX_E_NS1_11comp_targetILNS1_3genE10ELNS1_11target_archE1201ELNS1_3gpuE5ELNS1_3repE0EEENS1_48merge_mergepath_partition_config_static_selectorELNS0_4arch9wavefront6targetE1EEEvSJ_.uses_vcc, 0
	.set _ZN7rocprim17ROCPRIM_400000_NS6detail17trampoline_kernelINS0_14default_configENS1_38merge_sort_block_merge_config_selectorIiiEEZZNS1_27merge_sort_block_merge_implIS3_N6thrust23THRUST_200600_302600_NS6detail15normal_iteratorINS8_10device_ptrIiEEEESD_jNS1_19radix_merge_compareILb0ELb0EiNS0_19identity_decomposerEEEEE10hipError_tT0_T1_T2_jT3_P12ihipStream_tbPNSt15iterator_traitsISI_E10value_typeEPNSO_ISJ_E10value_typeEPSK_NS1_7vsmem_tEENKUlT_SI_SJ_SK_E_clIPiSD_S10_SD_EESH_SX_SI_SJ_SK_EUlSX_E_NS1_11comp_targetILNS1_3genE10ELNS1_11target_archE1201ELNS1_3gpuE5ELNS1_3repE0EEENS1_48merge_mergepath_partition_config_static_selectorELNS0_4arch9wavefront6targetE1EEEvSJ_.uses_flat_scratch, 0
	.set _ZN7rocprim17ROCPRIM_400000_NS6detail17trampoline_kernelINS0_14default_configENS1_38merge_sort_block_merge_config_selectorIiiEEZZNS1_27merge_sort_block_merge_implIS3_N6thrust23THRUST_200600_302600_NS6detail15normal_iteratorINS8_10device_ptrIiEEEESD_jNS1_19radix_merge_compareILb0ELb0EiNS0_19identity_decomposerEEEEE10hipError_tT0_T1_T2_jT3_P12ihipStream_tbPNSt15iterator_traitsISI_E10value_typeEPNSO_ISJ_E10value_typeEPSK_NS1_7vsmem_tEENKUlT_SI_SJ_SK_E_clIPiSD_S10_SD_EESH_SX_SI_SJ_SK_EUlSX_E_NS1_11comp_targetILNS1_3genE10ELNS1_11target_archE1201ELNS1_3gpuE5ELNS1_3repE0EEENS1_48merge_mergepath_partition_config_static_selectorELNS0_4arch9wavefront6targetE1EEEvSJ_.has_dyn_sized_stack, 0
	.set _ZN7rocprim17ROCPRIM_400000_NS6detail17trampoline_kernelINS0_14default_configENS1_38merge_sort_block_merge_config_selectorIiiEEZZNS1_27merge_sort_block_merge_implIS3_N6thrust23THRUST_200600_302600_NS6detail15normal_iteratorINS8_10device_ptrIiEEEESD_jNS1_19radix_merge_compareILb0ELb0EiNS0_19identity_decomposerEEEEE10hipError_tT0_T1_T2_jT3_P12ihipStream_tbPNSt15iterator_traitsISI_E10value_typeEPNSO_ISJ_E10value_typeEPSK_NS1_7vsmem_tEENKUlT_SI_SJ_SK_E_clIPiSD_S10_SD_EESH_SX_SI_SJ_SK_EUlSX_E_NS1_11comp_targetILNS1_3genE10ELNS1_11target_archE1201ELNS1_3gpuE5ELNS1_3repE0EEENS1_48merge_mergepath_partition_config_static_selectorELNS0_4arch9wavefront6targetE1EEEvSJ_.has_recursion, 0
	.set _ZN7rocprim17ROCPRIM_400000_NS6detail17trampoline_kernelINS0_14default_configENS1_38merge_sort_block_merge_config_selectorIiiEEZZNS1_27merge_sort_block_merge_implIS3_N6thrust23THRUST_200600_302600_NS6detail15normal_iteratorINS8_10device_ptrIiEEEESD_jNS1_19radix_merge_compareILb0ELb0EiNS0_19identity_decomposerEEEEE10hipError_tT0_T1_T2_jT3_P12ihipStream_tbPNSt15iterator_traitsISI_E10value_typeEPNSO_ISJ_E10value_typeEPSK_NS1_7vsmem_tEENKUlT_SI_SJ_SK_E_clIPiSD_S10_SD_EESH_SX_SI_SJ_SK_EUlSX_E_NS1_11comp_targetILNS1_3genE10ELNS1_11target_archE1201ELNS1_3gpuE5ELNS1_3repE0EEENS1_48merge_mergepath_partition_config_static_selectorELNS0_4arch9wavefront6targetE1EEEvSJ_.has_indirect_call, 0
	.section	.AMDGPU.csdata,"",@progbits
; Kernel info:
; codeLenInByte = 0
; TotalNumSgprs: 6
; NumVgprs: 0
; NumAgprs: 0
; TotalNumVgprs: 0
; ScratchSize: 0
; MemoryBound: 0
; FloatMode: 240
; IeeeMode: 1
; LDSByteSize: 0 bytes/workgroup (compile time only)
; SGPRBlocks: 0
; VGPRBlocks: 0
; NumSGPRsForWavesPerEU: 6
; NumVGPRsForWavesPerEU: 1
; AccumOffset: 4
; Occupancy: 8
; WaveLimiterHint : 0
; COMPUTE_PGM_RSRC2:SCRATCH_EN: 0
; COMPUTE_PGM_RSRC2:USER_SGPR: 2
; COMPUTE_PGM_RSRC2:TRAP_HANDLER: 0
; COMPUTE_PGM_RSRC2:TGID_X_EN: 1
; COMPUTE_PGM_RSRC2:TGID_Y_EN: 0
; COMPUTE_PGM_RSRC2:TGID_Z_EN: 0
; COMPUTE_PGM_RSRC2:TIDIG_COMP_CNT: 0
; COMPUTE_PGM_RSRC3_GFX90A:ACCUM_OFFSET: 0
; COMPUTE_PGM_RSRC3_GFX90A:TG_SPLIT: 0
	.section	.text._ZN7rocprim17ROCPRIM_400000_NS6detail17trampoline_kernelINS0_14default_configENS1_38merge_sort_block_merge_config_selectorIiiEEZZNS1_27merge_sort_block_merge_implIS3_N6thrust23THRUST_200600_302600_NS6detail15normal_iteratorINS8_10device_ptrIiEEEESD_jNS1_19radix_merge_compareILb0ELb0EiNS0_19identity_decomposerEEEEE10hipError_tT0_T1_T2_jT3_P12ihipStream_tbPNSt15iterator_traitsISI_E10value_typeEPNSO_ISJ_E10value_typeEPSK_NS1_7vsmem_tEENKUlT_SI_SJ_SK_E_clIPiSD_S10_SD_EESH_SX_SI_SJ_SK_EUlSX_E_NS1_11comp_targetILNS1_3genE5ELNS1_11target_archE942ELNS1_3gpuE9ELNS1_3repE0EEENS1_48merge_mergepath_partition_config_static_selectorELNS0_4arch9wavefront6targetE1EEEvSJ_,"axG",@progbits,_ZN7rocprim17ROCPRIM_400000_NS6detail17trampoline_kernelINS0_14default_configENS1_38merge_sort_block_merge_config_selectorIiiEEZZNS1_27merge_sort_block_merge_implIS3_N6thrust23THRUST_200600_302600_NS6detail15normal_iteratorINS8_10device_ptrIiEEEESD_jNS1_19radix_merge_compareILb0ELb0EiNS0_19identity_decomposerEEEEE10hipError_tT0_T1_T2_jT3_P12ihipStream_tbPNSt15iterator_traitsISI_E10value_typeEPNSO_ISJ_E10value_typeEPSK_NS1_7vsmem_tEENKUlT_SI_SJ_SK_E_clIPiSD_S10_SD_EESH_SX_SI_SJ_SK_EUlSX_E_NS1_11comp_targetILNS1_3genE5ELNS1_11target_archE942ELNS1_3gpuE9ELNS1_3repE0EEENS1_48merge_mergepath_partition_config_static_selectorELNS0_4arch9wavefront6targetE1EEEvSJ_,comdat
	.protected	_ZN7rocprim17ROCPRIM_400000_NS6detail17trampoline_kernelINS0_14default_configENS1_38merge_sort_block_merge_config_selectorIiiEEZZNS1_27merge_sort_block_merge_implIS3_N6thrust23THRUST_200600_302600_NS6detail15normal_iteratorINS8_10device_ptrIiEEEESD_jNS1_19radix_merge_compareILb0ELb0EiNS0_19identity_decomposerEEEEE10hipError_tT0_T1_T2_jT3_P12ihipStream_tbPNSt15iterator_traitsISI_E10value_typeEPNSO_ISJ_E10value_typeEPSK_NS1_7vsmem_tEENKUlT_SI_SJ_SK_E_clIPiSD_S10_SD_EESH_SX_SI_SJ_SK_EUlSX_E_NS1_11comp_targetILNS1_3genE5ELNS1_11target_archE942ELNS1_3gpuE9ELNS1_3repE0EEENS1_48merge_mergepath_partition_config_static_selectorELNS0_4arch9wavefront6targetE1EEEvSJ_ ; -- Begin function _ZN7rocprim17ROCPRIM_400000_NS6detail17trampoline_kernelINS0_14default_configENS1_38merge_sort_block_merge_config_selectorIiiEEZZNS1_27merge_sort_block_merge_implIS3_N6thrust23THRUST_200600_302600_NS6detail15normal_iteratorINS8_10device_ptrIiEEEESD_jNS1_19radix_merge_compareILb0ELb0EiNS0_19identity_decomposerEEEEE10hipError_tT0_T1_T2_jT3_P12ihipStream_tbPNSt15iterator_traitsISI_E10value_typeEPNSO_ISJ_E10value_typeEPSK_NS1_7vsmem_tEENKUlT_SI_SJ_SK_E_clIPiSD_S10_SD_EESH_SX_SI_SJ_SK_EUlSX_E_NS1_11comp_targetILNS1_3genE5ELNS1_11target_archE942ELNS1_3gpuE9ELNS1_3repE0EEENS1_48merge_mergepath_partition_config_static_selectorELNS0_4arch9wavefront6targetE1EEEvSJ_
	.globl	_ZN7rocprim17ROCPRIM_400000_NS6detail17trampoline_kernelINS0_14default_configENS1_38merge_sort_block_merge_config_selectorIiiEEZZNS1_27merge_sort_block_merge_implIS3_N6thrust23THRUST_200600_302600_NS6detail15normal_iteratorINS8_10device_ptrIiEEEESD_jNS1_19radix_merge_compareILb0ELb0EiNS0_19identity_decomposerEEEEE10hipError_tT0_T1_T2_jT3_P12ihipStream_tbPNSt15iterator_traitsISI_E10value_typeEPNSO_ISJ_E10value_typeEPSK_NS1_7vsmem_tEENKUlT_SI_SJ_SK_E_clIPiSD_S10_SD_EESH_SX_SI_SJ_SK_EUlSX_E_NS1_11comp_targetILNS1_3genE5ELNS1_11target_archE942ELNS1_3gpuE9ELNS1_3repE0EEENS1_48merge_mergepath_partition_config_static_selectorELNS0_4arch9wavefront6targetE1EEEvSJ_
	.p2align	8
	.type	_ZN7rocprim17ROCPRIM_400000_NS6detail17trampoline_kernelINS0_14default_configENS1_38merge_sort_block_merge_config_selectorIiiEEZZNS1_27merge_sort_block_merge_implIS3_N6thrust23THRUST_200600_302600_NS6detail15normal_iteratorINS8_10device_ptrIiEEEESD_jNS1_19radix_merge_compareILb0ELb0EiNS0_19identity_decomposerEEEEE10hipError_tT0_T1_T2_jT3_P12ihipStream_tbPNSt15iterator_traitsISI_E10value_typeEPNSO_ISJ_E10value_typeEPSK_NS1_7vsmem_tEENKUlT_SI_SJ_SK_E_clIPiSD_S10_SD_EESH_SX_SI_SJ_SK_EUlSX_E_NS1_11comp_targetILNS1_3genE5ELNS1_11target_archE942ELNS1_3gpuE9ELNS1_3repE0EEENS1_48merge_mergepath_partition_config_static_selectorELNS0_4arch9wavefront6targetE1EEEvSJ_,@function
_ZN7rocprim17ROCPRIM_400000_NS6detail17trampoline_kernelINS0_14default_configENS1_38merge_sort_block_merge_config_selectorIiiEEZZNS1_27merge_sort_block_merge_implIS3_N6thrust23THRUST_200600_302600_NS6detail15normal_iteratorINS8_10device_ptrIiEEEESD_jNS1_19radix_merge_compareILb0ELb0EiNS0_19identity_decomposerEEEEE10hipError_tT0_T1_T2_jT3_P12ihipStream_tbPNSt15iterator_traitsISI_E10value_typeEPNSO_ISJ_E10value_typeEPSK_NS1_7vsmem_tEENKUlT_SI_SJ_SK_E_clIPiSD_S10_SD_EESH_SX_SI_SJ_SK_EUlSX_E_NS1_11comp_targetILNS1_3genE5ELNS1_11target_archE942ELNS1_3gpuE9ELNS1_3repE0EEENS1_48merge_mergepath_partition_config_static_selectorELNS0_4arch9wavefront6targetE1EEEvSJ_: ; @_ZN7rocprim17ROCPRIM_400000_NS6detail17trampoline_kernelINS0_14default_configENS1_38merge_sort_block_merge_config_selectorIiiEEZZNS1_27merge_sort_block_merge_implIS3_N6thrust23THRUST_200600_302600_NS6detail15normal_iteratorINS8_10device_ptrIiEEEESD_jNS1_19radix_merge_compareILb0ELb0EiNS0_19identity_decomposerEEEEE10hipError_tT0_T1_T2_jT3_P12ihipStream_tbPNSt15iterator_traitsISI_E10value_typeEPNSO_ISJ_E10value_typeEPSK_NS1_7vsmem_tEENKUlT_SI_SJ_SK_E_clIPiSD_S10_SD_EESH_SX_SI_SJ_SK_EUlSX_E_NS1_11comp_targetILNS1_3genE5ELNS1_11target_archE942ELNS1_3gpuE9ELNS1_3repE0EEENS1_48merge_mergepath_partition_config_static_selectorELNS0_4arch9wavefront6targetE1EEEvSJ_
; %bb.0:
	.section	.rodata,"a",@progbits
	.p2align	6, 0x0
	.amdhsa_kernel _ZN7rocprim17ROCPRIM_400000_NS6detail17trampoline_kernelINS0_14default_configENS1_38merge_sort_block_merge_config_selectorIiiEEZZNS1_27merge_sort_block_merge_implIS3_N6thrust23THRUST_200600_302600_NS6detail15normal_iteratorINS8_10device_ptrIiEEEESD_jNS1_19radix_merge_compareILb0ELb0EiNS0_19identity_decomposerEEEEE10hipError_tT0_T1_T2_jT3_P12ihipStream_tbPNSt15iterator_traitsISI_E10value_typeEPNSO_ISJ_E10value_typeEPSK_NS1_7vsmem_tEENKUlT_SI_SJ_SK_E_clIPiSD_S10_SD_EESH_SX_SI_SJ_SK_EUlSX_E_NS1_11comp_targetILNS1_3genE5ELNS1_11target_archE942ELNS1_3gpuE9ELNS1_3repE0EEENS1_48merge_mergepath_partition_config_static_selectorELNS0_4arch9wavefront6targetE1EEEvSJ_
		.amdhsa_group_segment_fixed_size 0
		.amdhsa_private_segment_fixed_size 0
		.amdhsa_kernarg_size 40
		.amdhsa_user_sgpr_count 2
		.amdhsa_user_sgpr_dispatch_ptr 0
		.amdhsa_user_sgpr_queue_ptr 0
		.amdhsa_user_sgpr_kernarg_segment_ptr 1
		.amdhsa_user_sgpr_dispatch_id 0
		.amdhsa_user_sgpr_kernarg_preload_length 0
		.amdhsa_user_sgpr_kernarg_preload_offset 0
		.amdhsa_user_sgpr_private_segment_size 0
		.amdhsa_uses_dynamic_stack 0
		.amdhsa_enable_private_segment 0
		.amdhsa_system_sgpr_workgroup_id_x 1
		.amdhsa_system_sgpr_workgroup_id_y 0
		.amdhsa_system_sgpr_workgroup_id_z 0
		.amdhsa_system_sgpr_workgroup_info 0
		.amdhsa_system_vgpr_workitem_id 0
		.amdhsa_next_free_vgpr 1
		.amdhsa_next_free_sgpr 0
		.amdhsa_accum_offset 4
		.amdhsa_reserve_vcc 0
		.amdhsa_float_round_mode_32 0
		.amdhsa_float_round_mode_16_64 0
		.amdhsa_float_denorm_mode_32 3
		.amdhsa_float_denorm_mode_16_64 3
		.amdhsa_dx10_clamp 1
		.amdhsa_ieee_mode 1
		.amdhsa_fp16_overflow 0
		.amdhsa_tg_split 0
		.amdhsa_exception_fp_ieee_invalid_op 0
		.amdhsa_exception_fp_denorm_src 0
		.amdhsa_exception_fp_ieee_div_zero 0
		.amdhsa_exception_fp_ieee_overflow 0
		.amdhsa_exception_fp_ieee_underflow 0
		.amdhsa_exception_fp_ieee_inexact 0
		.amdhsa_exception_int_div_zero 0
	.end_amdhsa_kernel
	.section	.text._ZN7rocprim17ROCPRIM_400000_NS6detail17trampoline_kernelINS0_14default_configENS1_38merge_sort_block_merge_config_selectorIiiEEZZNS1_27merge_sort_block_merge_implIS3_N6thrust23THRUST_200600_302600_NS6detail15normal_iteratorINS8_10device_ptrIiEEEESD_jNS1_19radix_merge_compareILb0ELb0EiNS0_19identity_decomposerEEEEE10hipError_tT0_T1_T2_jT3_P12ihipStream_tbPNSt15iterator_traitsISI_E10value_typeEPNSO_ISJ_E10value_typeEPSK_NS1_7vsmem_tEENKUlT_SI_SJ_SK_E_clIPiSD_S10_SD_EESH_SX_SI_SJ_SK_EUlSX_E_NS1_11comp_targetILNS1_3genE5ELNS1_11target_archE942ELNS1_3gpuE9ELNS1_3repE0EEENS1_48merge_mergepath_partition_config_static_selectorELNS0_4arch9wavefront6targetE1EEEvSJ_,"axG",@progbits,_ZN7rocprim17ROCPRIM_400000_NS6detail17trampoline_kernelINS0_14default_configENS1_38merge_sort_block_merge_config_selectorIiiEEZZNS1_27merge_sort_block_merge_implIS3_N6thrust23THRUST_200600_302600_NS6detail15normal_iteratorINS8_10device_ptrIiEEEESD_jNS1_19radix_merge_compareILb0ELb0EiNS0_19identity_decomposerEEEEE10hipError_tT0_T1_T2_jT3_P12ihipStream_tbPNSt15iterator_traitsISI_E10value_typeEPNSO_ISJ_E10value_typeEPSK_NS1_7vsmem_tEENKUlT_SI_SJ_SK_E_clIPiSD_S10_SD_EESH_SX_SI_SJ_SK_EUlSX_E_NS1_11comp_targetILNS1_3genE5ELNS1_11target_archE942ELNS1_3gpuE9ELNS1_3repE0EEENS1_48merge_mergepath_partition_config_static_selectorELNS0_4arch9wavefront6targetE1EEEvSJ_,comdat
.Lfunc_end710:
	.size	_ZN7rocprim17ROCPRIM_400000_NS6detail17trampoline_kernelINS0_14default_configENS1_38merge_sort_block_merge_config_selectorIiiEEZZNS1_27merge_sort_block_merge_implIS3_N6thrust23THRUST_200600_302600_NS6detail15normal_iteratorINS8_10device_ptrIiEEEESD_jNS1_19radix_merge_compareILb0ELb0EiNS0_19identity_decomposerEEEEE10hipError_tT0_T1_T2_jT3_P12ihipStream_tbPNSt15iterator_traitsISI_E10value_typeEPNSO_ISJ_E10value_typeEPSK_NS1_7vsmem_tEENKUlT_SI_SJ_SK_E_clIPiSD_S10_SD_EESH_SX_SI_SJ_SK_EUlSX_E_NS1_11comp_targetILNS1_3genE5ELNS1_11target_archE942ELNS1_3gpuE9ELNS1_3repE0EEENS1_48merge_mergepath_partition_config_static_selectorELNS0_4arch9wavefront6targetE1EEEvSJ_, .Lfunc_end710-_ZN7rocprim17ROCPRIM_400000_NS6detail17trampoline_kernelINS0_14default_configENS1_38merge_sort_block_merge_config_selectorIiiEEZZNS1_27merge_sort_block_merge_implIS3_N6thrust23THRUST_200600_302600_NS6detail15normal_iteratorINS8_10device_ptrIiEEEESD_jNS1_19radix_merge_compareILb0ELb0EiNS0_19identity_decomposerEEEEE10hipError_tT0_T1_T2_jT3_P12ihipStream_tbPNSt15iterator_traitsISI_E10value_typeEPNSO_ISJ_E10value_typeEPSK_NS1_7vsmem_tEENKUlT_SI_SJ_SK_E_clIPiSD_S10_SD_EESH_SX_SI_SJ_SK_EUlSX_E_NS1_11comp_targetILNS1_3genE5ELNS1_11target_archE942ELNS1_3gpuE9ELNS1_3repE0EEENS1_48merge_mergepath_partition_config_static_selectorELNS0_4arch9wavefront6targetE1EEEvSJ_
                                        ; -- End function
	.set _ZN7rocprim17ROCPRIM_400000_NS6detail17trampoline_kernelINS0_14default_configENS1_38merge_sort_block_merge_config_selectorIiiEEZZNS1_27merge_sort_block_merge_implIS3_N6thrust23THRUST_200600_302600_NS6detail15normal_iteratorINS8_10device_ptrIiEEEESD_jNS1_19radix_merge_compareILb0ELb0EiNS0_19identity_decomposerEEEEE10hipError_tT0_T1_T2_jT3_P12ihipStream_tbPNSt15iterator_traitsISI_E10value_typeEPNSO_ISJ_E10value_typeEPSK_NS1_7vsmem_tEENKUlT_SI_SJ_SK_E_clIPiSD_S10_SD_EESH_SX_SI_SJ_SK_EUlSX_E_NS1_11comp_targetILNS1_3genE5ELNS1_11target_archE942ELNS1_3gpuE9ELNS1_3repE0EEENS1_48merge_mergepath_partition_config_static_selectorELNS0_4arch9wavefront6targetE1EEEvSJ_.num_vgpr, 0
	.set _ZN7rocprim17ROCPRIM_400000_NS6detail17trampoline_kernelINS0_14default_configENS1_38merge_sort_block_merge_config_selectorIiiEEZZNS1_27merge_sort_block_merge_implIS3_N6thrust23THRUST_200600_302600_NS6detail15normal_iteratorINS8_10device_ptrIiEEEESD_jNS1_19radix_merge_compareILb0ELb0EiNS0_19identity_decomposerEEEEE10hipError_tT0_T1_T2_jT3_P12ihipStream_tbPNSt15iterator_traitsISI_E10value_typeEPNSO_ISJ_E10value_typeEPSK_NS1_7vsmem_tEENKUlT_SI_SJ_SK_E_clIPiSD_S10_SD_EESH_SX_SI_SJ_SK_EUlSX_E_NS1_11comp_targetILNS1_3genE5ELNS1_11target_archE942ELNS1_3gpuE9ELNS1_3repE0EEENS1_48merge_mergepath_partition_config_static_selectorELNS0_4arch9wavefront6targetE1EEEvSJ_.num_agpr, 0
	.set _ZN7rocprim17ROCPRIM_400000_NS6detail17trampoline_kernelINS0_14default_configENS1_38merge_sort_block_merge_config_selectorIiiEEZZNS1_27merge_sort_block_merge_implIS3_N6thrust23THRUST_200600_302600_NS6detail15normal_iteratorINS8_10device_ptrIiEEEESD_jNS1_19radix_merge_compareILb0ELb0EiNS0_19identity_decomposerEEEEE10hipError_tT0_T1_T2_jT3_P12ihipStream_tbPNSt15iterator_traitsISI_E10value_typeEPNSO_ISJ_E10value_typeEPSK_NS1_7vsmem_tEENKUlT_SI_SJ_SK_E_clIPiSD_S10_SD_EESH_SX_SI_SJ_SK_EUlSX_E_NS1_11comp_targetILNS1_3genE5ELNS1_11target_archE942ELNS1_3gpuE9ELNS1_3repE0EEENS1_48merge_mergepath_partition_config_static_selectorELNS0_4arch9wavefront6targetE1EEEvSJ_.numbered_sgpr, 0
	.set _ZN7rocprim17ROCPRIM_400000_NS6detail17trampoline_kernelINS0_14default_configENS1_38merge_sort_block_merge_config_selectorIiiEEZZNS1_27merge_sort_block_merge_implIS3_N6thrust23THRUST_200600_302600_NS6detail15normal_iteratorINS8_10device_ptrIiEEEESD_jNS1_19radix_merge_compareILb0ELb0EiNS0_19identity_decomposerEEEEE10hipError_tT0_T1_T2_jT3_P12ihipStream_tbPNSt15iterator_traitsISI_E10value_typeEPNSO_ISJ_E10value_typeEPSK_NS1_7vsmem_tEENKUlT_SI_SJ_SK_E_clIPiSD_S10_SD_EESH_SX_SI_SJ_SK_EUlSX_E_NS1_11comp_targetILNS1_3genE5ELNS1_11target_archE942ELNS1_3gpuE9ELNS1_3repE0EEENS1_48merge_mergepath_partition_config_static_selectorELNS0_4arch9wavefront6targetE1EEEvSJ_.num_named_barrier, 0
	.set _ZN7rocprim17ROCPRIM_400000_NS6detail17trampoline_kernelINS0_14default_configENS1_38merge_sort_block_merge_config_selectorIiiEEZZNS1_27merge_sort_block_merge_implIS3_N6thrust23THRUST_200600_302600_NS6detail15normal_iteratorINS8_10device_ptrIiEEEESD_jNS1_19radix_merge_compareILb0ELb0EiNS0_19identity_decomposerEEEEE10hipError_tT0_T1_T2_jT3_P12ihipStream_tbPNSt15iterator_traitsISI_E10value_typeEPNSO_ISJ_E10value_typeEPSK_NS1_7vsmem_tEENKUlT_SI_SJ_SK_E_clIPiSD_S10_SD_EESH_SX_SI_SJ_SK_EUlSX_E_NS1_11comp_targetILNS1_3genE5ELNS1_11target_archE942ELNS1_3gpuE9ELNS1_3repE0EEENS1_48merge_mergepath_partition_config_static_selectorELNS0_4arch9wavefront6targetE1EEEvSJ_.private_seg_size, 0
	.set _ZN7rocprim17ROCPRIM_400000_NS6detail17trampoline_kernelINS0_14default_configENS1_38merge_sort_block_merge_config_selectorIiiEEZZNS1_27merge_sort_block_merge_implIS3_N6thrust23THRUST_200600_302600_NS6detail15normal_iteratorINS8_10device_ptrIiEEEESD_jNS1_19radix_merge_compareILb0ELb0EiNS0_19identity_decomposerEEEEE10hipError_tT0_T1_T2_jT3_P12ihipStream_tbPNSt15iterator_traitsISI_E10value_typeEPNSO_ISJ_E10value_typeEPSK_NS1_7vsmem_tEENKUlT_SI_SJ_SK_E_clIPiSD_S10_SD_EESH_SX_SI_SJ_SK_EUlSX_E_NS1_11comp_targetILNS1_3genE5ELNS1_11target_archE942ELNS1_3gpuE9ELNS1_3repE0EEENS1_48merge_mergepath_partition_config_static_selectorELNS0_4arch9wavefront6targetE1EEEvSJ_.uses_vcc, 0
	.set _ZN7rocprim17ROCPRIM_400000_NS6detail17trampoline_kernelINS0_14default_configENS1_38merge_sort_block_merge_config_selectorIiiEEZZNS1_27merge_sort_block_merge_implIS3_N6thrust23THRUST_200600_302600_NS6detail15normal_iteratorINS8_10device_ptrIiEEEESD_jNS1_19radix_merge_compareILb0ELb0EiNS0_19identity_decomposerEEEEE10hipError_tT0_T1_T2_jT3_P12ihipStream_tbPNSt15iterator_traitsISI_E10value_typeEPNSO_ISJ_E10value_typeEPSK_NS1_7vsmem_tEENKUlT_SI_SJ_SK_E_clIPiSD_S10_SD_EESH_SX_SI_SJ_SK_EUlSX_E_NS1_11comp_targetILNS1_3genE5ELNS1_11target_archE942ELNS1_3gpuE9ELNS1_3repE0EEENS1_48merge_mergepath_partition_config_static_selectorELNS0_4arch9wavefront6targetE1EEEvSJ_.uses_flat_scratch, 0
	.set _ZN7rocprim17ROCPRIM_400000_NS6detail17trampoline_kernelINS0_14default_configENS1_38merge_sort_block_merge_config_selectorIiiEEZZNS1_27merge_sort_block_merge_implIS3_N6thrust23THRUST_200600_302600_NS6detail15normal_iteratorINS8_10device_ptrIiEEEESD_jNS1_19radix_merge_compareILb0ELb0EiNS0_19identity_decomposerEEEEE10hipError_tT0_T1_T2_jT3_P12ihipStream_tbPNSt15iterator_traitsISI_E10value_typeEPNSO_ISJ_E10value_typeEPSK_NS1_7vsmem_tEENKUlT_SI_SJ_SK_E_clIPiSD_S10_SD_EESH_SX_SI_SJ_SK_EUlSX_E_NS1_11comp_targetILNS1_3genE5ELNS1_11target_archE942ELNS1_3gpuE9ELNS1_3repE0EEENS1_48merge_mergepath_partition_config_static_selectorELNS0_4arch9wavefront6targetE1EEEvSJ_.has_dyn_sized_stack, 0
	.set _ZN7rocprim17ROCPRIM_400000_NS6detail17trampoline_kernelINS0_14default_configENS1_38merge_sort_block_merge_config_selectorIiiEEZZNS1_27merge_sort_block_merge_implIS3_N6thrust23THRUST_200600_302600_NS6detail15normal_iteratorINS8_10device_ptrIiEEEESD_jNS1_19radix_merge_compareILb0ELb0EiNS0_19identity_decomposerEEEEE10hipError_tT0_T1_T2_jT3_P12ihipStream_tbPNSt15iterator_traitsISI_E10value_typeEPNSO_ISJ_E10value_typeEPSK_NS1_7vsmem_tEENKUlT_SI_SJ_SK_E_clIPiSD_S10_SD_EESH_SX_SI_SJ_SK_EUlSX_E_NS1_11comp_targetILNS1_3genE5ELNS1_11target_archE942ELNS1_3gpuE9ELNS1_3repE0EEENS1_48merge_mergepath_partition_config_static_selectorELNS0_4arch9wavefront6targetE1EEEvSJ_.has_recursion, 0
	.set _ZN7rocprim17ROCPRIM_400000_NS6detail17trampoline_kernelINS0_14default_configENS1_38merge_sort_block_merge_config_selectorIiiEEZZNS1_27merge_sort_block_merge_implIS3_N6thrust23THRUST_200600_302600_NS6detail15normal_iteratorINS8_10device_ptrIiEEEESD_jNS1_19radix_merge_compareILb0ELb0EiNS0_19identity_decomposerEEEEE10hipError_tT0_T1_T2_jT3_P12ihipStream_tbPNSt15iterator_traitsISI_E10value_typeEPNSO_ISJ_E10value_typeEPSK_NS1_7vsmem_tEENKUlT_SI_SJ_SK_E_clIPiSD_S10_SD_EESH_SX_SI_SJ_SK_EUlSX_E_NS1_11comp_targetILNS1_3genE5ELNS1_11target_archE942ELNS1_3gpuE9ELNS1_3repE0EEENS1_48merge_mergepath_partition_config_static_selectorELNS0_4arch9wavefront6targetE1EEEvSJ_.has_indirect_call, 0
	.section	.AMDGPU.csdata,"",@progbits
; Kernel info:
; codeLenInByte = 0
; TotalNumSgprs: 6
; NumVgprs: 0
; NumAgprs: 0
; TotalNumVgprs: 0
; ScratchSize: 0
; MemoryBound: 0
; FloatMode: 240
; IeeeMode: 1
; LDSByteSize: 0 bytes/workgroup (compile time only)
; SGPRBlocks: 0
; VGPRBlocks: 0
; NumSGPRsForWavesPerEU: 6
; NumVGPRsForWavesPerEU: 1
; AccumOffset: 4
; Occupancy: 8
; WaveLimiterHint : 0
; COMPUTE_PGM_RSRC2:SCRATCH_EN: 0
; COMPUTE_PGM_RSRC2:USER_SGPR: 2
; COMPUTE_PGM_RSRC2:TRAP_HANDLER: 0
; COMPUTE_PGM_RSRC2:TGID_X_EN: 1
; COMPUTE_PGM_RSRC2:TGID_Y_EN: 0
; COMPUTE_PGM_RSRC2:TGID_Z_EN: 0
; COMPUTE_PGM_RSRC2:TIDIG_COMP_CNT: 0
; COMPUTE_PGM_RSRC3_GFX90A:ACCUM_OFFSET: 0
; COMPUTE_PGM_RSRC3_GFX90A:TG_SPLIT: 0
	.section	.text._ZN7rocprim17ROCPRIM_400000_NS6detail17trampoline_kernelINS0_14default_configENS1_38merge_sort_block_merge_config_selectorIiiEEZZNS1_27merge_sort_block_merge_implIS3_N6thrust23THRUST_200600_302600_NS6detail15normal_iteratorINS8_10device_ptrIiEEEESD_jNS1_19radix_merge_compareILb0ELb0EiNS0_19identity_decomposerEEEEE10hipError_tT0_T1_T2_jT3_P12ihipStream_tbPNSt15iterator_traitsISI_E10value_typeEPNSO_ISJ_E10value_typeEPSK_NS1_7vsmem_tEENKUlT_SI_SJ_SK_E_clIPiSD_S10_SD_EESH_SX_SI_SJ_SK_EUlSX_E_NS1_11comp_targetILNS1_3genE4ELNS1_11target_archE910ELNS1_3gpuE8ELNS1_3repE0EEENS1_48merge_mergepath_partition_config_static_selectorELNS0_4arch9wavefront6targetE1EEEvSJ_,"axG",@progbits,_ZN7rocprim17ROCPRIM_400000_NS6detail17trampoline_kernelINS0_14default_configENS1_38merge_sort_block_merge_config_selectorIiiEEZZNS1_27merge_sort_block_merge_implIS3_N6thrust23THRUST_200600_302600_NS6detail15normal_iteratorINS8_10device_ptrIiEEEESD_jNS1_19radix_merge_compareILb0ELb0EiNS0_19identity_decomposerEEEEE10hipError_tT0_T1_T2_jT3_P12ihipStream_tbPNSt15iterator_traitsISI_E10value_typeEPNSO_ISJ_E10value_typeEPSK_NS1_7vsmem_tEENKUlT_SI_SJ_SK_E_clIPiSD_S10_SD_EESH_SX_SI_SJ_SK_EUlSX_E_NS1_11comp_targetILNS1_3genE4ELNS1_11target_archE910ELNS1_3gpuE8ELNS1_3repE0EEENS1_48merge_mergepath_partition_config_static_selectorELNS0_4arch9wavefront6targetE1EEEvSJ_,comdat
	.protected	_ZN7rocprim17ROCPRIM_400000_NS6detail17trampoline_kernelINS0_14default_configENS1_38merge_sort_block_merge_config_selectorIiiEEZZNS1_27merge_sort_block_merge_implIS3_N6thrust23THRUST_200600_302600_NS6detail15normal_iteratorINS8_10device_ptrIiEEEESD_jNS1_19radix_merge_compareILb0ELb0EiNS0_19identity_decomposerEEEEE10hipError_tT0_T1_T2_jT3_P12ihipStream_tbPNSt15iterator_traitsISI_E10value_typeEPNSO_ISJ_E10value_typeEPSK_NS1_7vsmem_tEENKUlT_SI_SJ_SK_E_clIPiSD_S10_SD_EESH_SX_SI_SJ_SK_EUlSX_E_NS1_11comp_targetILNS1_3genE4ELNS1_11target_archE910ELNS1_3gpuE8ELNS1_3repE0EEENS1_48merge_mergepath_partition_config_static_selectorELNS0_4arch9wavefront6targetE1EEEvSJ_ ; -- Begin function _ZN7rocprim17ROCPRIM_400000_NS6detail17trampoline_kernelINS0_14default_configENS1_38merge_sort_block_merge_config_selectorIiiEEZZNS1_27merge_sort_block_merge_implIS3_N6thrust23THRUST_200600_302600_NS6detail15normal_iteratorINS8_10device_ptrIiEEEESD_jNS1_19radix_merge_compareILb0ELb0EiNS0_19identity_decomposerEEEEE10hipError_tT0_T1_T2_jT3_P12ihipStream_tbPNSt15iterator_traitsISI_E10value_typeEPNSO_ISJ_E10value_typeEPSK_NS1_7vsmem_tEENKUlT_SI_SJ_SK_E_clIPiSD_S10_SD_EESH_SX_SI_SJ_SK_EUlSX_E_NS1_11comp_targetILNS1_3genE4ELNS1_11target_archE910ELNS1_3gpuE8ELNS1_3repE0EEENS1_48merge_mergepath_partition_config_static_selectorELNS0_4arch9wavefront6targetE1EEEvSJ_
	.globl	_ZN7rocprim17ROCPRIM_400000_NS6detail17trampoline_kernelINS0_14default_configENS1_38merge_sort_block_merge_config_selectorIiiEEZZNS1_27merge_sort_block_merge_implIS3_N6thrust23THRUST_200600_302600_NS6detail15normal_iteratorINS8_10device_ptrIiEEEESD_jNS1_19radix_merge_compareILb0ELb0EiNS0_19identity_decomposerEEEEE10hipError_tT0_T1_T2_jT3_P12ihipStream_tbPNSt15iterator_traitsISI_E10value_typeEPNSO_ISJ_E10value_typeEPSK_NS1_7vsmem_tEENKUlT_SI_SJ_SK_E_clIPiSD_S10_SD_EESH_SX_SI_SJ_SK_EUlSX_E_NS1_11comp_targetILNS1_3genE4ELNS1_11target_archE910ELNS1_3gpuE8ELNS1_3repE0EEENS1_48merge_mergepath_partition_config_static_selectorELNS0_4arch9wavefront6targetE1EEEvSJ_
	.p2align	8
	.type	_ZN7rocprim17ROCPRIM_400000_NS6detail17trampoline_kernelINS0_14default_configENS1_38merge_sort_block_merge_config_selectorIiiEEZZNS1_27merge_sort_block_merge_implIS3_N6thrust23THRUST_200600_302600_NS6detail15normal_iteratorINS8_10device_ptrIiEEEESD_jNS1_19radix_merge_compareILb0ELb0EiNS0_19identity_decomposerEEEEE10hipError_tT0_T1_T2_jT3_P12ihipStream_tbPNSt15iterator_traitsISI_E10value_typeEPNSO_ISJ_E10value_typeEPSK_NS1_7vsmem_tEENKUlT_SI_SJ_SK_E_clIPiSD_S10_SD_EESH_SX_SI_SJ_SK_EUlSX_E_NS1_11comp_targetILNS1_3genE4ELNS1_11target_archE910ELNS1_3gpuE8ELNS1_3repE0EEENS1_48merge_mergepath_partition_config_static_selectorELNS0_4arch9wavefront6targetE1EEEvSJ_,@function
_ZN7rocprim17ROCPRIM_400000_NS6detail17trampoline_kernelINS0_14default_configENS1_38merge_sort_block_merge_config_selectorIiiEEZZNS1_27merge_sort_block_merge_implIS3_N6thrust23THRUST_200600_302600_NS6detail15normal_iteratorINS8_10device_ptrIiEEEESD_jNS1_19radix_merge_compareILb0ELb0EiNS0_19identity_decomposerEEEEE10hipError_tT0_T1_T2_jT3_P12ihipStream_tbPNSt15iterator_traitsISI_E10value_typeEPNSO_ISJ_E10value_typeEPSK_NS1_7vsmem_tEENKUlT_SI_SJ_SK_E_clIPiSD_S10_SD_EESH_SX_SI_SJ_SK_EUlSX_E_NS1_11comp_targetILNS1_3genE4ELNS1_11target_archE910ELNS1_3gpuE8ELNS1_3repE0EEENS1_48merge_mergepath_partition_config_static_selectorELNS0_4arch9wavefront6targetE1EEEvSJ_: ; @_ZN7rocprim17ROCPRIM_400000_NS6detail17trampoline_kernelINS0_14default_configENS1_38merge_sort_block_merge_config_selectorIiiEEZZNS1_27merge_sort_block_merge_implIS3_N6thrust23THRUST_200600_302600_NS6detail15normal_iteratorINS8_10device_ptrIiEEEESD_jNS1_19radix_merge_compareILb0ELb0EiNS0_19identity_decomposerEEEEE10hipError_tT0_T1_T2_jT3_P12ihipStream_tbPNSt15iterator_traitsISI_E10value_typeEPNSO_ISJ_E10value_typeEPSK_NS1_7vsmem_tEENKUlT_SI_SJ_SK_E_clIPiSD_S10_SD_EESH_SX_SI_SJ_SK_EUlSX_E_NS1_11comp_targetILNS1_3genE4ELNS1_11target_archE910ELNS1_3gpuE8ELNS1_3repE0EEENS1_48merge_mergepath_partition_config_static_selectorELNS0_4arch9wavefront6targetE1EEEvSJ_
; %bb.0:
	.section	.rodata,"a",@progbits
	.p2align	6, 0x0
	.amdhsa_kernel _ZN7rocprim17ROCPRIM_400000_NS6detail17trampoline_kernelINS0_14default_configENS1_38merge_sort_block_merge_config_selectorIiiEEZZNS1_27merge_sort_block_merge_implIS3_N6thrust23THRUST_200600_302600_NS6detail15normal_iteratorINS8_10device_ptrIiEEEESD_jNS1_19radix_merge_compareILb0ELb0EiNS0_19identity_decomposerEEEEE10hipError_tT0_T1_T2_jT3_P12ihipStream_tbPNSt15iterator_traitsISI_E10value_typeEPNSO_ISJ_E10value_typeEPSK_NS1_7vsmem_tEENKUlT_SI_SJ_SK_E_clIPiSD_S10_SD_EESH_SX_SI_SJ_SK_EUlSX_E_NS1_11comp_targetILNS1_3genE4ELNS1_11target_archE910ELNS1_3gpuE8ELNS1_3repE0EEENS1_48merge_mergepath_partition_config_static_selectorELNS0_4arch9wavefront6targetE1EEEvSJ_
		.amdhsa_group_segment_fixed_size 0
		.amdhsa_private_segment_fixed_size 0
		.amdhsa_kernarg_size 40
		.amdhsa_user_sgpr_count 2
		.amdhsa_user_sgpr_dispatch_ptr 0
		.amdhsa_user_sgpr_queue_ptr 0
		.amdhsa_user_sgpr_kernarg_segment_ptr 1
		.amdhsa_user_sgpr_dispatch_id 0
		.amdhsa_user_sgpr_kernarg_preload_length 0
		.amdhsa_user_sgpr_kernarg_preload_offset 0
		.amdhsa_user_sgpr_private_segment_size 0
		.amdhsa_uses_dynamic_stack 0
		.amdhsa_enable_private_segment 0
		.amdhsa_system_sgpr_workgroup_id_x 1
		.amdhsa_system_sgpr_workgroup_id_y 0
		.amdhsa_system_sgpr_workgroup_id_z 0
		.amdhsa_system_sgpr_workgroup_info 0
		.amdhsa_system_vgpr_workitem_id 0
		.amdhsa_next_free_vgpr 1
		.amdhsa_next_free_sgpr 0
		.amdhsa_accum_offset 4
		.amdhsa_reserve_vcc 0
		.amdhsa_float_round_mode_32 0
		.amdhsa_float_round_mode_16_64 0
		.amdhsa_float_denorm_mode_32 3
		.amdhsa_float_denorm_mode_16_64 3
		.amdhsa_dx10_clamp 1
		.amdhsa_ieee_mode 1
		.amdhsa_fp16_overflow 0
		.amdhsa_tg_split 0
		.amdhsa_exception_fp_ieee_invalid_op 0
		.amdhsa_exception_fp_denorm_src 0
		.amdhsa_exception_fp_ieee_div_zero 0
		.amdhsa_exception_fp_ieee_overflow 0
		.amdhsa_exception_fp_ieee_underflow 0
		.amdhsa_exception_fp_ieee_inexact 0
		.amdhsa_exception_int_div_zero 0
	.end_amdhsa_kernel
	.section	.text._ZN7rocprim17ROCPRIM_400000_NS6detail17trampoline_kernelINS0_14default_configENS1_38merge_sort_block_merge_config_selectorIiiEEZZNS1_27merge_sort_block_merge_implIS3_N6thrust23THRUST_200600_302600_NS6detail15normal_iteratorINS8_10device_ptrIiEEEESD_jNS1_19radix_merge_compareILb0ELb0EiNS0_19identity_decomposerEEEEE10hipError_tT0_T1_T2_jT3_P12ihipStream_tbPNSt15iterator_traitsISI_E10value_typeEPNSO_ISJ_E10value_typeEPSK_NS1_7vsmem_tEENKUlT_SI_SJ_SK_E_clIPiSD_S10_SD_EESH_SX_SI_SJ_SK_EUlSX_E_NS1_11comp_targetILNS1_3genE4ELNS1_11target_archE910ELNS1_3gpuE8ELNS1_3repE0EEENS1_48merge_mergepath_partition_config_static_selectorELNS0_4arch9wavefront6targetE1EEEvSJ_,"axG",@progbits,_ZN7rocprim17ROCPRIM_400000_NS6detail17trampoline_kernelINS0_14default_configENS1_38merge_sort_block_merge_config_selectorIiiEEZZNS1_27merge_sort_block_merge_implIS3_N6thrust23THRUST_200600_302600_NS6detail15normal_iteratorINS8_10device_ptrIiEEEESD_jNS1_19radix_merge_compareILb0ELb0EiNS0_19identity_decomposerEEEEE10hipError_tT0_T1_T2_jT3_P12ihipStream_tbPNSt15iterator_traitsISI_E10value_typeEPNSO_ISJ_E10value_typeEPSK_NS1_7vsmem_tEENKUlT_SI_SJ_SK_E_clIPiSD_S10_SD_EESH_SX_SI_SJ_SK_EUlSX_E_NS1_11comp_targetILNS1_3genE4ELNS1_11target_archE910ELNS1_3gpuE8ELNS1_3repE0EEENS1_48merge_mergepath_partition_config_static_selectorELNS0_4arch9wavefront6targetE1EEEvSJ_,comdat
.Lfunc_end711:
	.size	_ZN7rocprim17ROCPRIM_400000_NS6detail17trampoline_kernelINS0_14default_configENS1_38merge_sort_block_merge_config_selectorIiiEEZZNS1_27merge_sort_block_merge_implIS3_N6thrust23THRUST_200600_302600_NS6detail15normal_iteratorINS8_10device_ptrIiEEEESD_jNS1_19radix_merge_compareILb0ELb0EiNS0_19identity_decomposerEEEEE10hipError_tT0_T1_T2_jT3_P12ihipStream_tbPNSt15iterator_traitsISI_E10value_typeEPNSO_ISJ_E10value_typeEPSK_NS1_7vsmem_tEENKUlT_SI_SJ_SK_E_clIPiSD_S10_SD_EESH_SX_SI_SJ_SK_EUlSX_E_NS1_11comp_targetILNS1_3genE4ELNS1_11target_archE910ELNS1_3gpuE8ELNS1_3repE0EEENS1_48merge_mergepath_partition_config_static_selectorELNS0_4arch9wavefront6targetE1EEEvSJ_, .Lfunc_end711-_ZN7rocprim17ROCPRIM_400000_NS6detail17trampoline_kernelINS0_14default_configENS1_38merge_sort_block_merge_config_selectorIiiEEZZNS1_27merge_sort_block_merge_implIS3_N6thrust23THRUST_200600_302600_NS6detail15normal_iteratorINS8_10device_ptrIiEEEESD_jNS1_19radix_merge_compareILb0ELb0EiNS0_19identity_decomposerEEEEE10hipError_tT0_T1_T2_jT3_P12ihipStream_tbPNSt15iterator_traitsISI_E10value_typeEPNSO_ISJ_E10value_typeEPSK_NS1_7vsmem_tEENKUlT_SI_SJ_SK_E_clIPiSD_S10_SD_EESH_SX_SI_SJ_SK_EUlSX_E_NS1_11comp_targetILNS1_3genE4ELNS1_11target_archE910ELNS1_3gpuE8ELNS1_3repE0EEENS1_48merge_mergepath_partition_config_static_selectorELNS0_4arch9wavefront6targetE1EEEvSJ_
                                        ; -- End function
	.set _ZN7rocprim17ROCPRIM_400000_NS6detail17trampoline_kernelINS0_14default_configENS1_38merge_sort_block_merge_config_selectorIiiEEZZNS1_27merge_sort_block_merge_implIS3_N6thrust23THRUST_200600_302600_NS6detail15normal_iteratorINS8_10device_ptrIiEEEESD_jNS1_19radix_merge_compareILb0ELb0EiNS0_19identity_decomposerEEEEE10hipError_tT0_T1_T2_jT3_P12ihipStream_tbPNSt15iterator_traitsISI_E10value_typeEPNSO_ISJ_E10value_typeEPSK_NS1_7vsmem_tEENKUlT_SI_SJ_SK_E_clIPiSD_S10_SD_EESH_SX_SI_SJ_SK_EUlSX_E_NS1_11comp_targetILNS1_3genE4ELNS1_11target_archE910ELNS1_3gpuE8ELNS1_3repE0EEENS1_48merge_mergepath_partition_config_static_selectorELNS0_4arch9wavefront6targetE1EEEvSJ_.num_vgpr, 0
	.set _ZN7rocprim17ROCPRIM_400000_NS6detail17trampoline_kernelINS0_14default_configENS1_38merge_sort_block_merge_config_selectorIiiEEZZNS1_27merge_sort_block_merge_implIS3_N6thrust23THRUST_200600_302600_NS6detail15normal_iteratorINS8_10device_ptrIiEEEESD_jNS1_19radix_merge_compareILb0ELb0EiNS0_19identity_decomposerEEEEE10hipError_tT0_T1_T2_jT3_P12ihipStream_tbPNSt15iterator_traitsISI_E10value_typeEPNSO_ISJ_E10value_typeEPSK_NS1_7vsmem_tEENKUlT_SI_SJ_SK_E_clIPiSD_S10_SD_EESH_SX_SI_SJ_SK_EUlSX_E_NS1_11comp_targetILNS1_3genE4ELNS1_11target_archE910ELNS1_3gpuE8ELNS1_3repE0EEENS1_48merge_mergepath_partition_config_static_selectorELNS0_4arch9wavefront6targetE1EEEvSJ_.num_agpr, 0
	.set _ZN7rocprim17ROCPRIM_400000_NS6detail17trampoline_kernelINS0_14default_configENS1_38merge_sort_block_merge_config_selectorIiiEEZZNS1_27merge_sort_block_merge_implIS3_N6thrust23THRUST_200600_302600_NS6detail15normal_iteratorINS8_10device_ptrIiEEEESD_jNS1_19radix_merge_compareILb0ELb0EiNS0_19identity_decomposerEEEEE10hipError_tT0_T1_T2_jT3_P12ihipStream_tbPNSt15iterator_traitsISI_E10value_typeEPNSO_ISJ_E10value_typeEPSK_NS1_7vsmem_tEENKUlT_SI_SJ_SK_E_clIPiSD_S10_SD_EESH_SX_SI_SJ_SK_EUlSX_E_NS1_11comp_targetILNS1_3genE4ELNS1_11target_archE910ELNS1_3gpuE8ELNS1_3repE0EEENS1_48merge_mergepath_partition_config_static_selectorELNS0_4arch9wavefront6targetE1EEEvSJ_.numbered_sgpr, 0
	.set _ZN7rocprim17ROCPRIM_400000_NS6detail17trampoline_kernelINS0_14default_configENS1_38merge_sort_block_merge_config_selectorIiiEEZZNS1_27merge_sort_block_merge_implIS3_N6thrust23THRUST_200600_302600_NS6detail15normal_iteratorINS8_10device_ptrIiEEEESD_jNS1_19radix_merge_compareILb0ELb0EiNS0_19identity_decomposerEEEEE10hipError_tT0_T1_T2_jT3_P12ihipStream_tbPNSt15iterator_traitsISI_E10value_typeEPNSO_ISJ_E10value_typeEPSK_NS1_7vsmem_tEENKUlT_SI_SJ_SK_E_clIPiSD_S10_SD_EESH_SX_SI_SJ_SK_EUlSX_E_NS1_11comp_targetILNS1_3genE4ELNS1_11target_archE910ELNS1_3gpuE8ELNS1_3repE0EEENS1_48merge_mergepath_partition_config_static_selectorELNS0_4arch9wavefront6targetE1EEEvSJ_.num_named_barrier, 0
	.set _ZN7rocprim17ROCPRIM_400000_NS6detail17trampoline_kernelINS0_14default_configENS1_38merge_sort_block_merge_config_selectorIiiEEZZNS1_27merge_sort_block_merge_implIS3_N6thrust23THRUST_200600_302600_NS6detail15normal_iteratorINS8_10device_ptrIiEEEESD_jNS1_19radix_merge_compareILb0ELb0EiNS0_19identity_decomposerEEEEE10hipError_tT0_T1_T2_jT3_P12ihipStream_tbPNSt15iterator_traitsISI_E10value_typeEPNSO_ISJ_E10value_typeEPSK_NS1_7vsmem_tEENKUlT_SI_SJ_SK_E_clIPiSD_S10_SD_EESH_SX_SI_SJ_SK_EUlSX_E_NS1_11comp_targetILNS1_3genE4ELNS1_11target_archE910ELNS1_3gpuE8ELNS1_3repE0EEENS1_48merge_mergepath_partition_config_static_selectorELNS0_4arch9wavefront6targetE1EEEvSJ_.private_seg_size, 0
	.set _ZN7rocprim17ROCPRIM_400000_NS6detail17trampoline_kernelINS0_14default_configENS1_38merge_sort_block_merge_config_selectorIiiEEZZNS1_27merge_sort_block_merge_implIS3_N6thrust23THRUST_200600_302600_NS6detail15normal_iteratorINS8_10device_ptrIiEEEESD_jNS1_19radix_merge_compareILb0ELb0EiNS0_19identity_decomposerEEEEE10hipError_tT0_T1_T2_jT3_P12ihipStream_tbPNSt15iterator_traitsISI_E10value_typeEPNSO_ISJ_E10value_typeEPSK_NS1_7vsmem_tEENKUlT_SI_SJ_SK_E_clIPiSD_S10_SD_EESH_SX_SI_SJ_SK_EUlSX_E_NS1_11comp_targetILNS1_3genE4ELNS1_11target_archE910ELNS1_3gpuE8ELNS1_3repE0EEENS1_48merge_mergepath_partition_config_static_selectorELNS0_4arch9wavefront6targetE1EEEvSJ_.uses_vcc, 0
	.set _ZN7rocprim17ROCPRIM_400000_NS6detail17trampoline_kernelINS0_14default_configENS1_38merge_sort_block_merge_config_selectorIiiEEZZNS1_27merge_sort_block_merge_implIS3_N6thrust23THRUST_200600_302600_NS6detail15normal_iteratorINS8_10device_ptrIiEEEESD_jNS1_19radix_merge_compareILb0ELb0EiNS0_19identity_decomposerEEEEE10hipError_tT0_T1_T2_jT3_P12ihipStream_tbPNSt15iterator_traitsISI_E10value_typeEPNSO_ISJ_E10value_typeEPSK_NS1_7vsmem_tEENKUlT_SI_SJ_SK_E_clIPiSD_S10_SD_EESH_SX_SI_SJ_SK_EUlSX_E_NS1_11comp_targetILNS1_3genE4ELNS1_11target_archE910ELNS1_3gpuE8ELNS1_3repE0EEENS1_48merge_mergepath_partition_config_static_selectorELNS0_4arch9wavefront6targetE1EEEvSJ_.uses_flat_scratch, 0
	.set _ZN7rocprim17ROCPRIM_400000_NS6detail17trampoline_kernelINS0_14default_configENS1_38merge_sort_block_merge_config_selectorIiiEEZZNS1_27merge_sort_block_merge_implIS3_N6thrust23THRUST_200600_302600_NS6detail15normal_iteratorINS8_10device_ptrIiEEEESD_jNS1_19radix_merge_compareILb0ELb0EiNS0_19identity_decomposerEEEEE10hipError_tT0_T1_T2_jT3_P12ihipStream_tbPNSt15iterator_traitsISI_E10value_typeEPNSO_ISJ_E10value_typeEPSK_NS1_7vsmem_tEENKUlT_SI_SJ_SK_E_clIPiSD_S10_SD_EESH_SX_SI_SJ_SK_EUlSX_E_NS1_11comp_targetILNS1_3genE4ELNS1_11target_archE910ELNS1_3gpuE8ELNS1_3repE0EEENS1_48merge_mergepath_partition_config_static_selectorELNS0_4arch9wavefront6targetE1EEEvSJ_.has_dyn_sized_stack, 0
	.set _ZN7rocprim17ROCPRIM_400000_NS6detail17trampoline_kernelINS0_14default_configENS1_38merge_sort_block_merge_config_selectorIiiEEZZNS1_27merge_sort_block_merge_implIS3_N6thrust23THRUST_200600_302600_NS6detail15normal_iteratorINS8_10device_ptrIiEEEESD_jNS1_19radix_merge_compareILb0ELb0EiNS0_19identity_decomposerEEEEE10hipError_tT0_T1_T2_jT3_P12ihipStream_tbPNSt15iterator_traitsISI_E10value_typeEPNSO_ISJ_E10value_typeEPSK_NS1_7vsmem_tEENKUlT_SI_SJ_SK_E_clIPiSD_S10_SD_EESH_SX_SI_SJ_SK_EUlSX_E_NS1_11comp_targetILNS1_3genE4ELNS1_11target_archE910ELNS1_3gpuE8ELNS1_3repE0EEENS1_48merge_mergepath_partition_config_static_selectorELNS0_4arch9wavefront6targetE1EEEvSJ_.has_recursion, 0
	.set _ZN7rocprim17ROCPRIM_400000_NS6detail17trampoline_kernelINS0_14default_configENS1_38merge_sort_block_merge_config_selectorIiiEEZZNS1_27merge_sort_block_merge_implIS3_N6thrust23THRUST_200600_302600_NS6detail15normal_iteratorINS8_10device_ptrIiEEEESD_jNS1_19radix_merge_compareILb0ELb0EiNS0_19identity_decomposerEEEEE10hipError_tT0_T1_T2_jT3_P12ihipStream_tbPNSt15iterator_traitsISI_E10value_typeEPNSO_ISJ_E10value_typeEPSK_NS1_7vsmem_tEENKUlT_SI_SJ_SK_E_clIPiSD_S10_SD_EESH_SX_SI_SJ_SK_EUlSX_E_NS1_11comp_targetILNS1_3genE4ELNS1_11target_archE910ELNS1_3gpuE8ELNS1_3repE0EEENS1_48merge_mergepath_partition_config_static_selectorELNS0_4arch9wavefront6targetE1EEEvSJ_.has_indirect_call, 0
	.section	.AMDGPU.csdata,"",@progbits
; Kernel info:
; codeLenInByte = 0
; TotalNumSgprs: 6
; NumVgprs: 0
; NumAgprs: 0
; TotalNumVgprs: 0
; ScratchSize: 0
; MemoryBound: 0
; FloatMode: 240
; IeeeMode: 1
; LDSByteSize: 0 bytes/workgroup (compile time only)
; SGPRBlocks: 0
; VGPRBlocks: 0
; NumSGPRsForWavesPerEU: 6
; NumVGPRsForWavesPerEU: 1
; AccumOffset: 4
; Occupancy: 8
; WaveLimiterHint : 0
; COMPUTE_PGM_RSRC2:SCRATCH_EN: 0
; COMPUTE_PGM_RSRC2:USER_SGPR: 2
; COMPUTE_PGM_RSRC2:TRAP_HANDLER: 0
; COMPUTE_PGM_RSRC2:TGID_X_EN: 1
; COMPUTE_PGM_RSRC2:TGID_Y_EN: 0
; COMPUTE_PGM_RSRC2:TGID_Z_EN: 0
; COMPUTE_PGM_RSRC2:TIDIG_COMP_CNT: 0
; COMPUTE_PGM_RSRC3_GFX90A:ACCUM_OFFSET: 0
; COMPUTE_PGM_RSRC3_GFX90A:TG_SPLIT: 0
	.section	.text._ZN7rocprim17ROCPRIM_400000_NS6detail17trampoline_kernelINS0_14default_configENS1_38merge_sort_block_merge_config_selectorIiiEEZZNS1_27merge_sort_block_merge_implIS3_N6thrust23THRUST_200600_302600_NS6detail15normal_iteratorINS8_10device_ptrIiEEEESD_jNS1_19radix_merge_compareILb0ELb0EiNS0_19identity_decomposerEEEEE10hipError_tT0_T1_T2_jT3_P12ihipStream_tbPNSt15iterator_traitsISI_E10value_typeEPNSO_ISJ_E10value_typeEPSK_NS1_7vsmem_tEENKUlT_SI_SJ_SK_E_clIPiSD_S10_SD_EESH_SX_SI_SJ_SK_EUlSX_E_NS1_11comp_targetILNS1_3genE3ELNS1_11target_archE908ELNS1_3gpuE7ELNS1_3repE0EEENS1_48merge_mergepath_partition_config_static_selectorELNS0_4arch9wavefront6targetE1EEEvSJ_,"axG",@progbits,_ZN7rocprim17ROCPRIM_400000_NS6detail17trampoline_kernelINS0_14default_configENS1_38merge_sort_block_merge_config_selectorIiiEEZZNS1_27merge_sort_block_merge_implIS3_N6thrust23THRUST_200600_302600_NS6detail15normal_iteratorINS8_10device_ptrIiEEEESD_jNS1_19radix_merge_compareILb0ELb0EiNS0_19identity_decomposerEEEEE10hipError_tT0_T1_T2_jT3_P12ihipStream_tbPNSt15iterator_traitsISI_E10value_typeEPNSO_ISJ_E10value_typeEPSK_NS1_7vsmem_tEENKUlT_SI_SJ_SK_E_clIPiSD_S10_SD_EESH_SX_SI_SJ_SK_EUlSX_E_NS1_11comp_targetILNS1_3genE3ELNS1_11target_archE908ELNS1_3gpuE7ELNS1_3repE0EEENS1_48merge_mergepath_partition_config_static_selectorELNS0_4arch9wavefront6targetE1EEEvSJ_,comdat
	.protected	_ZN7rocprim17ROCPRIM_400000_NS6detail17trampoline_kernelINS0_14default_configENS1_38merge_sort_block_merge_config_selectorIiiEEZZNS1_27merge_sort_block_merge_implIS3_N6thrust23THRUST_200600_302600_NS6detail15normal_iteratorINS8_10device_ptrIiEEEESD_jNS1_19radix_merge_compareILb0ELb0EiNS0_19identity_decomposerEEEEE10hipError_tT0_T1_T2_jT3_P12ihipStream_tbPNSt15iterator_traitsISI_E10value_typeEPNSO_ISJ_E10value_typeEPSK_NS1_7vsmem_tEENKUlT_SI_SJ_SK_E_clIPiSD_S10_SD_EESH_SX_SI_SJ_SK_EUlSX_E_NS1_11comp_targetILNS1_3genE3ELNS1_11target_archE908ELNS1_3gpuE7ELNS1_3repE0EEENS1_48merge_mergepath_partition_config_static_selectorELNS0_4arch9wavefront6targetE1EEEvSJ_ ; -- Begin function _ZN7rocprim17ROCPRIM_400000_NS6detail17trampoline_kernelINS0_14default_configENS1_38merge_sort_block_merge_config_selectorIiiEEZZNS1_27merge_sort_block_merge_implIS3_N6thrust23THRUST_200600_302600_NS6detail15normal_iteratorINS8_10device_ptrIiEEEESD_jNS1_19radix_merge_compareILb0ELb0EiNS0_19identity_decomposerEEEEE10hipError_tT0_T1_T2_jT3_P12ihipStream_tbPNSt15iterator_traitsISI_E10value_typeEPNSO_ISJ_E10value_typeEPSK_NS1_7vsmem_tEENKUlT_SI_SJ_SK_E_clIPiSD_S10_SD_EESH_SX_SI_SJ_SK_EUlSX_E_NS1_11comp_targetILNS1_3genE3ELNS1_11target_archE908ELNS1_3gpuE7ELNS1_3repE0EEENS1_48merge_mergepath_partition_config_static_selectorELNS0_4arch9wavefront6targetE1EEEvSJ_
	.globl	_ZN7rocprim17ROCPRIM_400000_NS6detail17trampoline_kernelINS0_14default_configENS1_38merge_sort_block_merge_config_selectorIiiEEZZNS1_27merge_sort_block_merge_implIS3_N6thrust23THRUST_200600_302600_NS6detail15normal_iteratorINS8_10device_ptrIiEEEESD_jNS1_19radix_merge_compareILb0ELb0EiNS0_19identity_decomposerEEEEE10hipError_tT0_T1_T2_jT3_P12ihipStream_tbPNSt15iterator_traitsISI_E10value_typeEPNSO_ISJ_E10value_typeEPSK_NS1_7vsmem_tEENKUlT_SI_SJ_SK_E_clIPiSD_S10_SD_EESH_SX_SI_SJ_SK_EUlSX_E_NS1_11comp_targetILNS1_3genE3ELNS1_11target_archE908ELNS1_3gpuE7ELNS1_3repE0EEENS1_48merge_mergepath_partition_config_static_selectorELNS0_4arch9wavefront6targetE1EEEvSJ_
	.p2align	8
	.type	_ZN7rocprim17ROCPRIM_400000_NS6detail17trampoline_kernelINS0_14default_configENS1_38merge_sort_block_merge_config_selectorIiiEEZZNS1_27merge_sort_block_merge_implIS3_N6thrust23THRUST_200600_302600_NS6detail15normal_iteratorINS8_10device_ptrIiEEEESD_jNS1_19radix_merge_compareILb0ELb0EiNS0_19identity_decomposerEEEEE10hipError_tT0_T1_T2_jT3_P12ihipStream_tbPNSt15iterator_traitsISI_E10value_typeEPNSO_ISJ_E10value_typeEPSK_NS1_7vsmem_tEENKUlT_SI_SJ_SK_E_clIPiSD_S10_SD_EESH_SX_SI_SJ_SK_EUlSX_E_NS1_11comp_targetILNS1_3genE3ELNS1_11target_archE908ELNS1_3gpuE7ELNS1_3repE0EEENS1_48merge_mergepath_partition_config_static_selectorELNS0_4arch9wavefront6targetE1EEEvSJ_,@function
_ZN7rocprim17ROCPRIM_400000_NS6detail17trampoline_kernelINS0_14default_configENS1_38merge_sort_block_merge_config_selectorIiiEEZZNS1_27merge_sort_block_merge_implIS3_N6thrust23THRUST_200600_302600_NS6detail15normal_iteratorINS8_10device_ptrIiEEEESD_jNS1_19radix_merge_compareILb0ELb0EiNS0_19identity_decomposerEEEEE10hipError_tT0_T1_T2_jT3_P12ihipStream_tbPNSt15iterator_traitsISI_E10value_typeEPNSO_ISJ_E10value_typeEPSK_NS1_7vsmem_tEENKUlT_SI_SJ_SK_E_clIPiSD_S10_SD_EESH_SX_SI_SJ_SK_EUlSX_E_NS1_11comp_targetILNS1_3genE3ELNS1_11target_archE908ELNS1_3gpuE7ELNS1_3repE0EEENS1_48merge_mergepath_partition_config_static_selectorELNS0_4arch9wavefront6targetE1EEEvSJ_: ; @_ZN7rocprim17ROCPRIM_400000_NS6detail17trampoline_kernelINS0_14default_configENS1_38merge_sort_block_merge_config_selectorIiiEEZZNS1_27merge_sort_block_merge_implIS3_N6thrust23THRUST_200600_302600_NS6detail15normal_iteratorINS8_10device_ptrIiEEEESD_jNS1_19radix_merge_compareILb0ELb0EiNS0_19identity_decomposerEEEEE10hipError_tT0_T1_T2_jT3_P12ihipStream_tbPNSt15iterator_traitsISI_E10value_typeEPNSO_ISJ_E10value_typeEPSK_NS1_7vsmem_tEENKUlT_SI_SJ_SK_E_clIPiSD_S10_SD_EESH_SX_SI_SJ_SK_EUlSX_E_NS1_11comp_targetILNS1_3genE3ELNS1_11target_archE908ELNS1_3gpuE7ELNS1_3repE0EEENS1_48merge_mergepath_partition_config_static_selectorELNS0_4arch9wavefront6targetE1EEEvSJ_
; %bb.0:
	.section	.rodata,"a",@progbits
	.p2align	6, 0x0
	.amdhsa_kernel _ZN7rocprim17ROCPRIM_400000_NS6detail17trampoline_kernelINS0_14default_configENS1_38merge_sort_block_merge_config_selectorIiiEEZZNS1_27merge_sort_block_merge_implIS3_N6thrust23THRUST_200600_302600_NS6detail15normal_iteratorINS8_10device_ptrIiEEEESD_jNS1_19radix_merge_compareILb0ELb0EiNS0_19identity_decomposerEEEEE10hipError_tT0_T1_T2_jT3_P12ihipStream_tbPNSt15iterator_traitsISI_E10value_typeEPNSO_ISJ_E10value_typeEPSK_NS1_7vsmem_tEENKUlT_SI_SJ_SK_E_clIPiSD_S10_SD_EESH_SX_SI_SJ_SK_EUlSX_E_NS1_11comp_targetILNS1_3genE3ELNS1_11target_archE908ELNS1_3gpuE7ELNS1_3repE0EEENS1_48merge_mergepath_partition_config_static_selectorELNS0_4arch9wavefront6targetE1EEEvSJ_
		.amdhsa_group_segment_fixed_size 0
		.amdhsa_private_segment_fixed_size 0
		.amdhsa_kernarg_size 40
		.amdhsa_user_sgpr_count 2
		.amdhsa_user_sgpr_dispatch_ptr 0
		.amdhsa_user_sgpr_queue_ptr 0
		.amdhsa_user_sgpr_kernarg_segment_ptr 1
		.amdhsa_user_sgpr_dispatch_id 0
		.amdhsa_user_sgpr_kernarg_preload_length 0
		.amdhsa_user_sgpr_kernarg_preload_offset 0
		.amdhsa_user_sgpr_private_segment_size 0
		.amdhsa_uses_dynamic_stack 0
		.amdhsa_enable_private_segment 0
		.amdhsa_system_sgpr_workgroup_id_x 1
		.amdhsa_system_sgpr_workgroup_id_y 0
		.amdhsa_system_sgpr_workgroup_id_z 0
		.amdhsa_system_sgpr_workgroup_info 0
		.amdhsa_system_vgpr_workitem_id 0
		.amdhsa_next_free_vgpr 1
		.amdhsa_next_free_sgpr 0
		.amdhsa_accum_offset 4
		.amdhsa_reserve_vcc 0
		.amdhsa_float_round_mode_32 0
		.amdhsa_float_round_mode_16_64 0
		.amdhsa_float_denorm_mode_32 3
		.amdhsa_float_denorm_mode_16_64 3
		.amdhsa_dx10_clamp 1
		.amdhsa_ieee_mode 1
		.amdhsa_fp16_overflow 0
		.amdhsa_tg_split 0
		.amdhsa_exception_fp_ieee_invalid_op 0
		.amdhsa_exception_fp_denorm_src 0
		.amdhsa_exception_fp_ieee_div_zero 0
		.amdhsa_exception_fp_ieee_overflow 0
		.amdhsa_exception_fp_ieee_underflow 0
		.amdhsa_exception_fp_ieee_inexact 0
		.amdhsa_exception_int_div_zero 0
	.end_amdhsa_kernel
	.section	.text._ZN7rocprim17ROCPRIM_400000_NS6detail17trampoline_kernelINS0_14default_configENS1_38merge_sort_block_merge_config_selectorIiiEEZZNS1_27merge_sort_block_merge_implIS3_N6thrust23THRUST_200600_302600_NS6detail15normal_iteratorINS8_10device_ptrIiEEEESD_jNS1_19radix_merge_compareILb0ELb0EiNS0_19identity_decomposerEEEEE10hipError_tT0_T1_T2_jT3_P12ihipStream_tbPNSt15iterator_traitsISI_E10value_typeEPNSO_ISJ_E10value_typeEPSK_NS1_7vsmem_tEENKUlT_SI_SJ_SK_E_clIPiSD_S10_SD_EESH_SX_SI_SJ_SK_EUlSX_E_NS1_11comp_targetILNS1_3genE3ELNS1_11target_archE908ELNS1_3gpuE7ELNS1_3repE0EEENS1_48merge_mergepath_partition_config_static_selectorELNS0_4arch9wavefront6targetE1EEEvSJ_,"axG",@progbits,_ZN7rocprim17ROCPRIM_400000_NS6detail17trampoline_kernelINS0_14default_configENS1_38merge_sort_block_merge_config_selectorIiiEEZZNS1_27merge_sort_block_merge_implIS3_N6thrust23THRUST_200600_302600_NS6detail15normal_iteratorINS8_10device_ptrIiEEEESD_jNS1_19radix_merge_compareILb0ELb0EiNS0_19identity_decomposerEEEEE10hipError_tT0_T1_T2_jT3_P12ihipStream_tbPNSt15iterator_traitsISI_E10value_typeEPNSO_ISJ_E10value_typeEPSK_NS1_7vsmem_tEENKUlT_SI_SJ_SK_E_clIPiSD_S10_SD_EESH_SX_SI_SJ_SK_EUlSX_E_NS1_11comp_targetILNS1_3genE3ELNS1_11target_archE908ELNS1_3gpuE7ELNS1_3repE0EEENS1_48merge_mergepath_partition_config_static_selectorELNS0_4arch9wavefront6targetE1EEEvSJ_,comdat
.Lfunc_end712:
	.size	_ZN7rocprim17ROCPRIM_400000_NS6detail17trampoline_kernelINS0_14default_configENS1_38merge_sort_block_merge_config_selectorIiiEEZZNS1_27merge_sort_block_merge_implIS3_N6thrust23THRUST_200600_302600_NS6detail15normal_iteratorINS8_10device_ptrIiEEEESD_jNS1_19radix_merge_compareILb0ELb0EiNS0_19identity_decomposerEEEEE10hipError_tT0_T1_T2_jT3_P12ihipStream_tbPNSt15iterator_traitsISI_E10value_typeEPNSO_ISJ_E10value_typeEPSK_NS1_7vsmem_tEENKUlT_SI_SJ_SK_E_clIPiSD_S10_SD_EESH_SX_SI_SJ_SK_EUlSX_E_NS1_11comp_targetILNS1_3genE3ELNS1_11target_archE908ELNS1_3gpuE7ELNS1_3repE0EEENS1_48merge_mergepath_partition_config_static_selectorELNS0_4arch9wavefront6targetE1EEEvSJ_, .Lfunc_end712-_ZN7rocprim17ROCPRIM_400000_NS6detail17trampoline_kernelINS0_14default_configENS1_38merge_sort_block_merge_config_selectorIiiEEZZNS1_27merge_sort_block_merge_implIS3_N6thrust23THRUST_200600_302600_NS6detail15normal_iteratorINS8_10device_ptrIiEEEESD_jNS1_19radix_merge_compareILb0ELb0EiNS0_19identity_decomposerEEEEE10hipError_tT0_T1_T2_jT3_P12ihipStream_tbPNSt15iterator_traitsISI_E10value_typeEPNSO_ISJ_E10value_typeEPSK_NS1_7vsmem_tEENKUlT_SI_SJ_SK_E_clIPiSD_S10_SD_EESH_SX_SI_SJ_SK_EUlSX_E_NS1_11comp_targetILNS1_3genE3ELNS1_11target_archE908ELNS1_3gpuE7ELNS1_3repE0EEENS1_48merge_mergepath_partition_config_static_selectorELNS0_4arch9wavefront6targetE1EEEvSJ_
                                        ; -- End function
	.set _ZN7rocprim17ROCPRIM_400000_NS6detail17trampoline_kernelINS0_14default_configENS1_38merge_sort_block_merge_config_selectorIiiEEZZNS1_27merge_sort_block_merge_implIS3_N6thrust23THRUST_200600_302600_NS6detail15normal_iteratorINS8_10device_ptrIiEEEESD_jNS1_19radix_merge_compareILb0ELb0EiNS0_19identity_decomposerEEEEE10hipError_tT0_T1_T2_jT3_P12ihipStream_tbPNSt15iterator_traitsISI_E10value_typeEPNSO_ISJ_E10value_typeEPSK_NS1_7vsmem_tEENKUlT_SI_SJ_SK_E_clIPiSD_S10_SD_EESH_SX_SI_SJ_SK_EUlSX_E_NS1_11comp_targetILNS1_3genE3ELNS1_11target_archE908ELNS1_3gpuE7ELNS1_3repE0EEENS1_48merge_mergepath_partition_config_static_selectorELNS0_4arch9wavefront6targetE1EEEvSJ_.num_vgpr, 0
	.set _ZN7rocprim17ROCPRIM_400000_NS6detail17trampoline_kernelINS0_14default_configENS1_38merge_sort_block_merge_config_selectorIiiEEZZNS1_27merge_sort_block_merge_implIS3_N6thrust23THRUST_200600_302600_NS6detail15normal_iteratorINS8_10device_ptrIiEEEESD_jNS1_19radix_merge_compareILb0ELb0EiNS0_19identity_decomposerEEEEE10hipError_tT0_T1_T2_jT3_P12ihipStream_tbPNSt15iterator_traitsISI_E10value_typeEPNSO_ISJ_E10value_typeEPSK_NS1_7vsmem_tEENKUlT_SI_SJ_SK_E_clIPiSD_S10_SD_EESH_SX_SI_SJ_SK_EUlSX_E_NS1_11comp_targetILNS1_3genE3ELNS1_11target_archE908ELNS1_3gpuE7ELNS1_3repE0EEENS1_48merge_mergepath_partition_config_static_selectorELNS0_4arch9wavefront6targetE1EEEvSJ_.num_agpr, 0
	.set _ZN7rocprim17ROCPRIM_400000_NS6detail17trampoline_kernelINS0_14default_configENS1_38merge_sort_block_merge_config_selectorIiiEEZZNS1_27merge_sort_block_merge_implIS3_N6thrust23THRUST_200600_302600_NS6detail15normal_iteratorINS8_10device_ptrIiEEEESD_jNS1_19radix_merge_compareILb0ELb0EiNS0_19identity_decomposerEEEEE10hipError_tT0_T1_T2_jT3_P12ihipStream_tbPNSt15iterator_traitsISI_E10value_typeEPNSO_ISJ_E10value_typeEPSK_NS1_7vsmem_tEENKUlT_SI_SJ_SK_E_clIPiSD_S10_SD_EESH_SX_SI_SJ_SK_EUlSX_E_NS1_11comp_targetILNS1_3genE3ELNS1_11target_archE908ELNS1_3gpuE7ELNS1_3repE0EEENS1_48merge_mergepath_partition_config_static_selectorELNS0_4arch9wavefront6targetE1EEEvSJ_.numbered_sgpr, 0
	.set _ZN7rocprim17ROCPRIM_400000_NS6detail17trampoline_kernelINS0_14default_configENS1_38merge_sort_block_merge_config_selectorIiiEEZZNS1_27merge_sort_block_merge_implIS3_N6thrust23THRUST_200600_302600_NS6detail15normal_iteratorINS8_10device_ptrIiEEEESD_jNS1_19radix_merge_compareILb0ELb0EiNS0_19identity_decomposerEEEEE10hipError_tT0_T1_T2_jT3_P12ihipStream_tbPNSt15iterator_traitsISI_E10value_typeEPNSO_ISJ_E10value_typeEPSK_NS1_7vsmem_tEENKUlT_SI_SJ_SK_E_clIPiSD_S10_SD_EESH_SX_SI_SJ_SK_EUlSX_E_NS1_11comp_targetILNS1_3genE3ELNS1_11target_archE908ELNS1_3gpuE7ELNS1_3repE0EEENS1_48merge_mergepath_partition_config_static_selectorELNS0_4arch9wavefront6targetE1EEEvSJ_.num_named_barrier, 0
	.set _ZN7rocprim17ROCPRIM_400000_NS6detail17trampoline_kernelINS0_14default_configENS1_38merge_sort_block_merge_config_selectorIiiEEZZNS1_27merge_sort_block_merge_implIS3_N6thrust23THRUST_200600_302600_NS6detail15normal_iteratorINS8_10device_ptrIiEEEESD_jNS1_19radix_merge_compareILb0ELb0EiNS0_19identity_decomposerEEEEE10hipError_tT0_T1_T2_jT3_P12ihipStream_tbPNSt15iterator_traitsISI_E10value_typeEPNSO_ISJ_E10value_typeEPSK_NS1_7vsmem_tEENKUlT_SI_SJ_SK_E_clIPiSD_S10_SD_EESH_SX_SI_SJ_SK_EUlSX_E_NS1_11comp_targetILNS1_3genE3ELNS1_11target_archE908ELNS1_3gpuE7ELNS1_3repE0EEENS1_48merge_mergepath_partition_config_static_selectorELNS0_4arch9wavefront6targetE1EEEvSJ_.private_seg_size, 0
	.set _ZN7rocprim17ROCPRIM_400000_NS6detail17trampoline_kernelINS0_14default_configENS1_38merge_sort_block_merge_config_selectorIiiEEZZNS1_27merge_sort_block_merge_implIS3_N6thrust23THRUST_200600_302600_NS6detail15normal_iteratorINS8_10device_ptrIiEEEESD_jNS1_19radix_merge_compareILb0ELb0EiNS0_19identity_decomposerEEEEE10hipError_tT0_T1_T2_jT3_P12ihipStream_tbPNSt15iterator_traitsISI_E10value_typeEPNSO_ISJ_E10value_typeEPSK_NS1_7vsmem_tEENKUlT_SI_SJ_SK_E_clIPiSD_S10_SD_EESH_SX_SI_SJ_SK_EUlSX_E_NS1_11comp_targetILNS1_3genE3ELNS1_11target_archE908ELNS1_3gpuE7ELNS1_3repE0EEENS1_48merge_mergepath_partition_config_static_selectorELNS0_4arch9wavefront6targetE1EEEvSJ_.uses_vcc, 0
	.set _ZN7rocprim17ROCPRIM_400000_NS6detail17trampoline_kernelINS0_14default_configENS1_38merge_sort_block_merge_config_selectorIiiEEZZNS1_27merge_sort_block_merge_implIS3_N6thrust23THRUST_200600_302600_NS6detail15normal_iteratorINS8_10device_ptrIiEEEESD_jNS1_19radix_merge_compareILb0ELb0EiNS0_19identity_decomposerEEEEE10hipError_tT0_T1_T2_jT3_P12ihipStream_tbPNSt15iterator_traitsISI_E10value_typeEPNSO_ISJ_E10value_typeEPSK_NS1_7vsmem_tEENKUlT_SI_SJ_SK_E_clIPiSD_S10_SD_EESH_SX_SI_SJ_SK_EUlSX_E_NS1_11comp_targetILNS1_3genE3ELNS1_11target_archE908ELNS1_3gpuE7ELNS1_3repE0EEENS1_48merge_mergepath_partition_config_static_selectorELNS0_4arch9wavefront6targetE1EEEvSJ_.uses_flat_scratch, 0
	.set _ZN7rocprim17ROCPRIM_400000_NS6detail17trampoline_kernelINS0_14default_configENS1_38merge_sort_block_merge_config_selectorIiiEEZZNS1_27merge_sort_block_merge_implIS3_N6thrust23THRUST_200600_302600_NS6detail15normal_iteratorINS8_10device_ptrIiEEEESD_jNS1_19radix_merge_compareILb0ELb0EiNS0_19identity_decomposerEEEEE10hipError_tT0_T1_T2_jT3_P12ihipStream_tbPNSt15iterator_traitsISI_E10value_typeEPNSO_ISJ_E10value_typeEPSK_NS1_7vsmem_tEENKUlT_SI_SJ_SK_E_clIPiSD_S10_SD_EESH_SX_SI_SJ_SK_EUlSX_E_NS1_11comp_targetILNS1_3genE3ELNS1_11target_archE908ELNS1_3gpuE7ELNS1_3repE0EEENS1_48merge_mergepath_partition_config_static_selectorELNS0_4arch9wavefront6targetE1EEEvSJ_.has_dyn_sized_stack, 0
	.set _ZN7rocprim17ROCPRIM_400000_NS6detail17trampoline_kernelINS0_14default_configENS1_38merge_sort_block_merge_config_selectorIiiEEZZNS1_27merge_sort_block_merge_implIS3_N6thrust23THRUST_200600_302600_NS6detail15normal_iteratorINS8_10device_ptrIiEEEESD_jNS1_19radix_merge_compareILb0ELb0EiNS0_19identity_decomposerEEEEE10hipError_tT0_T1_T2_jT3_P12ihipStream_tbPNSt15iterator_traitsISI_E10value_typeEPNSO_ISJ_E10value_typeEPSK_NS1_7vsmem_tEENKUlT_SI_SJ_SK_E_clIPiSD_S10_SD_EESH_SX_SI_SJ_SK_EUlSX_E_NS1_11comp_targetILNS1_3genE3ELNS1_11target_archE908ELNS1_3gpuE7ELNS1_3repE0EEENS1_48merge_mergepath_partition_config_static_selectorELNS0_4arch9wavefront6targetE1EEEvSJ_.has_recursion, 0
	.set _ZN7rocprim17ROCPRIM_400000_NS6detail17trampoline_kernelINS0_14default_configENS1_38merge_sort_block_merge_config_selectorIiiEEZZNS1_27merge_sort_block_merge_implIS3_N6thrust23THRUST_200600_302600_NS6detail15normal_iteratorINS8_10device_ptrIiEEEESD_jNS1_19radix_merge_compareILb0ELb0EiNS0_19identity_decomposerEEEEE10hipError_tT0_T1_T2_jT3_P12ihipStream_tbPNSt15iterator_traitsISI_E10value_typeEPNSO_ISJ_E10value_typeEPSK_NS1_7vsmem_tEENKUlT_SI_SJ_SK_E_clIPiSD_S10_SD_EESH_SX_SI_SJ_SK_EUlSX_E_NS1_11comp_targetILNS1_3genE3ELNS1_11target_archE908ELNS1_3gpuE7ELNS1_3repE0EEENS1_48merge_mergepath_partition_config_static_selectorELNS0_4arch9wavefront6targetE1EEEvSJ_.has_indirect_call, 0
	.section	.AMDGPU.csdata,"",@progbits
; Kernel info:
; codeLenInByte = 0
; TotalNumSgprs: 6
; NumVgprs: 0
; NumAgprs: 0
; TotalNumVgprs: 0
; ScratchSize: 0
; MemoryBound: 0
; FloatMode: 240
; IeeeMode: 1
; LDSByteSize: 0 bytes/workgroup (compile time only)
; SGPRBlocks: 0
; VGPRBlocks: 0
; NumSGPRsForWavesPerEU: 6
; NumVGPRsForWavesPerEU: 1
; AccumOffset: 4
; Occupancy: 8
; WaveLimiterHint : 0
; COMPUTE_PGM_RSRC2:SCRATCH_EN: 0
; COMPUTE_PGM_RSRC2:USER_SGPR: 2
; COMPUTE_PGM_RSRC2:TRAP_HANDLER: 0
; COMPUTE_PGM_RSRC2:TGID_X_EN: 1
; COMPUTE_PGM_RSRC2:TGID_Y_EN: 0
; COMPUTE_PGM_RSRC2:TGID_Z_EN: 0
; COMPUTE_PGM_RSRC2:TIDIG_COMP_CNT: 0
; COMPUTE_PGM_RSRC3_GFX90A:ACCUM_OFFSET: 0
; COMPUTE_PGM_RSRC3_GFX90A:TG_SPLIT: 0
	.section	.text._ZN7rocprim17ROCPRIM_400000_NS6detail17trampoline_kernelINS0_14default_configENS1_38merge_sort_block_merge_config_selectorIiiEEZZNS1_27merge_sort_block_merge_implIS3_N6thrust23THRUST_200600_302600_NS6detail15normal_iteratorINS8_10device_ptrIiEEEESD_jNS1_19radix_merge_compareILb0ELb0EiNS0_19identity_decomposerEEEEE10hipError_tT0_T1_T2_jT3_P12ihipStream_tbPNSt15iterator_traitsISI_E10value_typeEPNSO_ISJ_E10value_typeEPSK_NS1_7vsmem_tEENKUlT_SI_SJ_SK_E_clIPiSD_S10_SD_EESH_SX_SI_SJ_SK_EUlSX_E_NS1_11comp_targetILNS1_3genE2ELNS1_11target_archE906ELNS1_3gpuE6ELNS1_3repE0EEENS1_48merge_mergepath_partition_config_static_selectorELNS0_4arch9wavefront6targetE1EEEvSJ_,"axG",@progbits,_ZN7rocprim17ROCPRIM_400000_NS6detail17trampoline_kernelINS0_14default_configENS1_38merge_sort_block_merge_config_selectorIiiEEZZNS1_27merge_sort_block_merge_implIS3_N6thrust23THRUST_200600_302600_NS6detail15normal_iteratorINS8_10device_ptrIiEEEESD_jNS1_19radix_merge_compareILb0ELb0EiNS0_19identity_decomposerEEEEE10hipError_tT0_T1_T2_jT3_P12ihipStream_tbPNSt15iterator_traitsISI_E10value_typeEPNSO_ISJ_E10value_typeEPSK_NS1_7vsmem_tEENKUlT_SI_SJ_SK_E_clIPiSD_S10_SD_EESH_SX_SI_SJ_SK_EUlSX_E_NS1_11comp_targetILNS1_3genE2ELNS1_11target_archE906ELNS1_3gpuE6ELNS1_3repE0EEENS1_48merge_mergepath_partition_config_static_selectorELNS0_4arch9wavefront6targetE1EEEvSJ_,comdat
	.protected	_ZN7rocprim17ROCPRIM_400000_NS6detail17trampoline_kernelINS0_14default_configENS1_38merge_sort_block_merge_config_selectorIiiEEZZNS1_27merge_sort_block_merge_implIS3_N6thrust23THRUST_200600_302600_NS6detail15normal_iteratorINS8_10device_ptrIiEEEESD_jNS1_19radix_merge_compareILb0ELb0EiNS0_19identity_decomposerEEEEE10hipError_tT0_T1_T2_jT3_P12ihipStream_tbPNSt15iterator_traitsISI_E10value_typeEPNSO_ISJ_E10value_typeEPSK_NS1_7vsmem_tEENKUlT_SI_SJ_SK_E_clIPiSD_S10_SD_EESH_SX_SI_SJ_SK_EUlSX_E_NS1_11comp_targetILNS1_3genE2ELNS1_11target_archE906ELNS1_3gpuE6ELNS1_3repE0EEENS1_48merge_mergepath_partition_config_static_selectorELNS0_4arch9wavefront6targetE1EEEvSJ_ ; -- Begin function _ZN7rocprim17ROCPRIM_400000_NS6detail17trampoline_kernelINS0_14default_configENS1_38merge_sort_block_merge_config_selectorIiiEEZZNS1_27merge_sort_block_merge_implIS3_N6thrust23THRUST_200600_302600_NS6detail15normal_iteratorINS8_10device_ptrIiEEEESD_jNS1_19radix_merge_compareILb0ELb0EiNS0_19identity_decomposerEEEEE10hipError_tT0_T1_T2_jT3_P12ihipStream_tbPNSt15iterator_traitsISI_E10value_typeEPNSO_ISJ_E10value_typeEPSK_NS1_7vsmem_tEENKUlT_SI_SJ_SK_E_clIPiSD_S10_SD_EESH_SX_SI_SJ_SK_EUlSX_E_NS1_11comp_targetILNS1_3genE2ELNS1_11target_archE906ELNS1_3gpuE6ELNS1_3repE0EEENS1_48merge_mergepath_partition_config_static_selectorELNS0_4arch9wavefront6targetE1EEEvSJ_
	.globl	_ZN7rocprim17ROCPRIM_400000_NS6detail17trampoline_kernelINS0_14default_configENS1_38merge_sort_block_merge_config_selectorIiiEEZZNS1_27merge_sort_block_merge_implIS3_N6thrust23THRUST_200600_302600_NS6detail15normal_iteratorINS8_10device_ptrIiEEEESD_jNS1_19radix_merge_compareILb0ELb0EiNS0_19identity_decomposerEEEEE10hipError_tT0_T1_T2_jT3_P12ihipStream_tbPNSt15iterator_traitsISI_E10value_typeEPNSO_ISJ_E10value_typeEPSK_NS1_7vsmem_tEENKUlT_SI_SJ_SK_E_clIPiSD_S10_SD_EESH_SX_SI_SJ_SK_EUlSX_E_NS1_11comp_targetILNS1_3genE2ELNS1_11target_archE906ELNS1_3gpuE6ELNS1_3repE0EEENS1_48merge_mergepath_partition_config_static_selectorELNS0_4arch9wavefront6targetE1EEEvSJ_
	.p2align	8
	.type	_ZN7rocprim17ROCPRIM_400000_NS6detail17trampoline_kernelINS0_14default_configENS1_38merge_sort_block_merge_config_selectorIiiEEZZNS1_27merge_sort_block_merge_implIS3_N6thrust23THRUST_200600_302600_NS6detail15normal_iteratorINS8_10device_ptrIiEEEESD_jNS1_19radix_merge_compareILb0ELb0EiNS0_19identity_decomposerEEEEE10hipError_tT0_T1_T2_jT3_P12ihipStream_tbPNSt15iterator_traitsISI_E10value_typeEPNSO_ISJ_E10value_typeEPSK_NS1_7vsmem_tEENKUlT_SI_SJ_SK_E_clIPiSD_S10_SD_EESH_SX_SI_SJ_SK_EUlSX_E_NS1_11comp_targetILNS1_3genE2ELNS1_11target_archE906ELNS1_3gpuE6ELNS1_3repE0EEENS1_48merge_mergepath_partition_config_static_selectorELNS0_4arch9wavefront6targetE1EEEvSJ_,@function
_ZN7rocprim17ROCPRIM_400000_NS6detail17trampoline_kernelINS0_14default_configENS1_38merge_sort_block_merge_config_selectorIiiEEZZNS1_27merge_sort_block_merge_implIS3_N6thrust23THRUST_200600_302600_NS6detail15normal_iteratorINS8_10device_ptrIiEEEESD_jNS1_19radix_merge_compareILb0ELb0EiNS0_19identity_decomposerEEEEE10hipError_tT0_T1_T2_jT3_P12ihipStream_tbPNSt15iterator_traitsISI_E10value_typeEPNSO_ISJ_E10value_typeEPSK_NS1_7vsmem_tEENKUlT_SI_SJ_SK_E_clIPiSD_S10_SD_EESH_SX_SI_SJ_SK_EUlSX_E_NS1_11comp_targetILNS1_3genE2ELNS1_11target_archE906ELNS1_3gpuE6ELNS1_3repE0EEENS1_48merge_mergepath_partition_config_static_selectorELNS0_4arch9wavefront6targetE1EEEvSJ_: ; @_ZN7rocprim17ROCPRIM_400000_NS6detail17trampoline_kernelINS0_14default_configENS1_38merge_sort_block_merge_config_selectorIiiEEZZNS1_27merge_sort_block_merge_implIS3_N6thrust23THRUST_200600_302600_NS6detail15normal_iteratorINS8_10device_ptrIiEEEESD_jNS1_19radix_merge_compareILb0ELb0EiNS0_19identity_decomposerEEEEE10hipError_tT0_T1_T2_jT3_P12ihipStream_tbPNSt15iterator_traitsISI_E10value_typeEPNSO_ISJ_E10value_typeEPSK_NS1_7vsmem_tEENKUlT_SI_SJ_SK_E_clIPiSD_S10_SD_EESH_SX_SI_SJ_SK_EUlSX_E_NS1_11comp_targetILNS1_3genE2ELNS1_11target_archE906ELNS1_3gpuE6ELNS1_3repE0EEENS1_48merge_mergepath_partition_config_static_selectorELNS0_4arch9wavefront6targetE1EEEvSJ_
; %bb.0:
	.section	.rodata,"a",@progbits
	.p2align	6, 0x0
	.amdhsa_kernel _ZN7rocprim17ROCPRIM_400000_NS6detail17trampoline_kernelINS0_14default_configENS1_38merge_sort_block_merge_config_selectorIiiEEZZNS1_27merge_sort_block_merge_implIS3_N6thrust23THRUST_200600_302600_NS6detail15normal_iteratorINS8_10device_ptrIiEEEESD_jNS1_19radix_merge_compareILb0ELb0EiNS0_19identity_decomposerEEEEE10hipError_tT0_T1_T2_jT3_P12ihipStream_tbPNSt15iterator_traitsISI_E10value_typeEPNSO_ISJ_E10value_typeEPSK_NS1_7vsmem_tEENKUlT_SI_SJ_SK_E_clIPiSD_S10_SD_EESH_SX_SI_SJ_SK_EUlSX_E_NS1_11comp_targetILNS1_3genE2ELNS1_11target_archE906ELNS1_3gpuE6ELNS1_3repE0EEENS1_48merge_mergepath_partition_config_static_selectorELNS0_4arch9wavefront6targetE1EEEvSJ_
		.amdhsa_group_segment_fixed_size 0
		.amdhsa_private_segment_fixed_size 0
		.amdhsa_kernarg_size 40
		.amdhsa_user_sgpr_count 2
		.amdhsa_user_sgpr_dispatch_ptr 0
		.amdhsa_user_sgpr_queue_ptr 0
		.amdhsa_user_sgpr_kernarg_segment_ptr 1
		.amdhsa_user_sgpr_dispatch_id 0
		.amdhsa_user_sgpr_kernarg_preload_length 0
		.amdhsa_user_sgpr_kernarg_preload_offset 0
		.amdhsa_user_sgpr_private_segment_size 0
		.amdhsa_uses_dynamic_stack 0
		.amdhsa_enable_private_segment 0
		.amdhsa_system_sgpr_workgroup_id_x 1
		.amdhsa_system_sgpr_workgroup_id_y 0
		.amdhsa_system_sgpr_workgroup_id_z 0
		.amdhsa_system_sgpr_workgroup_info 0
		.amdhsa_system_vgpr_workitem_id 0
		.amdhsa_next_free_vgpr 1
		.amdhsa_next_free_sgpr 0
		.amdhsa_accum_offset 4
		.amdhsa_reserve_vcc 0
		.amdhsa_float_round_mode_32 0
		.amdhsa_float_round_mode_16_64 0
		.amdhsa_float_denorm_mode_32 3
		.amdhsa_float_denorm_mode_16_64 3
		.amdhsa_dx10_clamp 1
		.amdhsa_ieee_mode 1
		.amdhsa_fp16_overflow 0
		.amdhsa_tg_split 0
		.amdhsa_exception_fp_ieee_invalid_op 0
		.amdhsa_exception_fp_denorm_src 0
		.amdhsa_exception_fp_ieee_div_zero 0
		.amdhsa_exception_fp_ieee_overflow 0
		.amdhsa_exception_fp_ieee_underflow 0
		.amdhsa_exception_fp_ieee_inexact 0
		.amdhsa_exception_int_div_zero 0
	.end_amdhsa_kernel
	.section	.text._ZN7rocprim17ROCPRIM_400000_NS6detail17trampoline_kernelINS0_14default_configENS1_38merge_sort_block_merge_config_selectorIiiEEZZNS1_27merge_sort_block_merge_implIS3_N6thrust23THRUST_200600_302600_NS6detail15normal_iteratorINS8_10device_ptrIiEEEESD_jNS1_19radix_merge_compareILb0ELb0EiNS0_19identity_decomposerEEEEE10hipError_tT0_T1_T2_jT3_P12ihipStream_tbPNSt15iterator_traitsISI_E10value_typeEPNSO_ISJ_E10value_typeEPSK_NS1_7vsmem_tEENKUlT_SI_SJ_SK_E_clIPiSD_S10_SD_EESH_SX_SI_SJ_SK_EUlSX_E_NS1_11comp_targetILNS1_3genE2ELNS1_11target_archE906ELNS1_3gpuE6ELNS1_3repE0EEENS1_48merge_mergepath_partition_config_static_selectorELNS0_4arch9wavefront6targetE1EEEvSJ_,"axG",@progbits,_ZN7rocprim17ROCPRIM_400000_NS6detail17trampoline_kernelINS0_14default_configENS1_38merge_sort_block_merge_config_selectorIiiEEZZNS1_27merge_sort_block_merge_implIS3_N6thrust23THRUST_200600_302600_NS6detail15normal_iteratorINS8_10device_ptrIiEEEESD_jNS1_19radix_merge_compareILb0ELb0EiNS0_19identity_decomposerEEEEE10hipError_tT0_T1_T2_jT3_P12ihipStream_tbPNSt15iterator_traitsISI_E10value_typeEPNSO_ISJ_E10value_typeEPSK_NS1_7vsmem_tEENKUlT_SI_SJ_SK_E_clIPiSD_S10_SD_EESH_SX_SI_SJ_SK_EUlSX_E_NS1_11comp_targetILNS1_3genE2ELNS1_11target_archE906ELNS1_3gpuE6ELNS1_3repE0EEENS1_48merge_mergepath_partition_config_static_selectorELNS0_4arch9wavefront6targetE1EEEvSJ_,comdat
.Lfunc_end713:
	.size	_ZN7rocprim17ROCPRIM_400000_NS6detail17trampoline_kernelINS0_14default_configENS1_38merge_sort_block_merge_config_selectorIiiEEZZNS1_27merge_sort_block_merge_implIS3_N6thrust23THRUST_200600_302600_NS6detail15normal_iteratorINS8_10device_ptrIiEEEESD_jNS1_19radix_merge_compareILb0ELb0EiNS0_19identity_decomposerEEEEE10hipError_tT0_T1_T2_jT3_P12ihipStream_tbPNSt15iterator_traitsISI_E10value_typeEPNSO_ISJ_E10value_typeEPSK_NS1_7vsmem_tEENKUlT_SI_SJ_SK_E_clIPiSD_S10_SD_EESH_SX_SI_SJ_SK_EUlSX_E_NS1_11comp_targetILNS1_3genE2ELNS1_11target_archE906ELNS1_3gpuE6ELNS1_3repE0EEENS1_48merge_mergepath_partition_config_static_selectorELNS0_4arch9wavefront6targetE1EEEvSJ_, .Lfunc_end713-_ZN7rocprim17ROCPRIM_400000_NS6detail17trampoline_kernelINS0_14default_configENS1_38merge_sort_block_merge_config_selectorIiiEEZZNS1_27merge_sort_block_merge_implIS3_N6thrust23THRUST_200600_302600_NS6detail15normal_iteratorINS8_10device_ptrIiEEEESD_jNS1_19radix_merge_compareILb0ELb0EiNS0_19identity_decomposerEEEEE10hipError_tT0_T1_T2_jT3_P12ihipStream_tbPNSt15iterator_traitsISI_E10value_typeEPNSO_ISJ_E10value_typeEPSK_NS1_7vsmem_tEENKUlT_SI_SJ_SK_E_clIPiSD_S10_SD_EESH_SX_SI_SJ_SK_EUlSX_E_NS1_11comp_targetILNS1_3genE2ELNS1_11target_archE906ELNS1_3gpuE6ELNS1_3repE0EEENS1_48merge_mergepath_partition_config_static_selectorELNS0_4arch9wavefront6targetE1EEEvSJ_
                                        ; -- End function
	.set _ZN7rocprim17ROCPRIM_400000_NS6detail17trampoline_kernelINS0_14default_configENS1_38merge_sort_block_merge_config_selectorIiiEEZZNS1_27merge_sort_block_merge_implIS3_N6thrust23THRUST_200600_302600_NS6detail15normal_iteratorINS8_10device_ptrIiEEEESD_jNS1_19radix_merge_compareILb0ELb0EiNS0_19identity_decomposerEEEEE10hipError_tT0_T1_T2_jT3_P12ihipStream_tbPNSt15iterator_traitsISI_E10value_typeEPNSO_ISJ_E10value_typeEPSK_NS1_7vsmem_tEENKUlT_SI_SJ_SK_E_clIPiSD_S10_SD_EESH_SX_SI_SJ_SK_EUlSX_E_NS1_11comp_targetILNS1_3genE2ELNS1_11target_archE906ELNS1_3gpuE6ELNS1_3repE0EEENS1_48merge_mergepath_partition_config_static_selectorELNS0_4arch9wavefront6targetE1EEEvSJ_.num_vgpr, 0
	.set _ZN7rocprim17ROCPRIM_400000_NS6detail17trampoline_kernelINS0_14default_configENS1_38merge_sort_block_merge_config_selectorIiiEEZZNS1_27merge_sort_block_merge_implIS3_N6thrust23THRUST_200600_302600_NS6detail15normal_iteratorINS8_10device_ptrIiEEEESD_jNS1_19radix_merge_compareILb0ELb0EiNS0_19identity_decomposerEEEEE10hipError_tT0_T1_T2_jT3_P12ihipStream_tbPNSt15iterator_traitsISI_E10value_typeEPNSO_ISJ_E10value_typeEPSK_NS1_7vsmem_tEENKUlT_SI_SJ_SK_E_clIPiSD_S10_SD_EESH_SX_SI_SJ_SK_EUlSX_E_NS1_11comp_targetILNS1_3genE2ELNS1_11target_archE906ELNS1_3gpuE6ELNS1_3repE0EEENS1_48merge_mergepath_partition_config_static_selectorELNS0_4arch9wavefront6targetE1EEEvSJ_.num_agpr, 0
	.set _ZN7rocprim17ROCPRIM_400000_NS6detail17trampoline_kernelINS0_14default_configENS1_38merge_sort_block_merge_config_selectorIiiEEZZNS1_27merge_sort_block_merge_implIS3_N6thrust23THRUST_200600_302600_NS6detail15normal_iteratorINS8_10device_ptrIiEEEESD_jNS1_19radix_merge_compareILb0ELb0EiNS0_19identity_decomposerEEEEE10hipError_tT0_T1_T2_jT3_P12ihipStream_tbPNSt15iterator_traitsISI_E10value_typeEPNSO_ISJ_E10value_typeEPSK_NS1_7vsmem_tEENKUlT_SI_SJ_SK_E_clIPiSD_S10_SD_EESH_SX_SI_SJ_SK_EUlSX_E_NS1_11comp_targetILNS1_3genE2ELNS1_11target_archE906ELNS1_3gpuE6ELNS1_3repE0EEENS1_48merge_mergepath_partition_config_static_selectorELNS0_4arch9wavefront6targetE1EEEvSJ_.numbered_sgpr, 0
	.set _ZN7rocprim17ROCPRIM_400000_NS6detail17trampoline_kernelINS0_14default_configENS1_38merge_sort_block_merge_config_selectorIiiEEZZNS1_27merge_sort_block_merge_implIS3_N6thrust23THRUST_200600_302600_NS6detail15normal_iteratorINS8_10device_ptrIiEEEESD_jNS1_19radix_merge_compareILb0ELb0EiNS0_19identity_decomposerEEEEE10hipError_tT0_T1_T2_jT3_P12ihipStream_tbPNSt15iterator_traitsISI_E10value_typeEPNSO_ISJ_E10value_typeEPSK_NS1_7vsmem_tEENKUlT_SI_SJ_SK_E_clIPiSD_S10_SD_EESH_SX_SI_SJ_SK_EUlSX_E_NS1_11comp_targetILNS1_3genE2ELNS1_11target_archE906ELNS1_3gpuE6ELNS1_3repE0EEENS1_48merge_mergepath_partition_config_static_selectorELNS0_4arch9wavefront6targetE1EEEvSJ_.num_named_barrier, 0
	.set _ZN7rocprim17ROCPRIM_400000_NS6detail17trampoline_kernelINS0_14default_configENS1_38merge_sort_block_merge_config_selectorIiiEEZZNS1_27merge_sort_block_merge_implIS3_N6thrust23THRUST_200600_302600_NS6detail15normal_iteratorINS8_10device_ptrIiEEEESD_jNS1_19radix_merge_compareILb0ELb0EiNS0_19identity_decomposerEEEEE10hipError_tT0_T1_T2_jT3_P12ihipStream_tbPNSt15iterator_traitsISI_E10value_typeEPNSO_ISJ_E10value_typeEPSK_NS1_7vsmem_tEENKUlT_SI_SJ_SK_E_clIPiSD_S10_SD_EESH_SX_SI_SJ_SK_EUlSX_E_NS1_11comp_targetILNS1_3genE2ELNS1_11target_archE906ELNS1_3gpuE6ELNS1_3repE0EEENS1_48merge_mergepath_partition_config_static_selectorELNS0_4arch9wavefront6targetE1EEEvSJ_.private_seg_size, 0
	.set _ZN7rocprim17ROCPRIM_400000_NS6detail17trampoline_kernelINS0_14default_configENS1_38merge_sort_block_merge_config_selectorIiiEEZZNS1_27merge_sort_block_merge_implIS3_N6thrust23THRUST_200600_302600_NS6detail15normal_iteratorINS8_10device_ptrIiEEEESD_jNS1_19radix_merge_compareILb0ELb0EiNS0_19identity_decomposerEEEEE10hipError_tT0_T1_T2_jT3_P12ihipStream_tbPNSt15iterator_traitsISI_E10value_typeEPNSO_ISJ_E10value_typeEPSK_NS1_7vsmem_tEENKUlT_SI_SJ_SK_E_clIPiSD_S10_SD_EESH_SX_SI_SJ_SK_EUlSX_E_NS1_11comp_targetILNS1_3genE2ELNS1_11target_archE906ELNS1_3gpuE6ELNS1_3repE0EEENS1_48merge_mergepath_partition_config_static_selectorELNS0_4arch9wavefront6targetE1EEEvSJ_.uses_vcc, 0
	.set _ZN7rocprim17ROCPRIM_400000_NS6detail17trampoline_kernelINS0_14default_configENS1_38merge_sort_block_merge_config_selectorIiiEEZZNS1_27merge_sort_block_merge_implIS3_N6thrust23THRUST_200600_302600_NS6detail15normal_iteratorINS8_10device_ptrIiEEEESD_jNS1_19radix_merge_compareILb0ELb0EiNS0_19identity_decomposerEEEEE10hipError_tT0_T1_T2_jT3_P12ihipStream_tbPNSt15iterator_traitsISI_E10value_typeEPNSO_ISJ_E10value_typeEPSK_NS1_7vsmem_tEENKUlT_SI_SJ_SK_E_clIPiSD_S10_SD_EESH_SX_SI_SJ_SK_EUlSX_E_NS1_11comp_targetILNS1_3genE2ELNS1_11target_archE906ELNS1_3gpuE6ELNS1_3repE0EEENS1_48merge_mergepath_partition_config_static_selectorELNS0_4arch9wavefront6targetE1EEEvSJ_.uses_flat_scratch, 0
	.set _ZN7rocprim17ROCPRIM_400000_NS6detail17trampoline_kernelINS0_14default_configENS1_38merge_sort_block_merge_config_selectorIiiEEZZNS1_27merge_sort_block_merge_implIS3_N6thrust23THRUST_200600_302600_NS6detail15normal_iteratorINS8_10device_ptrIiEEEESD_jNS1_19radix_merge_compareILb0ELb0EiNS0_19identity_decomposerEEEEE10hipError_tT0_T1_T2_jT3_P12ihipStream_tbPNSt15iterator_traitsISI_E10value_typeEPNSO_ISJ_E10value_typeEPSK_NS1_7vsmem_tEENKUlT_SI_SJ_SK_E_clIPiSD_S10_SD_EESH_SX_SI_SJ_SK_EUlSX_E_NS1_11comp_targetILNS1_3genE2ELNS1_11target_archE906ELNS1_3gpuE6ELNS1_3repE0EEENS1_48merge_mergepath_partition_config_static_selectorELNS0_4arch9wavefront6targetE1EEEvSJ_.has_dyn_sized_stack, 0
	.set _ZN7rocprim17ROCPRIM_400000_NS6detail17trampoline_kernelINS0_14default_configENS1_38merge_sort_block_merge_config_selectorIiiEEZZNS1_27merge_sort_block_merge_implIS3_N6thrust23THRUST_200600_302600_NS6detail15normal_iteratorINS8_10device_ptrIiEEEESD_jNS1_19radix_merge_compareILb0ELb0EiNS0_19identity_decomposerEEEEE10hipError_tT0_T1_T2_jT3_P12ihipStream_tbPNSt15iterator_traitsISI_E10value_typeEPNSO_ISJ_E10value_typeEPSK_NS1_7vsmem_tEENKUlT_SI_SJ_SK_E_clIPiSD_S10_SD_EESH_SX_SI_SJ_SK_EUlSX_E_NS1_11comp_targetILNS1_3genE2ELNS1_11target_archE906ELNS1_3gpuE6ELNS1_3repE0EEENS1_48merge_mergepath_partition_config_static_selectorELNS0_4arch9wavefront6targetE1EEEvSJ_.has_recursion, 0
	.set _ZN7rocprim17ROCPRIM_400000_NS6detail17trampoline_kernelINS0_14default_configENS1_38merge_sort_block_merge_config_selectorIiiEEZZNS1_27merge_sort_block_merge_implIS3_N6thrust23THRUST_200600_302600_NS6detail15normal_iteratorINS8_10device_ptrIiEEEESD_jNS1_19radix_merge_compareILb0ELb0EiNS0_19identity_decomposerEEEEE10hipError_tT0_T1_T2_jT3_P12ihipStream_tbPNSt15iterator_traitsISI_E10value_typeEPNSO_ISJ_E10value_typeEPSK_NS1_7vsmem_tEENKUlT_SI_SJ_SK_E_clIPiSD_S10_SD_EESH_SX_SI_SJ_SK_EUlSX_E_NS1_11comp_targetILNS1_3genE2ELNS1_11target_archE906ELNS1_3gpuE6ELNS1_3repE0EEENS1_48merge_mergepath_partition_config_static_selectorELNS0_4arch9wavefront6targetE1EEEvSJ_.has_indirect_call, 0
	.section	.AMDGPU.csdata,"",@progbits
; Kernel info:
; codeLenInByte = 0
; TotalNumSgprs: 6
; NumVgprs: 0
; NumAgprs: 0
; TotalNumVgprs: 0
; ScratchSize: 0
; MemoryBound: 0
; FloatMode: 240
; IeeeMode: 1
; LDSByteSize: 0 bytes/workgroup (compile time only)
; SGPRBlocks: 0
; VGPRBlocks: 0
; NumSGPRsForWavesPerEU: 6
; NumVGPRsForWavesPerEU: 1
; AccumOffset: 4
; Occupancy: 8
; WaveLimiterHint : 0
; COMPUTE_PGM_RSRC2:SCRATCH_EN: 0
; COMPUTE_PGM_RSRC2:USER_SGPR: 2
; COMPUTE_PGM_RSRC2:TRAP_HANDLER: 0
; COMPUTE_PGM_RSRC2:TGID_X_EN: 1
; COMPUTE_PGM_RSRC2:TGID_Y_EN: 0
; COMPUTE_PGM_RSRC2:TGID_Z_EN: 0
; COMPUTE_PGM_RSRC2:TIDIG_COMP_CNT: 0
; COMPUTE_PGM_RSRC3_GFX90A:ACCUM_OFFSET: 0
; COMPUTE_PGM_RSRC3_GFX90A:TG_SPLIT: 0
	.section	.text._ZN7rocprim17ROCPRIM_400000_NS6detail17trampoline_kernelINS0_14default_configENS1_38merge_sort_block_merge_config_selectorIiiEEZZNS1_27merge_sort_block_merge_implIS3_N6thrust23THRUST_200600_302600_NS6detail15normal_iteratorINS8_10device_ptrIiEEEESD_jNS1_19radix_merge_compareILb0ELb0EiNS0_19identity_decomposerEEEEE10hipError_tT0_T1_T2_jT3_P12ihipStream_tbPNSt15iterator_traitsISI_E10value_typeEPNSO_ISJ_E10value_typeEPSK_NS1_7vsmem_tEENKUlT_SI_SJ_SK_E_clIPiSD_S10_SD_EESH_SX_SI_SJ_SK_EUlSX_E_NS1_11comp_targetILNS1_3genE9ELNS1_11target_archE1100ELNS1_3gpuE3ELNS1_3repE0EEENS1_48merge_mergepath_partition_config_static_selectorELNS0_4arch9wavefront6targetE1EEEvSJ_,"axG",@progbits,_ZN7rocprim17ROCPRIM_400000_NS6detail17trampoline_kernelINS0_14default_configENS1_38merge_sort_block_merge_config_selectorIiiEEZZNS1_27merge_sort_block_merge_implIS3_N6thrust23THRUST_200600_302600_NS6detail15normal_iteratorINS8_10device_ptrIiEEEESD_jNS1_19radix_merge_compareILb0ELb0EiNS0_19identity_decomposerEEEEE10hipError_tT0_T1_T2_jT3_P12ihipStream_tbPNSt15iterator_traitsISI_E10value_typeEPNSO_ISJ_E10value_typeEPSK_NS1_7vsmem_tEENKUlT_SI_SJ_SK_E_clIPiSD_S10_SD_EESH_SX_SI_SJ_SK_EUlSX_E_NS1_11comp_targetILNS1_3genE9ELNS1_11target_archE1100ELNS1_3gpuE3ELNS1_3repE0EEENS1_48merge_mergepath_partition_config_static_selectorELNS0_4arch9wavefront6targetE1EEEvSJ_,comdat
	.protected	_ZN7rocprim17ROCPRIM_400000_NS6detail17trampoline_kernelINS0_14default_configENS1_38merge_sort_block_merge_config_selectorIiiEEZZNS1_27merge_sort_block_merge_implIS3_N6thrust23THRUST_200600_302600_NS6detail15normal_iteratorINS8_10device_ptrIiEEEESD_jNS1_19radix_merge_compareILb0ELb0EiNS0_19identity_decomposerEEEEE10hipError_tT0_T1_T2_jT3_P12ihipStream_tbPNSt15iterator_traitsISI_E10value_typeEPNSO_ISJ_E10value_typeEPSK_NS1_7vsmem_tEENKUlT_SI_SJ_SK_E_clIPiSD_S10_SD_EESH_SX_SI_SJ_SK_EUlSX_E_NS1_11comp_targetILNS1_3genE9ELNS1_11target_archE1100ELNS1_3gpuE3ELNS1_3repE0EEENS1_48merge_mergepath_partition_config_static_selectorELNS0_4arch9wavefront6targetE1EEEvSJ_ ; -- Begin function _ZN7rocprim17ROCPRIM_400000_NS6detail17trampoline_kernelINS0_14default_configENS1_38merge_sort_block_merge_config_selectorIiiEEZZNS1_27merge_sort_block_merge_implIS3_N6thrust23THRUST_200600_302600_NS6detail15normal_iteratorINS8_10device_ptrIiEEEESD_jNS1_19radix_merge_compareILb0ELb0EiNS0_19identity_decomposerEEEEE10hipError_tT0_T1_T2_jT3_P12ihipStream_tbPNSt15iterator_traitsISI_E10value_typeEPNSO_ISJ_E10value_typeEPSK_NS1_7vsmem_tEENKUlT_SI_SJ_SK_E_clIPiSD_S10_SD_EESH_SX_SI_SJ_SK_EUlSX_E_NS1_11comp_targetILNS1_3genE9ELNS1_11target_archE1100ELNS1_3gpuE3ELNS1_3repE0EEENS1_48merge_mergepath_partition_config_static_selectorELNS0_4arch9wavefront6targetE1EEEvSJ_
	.globl	_ZN7rocprim17ROCPRIM_400000_NS6detail17trampoline_kernelINS0_14default_configENS1_38merge_sort_block_merge_config_selectorIiiEEZZNS1_27merge_sort_block_merge_implIS3_N6thrust23THRUST_200600_302600_NS6detail15normal_iteratorINS8_10device_ptrIiEEEESD_jNS1_19radix_merge_compareILb0ELb0EiNS0_19identity_decomposerEEEEE10hipError_tT0_T1_T2_jT3_P12ihipStream_tbPNSt15iterator_traitsISI_E10value_typeEPNSO_ISJ_E10value_typeEPSK_NS1_7vsmem_tEENKUlT_SI_SJ_SK_E_clIPiSD_S10_SD_EESH_SX_SI_SJ_SK_EUlSX_E_NS1_11comp_targetILNS1_3genE9ELNS1_11target_archE1100ELNS1_3gpuE3ELNS1_3repE0EEENS1_48merge_mergepath_partition_config_static_selectorELNS0_4arch9wavefront6targetE1EEEvSJ_
	.p2align	8
	.type	_ZN7rocprim17ROCPRIM_400000_NS6detail17trampoline_kernelINS0_14default_configENS1_38merge_sort_block_merge_config_selectorIiiEEZZNS1_27merge_sort_block_merge_implIS3_N6thrust23THRUST_200600_302600_NS6detail15normal_iteratorINS8_10device_ptrIiEEEESD_jNS1_19radix_merge_compareILb0ELb0EiNS0_19identity_decomposerEEEEE10hipError_tT0_T1_T2_jT3_P12ihipStream_tbPNSt15iterator_traitsISI_E10value_typeEPNSO_ISJ_E10value_typeEPSK_NS1_7vsmem_tEENKUlT_SI_SJ_SK_E_clIPiSD_S10_SD_EESH_SX_SI_SJ_SK_EUlSX_E_NS1_11comp_targetILNS1_3genE9ELNS1_11target_archE1100ELNS1_3gpuE3ELNS1_3repE0EEENS1_48merge_mergepath_partition_config_static_selectorELNS0_4arch9wavefront6targetE1EEEvSJ_,@function
_ZN7rocprim17ROCPRIM_400000_NS6detail17trampoline_kernelINS0_14default_configENS1_38merge_sort_block_merge_config_selectorIiiEEZZNS1_27merge_sort_block_merge_implIS3_N6thrust23THRUST_200600_302600_NS6detail15normal_iteratorINS8_10device_ptrIiEEEESD_jNS1_19radix_merge_compareILb0ELb0EiNS0_19identity_decomposerEEEEE10hipError_tT0_T1_T2_jT3_P12ihipStream_tbPNSt15iterator_traitsISI_E10value_typeEPNSO_ISJ_E10value_typeEPSK_NS1_7vsmem_tEENKUlT_SI_SJ_SK_E_clIPiSD_S10_SD_EESH_SX_SI_SJ_SK_EUlSX_E_NS1_11comp_targetILNS1_3genE9ELNS1_11target_archE1100ELNS1_3gpuE3ELNS1_3repE0EEENS1_48merge_mergepath_partition_config_static_selectorELNS0_4arch9wavefront6targetE1EEEvSJ_: ; @_ZN7rocprim17ROCPRIM_400000_NS6detail17trampoline_kernelINS0_14default_configENS1_38merge_sort_block_merge_config_selectorIiiEEZZNS1_27merge_sort_block_merge_implIS3_N6thrust23THRUST_200600_302600_NS6detail15normal_iteratorINS8_10device_ptrIiEEEESD_jNS1_19radix_merge_compareILb0ELb0EiNS0_19identity_decomposerEEEEE10hipError_tT0_T1_T2_jT3_P12ihipStream_tbPNSt15iterator_traitsISI_E10value_typeEPNSO_ISJ_E10value_typeEPSK_NS1_7vsmem_tEENKUlT_SI_SJ_SK_E_clIPiSD_S10_SD_EESH_SX_SI_SJ_SK_EUlSX_E_NS1_11comp_targetILNS1_3genE9ELNS1_11target_archE1100ELNS1_3gpuE3ELNS1_3repE0EEENS1_48merge_mergepath_partition_config_static_selectorELNS0_4arch9wavefront6targetE1EEEvSJ_
; %bb.0:
	.section	.rodata,"a",@progbits
	.p2align	6, 0x0
	.amdhsa_kernel _ZN7rocprim17ROCPRIM_400000_NS6detail17trampoline_kernelINS0_14default_configENS1_38merge_sort_block_merge_config_selectorIiiEEZZNS1_27merge_sort_block_merge_implIS3_N6thrust23THRUST_200600_302600_NS6detail15normal_iteratorINS8_10device_ptrIiEEEESD_jNS1_19radix_merge_compareILb0ELb0EiNS0_19identity_decomposerEEEEE10hipError_tT0_T1_T2_jT3_P12ihipStream_tbPNSt15iterator_traitsISI_E10value_typeEPNSO_ISJ_E10value_typeEPSK_NS1_7vsmem_tEENKUlT_SI_SJ_SK_E_clIPiSD_S10_SD_EESH_SX_SI_SJ_SK_EUlSX_E_NS1_11comp_targetILNS1_3genE9ELNS1_11target_archE1100ELNS1_3gpuE3ELNS1_3repE0EEENS1_48merge_mergepath_partition_config_static_selectorELNS0_4arch9wavefront6targetE1EEEvSJ_
		.amdhsa_group_segment_fixed_size 0
		.amdhsa_private_segment_fixed_size 0
		.amdhsa_kernarg_size 40
		.amdhsa_user_sgpr_count 2
		.amdhsa_user_sgpr_dispatch_ptr 0
		.amdhsa_user_sgpr_queue_ptr 0
		.amdhsa_user_sgpr_kernarg_segment_ptr 1
		.amdhsa_user_sgpr_dispatch_id 0
		.amdhsa_user_sgpr_kernarg_preload_length 0
		.amdhsa_user_sgpr_kernarg_preload_offset 0
		.amdhsa_user_sgpr_private_segment_size 0
		.amdhsa_uses_dynamic_stack 0
		.amdhsa_enable_private_segment 0
		.amdhsa_system_sgpr_workgroup_id_x 1
		.amdhsa_system_sgpr_workgroup_id_y 0
		.amdhsa_system_sgpr_workgroup_id_z 0
		.amdhsa_system_sgpr_workgroup_info 0
		.amdhsa_system_vgpr_workitem_id 0
		.amdhsa_next_free_vgpr 1
		.amdhsa_next_free_sgpr 0
		.amdhsa_accum_offset 4
		.amdhsa_reserve_vcc 0
		.amdhsa_float_round_mode_32 0
		.amdhsa_float_round_mode_16_64 0
		.amdhsa_float_denorm_mode_32 3
		.amdhsa_float_denorm_mode_16_64 3
		.amdhsa_dx10_clamp 1
		.amdhsa_ieee_mode 1
		.amdhsa_fp16_overflow 0
		.amdhsa_tg_split 0
		.amdhsa_exception_fp_ieee_invalid_op 0
		.amdhsa_exception_fp_denorm_src 0
		.amdhsa_exception_fp_ieee_div_zero 0
		.amdhsa_exception_fp_ieee_overflow 0
		.amdhsa_exception_fp_ieee_underflow 0
		.amdhsa_exception_fp_ieee_inexact 0
		.amdhsa_exception_int_div_zero 0
	.end_amdhsa_kernel
	.section	.text._ZN7rocprim17ROCPRIM_400000_NS6detail17trampoline_kernelINS0_14default_configENS1_38merge_sort_block_merge_config_selectorIiiEEZZNS1_27merge_sort_block_merge_implIS3_N6thrust23THRUST_200600_302600_NS6detail15normal_iteratorINS8_10device_ptrIiEEEESD_jNS1_19radix_merge_compareILb0ELb0EiNS0_19identity_decomposerEEEEE10hipError_tT0_T1_T2_jT3_P12ihipStream_tbPNSt15iterator_traitsISI_E10value_typeEPNSO_ISJ_E10value_typeEPSK_NS1_7vsmem_tEENKUlT_SI_SJ_SK_E_clIPiSD_S10_SD_EESH_SX_SI_SJ_SK_EUlSX_E_NS1_11comp_targetILNS1_3genE9ELNS1_11target_archE1100ELNS1_3gpuE3ELNS1_3repE0EEENS1_48merge_mergepath_partition_config_static_selectorELNS0_4arch9wavefront6targetE1EEEvSJ_,"axG",@progbits,_ZN7rocprim17ROCPRIM_400000_NS6detail17trampoline_kernelINS0_14default_configENS1_38merge_sort_block_merge_config_selectorIiiEEZZNS1_27merge_sort_block_merge_implIS3_N6thrust23THRUST_200600_302600_NS6detail15normal_iteratorINS8_10device_ptrIiEEEESD_jNS1_19radix_merge_compareILb0ELb0EiNS0_19identity_decomposerEEEEE10hipError_tT0_T1_T2_jT3_P12ihipStream_tbPNSt15iterator_traitsISI_E10value_typeEPNSO_ISJ_E10value_typeEPSK_NS1_7vsmem_tEENKUlT_SI_SJ_SK_E_clIPiSD_S10_SD_EESH_SX_SI_SJ_SK_EUlSX_E_NS1_11comp_targetILNS1_3genE9ELNS1_11target_archE1100ELNS1_3gpuE3ELNS1_3repE0EEENS1_48merge_mergepath_partition_config_static_selectorELNS0_4arch9wavefront6targetE1EEEvSJ_,comdat
.Lfunc_end714:
	.size	_ZN7rocprim17ROCPRIM_400000_NS6detail17trampoline_kernelINS0_14default_configENS1_38merge_sort_block_merge_config_selectorIiiEEZZNS1_27merge_sort_block_merge_implIS3_N6thrust23THRUST_200600_302600_NS6detail15normal_iteratorINS8_10device_ptrIiEEEESD_jNS1_19radix_merge_compareILb0ELb0EiNS0_19identity_decomposerEEEEE10hipError_tT0_T1_T2_jT3_P12ihipStream_tbPNSt15iterator_traitsISI_E10value_typeEPNSO_ISJ_E10value_typeEPSK_NS1_7vsmem_tEENKUlT_SI_SJ_SK_E_clIPiSD_S10_SD_EESH_SX_SI_SJ_SK_EUlSX_E_NS1_11comp_targetILNS1_3genE9ELNS1_11target_archE1100ELNS1_3gpuE3ELNS1_3repE0EEENS1_48merge_mergepath_partition_config_static_selectorELNS0_4arch9wavefront6targetE1EEEvSJ_, .Lfunc_end714-_ZN7rocprim17ROCPRIM_400000_NS6detail17trampoline_kernelINS0_14default_configENS1_38merge_sort_block_merge_config_selectorIiiEEZZNS1_27merge_sort_block_merge_implIS3_N6thrust23THRUST_200600_302600_NS6detail15normal_iteratorINS8_10device_ptrIiEEEESD_jNS1_19radix_merge_compareILb0ELb0EiNS0_19identity_decomposerEEEEE10hipError_tT0_T1_T2_jT3_P12ihipStream_tbPNSt15iterator_traitsISI_E10value_typeEPNSO_ISJ_E10value_typeEPSK_NS1_7vsmem_tEENKUlT_SI_SJ_SK_E_clIPiSD_S10_SD_EESH_SX_SI_SJ_SK_EUlSX_E_NS1_11comp_targetILNS1_3genE9ELNS1_11target_archE1100ELNS1_3gpuE3ELNS1_3repE0EEENS1_48merge_mergepath_partition_config_static_selectorELNS0_4arch9wavefront6targetE1EEEvSJ_
                                        ; -- End function
	.set _ZN7rocprim17ROCPRIM_400000_NS6detail17trampoline_kernelINS0_14default_configENS1_38merge_sort_block_merge_config_selectorIiiEEZZNS1_27merge_sort_block_merge_implIS3_N6thrust23THRUST_200600_302600_NS6detail15normal_iteratorINS8_10device_ptrIiEEEESD_jNS1_19radix_merge_compareILb0ELb0EiNS0_19identity_decomposerEEEEE10hipError_tT0_T1_T2_jT3_P12ihipStream_tbPNSt15iterator_traitsISI_E10value_typeEPNSO_ISJ_E10value_typeEPSK_NS1_7vsmem_tEENKUlT_SI_SJ_SK_E_clIPiSD_S10_SD_EESH_SX_SI_SJ_SK_EUlSX_E_NS1_11comp_targetILNS1_3genE9ELNS1_11target_archE1100ELNS1_3gpuE3ELNS1_3repE0EEENS1_48merge_mergepath_partition_config_static_selectorELNS0_4arch9wavefront6targetE1EEEvSJ_.num_vgpr, 0
	.set _ZN7rocprim17ROCPRIM_400000_NS6detail17trampoline_kernelINS0_14default_configENS1_38merge_sort_block_merge_config_selectorIiiEEZZNS1_27merge_sort_block_merge_implIS3_N6thrust23THRUST_200600_302600_NS6detail15normal_iteratorINS8_10device_ptrIiEEEESD_jNS1_19radix_merge_compareILb0ELb0EiNS0_19identity_decomposerEEEEE10hipError_tT0_T1_T2_jT3_P12ihipStream_tbPNSt15iterator_traitsISI_E10value_typeEPNSO_ISJ_E10value_typeEPSK_NS1_7vsmem_tEENKUlT_SI_SJ_SK_E_clIPiSD_S10_SD_EESH_SX_SI_SJ_SK_EUlSX_E_NS1_11comp_targetILNS1_3genE9ELNS1_11target_archE1100ELNS1_3gpuE3ELNS1_3repE0EEENS1_48merge_mergepath_partition_config_static_selectorELNS0_4arch9wavefront6targetE1EEEvSJ_.num_agpr, 0
	.set _ZN7rocprim17ROCPRIM_400000_NS6detail17trampoline_kernelINS0_14default_configENS1_38merge_sort_block_merge_config_selectorIiiEEZZNS1_27merge_sort_block_merge_implIS3_N6thrust23THRUST_200600_302600_NS6detail15normal_iteratorINS8_10device_ptrIiEEEESD_jNS1_19radix_merge_compareILb0ELb0EiNS0_19identity_decomposerEEEEE10hipError_tT0_T1_T2_jT3_P12ihipStream_tbPNSt15iterator_traitsISI_E10value_typeEPNSO_ISJ_E10value_typeEPSK_NS1_7vsmem_tEENKUlT_SI_SJ_SK_E_clIPiSD_S10_SD_EESH_SX_SI_SJ_SK_EUlSX_E_NS1_11comp_targetILNS1_3genE9ELNS1_11target_archE1100ELNS1_3gpuE3ELNS1_3repE0EEENS1_48merge_mergepath_partition_config_static_selectorELNS0_4arch9wavefront6targetE1EEEvSJ_.numbered_sgpr, 0
	.set _ZN7rocprim17ROCPRIM_400000_NS6detail17trampoline_kernelINS0_14default_configENS1_38merge_sort_block_merge_config_selectorIiiEEZZNS1_27merge_sort_block_merge_implIS3_N6thrust23THRUST_200600_302600_NS6detail15normal_iteratorINS8_10device_ptrIiEEEESD_jNS1_19radix_merge_compareILb0ELb0EiNS0_19identity_decomposerEEEEE10hipError_tT0_T1_T2_jT3_P12ihipStream_tbPNSt15iterator_traitsISI_E10value_typeEPNSO_ISJ_E10value_typeEPSK_NS1_7vsmem_tEENKUlT_SI_SJ_SK_E_clIPiSD_S10_SD_EESH_SX_SI_SJ_SK_EUlSX_E_NS1_11comp_targetILNS1_3genE9ELNS1_11target_archE1100ELNS1_3gpuE3ELNS1_3repE0EEENS1_48merge_mergepath_partition_config_static_selectorELNS0_4arch9wavefront6targetE1EEEvSJ_.num_named_barrier, 0
	.set _ZN7rocprim17ROCPRIM_400000_NS6detail17trampoline_kernelINS0_14default_configENS1_38merge_sort_block_merge_config_selectorIiiEEZZNS1_27merge_sort_block_merge_implIS3_N6thrust23THRUST_200600_302600_NS6detail15normal_iteratorINS8_10device_ptrIiEEEESD_jNS1_19radix_merge_compareILb0ELb0EiNS0_19identity_decomposerEEEEE10hipError_tT0_T1_T2_jT3_P12ihipStream_tbPNSt15iterator_traitsISI_E10value_typeEPNSO_ISJ_E10value_typeEPSK_NS1_7vsmem_tEENKUlT_SI_SJ_SK_E_clIPiSD_S10_SD_EESH_SX_SI_SJ_SK_EUlSX_E_NS1_11comp_targetILNS1_3genE9ELNS1_11target_archE1100ELNS1_3gpuE3ELNS1_3repE0EEENS1_48merge_mergepath_partition_config_static_selectorELNS0_4arch9wavefront6targetE1EEEvSJ_.private_seg_size, 0
	.set _ZN7rocprim17ROCPRIM_400000_NS6detail17trampoline_kernelINS0_14default_configENS1_38merge_sort_block_merge_config_selectorIiiEEZZNS1_27merge_sort_block_merge_implIS3_N6thrust23THRUST_200600_302600_NS6detail15normal_iteratorINS8_10device_ptrIiEEEESD_jNS1_19radix_merge_compareILb0ELb0EiNS0_19identity_decomposerEEEEE10hipError_tT0_T1_T2_jT3_P12ihipStream_tbPNSt15iterator_traitsISI_E10value_typeEPNSO_ISJ_E10value_typeEPSK_NS1_7vsmem_tEENKUlT_SI_SJ_SK_E_clIPiSD_S10_SD_EESH_SX_SI_SJ_SK_EUlSX_E_NS1_11comp_targetILNS1_3genE9ELNS1_11target_archE1100ELNS1_3gpuE3ELNS1_3repE0EEENS1_48merge_mergepath_partition_config_static_selectorELNS0_4arch9wavefront6targetE1EEEvSJ_.uses_vcc, 0
	.set _ZN7rocprim17ROCPRIM_400000_NS6detail17trampoline_kernelINS0_14default_configENS1_38merge_sort_block_merge_config_selectorIiiEEZZNS1_27merge_sort_block_merge_implIS3_N6thrust23THRUST_200600_302600_NS6detail15normal_iteratorINS8_10device_ptrIiEEEESD_jNS1_19radix_merge_compareILb0ELb0EiNS0_19identity_decomposerEEEEE10hipError_tT0_T1_T2_jT3_P12ihipStream_tbPNSt15iterator_traitsISI_E10value_typeEPNSO_ISJ_E10value_typeEPSK_NS1_7vsmem_tEENKUlT_SI_SJ_SK_E_clIPiSD_S10_SD_EESH_SX_SI_SJ_SK_EUlSX_E_NS1_11comp_targetILNS1_3genE9ELNS1_11target_archE1100ELNS1_3gpuE3ELNS1_3repE0EEENS1_48merge_mergepath_partition_config_static_selectorELNS0_4arch9wavefront6targetE1EEEvSJ_.uses_flat_scratch, 0
	.set _ZN7rocprim17ROCPRIM_400000_NS6detail17trampoline_kernelINS0_14default_configENS1_38merge_sort_block_merge_config_selectorIiiEEZZNS1_27merge_sort_block_merge_implIS3_N6thrust23THRUST_200600_302600_NS6detail15normal_iteratorINS8_10device_ptrIiEEEESD_jNS1_19radix_merge_compareILb0ELb0EiNS0_19identity_decomposerEEEEE10hipError_tT0_T1_T2_jT3_P12ihipStream_tbPNSt15iterator_traitsISI_E10value_typeEPNSO_ISJ_E10value_typeEPSK_NS1_7vsmem_tEENKUlT_SI_SJ_SK_E_clIPiSD_S10_SD_EESH_SX_SI_SJ_SK_EUlSX_E_NS1_11comp_targetILNS1_3genE9ELNS1_11target_archE1100ELNS1_3gpuE3ELNS1_3repE0EEENS1_48merge_mergepath_partition_config_static_selectorELNS0_4arch9wavefront6targetE1EEEvSJ_.has_dyn_sized_stack, 0
	.set _ZN7rocprim17ROCPRIM_400000_NS6detail17trampoline_kernelINS0_14default_configENS1_38merge_sort_block_merge_config_selectorIiiEEZZNS1_27merge_sort_block_merge_implIS3_N6thrust23THRUST_200600_302600_NS6detail15normal_iteratorINS8_10device_ptrIiEEEESD_jNS1_19radix_merge_compareILb0ELb0EiNS0_19identity_decomposerEEEEE10hipError_tT0_T1_T2_jT3_P12ihipStream_tbPNSt15iterator_traitsISI_E10value_typeEPNSO_ISJ_E10value_typeEPSK_NS1_7vsmem_tEENKUlT_SI_SJ_SK_E_clIPiSD_S10_SD_EESH_SX_SI_SJ_SK_EUlSX_E_NS1_11comp_targetILNS1_3genE9ELNS1_11target_archE1100ELNS1_3gpuE3ELNS1_3repE0EEENS1_48merge_mergepath_partition_config_static_selectorELNS0_4arch9wavefront6targetE1EEEvSJ_.has_recursion, 0
	.set _ZN7rocprim17ROCPRIM_400000_NS6detail17trampoline_kernelINS0_14default_configENS1_38merge_sort_block_merge_config_selectorIiiEEZZNS1_27merge_sort_block_merge_implIS3_N6thrust23THRUST_200600_302600_NS6detail15normal_iteratorINS8_10device_ptrIiEEEESD_jNS1_19radix_merge_compareILb0ELb0EiNS0_19identity_decomposerEEEEE10hipError_tT0_T1_T2_jT3_P12ihipStream_tbPNSt15iterator_traitsISI_E10value_typeEPNSO_ISJ_E10value_typeEPSK_NS1_7vsmem_tEENKUlT_SI_SJ_SK_E_clIPiSD_S10_SD_EESH_SX_SI_SJ_SK_EUlSX_E_NS1_11comp_targetILNS1_3genE9ELNS1_11target_archE1100ELNS1_3gpuE3ELNS1_3repE0EEENS1_48merge_mergepath_partition_config_static_selectorELNS0_4arch9wavefront6targetE1EEEvSJ_.has_indirect_call, 0
	.section	.AMDGPU.csdata,"",@progbits
; Kernel info:
; codeLenInByte = 0
; TotalNumSgprs: 6
; NumVgprs: 0
; NumAgprs: 0
; TotalNumVgprs: 0
; ScratchSize: 0
; MemoryBound: 0
; FloatMode: 240
; IeeeMode: 1
; LDSByteSize: 0 bytes/workgroup (compile time only)
; SGPRBlocks: 0
; VGPRBlocks: 0
; NumSGPRsForWavesPerEU: 6
; NumVGPRsForWavesPerEU: 1
; AccumOffset: 4
; Occupancy: 8
; WaveLimiterHint : 0
; COMPUTE_PGM_RSRC2:SCRATCH_EN: 0
; COMPUTE_PGM_RSRC2:USER_SGPR: 2
; COMPUTE_PGM_RSRC2:TRAP_HANDLER: 0
; COMPUTE_PGM_RSRC2:TGID_X_EN: 1
; COMPUTE_PGM_RSRC2:TGID_Y_EN: 0
; COMPUTE_PGM_RSRC2:TGID_Z_EN: 0
; COMPUTE_PGM_RSRC2:TIDIG_COMP_CNT: 0
; COMPUTE_PGM_RSRC3_GFX90A:ACCUM_OFFSET: 0
; COMPUTE_PGM_RSRC3_GFX90A:TG_SPLIT: 0
	.section	.text._ZN7rocprim17ROCPRIM_400000_NS6detail17trampoline_kernelINS0_14default_configENS1_38merge_sort_block_merge_config_selectorIiiEEZZNS1_27merge_sort_block_merge_implIS3_N6thrust23THRUST_200600_302600_NS6detail15normal_iteratorINS8_10device_ptrIiEEEESD_jNS1_19radix_merge_compareILb0ELb0EiNS0_19identity_decomposerEEEEE10hipError_tT0_T1_T2_jT3_P12ihipStream_tbPNSt15iterator_traitsISI_E10value_typeEPNSO_ISJ_E10value_typeEPSK_NS1_7vsmem_tEENKUlT_SI_SJ_SK_E_clIPiSD_S10_SD_EESH_SX_SI_SJ_SK_EUlSX_E_NS1_11comp_targetILNS1_3genE8ELNS1_11target_archE1030ELNS1_3gpuE2ELNS1_3repE0EEENS1_48merge_mergepath_partition_config_static_selectorELNS0_4arch9wavefront6targetE1EEEvSJ_,"axG",@progbits,_ZN7rocprim17ROCPRIM_400000_NS6detail17trampoline_kernelINS0_14default_configENS1_38merge_sort_block_merge_config_selectorIiiEEZZNS1_27merge_sort_block_merge_implIS3_N6thrust23THRUST_200600_302600_NS6detail15normal_iteratorINS8_10device_ptrIiEEEESD_jNS1_19radix_merge_compareILb0ELb0EiNS0_19identity_decomposerEEEEE10hipError_tT0_T1_T2_jT3_P12ihipStream_tbPNSt15iterator_traitsISI_E10value_typeEPNSO_ISJ_E10value_typeEPSK_NS1_7vsmem_tEENKUlT_SI_SJ_SK_E_clIPiSD_S10_SD_EESH_SX_SI_SJ_SK_EUlSX_E_NS1_11comp_targetILNS1_3genE8ELNS1_11target_archE1030ELNS1_3gpuE2ELNS1_3repE0EEENS1_48merge_mergepath_partition_config_static_selectorELNS0_4arch9wavefront6targetE1EEEvSJ_,comdat
	.protected	_ZN7rocprim17ROCPRIM_400000_NS6detail17trampoline_kernelINS0_14default_configENS1_38merge_sort_block_merge_config_selectorIiiEEZZNS1_27merge_sort_block_merge_implIS3_N6thrust23THRUST_200600_302600_NS6detail15normal_iteratorINS8_10device_ptrIiEEEESD_jNS1_19radix_merge_compareILb0ELb0EiNS0_19identity_decomposerEEEEE10hipError_tT0_T1_T2_jT3_P12ihipStream_tbPNSt15iterator_traitsISI_E10value_typeEPNSO_ISJ_E10value_typeEPSK_NS1_7vsmem_tEENKUlT_SI_SJ_SK_E_clIPiSD_S10_SD_EESH_SX_SI_SJ_SK_EUlSX_E_NS1_11comp_targetILNS1_3genE8ELNS1_11target_archE1030ELNS1_3gpuE2ELNS1_3repE0EEENS1_48merge_mergepath_partition_config_static_selectorELNS0_4arch9wavefront6targetE1EEEvSJ_ ; -- Begin function _ZN7rocprim17ROCPRIM_400000_NS6detail17trampoline_kernelINS0_14default_configENS1_38merge_sort_block_merge_config_selectorIiiEEZZNS1_27merge_sort_block_merge_implIS3_N6thrust23THRUST_200600_302600_NS6detail15normal_iteratorINS8_10device_ptrIiEEEESD_jNS1_19radix_merge_compareILb0ELb0EiNS0_19identity_decomposerEEEEE10hipError_tT0_T1_T2_jT3_P12ihipStream_tbPNSt15iterator_traitsISI_E10value_typeEPNSO_ISJ_E10value_typeEPSK_NS1_7vsmem_tEENKUlT_SI_SJ_SK_E_clIPiSD_S10_SD_EESH_SX_SI_SJ_SK_EUlSX_E_NS1_11comp_targetILNS1_3genE8ELNS1_11target_archE1030ELNS1_3gpuE2ELNS1_3repE0EEENS1_48merge_mergepath_partition_config_static_selectorELNS0_4arch9wavefront6targetE1EEEvSJ_
	.globl	_ZN7rocprim17ROCPRIM_400000_NS6detail17trampoline_kernelINS0_14default_configENS1_38merge_sort_block_merge_config_selectorIiiEEZZNS1_27merge_sort_block_merge_implIS3_N6thrust23THRUST_200600_302600_NS6detail15normal_iteratorINS8_10device_ptrIiEEEESD_jNS1_19radix_merge_compareILb0ELb0EiNS0_19identity_decomposerEEEEE10hipError_tT0_T1_T2_jT3_P12ihipStream_tbPNSt15iterator_traitsISI_E10value_typeEPNSO_ISJ_E10value_typeEPSK_NS1_7vsmem_tEENKUlT_SI_SJ_SK_E_clIPiSD_S10_SD_EESH_SX_SI_SJ_SK_EUlSX_E_NS1_11comp_targetILNS1_3genE8ELNS1_11target_archE1030ELNS1_3gpuE2ELNS1_3repE0EEENS1_48merge_mergepath_partition_config_static_selectorELNS0_4arch9wavefront6targetE1EEEvSJ_
	.p2align	8
	.type	_ZN7rocprim17ROCPRIM_400000_NS6detail17trampoline_kernelINS0_14default_configENS1_38merge_sort_block_merge_config_selectorIiiEEZZNS1_27merge_sort_block_merge_implIS3_N6thrust23THRUST_200600_302600_NS6detail15normal_iteratorINS8_10device_ptrIiEEEESD_jNS1_19radix_merge_compareILb0ELb0EiNS0_19identity_decomposerEEEEE10hipError_tT0_T1_T2_jT3_P12ihipStream_tbPNSt15iterator_traitsISI_E10value_typeEPNSO_ISJ_E10value_typeEPSK_NS1_7vsmem_tEENKUlT_SI_SJ_SK_E_clIPiSD_S10_SD_EESH_SX_SI_SJ_SK_EUlSX_E_NS1_11comp_targetILNS1_3genE8ELNS1_11target_archE1030ELNS1_3gpuE2ELNS1_3repE0EEENS1_48merge_mergepath_partition_config_static_selectorELNS0_4arch9wavefront6targetE1EEEvSJ_,@function
_ZN7rocprim17ROCPRIM_400000_NS6detail17trampoline_kernelINS0_14default_configENS1_38merge_sort_block_merge_config_selectorIiiEEZZNS1_27merge_sort_block_merge_implIS3_N6thrust23THRUST_200600_302600_NS6detail15normal_iteratorINS8_10device_ptrIiEEEESD_jNS1_19radix_merge_compareILb0ELb0EiNS0_19identity_decomposerEEEEE10hipError_tT0_T1_T2_jT3_P12ihipStream_tbPNSt15iterator_traitsISI_E10value_typeEPNSO_ISJ_E10value_typeEPSK_NS1_7vsmem_tEENKUlT_SI_SJ_SK_E_clIPiSD_S10_SD_EESH_SX_SI_SJ_SK_EUlSX_E_NS1_11comp_targetILNS1_3genE8ELNS1_11target_archE1030ELNS1_3gpuE2ELNS1_3repE0EEENS1_48merge_mergepath_partition_config_static_selectorELNS0_4arch9wavefront6targetE1EEEvSJ_: ; @_ZN7rocprim17ROCPRIM_400000_NS6detail17trampoline_kernelINS0_14default_configENS1_38merge_sort_block_merge_config_selectorIiiEEZZNS1_27merge_sort_block_merge_implIS3_N6thrust23THRUST_200600_302600_NS6detail15normal_iteratorINS8_10device_ptrIiEEEESD_jNS1_19radix_merge_compareILb0ELb0EiNS0_19identity_decomposerEEEEE10hipError_tT0_T1_T2_jT3_P12ihipStream_tbPNSt15iterator_traitsISI_E10value_typeEPNSO_ISJ_E10value_typeEPSK_NS1_7vsmem_tEENKUlT_SI_SJ_SK_E_clIPiSD_S10_SD_EESH_SX_SI_SJ_SK_EUlSX_E_NS1_11comp_targetILNS1_3genE8ELNS1_11target_archE1030ELNS1_3gpuE2ELNS1_3repE0EEENS1_48merge_mergepath_partition_config_static_selectorELNS0_4arch9wavefront6targetE1EEEvSJ_
; %bb.0:
	.section	.rodata,"a",@progbits
	.p2align	6, 0x0
	.amdhsa_kernel _ZN7rocprim17ROCPRIM_400000_NS6detail17trampoline_kernelINS0_14default_configENS1_38merge_sort_block_merge_config_selectorIiiEEZZNS1_27merge_sort_block_merge_implIS3_N6thrust23THRUST_200600_302600_NS6detail15normal_iteratorINS8_10device_ptrIiEEEESD_jNS1_19radix_merge_compareILb0ELb0EiNS0_19identity_decomposerEEEEE10hipError_tT0_T1_T2_jT3_P12ihipStream_tbPNSt15iterator_traitsISI_E10value_typeEPNSO_ISJ_E10value_typeEPSK_NS1_7vsmem_tEENKUlT_SI_SJ_SK_E_clIPiSD_S10_SD_EESH_SX_SI_SJ_SK_EUlSX_E_NS1_11comp_targetILNS1_3genE8ELNS1_11target_archE1030ELNS1_3gpuE2ELNS1_3repE0EEENS1_48merge_mergepath_partition_config_static_selectorELNS0_4arch9wavefront6targetE1EEEvSJ_
		.amdhsa_group_segment_fixed_size 0
		.amdhsa_private_segment_fixed_size 0
		.amdhsa_kernarg_size 40
		.amdhsa_user_sgpr_count 2
		.amdhsa_user_sgpr_dispatch_ptr 0
		.amdhsa_user_sgpr_queue_ptr 0
		.amdhsa_user_sgpr_kernarg_segment_ptr 1
		.amdhsa_user_sgpr_dispatch_id 0
		.amdhsa_user_sgpr_kernarg_preload_length 0
		.amdhsa_user_sgpr_kernarg_preload_offset 0
		.amdhsa_user_sgpr_private_segment_size 0
		.amdhsa_uses_dynamic_stack 0
		.amdhsa_enable_private_segment 0
		.amdhsa_system_sgpr_workgroup_id_x 1
		.amdhsa_system_sgpr_workgroup_id_y 0
		.amdhsa_system_sgpr_workgroup_id_z 0
		.amdhsa_system_sgpr_workgroup_info 0
		.amdhsa_system_vgpr_workitem_id 0
		.amdhsa_next_free_vgpr 1
		.amdhsa_next_free_sgpr 0
		.amdhsa_accum_offset 4
		.amdhsa_reserve_vcc 0
		.amdhsa_float_round_mode_32 0
		.amdhsa_float_round_mode_16_64 0
		.amdhsa_float_denorm_mode_32 3
		.amdhsa_float_denorm_mode_16_64 3
		.amdhsa_dx10_clamp 1
		.amdhsa_ieee_mode 1
		.amdhsa_fp16_overflow 0
		.amdhsa_tg_split 0
		.amdhsa_exception_fp_ieee_invalid_op 0
		.amdhsa_exception_fp_denorm_src 0
		.amdhsa_exception_fp_ieee_div_zero 0
		.amdhsa_exception_fp_ieee_overflow 0
		.amdhsa_exception_fp_ieee_underflow 0
		.amdhsa_exception_fp_ieee_inexact 0
		.amdhsa_exception_int_div_zero 0
	.end_amdhsa_kernel
	.section	.text._ZN7rocprim17ROCPRIM_400000_NS6detail17trampoline_kernelINS0_14default_configENS1_38merge_sort_block_merge_config_selectorIiiEEZZNS1_27merge_sort_block_merge_implIS3_N6thrust23THRUST_200600_302600_NS6detail15normal_iteratorINS8_10device_ptrIiEEEESD_jNS1_19radix_merge_compareILb0ELb0EiNS0_19identity_decomposerEEEEE10hipError_tT0_T1_T2_jT3_P12ihipStream_tbPNSt15iterator_traitsISI_E10value_typeEPNSO_ISJ_E10value_typeEPSK_NS1_7vsmem_tEENKUlT_SI_SJ_SK_E_clIPiSD_S10_SD_EESH_SX_SI_SJ_SK_EUlSX_E_NS1_11comp_targetILNS1_3genE8ELNS1_11target_archE1030ELNS1_3gpuE2ELNS1_3repE0EEENS1_48merge_mergepath_partition_config_static_selectorELNS0_4arch9wavefront6targetE1EEEvSJ_,"axG",@progbits,_ZN7rocprim17ROCPRIM_400000_NS6detail17trampoline_kernelINS0_14default_configENS1_38merge_sort_block_merge_config_selectorIiiEEZZNS1_27merge_sort_block_merge_implIS3_N6thrust23THRUST_200600_302600_NS6detail15normal_iteratorINS8_10device_ptrIiEEEESD_jNS1_19radix_merge_compareILb0ELb0EiNS0_19identity_decomposerEEEEE10hipError_tT0_T1_T2_jT3_P12ihipStream_tbPNSt15iterator_traitsISI_E10value_typeEPNSO_ISJ_E10value_typeEPSK_NS1_7vsmem_tEENKUlT_SI_SJ_SK_E_clIPiSD_S10_SD_EESH_SX_SI_SJ_SK_EUlSX_E_NS1_11comp_targetILNS1_3genE8ELNS1_11target_archE1030ELNS1_3gpuE2ELNS1_3repE0EEENS1_48merge_mergepath_partition_config_static_selectorELNS0_4arch9wavefront6targetE1EEEvSJ_,comdat
.Lfunc_end715:
	.size	_ZN7rocprim17ROCPRIM_400000_NS6detail17trampoline_kernelINS0_14default_configENS1_38merge_sort_block_merge_config_selectorIiiEEZZNS1_27merge_sort_block_merge_implIS3_N6thrust23THRUST_200600_302600_NS6detail15normal_iteratorINS8_10device_ptrIiEEEESD_jNS1_19radix_merge_compareILb0ELb0EiNS0_19identity_decomposerEEEEE10hipError_tT0_T1_T2_jT3_P12ihipStream_tbPNSt15iterator_traitsISI_E10value_typeEPNSO_ISJ_E10value_typeEPSK_NS1_7vsmem_tEENKUlT_SI_SJ_SK_E_clIPiSD_S10_SD_EESH_SX_SI_SJ_SK_EUlSX_E_NS1_11comp_targetILNS1_3genE8ELNS1_11target_archE1030ELNS1_3gpuE2ELNS1_3repE0EEENS1_48merge_mergepath_partition_config_static_selectorELNS0_4arch9wavefront6targetE1EEEvSJ_, .Lfunc_end715-_ZN7rocprim17ROCPRIM_400000_NS6detail17trampoline_kernelINS0_14default_configENS1_38merge_sort_block_merge_config_selectorIiiEEZZNS1_27merge_sort_block_merge_implIS3_N6thrust23THRUST_200600_302600_NS6detail15normal_iteratorINS8_10device_ptrIiEEEESD_jNS1_19radix_merge_compareILb0ELb0EiNS0_19identity_decomposerEEEEE10hipError_tT0_T1_T2_jT3_P12ihipStream_tbPNSt15iterator_traitsISI_E10value_typeEPNSO_ISJ_E10value_typeEPSK_NS1_7vsmem_tEENKUlT_SI_SJ_SK_E_clIPiSD_S10_SD_EESH_SX_SI_SJ_SK_EUlSX_E_NS1_11comp_targetILNS1_3genE8ELNS1_11target_archE1030ELNS1_3gpuE2ELNS1_3repE0EEENS1_48merge_mergepath_partition_config_static_selectorELNS0_4arch9wavefront6targetE1EEEvSJ_
                                        ; -- End function
	.set _ZN7rocprim17ROCPRIM_400000_NS6detail17trampoline_kernelINS0_14default_configENS1_38merge_sort_block_merge_config_selectorIiiEEZZNS1_27merge_sort_block_merge_implIS3_N6thrust23THRUST_200600_302600_NS6detail15normal_iteratorINS8_10device_ptrIiEEEESD_jNS1_19radix_merge_compareILb0ELb0EiNS0_19identity_decomposerEEEEE10hipError_tT0_T1_T2_jT3_P12ihipStream_tbPNSt15iterator_traitsISI_E10value_typeEPNSO_ISJ_E10value_typeEPSK_NS1_7vsmem_tEENKUlT_SI_SJ_SK_E_clIPiSD_S10_SD_EESH_SX_SI_SJ_SK_EUlSX_E_NS1_11comp_targetILNS1_3genE8ELNS1_11target_archE1030ELNS1_3gpuE2ELNS1_3repE0EEENS1_48merge_mergepath_partition_config_static_selectorELNS0_4arch9wavefront6targetE1EEEvSJ_.num_vgpr, 0
	.set _ZN7rocprim17ROCPRIM_400000_NS6detail17trampoline_kernelINS0_14default_configENS1_38merge_sort_block_merge_config_selectorIiiEEZZNS1_27merge_sort_block_merge_implIS3_N6thrust23THRUST_200600_302600_NS6detail15normal_iteratorINS8_10device_ptrIiEEEESD_jNS1_19radix_merge_compareILb0ELb0EiNS0_19identity_decomposerEEEEE10hipError_tT0_T1_T2_jT3_P12ihipStream_tbPNSt15iterator_traitsISI_E10value_typeEPNSO_ISJ_E10value_typeEPSK_NS1_7vsmem_tEENKUlT_SI_SJ_SK_E_clIPiSD_S10_SD_EESH_SX_SI_SJ_SK_EUlSX_E_NS1_11comp_targetILNS1_3genE8ELNS1_11target_archE1030ELNS1_3gpuE2ELNS1_3repE0EEENS1_48merge_mergepath_partition_config_static_selectorELNS0_4arch9wavefront6targetE1EEEvSJ_.num_agpr, 0
	.set _ZN7rocprim17ROCPRIM_400000_NS6detail17trampoline_kernelINS0_14default_configENS1_38merge_sort_block_merge_config_selectorIiiEEZZNS1_27merge_sort_block_merge_implIS3_N6thrust23THRUST_200600_302600_NS6detail15normal_iteratorINS8_10device_ptrIiEEEESD_jNS1_19radix_merge_compareILb0ELb0EiNS0_19identity_decomposerEEEEE10hipError_tT0_T1_T2_jT3_P12ihipStream_tbPNSt15iterator_traitsISI_E10value_typeEPNSO_ISJ_E10value_typeEPSK_NS1_7vsmem_tEENKUlT_SI_SJ_SK_E_clIPiSD_S10_SD_EESH_SX_SI_SJ_SK_EUlSX_E_NS1_11comp_targetILNS1_3genE8ELNS1_11target_archE1030ELNS1_3gpuE2ELNS1_3repE0EEENS1_48merge_mergepath_partition_config_static_selectorELNS0_4arch9wavefront6targetE1EEEvSJ_.numbered_sgpr, 0
	.set _ZN7rocprim17ROCPRIM_400000_NS6detail17trampoline_kernelINS0_14default_configENS1_38merge_sort_block_merge_config_selectorIiiEEZZNS1_27merge_sort_block_merge_implIS3_N6thrust23THRUST_200600_302600_NS6detail15normal_iteratorINS8_10device_ptrIiEEEESD_jNS1_19radix_merge_compareILb0ELb0EiNS0_19identity_decomposerEEEEE10hipError_tT0_T1_T2_jT3_P12ihipStream_tbPNSt15iterator_traitsISI_E10value_typeEPNSO_ISJ_E10value_typeEPSK_NS1_7vsmem_tEENKUlT_SI_SJ_SK_E_clIPiSD_S10_SD_EESH_SX_SI_SJ_SK_EUlSX_E_NS1_11comp_targetILNS1_3genE8ELNS1_11target_archE1030ELNS1_3gpuE2ELNS1_3repE0EEENS1_48merge_mergepath_partition_config_static_selectorELNS0_4arch9wavefront6targetE1EEEvSJ_.num_named_barrier, 0
	.set _ZN7rocprim17ROCPRIM_400000_NS6detail17trampoline_kernelINS0_14default_configENS1_38merge_sort_block_merge_config_selectorIiiEEZZNS1_27merge_sort_block_merge_implIS3_N6thrust23THRUST_200600_302600_NS6detail15normal_iteratorINS8_10device_ptrIiEEEESD_jNS1_19radix_merge_compareILb0ELb0EiNS0_19identity_decomposerEEEEE10hipError_tT0_T1_T2_jT3_P12ihipStream_tbPNSt15iterator_traitsISI_E10value_typeEPNSO_ISJ_E10value_typeEPSK_NS1_7vsmem_tEENKUlT_SI_SJ_SK_E_clIPiSD_S10_SD_EESH_SX_SI_SJ_SK_EUlSX_E_NS1_11comp_targetILNS1_3genE8ELNS1_11target_archE1030ELNS1_3gpuE2ELNS1_3repE0EEENS1_48merge_mergepath_partition_config_static_selectorELNS0_4arch9wavefront6targetE1EEEvSJ_.private_seg_size, 0
	.set _ZN7rocprim17ROCPRIM_400000_NS6detail17trampoline_kernelINS0_14default_configENS1_38merge_sort_block_merge_config_selectorIiiEEZZNS1_27merge_sort_block_merge_implIS3_N6thrust23THRUST_200600_302600_NS6detail15normal_iteratorINS8_10device_ptrIiEEEESD_jNS1_19radix_merge_compareILb0ELb0EiNS0_19identity_decomposerEEEEE10hipError_tT0_T1_T2_jT3_P12ihipStream_tbPNSt15iterator_traitsISI_E10value_typeEPNSO_ISJ_E10value_typeEPSK_NS1_7vsmem_tEENKUlT_SI_SJ_SK_E_clIPiSD_S10_SD_EESH_SX_SI_SJ_SK_EUlSX_E_NS1_11comp_targetILNS1_3genE8ELNS1_11target_archE1030ELNS1_3gpuE2ELNS1_3repE0EEENS1_48merge_mergepath_partition_config_static_selectorELNS0_4arch9wavefront6targetE1EEEvSJ_.uses_vcc, 0
	.set _ZN7rocprim17ROCPRIM_400000_NS6detail17trampoline_kernelINS0_14default_configENS1_38merge_sort_block_merge_config_selectorIiiEEZZNS1_27merge_sort_block_merge_implIS3_N6thrust23THRUST_200600_302600_NS6detail15normal_iteratorINS8_10device_ptrIiEEEESD_jNS1_19radix_merge_compareILb0ELb0EiNS0_19identity_decomposerEEEEE10hipError_tT0_T1_T2_jT3_P12ihipStream_tbPNSt15iterator_traitsISI_E10value_typeEPNSO_ISJ_E10value_typeEPSK_NS1_7vsmem_tEENKUlT_SI_SJ_SK_E_clIPiSD_S10_SD_EESH_SX_SI_SJ_SK_EUlSX_E_NS1_11comp_targetILNS1_3genE8ELNS1_11target_archE1030ELNS1_3gpuE2ELNS1_3repE0EEENS1_48merge_mergepath_partition_config_static_selectorELNS0_4arch9wavefront6targetE1EEEvSJ_.uses_flat_scratch, 0
	.set _ZN7rocprim17ROCPRIM_400000_NS6detail17trampoline_kernelINS0_14default_configENS1_38merge_sort_block_merge_config_selectorIiiEEZZNS1_27merge_sort_block_merge_implIS3_N6thrust23THRUST_200600_302600_NS6detail15normal_iteratorINS8_10device_ptrIiEEEESD_jNS1_19radix_merge_compareILb0ELb0EiNS0_19identity_decomposerEEEEE10hipError_tT0_T1_T2_jT3_P12ihipStream_tbPNSt15iterator_traitsISI_E10value_typeEPNSO_ISJ_E10value_typeEPSK_NS1_7vsmem_tEENKUlT_SI_SJ_SK_E_clIPiSD_S10_SD_EESH_SX_SI_SJ_SK_EUlSX_E_NS1_11comp_targetILNS1_3genE8ELNS1_11target_archE1030ELNS1_3gpuE2ELNS1_3repE0EEENS1_48merge_mergepath_partition_config_static_selectorELNS0_4arch9wavefront6targetE1EEEvSJ_.has_dyn_sized_stack, 0
	.set _ZN7rocprim17ROCPRIM_400000_NS6detail17trampoline_kernelINS0_14default_configENS1_38merge_sort_block_merge_config_selectorIiiEEZZNS1_27merge_sort_block_merge_implIS3_N6thrust23THRUST_200600_302600_NS6detail15normal_iteratorINS8_10device_ptrIiEEEESD_jNS1_19radix_merge_compareILb0ELb0EiNS0_19identity_decomposerEEEEE10hipError_tT0_T1_T2_jT3_P12ihipStream_tbPNSt15iterator_traitsISI_E10value_typeEPNSO_ISJ_E10value_typeEPSK_NS1_7vsmem_tEENKUlT_SI_SJ_SK_E_clIPiSD_S10_SD_EESH_SX_SI_SJ_SK_EUlSX_E_NS1_11comp_targetILNS1_3genE8ELNS1_11target_archE1030ELNS1_3gpuE2ELNS1_3repE0EEENS1_48merge_mergepath_partition_config_static_selectorELNS0_4arch9wavefront6targetE1EEEvSJ_.has_recursion, 0
	.set _ZN7rocprim17ROCPRIM_400000_NS6detail17trampoline_kernelINS0_14default_configENS1_38merge_sort_block_merge_config_selectorIiiEEZZNS1_27merge_sort_block_merge_implIS3_N6thrust23THRUST_200600_302600_NS6detail15normal_iteratorINS8_10device_ptrIiEEEESD_jNS1_19radix_merge_compareILb0ELb0EiNS0_19identity_decomposerEEEEE10hipError_tT0_T1_T2_jT3_P12ihipStream_tbPNSt15iterator_traitsISI_E10value_typeEPNSO_ISJ_E10value_typeEPSK_NS1_7vsmem_tEENKUlT_SI_SJ_SK_E_clIPiSD_S10_SD_EESH_SX_SI_SJ_SK_EUlSX_E_NS1_11comp_targetILNS1_3genE8ELNS1_11target_archE1030ELNS1_3gpuE2ELNS1_3repE0EEENS1_48merge_mergepath_partition_config_static_selectorELNS0_4arch9wavefront6targetE1EEEvSJ_.has_indirect_call, 0
	.section	.AMDGPU.csdata,"",@progbits
; Kernel info:
; codeLenInByte = 0
; TotalNumSgprs: 6
; NumVgprs: 0
; NumAgprs: 0
; TotalNumVgprs: 0
; ScratchSize: 0
; MemoryBound: 0
; FloatMode: 240
; IeeeMode: 1
; LDSByteSize: 0 bytes/workgroup (compile time only)
; SGPRBlocks: 0
; VGPRBlocks: 0
; NumSGPRsForWavesPerEU: 6
; NumVGPRsForWavesPerEU: 1
; AccumOffset: 4
; Occupancy: 8
; WaveLimiterHint : 0
; COMPUTE_PGM_RSRC2:SCRATCH_EN: 0
; COMPUTE_PGM_RSRC2:USER_SGPR: 2
; COMPUTE_PGM_RSRC2:TRAP_HANDLER: 0
; COMPUTE_PGM_RSRC2:TGID_X_EN: 1
; COMPUTE_PGM_RSRC2:TGID_Y_EN: 0
; COMPUTE_PGM_RSRC2:TGID_Z_EN: 0
; COMPUTE_PGM_RSRC2:TIDIG_COMP_CNT: 0
; COMPUTE_PGM_RSRC3_GFX90A:ACCUM_OFFSET: 0
; COMPUTE_PGM_RSRC3_GFX90A:TG_SPLIT: 0
	.section	.text._ZN7rocprim17ROCPRIM_400000_NS6detail17trampoline_kernelINS0_14default_configENS1_38merge_sort_block_merge_config_selectorIiiEEZZNS1_27merge_sort_block_merge_implIS3_N6thrust23THRUST_200600_302600_NS6detail15normal_iteratorINS8_10device_ptrIiEEEESD_jNS1_19radix_merge_compareILb0ELb0EiNS0_19identity_decomposerEEEEE10hipError_tT0_T1_T2_jT3_P12ihipStream_tbPNSt15iterator_traitsISI_E10value_typeEPNSO_ISJ_E10value_typeEPSK_NS1_7vsmem_tEENKUlT_SI_SJ_SK_E_clIPiSD_S10_SD_EESH_SX_SI_SJ_SK_EUlSX_E0_NS1_11comp_targetILNS1_3genE0ELNS1_11target_archE4294967295ELNS1_3gpuE0ELNS1_3repE0EEENS1_38merge_mergepath_config_static_selectorELNS0_4arch9wavefront6targetE1EEEvSJ_,"axG",@progbits,_ZN7rocprim17ROCPRIM_400000_NS6detail17trampoline_kernelINS0_14default_configENS1_38merge_sort_block_merge_config_selectorIiiEEZZNS1_27merge_sort_block_merge_implIS3_N6thrust23THRUST_200600_302600_NS6detail15normal_iteratorINS8_10device_ptrIiEEEESD_jNS1_19radix_merge_compareILb0ELb0EiNS0_19identity_decomposerEEEEE10hipError_tT0_T1_T2_jT3_P12ihipStream_tbPNSt15iterator_traitsISI_E10value_typeEPNSO_ISJ_E10value_typeEPSK_NS1_7vsmem_tEENKUlT_SI_SJ_SK_E_clIPiSD_S10_SD_EESH_SX_SI_SJ_SK_EUlSX_E0_NS1_11comp_targetILNS1_3genE0ELNS1_11target_archE4294967295ELNS1_3gpuE0ELNS1_3repE0EEENS1_38merge_mergepath_config_static_selectorELNS0_4arch9wavefront6targetE1EEEvSJ_,comdat
	.protected	_ZN7rocprim17ROCPRIM_400000_NS6detail17trampoline_kernelINS0_14default_configENS1_38merge_sort_block_merge_config_selectorIiiEEZZNS1_27merge_sort_block_merge_implIS3_N6thrust23THRUST_200600_302600_NS6detail15normal_iteratorINS8_10device_ptrIiEEEESD_jNS1_19radix_merge_compareILb0ELb0EiNS0_19identity_decomposerEEEEE10hipError_tT0_T1_T2_jT3_P12ihipStream_tbPNSt15iterator_traitsISI_E10value_typeEPNSO_ISJ_E10value_typeEPSK_NS1_7vsmem_tEENKUlT_SI_SJ_SK_E_clIPiSD_S10_SD_EESH_SX_SI_SJ_SK_EUlSX_E0_NS1_11comp_targetILNS1_3genE0ELNS1_11target_archE4294967295ELNS1_3gpuE0ELNS1_3repE0EEENS1_38merge_mergepath_config_static_selectorELNS0_4arch9wavefront6targetE1EEEvSJ_ ; -- Begin function _ZN7rocprim17ROCPRIM_400000_NS6detail17trampoline_kernelINS0_14default_configENS1_38merge_sort_block_merge_config_selectorIiiEEZZNS1_27merge_sort_block_merge_implIS3_N6thrust23THRUST_200600_302600_NS6detail15normal_iteratorINS8_10device_ptrIiEEEESD_jNS1_19radix_merge_compareILb0ELb0EiNS0_19identity_decomposerEEEEE10hipError_tT0_T1_T2_jT3_P12ihipStream_tbPNSt15iterator_traitsISI_E10value_typeEPNSO_ISJ_E10value_typeEPSK_NS1_7vsmem_tEENKUlT_SI_SJ_SK_E_clIPiSD_S10_SD_EESH_SX_SI_SJ_SK_EUlSX_E0_NS1_11comp_targetILNS1_3genE0ELNS1_11target_archE4294967295ELNS1_3gpuE0ELNS1_3repE0EEENS1_38merge_mergepath_config_static_selectorELNS0_4arch9wavefront6targetE1EEEvSJ_
	.globl	_ZN7rocprim17ROCPRIM_400000_NS6detail17trampoline_kernelINS0_14default_configENS1_38merge_sort_block_merge_config_selectorIiiEEZZNS1_27merge_sort_block_merge_implIS3_N6thrust23THRUST_200600_302600_NS6detail15normal_iteratorINS8_10device_ptrIiEEEESD_jNS1_19radix_merge_compareILb0ELb0EiNS0_19identity_decomposerEEEEE10hipError_tT0_T1_T2_jT3_P12ihipStream_tbPNSt15iterator_traitsISI_E10value_typeEPNSO_ISJ_E10value_typeEPSK_NS1_7vsmem_tEENKUlT_SI_SJ_SK_E_clIPiSD_S10_SD_EESH_SX_SI_SJ_SK_EUlSX_E0_NS1_11comp_targetILNS1_3genE0ELNS1_11target_archE4294967295ELNS1_3gpuE0ELNS1_3repE0EEENS1_38merge_mergepath_config_static_selectorELNS0_4arch9wavefront6targetE1EEEvSJ_
	.p2align	8
	.type	_ZN7rocprim17ROCPRIM_400000_NS6detail17trampoline_kernelINS0_14default_configENS1_38merge_sort_block_merge_config_selectorIiiEEZZNS1_27merge_sort_block_merge_implIS3_N6thrust23THRUST_200600_302600_NS6detail15normal_iteratorINS8_10device_ptrIiEEEESD_jNS1_19radix_merge_compareILb0ELb0EiNS0_19identity_decomposerEEEEE10hipError_tT0_T1_T2_jT3_P12ihipStream_tbPNSt15iterator_traitsISI_E10value_typeEPNSO_ISJ_E10value_typeEPSK_NS1_7vsmem_tEENKUlT_SI_SJ_SK_E_clIPiSD_S10_SD_EESH_SX_SI_SJ_SK_EUlSX_E0_NS1_11comp_targetILNS1_3genE0ELNS1_11target_archE4294967295ELNS1_3gpuE0ELNS1_3repE0EEENS1_38merge_mergepath_config_static_selectorELNS0_4arch9wavefront6targetE1EEEvSJ_,@function
_ZN7rocprim17ROCPRIM_400000_NS6detail17trampoline_kernelINS0_14default_configENS1_38merge_sort_block_merge_config_selectorIiiEEZZNS1_27merge_sort_block_merge_implIS3_N6thrust23THRUST_200600_302600_NS6detail15normal_iteratorINS8_10device_ptrIiEEEESD_jNS1_19radix_merge_compareILb0ELb0EiNS0_19identity_decomposerEEEEE10hipError_tT0_T1_T2_jT3_P12ihipStream_tbPNSt15iterator_traitsISI_E10value_typeEPNSO_ISJ_E10value_typeEPSK_NS1_7vsmem_tEENKUlT_SI_SJ_SK_E_clIPiSD_S10_SD_EESH_SX_SI_SJ_SK_EUlSX_E0_NS1_11comp_targetILNS1_3genE0ELNS1_11target_archE4294967295ELNS1_3gpuE0ELNS1_3repE0EEENS1_38merge_mergepath_config_static_selectorELNS0_4arch9wavefront6targetE1EEEvSJ_: ; @_ZN7rocprim17ROCPRIM_400000_NS6detail17trampoline_kernelINS0_14default_configENS1_38merge_sort_block_merge_config_selectorIiiEEZZNS1_27merge_sort_block_merge_implIS3_N6thrust23THRUST_200600_302600_NS6detail15normal_iteratorINS8_10device_ptrIiEEEESD_jNS1_19radix_merge_compareILb0ELb0EiNS0_19identity_decomposerEEEEE10hipError_tT0_T1_T2_jT3_P12ihipStream_tbPNSt15iterator_traitsISI_E10value_typeEPNSO_ISJ_E10value_typeEPSK_NS1_7vsmem_tEENKUlT_SI_SJ_SK_E_clIPiSD_S10_SD_EESH_SX_SI_SJ_SK_EUlSX_E0_NS1_11comp_targetILNS1_3genE0ELNS1_11target_archE4294967295ELNS1_3gpuE0ELNS1_3repE0EEENS1_38merge_mergepath_config_static_selectorELNS0_4arch9wavefront6targetE1EEEvSJ_
; %bb.0:
	s_load_dwordx2 s[28:29], s[0:1], 0x40
	s_load_dword s5, s[0:1], 0x30
	s_add_u32 s24, s0, 64
	s_addc_u32 s25, s1, 0
	s_waitcnt lgkmcnt(0)
	s_mul_i32 s4, s29, s4
	s_add_i32 s3, s4, s3
	s_mul_i32 s3, s3, s28
	s_add_i32 s26, s3, s2
	s_cmp_ge_u32 s26, s5
	s_cbranch_scc1 .LBB716_46
; %bb.1:
	s_load_dwordx8 s[8:15], s[0:1], 0x10
	s_load_dwordx2 s[20:21], s[0:1], 0x8
	s_load_dwordx2 s[4:5], s[0:1], 0x38
	s_mov_b32 s27, 0
	s_mov_b32 s23, s27
	s_waitcnt lgkmcnt(0)
	s_lshr_b32 s29, s14, 10
	s_cmp_lg_u32 s26, s29
	s_cselect_b64 s[18:19], -1, 0
	s_lshl_b64 s[0:1], s[26:27], 2
	s_add_u32 s0, s4, s0
	s_addc_u32 s1, s5, s1
	s_load_dwordx2 s[4:5], s[0:1], 0x0
	s_lshr_b32 s0, s15, 9
	s_and_b32 s0, s0, 0x7ffffe
	s_sub_i32 s0, 0, s0
	s_and_b32 s1, s26, s0
	s_lshl_b32 s3, s1, 10
	s_lshl_b32 s16, s26, 10
	;; [unrolled: 1-line block ×3, first 2 shown]
	s_sub_i32 s6, s16, s3
	s_add_i32 s1, s1, s15
	s_add_i32 s6, s1, s6
	s_waitcnt lgkmcnt(0)
	s_sub_i32 s7, s6, s4
	s_sub_i32 s6, s6, s5
	;; [unrolled: 1-line block ×3, first 2 shown]
	s_min_u32 s22, s14, s7
	s_addk_i32 s6, 0x400
	s_or_b32 s0, s26, s0
	s_min_u32 s3, s14, s1
	s_add_i32 s1, s1, s15
	s_cmp_eq_u32 s0, -1
	s_cselect_b32 s0, s1, s6
	s_cselect_b32 s1, s3, s5
	s_mov_b32 s5, s27
	s_min_u32 s17, s0, s14
	s_sub_i32 s15, s1, s4
	s_lshl_b64 s[0:1], s[4:5], 2
	s_add_u32 s6, s20, s0
	s_addc_u32 s7, s21, s1
	s_lshl_b64 s[4:5], s[22:23], 2
	s_add_u32 s20, s20, s4
	s_addc_u32 s21, s21, s5
	s_cmp_lt_u32 s2, s28
	v_mov_b32_e32 v11, 0
	s_cselect_b32 s2, 12, 18
	global_load_dword v1, v11, s[24:25] offset:14
	s_add_u32 s2, s24, s2
	s_addc_u32 s3, s25, 0
	global_load_ushort v2, v11, s[2:3]
	s_cmp_eq_u32 s26, s29
	v_lshlrev_b32_e32 v10, 2, v0
	s_waitcnt vmcnt(1)
	v_lshrrev_b32_e32 v3, 16, v1
	v_and_b32_e32 v1, 0xffff, v1
	v_mul_lo_u32 v1, v1, v3
	s_waitcnt vmcnt(0)
	v_mul_lo_u32 v1, v1, v2
	v_add_u32_e32 v14, v1, v0
	v_add_u32_e32 v12, v14, v1
	s_cbranch_scc1 .LBB716_3
; %bb.2:
	v_subrev_co_u32_e32 v4, vcc, s15, v0
	v_mov_b32_e32 v5, v11
	v_lshl_add_u64 v[2:3], s[6:7], 0, v[10:11]
	v_lshl_add_u64 v[4:5], v[4:5], 2, s[20:21]
	v_cndmask_b32_e32 v3, v5, v3, vcc
	v_cndmask_b32_e32 v2, v4, v2, vcc
	global_load_dword v2, v[2:3], off
	v_mov_b32_e32 v15, v11
	v_subrev_co_u32_e32 v6, vcc, s15, v14
	v_mov_b32_e32 v7, v11
	v_lshl_add_u64 v[4:5], v[14:15], 2, s[6:7]
	v_lshl_add_u64 v[6:7], v[6:7], 2, s[20:21]
	v_cndmask_b32_e32 v5, v7, v5, vcc
	v_cndmask_b32_e32 v4, v6, v4, vcc
	v_mov_b32_e32 v13, v11
	v_subrev_co_u32_e32 v6, vcc, s15, v12
	v_mov_b32_e32 v7, v11
	global_load_dword v3, v[4:5], off
	v_lshl_add_u64 v[4:5], v[12:13], 2, s[6:7]
	v_lshl_add_u64 v[6:7], v[6:7], 2, s[20:21]
	v_cndmask_b32_e32 v5, v7, v5, vcc
	v_cndmask_b32_e32 v4, v6, v4, vcc
	global_load_dword v4, v[4:5], off
	v_add_u32_e32 v6, v12, v1
	s_mov_b64 s[2:3], -1
	s_sub_i32 s17, s17, s22
	s_cbranch_execz .LBB716_4
	s_branch .LBB716_9
.LBB716_3:
	s_mov_b64 s[2:3], 0
                                        ; implicit-def: $vgpr6
                                        ; implicit-def: $vgpr2_vgpr3_vgpr4_vgpr5
	s_sub_i32 s17, s17, s22
.LBB716_4:
	s_add_i32 s22, s17, s15
	s_waitcnt vmcnt(2)
	v_mov_b32_e32 v2, 0
	v_cmp_gt_u32_e32 vcc, s22, v0
	s_waitcnt vmcnt(1)
	v_mov_b32_e32 v3, v2
	s_waitcnt vmcnt(0)
	v_mov_b32_e32 v4, v2
	v_mov_b32_e32 v5, v2
	s_and_saveexec_b64 s[2:3], vcc
	s_cbranch_execnz .LBB716_47
; %bb.5:
	s_or_b64 exec, exec, s[2:3]
	v_cmp_gt_u32_e32 vcc, s22, v14
	s_and_saveexec_b64 s[2:3], vcc
	s_cbranch_execnz .LBB716_48
.LBB716_6:
	s_or_b64 exec, exec, s[2:3]
	v_cmp_gt_u32_e32 vcc, s22, v12
	s_and_saveexec_b64 s[2:3], vcc
	s_cbranch_execz .LBB716_8
.LBB716_7:
	v_mov_b32_e32 v13, 0
	v_subrev_co_u32_e32 v8, vcc, s15, v12
	v_mov_b32_e32 v9, v13
	v_lshl_add_u64 v[6:7], v[12:13], 2, s[6:7]
	v_lshl_add_u64 v[8:9], v[8:9], 2, s[20:21]
	v_cndmask_b32_e32 v7, v9, v7, vcc
	v_cndmask_b32_e32 v6, v8, v6, vcc
	global_load_dword v4, v[6:7], off
.LBB716_8:
	s_or_b64 exec, exec, s[2:3]
	v_add_u32_e32 v6, v12, v1
	v_cmp_gt_u32_e64 s[2:3], s22, v6
.LBB716_9:
	s_and_saveexec_b64 s[22:23], s[2:3]
	s_cbranch_execz .LBB716_11
; %bb.10:
	v_mov_b32_e32 v7, 0
	v_lshl_add_u64 v[8:9], v[6:7], 2, s[6:7]
	v_subrev_co_u32_e32 v6, vcc, s15, v6
	v_lshl_add_u64 v[6:7], v[6:7], 2, s[20:21]
	s_nop 0
	v_cndmask_b32_e32 v7, v7, v9, vcc
	v_cndmask_b32_e32 v6, v6, v8, vcc
	global_load_dword v5, v[6:7], off
.LBB716_11:
	s_or_b64 exec, exec, s[22:23]
	s_add_u32 s0, s10, s0
	s_addc_u32 s1, s11, s1
	s_add_u32 s2, s10, s4
	v_mov_b32_e32 v11, 0
	s_addc_u32 s3, s11, s5
	s_andn2_b64 vcc, exec, s[18:19]
	s_waitcnt vmcnt(0)
	ds_write2st64_b32 v10, v2, v3 offset1:4
	ds_write2st64_b32 v10, v4, v5 offset0:8 offset1:12
	s_cbranch_vccnz .LBB716_13
; %bb.12:
	v_subrev_co_u32_e32 v8, vcc, s15, v0
	v_mov_b32_e32 v9, v11
	v_lshl_add_u64 v[6:7], s[0:1], 0, v[10:11]
	v_lshl_add_u64 v[8:9], v[8:9], 2, s[2:3]
	v_cndmask_b32_e32 v7, v9, v7, vcc
	v_cndmask_b32_e32 v6, v8, v6, vcc
	v_mov_b32_e32 v15, v11
	v_subrev_co_u32_e32 v16, vcc, s15, v14
	v_mov_b32_e32 v17, v11
	v_lshl_add_u64 v[8:9], v[14:15], 2, s[0:1]
	v_lshl_add_u64 v[16:17], v[16:17], 2, s[2:3]
	v_cndmask_b32_e32 v9, v17, v9, vcc
	v_cndmask_b32_e32 v8, v16, v8, vcc
	v_mov_b32_e32 v13, v11
	v_subrev_co_u32_e32 v16, vcc, s15, v12
	v_mov_b32_e32 v17, v11
	global_load_dword v6, v[6:7], off
	v_lshl_add_u64 v[16:17], v[16:17], 2, s[2:3]
	global_load_dword v7, v[8:9], off
	v_lshl_add_u64 v[8:9], v[12:13], 2, s[0:1]
	v_cndmask_b32_e32 v9, v17, v9, vcc
	v_cndmask_b32_e32 v8, v16, v8, vcc
	v_add_u32_e32 v16, v12, v1
	v_mov_b32_e32 v17, v11
	v_lshl_add_u64 v[18:19], v[16:17], 2, s[0:1]
	v_subrev_co_u32_e32 v16, vcc, s15, v16
	v_lshl_add_u64 v[16:17], v[16:17], 2, s[2:3]
	s_nop 0
	v_cndmask_b32_e32 v17, v17, v19, vcc
	v_cndmask_b32_e32 v16, v16, v18, vcc
	global_load_dword v8, v[8:9], off
	s_add_i32 s20, s17, s15
	global_load_dword v9, v[16:17], off
	s_cbranch_execz .LBB716_14
	s_branch .LBB716_21
.LBB716_13:
                                        ; implicit-def: $vgpr6_vgpr7_vgpr8_vgpr9
                                        ; implicit-def: $sgpr20
.LBB716_14:
	s_add_i32 s20, s17, s15
	s_waitcnt vmcnt(3)
	v_mov_b32_e32 v6, 0
	v_cmp_gt_u32_e32 vcc, s20, v0
	s_waitcnt vmcnt(2)
	v_mov_b32_e32 v7, v6
	s_waitcnt vmcnt(1)
	v_mov_b32_e32 v8, v6
	;; [unrolled: 2-line block ×3, first 2 shown]
	s_and_saveexec_b64 s[4:5], vcc
	s_cbranch_execnz .LBB716_49
; %bb.15:
	s_or_b64 exec, exec, s[4:5]
	v_cmp_gt_u32_e32 vcc, s20, v14
	s_and_saveexec_b64 s[4:5], vcc
	s_cbranch_execnz .LBB716_50
.LBB716_16:
	s_or_b64 exec, exec, s[4:5]
	v_cmp_gt_u32_e32 vcc, s20, v12
	s_and_saveexec_b64 s[4:5], vcc
	s_cbranch_execz .LBB716_18
.LBB716_17:
	v_mov_b32_e32 v13, 0
	v_subrev_co_u32_e32 v16, vcc, s15, v12
	v_mov_b32_e32 v17, v13
	v_lshl_add_u64 v[14:15], v[12:13], 2, s[0:1]
	v_lshl_add_u64 v[16:17], v[16:17], 2, s[2:3]
	v_cndmask_b32_e32 v15, v17, v15, vcc
	v_cndmask_b32_e32 v14, v16, v14, vcc
	global_load_dword v8, v[14:15], off
.LBB716_18:
	s_or_b64 exec, exec, s[4:5]
	v_add_u32_e32 v12, v12, v1
	v_cmp_gt_u32_e32 vcc, s20, v12
	s_and_saveexec_b64 s[4:5], vcc
	s_cbranch_execz .LBB716_20
; %bb.19:
	v_mov_b32_e32 v13, 0
	v_lshl_add_u64 v[14:15], v[12:13], 2, s[0:1]
	v_subrev_co_u32_e32 v12, vcc, s15, v12
	v_lshl_add_u64 v[12:13], v[12:13], 2, s[2:3]
	s_nop 0
	v_cndmask_b32_e32 v13, v13, v15, vcc
	v_cndmask_b32_e32 v12, v12, v14, vcc
	global_load_dword v9, v[12:13], off
.LBB716_20:
	s_or_b64 exec, exec, s[4:5]
.LBB716_21:
	v_min_u32_e32 v11, s20, v10
	v_sub_u32_e64 v1, v11, s17 clamp
	v_min_u32_e32 v12, s15, v11
	v_cmp_lt_u32_e32 vcc, v1, v12
	s_waitcnt lgkmcnt(0)
	s_barrier
	s_and_saveexec_b64 s[0:1], vcc
	s_cbranch_execz .LBB716_25
; %bb.22:
	v_lshlrev_b32_e32 v13, 2, v11
	v_lshl_add_u32 v13, s15, 2, v13
	s_mov_b64 s[2:3], 0
.LBB716_23:                             ; =>This Inner Loop Header: Depth=1
	v_add_u32_e32 v14, v12, v1
	v_lshrrev_b32_e32 v14, 1, v14
	v_not_b32_e32 v15, v14
	v_lshlrev_b32_e32 v16, 2, v14
	v_lshl_add_u32 v15, v15, 2, v13
	ds_read_b32 v16, v16
	ds_read_b32 v15, v15
	v_add_u32_e32 v17, 1, v14
	s_waitcnt lgkmcnt(0)
	v_cmp_gt_i32_e32 vcc, v16, v15
	s_nop 1
	v_cndmask_b32_e32 v12, v12, v14, vcc
	v_cndmask_b32_e32 v1, v17, v1, vcc
	v_cmp_ge_u32_e32 vcc, v1, v12
	s_or_b64 s[2:3], vcc, s[2:3]
	s_andn2_b64 exec, exec, s[2:3]
	s_cbranch_execnz .LBB716_23
; %bb.24:
	s_or_b64 exec, exec, s[2:3]
.LBB716_25:
	s_or_b64 exec, exec, s[0:1]
	v_sub_u32_e32 v11, v11, v1
	v_add_u32_e32 v14, s15, v11
	v_cmp_ge_u32_e32 vcc, s15, v1
	v_cmp_ge_u32_e64 s[0:1], s20, v14
	s_or_b64 s[0:1], vcc, s[0:1]
	v_mov_b32_e32 v15, 0
	v_mov_b32_e32 v13, 0
	;; [unrolled: 1-line block ×4, first 2 shown]
	s_and_saveexec_b64 s[10:11], s[0:1]
	s_cbranch_execz .LBB716_31
; %bb.26:
	v_cmp_gt_u32_e32 vcc, s15, v1
                                        ; implicit-def: $vgpr2
	s_and_saveexec_b64 s[0:1], vcc
; %bb.27:
	v_lshlrev_b32_e32 v2, 2, v1
	ds_read_b32 v2, v2
; %bb.28:
	s_or_b64 exec, exec, s[0:1]
	v_cmp_le_u32_e64 s[0:1], s20, v14
	v_cmp_gt_u32_e64 s[2:3], s20, v14
                                        ; implicit-def: $vgpr3
	s_and_saveexec_b64 s[4:5], s[2:3]
; %bb.29:
	v_lshlrev_b32_e32 v3, 2, v14
	ds_read_b32 v3, v3
; %bb.30:
	s_or_b64 exec, exec, s[4:5]
	s_waitcnt lgkmcnt(0)
	v_cmp_le_i32_e64 s[2:3], v2, v3
	s_and_b64 s[2:3], vcc, s[2:3]
	s_or_b64 vcc, s[0:1], s[2:3]
	v_mov_b32_e32 v4, s20
	v_mov_b32_e32 v5, s15
	v_cndmask_b32_e32 v11, v14, v1, vcc
	v_cndmask_b32_e32 v12, v4, v5, vcc
	v_add_u32_e32 v13, 1, v11
	v_add_u32_e32 v12, -1, v12
	v_min_u32_e32 v12, v13, v12
	v_lshlrev_b32_e32 v12, 2, v12
	ds_read_b32 v12, v12
	v_cndmask_b32_e32 v1, v1, v13, vcc
	v_cndmask_b32_e32 v14, v13, v14, vcc
	v_cmp_gt_u32_e64 s[2:3], s15, v1
	v_cmp_le_u32_e64 s[0:1], s20, v14
	s_waitcnt lgkmcnt(0)
	v_cndmask_b32_e32 v15, v12, v3, vcc
	v_cndmask_b32_e32 v16, v2, v12, vcc
	v_cmp_le_i32_e64 s[4:5], v16, v15
	s_and_b64 s[2:3], s[2:3], s[4:5]
	s_or_b64 s[0:1], s[0:1], s[2:3]
	v_cndmask_b32_e64 v12, v14, v1, s[0:1]
	v_cndmask_b32_e64 v13, v4, v5, s[0:1]
	v_add_u32_e32 v17, 1, v12
	v_add_u32_e32 v13, -1, v13
	v_min_u32_e32 v13, v17, v13
	v_lshlrev_b32_e32 v13, 2, v13
	ds_read_b32 v13, v13
	v_cndmask_b32_e64 v1, v1, v17, s[0:1]
	v_cndmask_b32_e64 v14, v17, v14, s[0:1]
	v_cmp_gt_u32_e64 s[4:5], s15, v1
	v_cmp_le_u32_e64 s[2:3], s20, v14
	s_waitcnt lgkmcnt(0)
	v_cndmask_b32_e64 v18, v13, v15, s[0:1]
	v_cndmask_b32_e64 v19, v16, v13, s[0:1]
	v_cmp_le_i32_e64 s[6:7], v19, v18
	s_and_b64 s[4:5], s[4:5], s[6:7]
	s_or_b64 s[2:3], s[2:3], s[4:5]
	v_cndmask_b32_e64 v13, v14, v1, s[2:3]
	v_cndmask_b32_e64 v4, v4, v5, s[2:3]
	v_add_u32_e32 v5, 1, v13
	v_add_u32_e32 v4, -1, v4
	v_min_u32_e32 v4, v5, v4
	v_lshlrev_b32_e32 v4, 2, v4
	ds_read_b32 v17, v4
	v_cndmask_b32_e32 v2, v3, v2, vcc
	v_cndmask_b32_e64 v3, v15, v16, s[0:1]
	v_cndmask_b32_e64 v1, v1, v5, s[2:3]
	;; [unrolled: 1-line block ×3, first 2 shown]
	s_waitcnt lgkmcnt(0)
	v_cndmask_b32_e64 v16, v17, v18, s[2:3]
	v_cndmask_b32_e64 v17, v19, v17, s[2:3]
	;; [unrolled: 1-line block ×3, first 2 shown]
	v_cmp_gt_u32_e64 s[0:1], s15, v1
	v_cmp_le_i32_e64 s[2:3], v17, v16
	v_cmp_le_u32_e32 vcc, s20, v14
	s_and_b64 s[0:1], s[0:1], s[2:3]
	s_or_b64 vcc, vcc, s[0:1]
	v_cndmask_b32_e32 v15, v14, v1, vcc
	v_cndmask_b32_e32 v5, v16, v17, vcc
.LBB716_31:
	s_or_b64 exec, exec, s[10:11]
	s_barrier
	s_waitcnt vmcnt(0)
	ds_write2st64_b32 v10, v6, v7 offset1:4
	ds_write2st64_b32 v10, v8, v9 offset0:8 offset1:12
	v_lshlrev_b32_e32 v1, 2, v11
	v_lshrrev_b32_e32 v11, 3, v0
	v_lshlrev_b32_e32 v9, 2, v10
	v_lshlrev_b32_e32 v6, 2, v12
	v_lshlrev_b32_e32 v7, 2, v13
	v_lshlrev_b32_e32 v8, 2, v15
	v_lshl_add_u32 v9, v11, 2, v9
	s_waitcnt lgkmcnt(0)
	s_barrier
	ds_read_b32 v1, v1
	ds_read_b32 v6, v6
	;; [unrolled: 1-line block ×4, first 2 shown]
	s_waitcnt lgkmcnt(0)
	s_barrier
	s_barrier
	ds_write2_b32 v9, v2, v3 offset1:1
	ds_write2_b32 v9, v4, v5 offset0:2 offset1:3
	v_and_b32_e32 v2, 28, v11
	v_or_b32_e32 v16, 0x100, v0
	v_add_u32_e32 v4, v2, v10
	v_lshrrev_b32_e32 v2, 3, v16
	v_and_b32_e32 v2, 60, v2
	v_or_b32_e32 v15, 0x200, v0
	s_mov_b32 s17, 0
	v_add_u32_e32 v5, v2, v10
	v_lshrrev_b32_e32 v2, 3, v15
	s_lshl_b64 s[4:5], s[16:17], 2
	v_and_b32_e32 v2, 0x5c, v2
	v_or_b32_e32 v14, 0x300, v0
	s_add_u32 s0, s8, s4
	v_add_u32_e32 v12, v2, v10
	v_lshrrev_b32_e32 v2, 3, v14
	s_addc_u32 s1, s9, s5
	v_and_b32_e32 v2, 0x7c, v2
	v_mov_b32_e32 v11, 0
	v_add_u32_e32 v13, v2, v10
	v_lshl_add_u64 v[2:3], s[0:1], 0, v[10:11]
	s_and_b64 vcc, exec, s[18:19]
	s_waitcnt lgkmcnt(0)
	s_cbranch_vccz .LBB716_33
; %bb.32:
	s_barrier
	ds_read_b32 v11, v4
	ds_read_b32 v17, v5 offset:1024
	ds_read_b32 v18, v12 offset:2048
	;; [unrolled: 1-line block ×3, first 2 shown]
	s_add_u32 s0, s12, s4
	s_addc_u32 s1, s13, s5
	s_waitcnt lgkmcnt(3)
	global_store_dword v[2:3], v11, off
	s_waitcnt lgkmcnt(2)
	global_store_dword v[2:3], v17, off offset:1024
	s_waitcnt lgkmcnt(1)
	global_store_dword v[2:3], v18, off offset:2048
	;; [unrolled: 2-line block ×3, first 2 shown]
	s_barrier
	ds_write2_b32 v9, v1, v6 offset1:1
	ds_write2_b32 v9, v7, v8 offset0:2 offset1:3
	s_waitcnt lgkmcnt(0)
	s_barrier
	ds_read_b32 v11, v4
	ds_read_b32 v18, v5 offset:1024
	ds_read_b32 v19, v12 offset:2048
	;; [unrolled: 1-line block ×3, first 2 shown]
	s_waitcnt lgkmcnt(3)
	global_store_dword v10, v11, s[0:1]
	s_waitcnt lgkmcnt(2)
	global_store_dword v10, v18, s[0:1] offset:1024
	s_waitcnt lgkmcnt(1)
	global_store_dword v10, v19, s[0:1] offset:2048
	s_mov_b64 s[6:7], -1
	s_cbranch_execz .LBB716_34
	s_branch .LBB716_44
.LBB716_33:
	s_mov_b64 s[6:7], 0
                                        ; implicit-def: $vgpr17
.LBB716_34:
	s_barrier
	s_waitcnt lgkmcnt(0)
	ds_read_b32 v18, v5 offset:1024
	ds_read_b32 v17, v12 offset:2048
	;; [unrolled: 1-line block ×3, first 2 shown]
	s_sub_i32 s8, s14, s16
	v_cmp_gt_u32_e32 vcc, s8, v0
	s_and_saveexec_b64 s[0:1], vcc
	s_cbranch_execnz .LBB716_51
; %bb.35:
	s_or_b64 exec, exec, s[0:1]
	v_cmp_gt_u32_e64 s[0:1], s8, v16
	s_and_saveexec_b64 s[2:3], s[0:1]
	s_cbranch_execnz .LBB716_52
.LBB716_36:
	s_or_b64 exec, exec, s[2:3]
	v_cmp_gt_u32_e64 s[2:3], s8, v15
	s_and_saveexec_b64 s[6:7], s[2:3]
	s_cbranch_execnz .LBB716_53
.LBB716_37:
	s_or_b64 exec, exec, s[6:7]
	v_cmp_gt_u32_e64 s[6:7], s8, v14
	s_and_saveexec_b64 s[8:9], s[6:7]
	s_cbranch_execz .LBB716_39
.LBB716_38:
	s_waitcnt lgkmcnt(0)
	global_store_dword v[2:3], v11, off offset:3072
.LBB716_39:
	s_or_b64 exec, exec, s[8:9]
	s_waitcnt lgkmcnt(0)
	s_barrier
	ds_write2_b32 v9, v1, v6 offset1:1
	ds_write2_b32 v9, v7, v8 offset0:2 offset1:3
	s_waitcnt lgkmcnt(0)
	s_barrier
	ds_read_b32 v3, v5 offset:1024
	ds_read_b32 v2, v12 offset:2048
	;; [unrolled: 1-line block ×3, first 2 shown]
	s_add_u32 s8, s12, s4
	s_addc_u32 s9, s13, s5
	v_mov_b32_e32 v11, 0
	v_lshl_add_u64 v[0:1], s[8:9], 0, v[10:11]
	s_and_saveexec_b64 s[8:9], vcc
	s_cbranch_execnz .LBB716_54
; %bb.40:
	s_or_b64 exec, exec, s[8:9]
	s_and_saveexec_b64 s[8:9], s[0:1]
	s_cbranch_execnz .LBB716_55
.LBB716_41:
	s_or_b64 exec, exec, s[8:9]
	s_and_saveexec_b64 s[0:1], s[2:3]
	s_cbranch_execz .LBB716_43
.LBB716_42:
	s_waitcnt lgkmcnt(1)
	global_store_dword v[0:1], v2, off offset:2048
.LBB716_43:
	s_or_b64 exec, exec, s[0:1]
.LBB716_44:
	s_and_saveexec_b64 s[0:1], s[6:7]
	s_cbranch_execz .LBB716_46
; %bb.45:
	s_add_u32 s0, s12, s4
	s_addc_u32 s1, s13, s5
	s_waitcnt lgkmcnt(0)
	global_store_dword v10, v17, s[0:1] offset:3072
.LBB716_46:
	s_endpgm
.LBB716_47:
	v_mov_b32_e32 v11, v2
	v_subrev_co_u32_e32 v6, vcc, s15, v0
	v_mov_b32_e32 v7, v2
	v_lshl_add_u64 v[4:5], s[6:7], 0, v[10:11]
	v_lshl_add_u64 v[6:7], v[6:7], 2, s[20:21]
	v_cndmask_b32_e32 v5, v7, v5, vcc
	v_cndmask_b32_e32 v4, v6, v4, vcc
	global_load_dword v4, v[4:5], off
	v_mov_b32_e32 v5, v2
	v_mov_b32_e32 v6, v2
	;; [unrolled: 1-line block ×3, first 2 shown]
	s_waitcnt vmcnt(0)
	v_mov_b64_e32 v[2:3], v[4:5]
	v_mov_b64_e32 v[4:5], v[6:7]
	s_or_b64 exec, exec, s[2:3]
	v_cmp_gt_u32_e32 vcc, s22, v14
	s_and_saveexec_b64 s[2:3], vcc
	s_cbranch_execz .LBB716_6
.LBB716_48:
	v_mov_b32_e32 v15, 0
	v_subrev_co_u32_e32 v8, vcc, s15, v14
	v_mov_b32_e32 v9, v15
	v_lshl_add_u64 v[6:7], v[14:15], 2, s[6:7]
	v_lshl_add_u64 v[8:9], v[8:9], 2, s[20:21]
	v_cndmask_b32_e32 v7, v9, v7, vcc
	v_cndmask_b32_e32 v6, v8, v6, vcc
	global_load_dword v3, v[6:7], off
	s_or_b64 exec, exec, s[2:3]
	v_cmp_gt_u32_e32 vcc, s22, v12
	s_and_saveexec_b64 s[2:3], vcc
	s_cbranch_execnz .LBB716_7
	s_branch .LBB716_8
.LBB716_49:
	v_mov_b32_e32 v11, v6
	v_subrev_co_u32_e32 v16, vcc, s15, v0
	v_mov_b32_e32 v17, v6
	v_lshl_add_u64 v[8:9], s[0:1], 0, v[10:11]
	v_lshl_add_u64 v[16:17], v[16:17], 2, s[2:3]
	v_cndmask_b32_e32 v9, v17, v9, vcc
	v_cndmask_b32_e32 v8, v16, v8, vcc
	global_load_dword v16, v[8:9], off
	v_mov_b32_e32 v17, v6
	v_mov_b32_e32 v18, v6
	;; [unrolled: 1-line block ×3, first 2 shown]
	s_waitcnt vmcnt(0)
	v_mov_b64_e32 v[6:7], v[16:17]
	v_mov_b64_e32 v[8:9], v[18:19]
	s_or_b64 exec, exec, s[4:5]
	v_cmp_gt_u32_e32 vcc, s20, v14
	s_and_saveexec_b64 s[4:5], vcc
	s_cbranch_execz .LBB716_16
.LBB716_50:
	v_mov_b32_e32 v15, 0
	v_lshl_add_u64 v[16:17], v[14:15], 2, s[0:1]
	v_subrev_co_u32_e32 v14, vcc, s15, v14
	v_lshl_add_u64 v[14:15], v[14:15], 2, s[2:3]
	s_nop 0
	v_cndmask_b32_e32 v15, v15, v17, vcc
	v_cndmask_b32_e32 v14, v14, v16, vcc
	global_load_dword v7, v[14:15], off
	s_or_b64 exec, exec, s[4:5]
	v_cmp_gt_u32_e32 vcc, s20, v12
	s_and_saveexec_b64 s[4:5], vcc
	s_cbranch_execnz .LBB716_17
	s_branch .LBB716_18
.LBB716_51:
	ds_read_b32 v0, v4
	s_waitcnt lgkmcnt(0)
	global_store_dword v[2:3], v0, off
	s_or_b64 exec, exec, s[0:1]
	v_cmp_gt_u32_e64 s[0:1], s8, v16
	s_and_saveexec_b64 s[2:3], s[0:1]
	s_cbranch_execz .LBB716_36
.LBB716_52:
	s_waitcnt lgkmcnt(2)
	global_store_dword v[2:3], v18, off offset:1024
	s_or_b64 exec, exec, s[2:3]
	v_cmp_gt_u32_e64 s[2:3], s8, v15
	s_and_saveexec_b64 s[6:7], s[2:3]
	s_cbranch_execz .LBB716_37
.LBB716_53:
	s_waitcnt lgkmcnt(1)
	global_store_dword v[2:3], v17, off offset:2048
	s_or_b64 exec, exec, s[6:7]
	v_cmp_gt_u32_e64 s[6:7], s8, v14
	s_and_saveexec_b64 s[8:9], s[6:7]
	s_cbranch_execnz .LBB716_38
	s_branch .LBB716_39
.LBB716_54:
	ds_read_b32 v4, v4
	s_waitcnt lgkmcnt(0)
	global_store_dword v[0:1], v4, off
	s_or_b64 exec, exec, s[8:9]
	s_and_saveexec_b64 s[8:9], s[0:1]
	s_cbranch_execz .LBB716_41
.LBB716_55:
	s_waitcnt lgkmcnt(2)
	global_store_dword v[0:1], v3, off offset:1024
	s_or_b64 exec, exec, s[8:9]
	s_and_saveexec_b64 s[0:1], s[2:3]
	s_cbranch_execnz .LBB716_42
	s_branch .LBB716_43
	.section	.rodata,"a",@progbits
	.p2align	6, 0x0
	.amdhsa_kernel _ZN7rocprim17ROCPRIM_400000_NS6detail17trampoline_kernelINS0_14default_configENS1_38merge_sort_block_merge_config_selectorIiiEEZZNS1_27merge_sort_block_merge_implIS3_N6thrust23THRUST_200600_302600_NS6detail15normal_iteratorINS8_10device_ptrIiEEEESD_jNS1_19radix_merge_compareILb0ELb0EiNS0_19identity_decomposerEEEEE10hipError_tT0_T1_T2_jT3_P12ihipStream_tbPNSt15iterator_traitsISI_E10value_typeEPNSO_ISJ_E10value_typeEPSK_NS1_7vsmem_tEENKUlT_SI_SJ_SK_E_clIPiSD_S10_SD_EESH_SX_SI_SJ_SK_EUlSX_E0_NS1_11comp_targetILNS1_3genE0ELNS1_11target_archE4294967295ELNS1_3gpuE0ELNS1_3repE0EEENS1_38merge_mergepath_config_static_selectorELNS0_4arch9wavefront6targetE1EEEvSJ_
		.amdhsa_group_segment_fixed_size 4224
		.amdhsa_private_segment_fixed_size 0
		.amdhsa_kernarg_size 320
		.amdhsa_user_sgpr_count 2
		.amdhsa_user_sgpr_dispatch_ptr 0
		.amdhsa_user_sgpr_queue_ptr 0
		.amdhsa_user_sgpr_kernarg_segment_ptr 1
		.amdhsa_user_sgpr_dispatch_id 0
		.amdhsa_user_sgpr_kernarg_preload_length 0
		.amdhsa_user_sgpr_kernarg_preload_offset 0
		.amdhsa_user_sgpr_private_segment_size 0
		.amdhsa_uses_dynamic_stack 0
		.amdhsa_enable_private_segment 0
		.amdhsa_system_sgpr_workgroup_id_x 1
		.amdhsa_system_sgpr_workgroup_id_y 1
		.amdhsa_system_sgpr_workgroup_id_z 1
		.amdhsa_system_sgpr_workgroup_info 0
		.amdhsa_system_vgpr_workitem_id 0
		.amdhsa_next_free_vgpr 20
		.amdhsa_next_free_sgpr 30
		.amdhsa_accum_offset 20
		.amdhsa_reserve_vcc 1
		.amdhsa_float_round_mode_32 0
		.amdhsa_float_round_mode_16_64 0
		.amdhsa_float_denorm_mode_32 3
		.amdhsa_float_denorm_mode_16_64 3
		.amdhsa_dx10_clamp 1
		.amdhsa_ieee_mode 1
		.amdhsa_fp16_overflow 0
		.amdhsa_tg_split 0
		.amdhsa_exception_fp_ieee_invalid_op 0
		.amdhsa_exception_fp_denorm_src 0
		.amdhsa_exception_fp_ieee_div_zero 0
		.amdhsa_exception_fp_ieee_overflow 0
		.amdhsa_exception_fp_ieee_underflow 0
		.amdhsa_exception_fp_ieee_inexact 0
		.amdhsa_exception_int_div_zero 0
	.end_amdhsa_kernel
	.section	.text._ZN7rocprim17ROCPRIM_400000_NS6detail17trampoline_kernelINS0_14default_configENS1_38merge_sort_block_merge_config_selectorIiiEEZZNS1_27merge_sort_block_merge_implIS3_N6thrust23THRUST_200600_302600_NS6detail15normal_iteratorINS8_10device_ptrIiEEEESD_jNS1_19radix_merge_compareILb0ELb0EiNS0_19identity_decomposerEEEEE10hipError_tT0_T1_T2_jT3_P12ihipStream_tbPNSt15iterator_traitsISI_E10value_typeEPNSO_ISJ_E10value_typeEPSK_NS1_7vsmem_tEENKUlT_SI_SJ_SK_E_clIPiSD_S10_SD_EESH_SX_SI_SJ_SK_EUlSX_E0_NS1_11comp_targetILNS1_3genE0ELNS1_11target_archE4294967295ELNS1_3gpuE0ELNS1_3repE0EEENS1_38merge_mergepath_config_static_selectorELNS0_4arch9wavefront6targetE1EEEvSJ_,"axG",@progbits,_ZN7rocprim17ROCPRIM_400000_NS6detail17trampoline_kernelINS0_14default_configENS1_38merge_sort_block_merge_config_selectorIiiEEZZNS1_27merge_sort_block_merge_implIS3_N6thrust23THRUST_200600_302600_NS6detail15normal_iteratorINS8_10device_ptrIiEEEESD_jNS1_19radix_merge_compareILb0ELb0EiNS0_19identity_decomposerEEEEE10hipError_tT0_T1_T2_jT3_P12ihipStream_tbPNSt15iterator_traitsISI_E10value_typeEPNSO_ISJ_E10value_typeEPSK_NS1_7vsmem_tEENKUlT_SI_SJ_SK_E_clIPiSD_S10_SD_EESH_SX_SI_SJ_SK_EUlSX_E0_NS1_11comp_targetILNS1_3genE0ELNS1_11target_archE4294967295ELNS1_3gpuE0ELNS1_3repE0EEENS1_38merge_mergepath_config_static_selectorELNS0_4arch9wavefront6targetE1EEEvSJ_,comdat
.Lfunc_end716:
	.size	_ZN7rocprim17ROCPRIM_400000_NS6detail17trampoline_kernelINS0_14default_configENS1_38merge_sort_block_merge_config_selectorIiiEEZZNS1_27merge_sort_block_merge_implIS3_N6thrust23THRUST_200600_302600_NS6detail15normal_iteratorINS8_10device_ptrIiEEEESD_jNS1_19radix_merge_compareILb0ELb0EiNS0_19identity_decomposerEEEEE10hipError_tT0_T1_T2_jT3_P12ihipStream_tbPNSt15iterator_traitsISI_E10value_typeEPNSO_ISJ_E10value_typeEPSK_NS1_7vsmem_tEENKUlT_SI_SJ_SK_E_clIPiSD_S10_SD_EESH_SX_SI_SJ_SK_EUlSX_E0_NS1_11comp_targetILNS1_3genE0ELNS1_11target_archE4294967295ELNS1_3gpuE0ELNS1_3repE0EEENS1_38merge_mergepath_config_static_selectorELNS0_4arch9wavefront6targetE1EEEvSJ_, .Lfunc_end716-_ZN7rocprim17ROCPRIM_400000_NS6detail17trampoline_kernelINS0_14default_configENS1_38merge_sort_block_merge_config_selectorIiiEEZZNS1_27merge_sort_block_merge_implIS3_N6thrust23THRUST_200600_302600_NS6detail15normal_iteratorINS8_10device_ptrIiEEEESD_jNS1_19radix_merge_compareILb0ELb0EiNS0_19identity_decomposerEEEEE10hipError_tT0_T1_T2_jT3_P12ihipStream_tbPNSt15iterator_traitsISI_E10value_typeEPNSO_ISJ_E10value_typeEPSK_NS1_7vsmem_tEENKUlT_SI_SJ_SK_E_clIPiSD_S10_SD_EESH_SX_SI_SJ_SK_EUlSX_E0_NS1_11comp_targetILNS1_3genE0ELNS1_11target_archE4294967295ELNS1_3gpuE0ELNS1_3repE0EEENS1_38merge_mergepath_config_static_selectorELNS0_4arch9wavefront6targetE1EEEvSJ_
                                        ; -- End function
	.set _ZN7rocprim17ROCPRIM_400000_NS6detail17trampoline_kernelINS0_14default_configENS1_38merge_sort_block_merge_config_selectorIiiEEZZNS1_27merge_sort_block_merge_implIS3_N6thrust23THRUST_200600_302600_NS6detail15normal_iteratorINS8_10device_ptrIiEEEESD_jNS1_19radix_merge_compareILb0ELb0EiNS0_19identity_decomposerEEEEE10hipError_tT0_T1_T2_jT3_P12ihipStream_tbPNSt15iterator_traitsISI_E10value_typeEPNSO_ISJ_E10value_typeEPSK_NS1_7vsmem_tEENKUlT_SI_SJ_SK_E_clIPiSD_S10_SD_EESH_SX_SI_SJ_SK_EUlSX_E0_NS1_11comp_targetILNS1_3genE0ELNS1_11target_archE4294967295ELNS1_3gpuE0ELNS1_3repE0EEENS1_38merge_mergepath_config_static_selectorELNS0_4arch9wavefront6targetE1EEEvSJ_.num_vgpr, 20
	.set _ZN7rocprim17ROCPRIM_400000_NS6detail17trampoline_kernelINS0_14default_configENS1_38merge_sort_block_merge_config_selectorIiiEEZZNS1_27merge_sort_block_merge_implIS3_N6thrust23THRUST_200600_302600_NS6detail15normal_iteratorINS8_10device_ptrIiEEEESD_jNS1_19radix_merge_compareILb0ELb0EiNS0_19identity_decomposerEEEEE10hipError_tT0_T1_T2_jT3_P12ihipStream_tbPNSt15iterator_traitsISI_E10value_typeEPNSO_ISJ_E10value_typeEPSK_NS1_7vsmem_tEENKUlT_SI_SJ_SK_E_clIPiSD_S10_SD_EESH_SX_SI_SJ_SK_EUlSX_E0_NS1_11comp_targetILNS1_3genE0ELNS1_11target_archE4294967295ELNS1_3gpuE0ELNS1_3repE0EEENS1_38merge_mergepath_config_static_selectorELNS0_4arch9wavefront6targetE1EEEvSJ_.num_agpr, 0
	.set _ZN7rocprim17ROCPRIM_400000_NS6detail17trampoline_kernelINS0_14default_configENS1_38merge_sort_block_merge_config_selectorIiiEEZZNS1_27merge_sort_block_merge_implIS3_N6thrust23THRUST_200600_302600_NS6detail15normal_iteratorINS8_10device_ptrIiEEEESD_jNS1_19radix_merge_compareILb0ELb0EiNS0_19identity_decomposerEEEEE10hipError_tT0_T1_T2_jT3_P12ihipStream_tbPNSt15iterator_traitsISI_E10value_typeEPNSO_ISJ_E10value_typeEPSK_NS1_7vsmem_tEENKUlT_SI_SJ_SK_E_clIPiSD_S10_SD_EESH_SX_SI_SJ_SK_EUlSX_E0_NS1_11comp_targetILNS1_3genE0ELNS1_11target_archE4294967295ELNS1_3gpuE0ELNS1_3repE0EEENS1_38merge_mergepath_config_static_selectorELNS0_4arch9wavefront6targetE1EEEvSJ_.numbered_sgpr, 30
	.set _ZN7rocprim17ROCPRIM_400000_NS6detail17trampoline_kernelINS0_14default_configENS1_38merge_sort_block_merge_config_selectorIiiEEZZNS1_27merge_sort_block_merge_implIS3_N6thrust23THRUST_200600_302600_NS6detail15normal_iteratorINS8_10device_ptrIiEEEESD_jNS1_19radix_merge_compareILb0ELb0EiNS0_19identity_decomposerEEEEE10hipError_tT0_T1_T2_jT3_P12ihipStream_tbPNSt15iterator_traitsISI_E10value_typeEPNSO_ISJ_E10value_typeEPSK_NS1_7vsmem_tEENKUlT_SI_SJ_SK_E_clIPiSD_S10_SD_EESH_SX_SI_SJ_SK_EUlSX_E0_NS1_11comp_targetILNS1_3genE0ELNS1_11target_archE4294967295ELNS1_3gpuE0ELNS1_3repE0EEENS1_38merge_mergepath_config_static_selectorELNS0_4arch9wavefront6targetE1EEEvSJ_.num_named_barrier, 0
	.set _ZN7rocprim17ROCPRIM_400000_NS6detail17trampoline_kernelINS0_14default_configENS1_38merge_sort_block_merge_config_selectorIiiEEZZNS1_27merge_sort_block_merge_implIS3_N6thrust23THRUST_200600_302600_NS6detail15normal_iteratorINS8_10device_ptrIiEEEESD_jNS1_19radix_merge_compareILb0ELb0EiNS0_19identity_decomposerEEEEE10hipError_tT0_T1_T2_jT3_P12ihipStream_tbPNSt15iterator_traitsISI_E10value_typeEPNSO_ISJ_E10value_typeEPSK_NS1_7vsmem_tEENKUlT_SI_SJ_SK_E_clIPiSD_S10_SD_EESH_SX_SI_SJ_SK_EUlSX_E0_NS1_11comp_targetILNS1_3genE0ELNS1_11target_archE4294967295ELNS1_3gpuE0ELNS1_3repE0EEENS1_38merge_mergepath_config_static_selectorELNS0_4arch9wavefront6targetE1EEEvSJ_.private_seg_size, 0
	.set _ZN7rocprim17ROCPRIM_400000_NS6detail17trampoline_kernelINS0_14default_configENS1_38merge_sort_block_merge_config_selectorIiiEEZZNS1_27merge_sort_block_merge_implIS3_N6thrust23THRUST_200600_302600_NS6detail15normal_iteratorINS8_10device_ptrIiEEEESD_jNS1_19radix_merge_compareILb0ELb0EiNS0_19identity_decomposerEEEEE10hipError_tT0_T1_T2_jT3_P12ihipStream_tbPNSt15iterator_traitsISI_E10value_typeEPNSO_ISJ_E10value_typeEPSK_NS1_7vsmem_tEENKUlT_SI_SJ_SK_E_clIPiSD_S10_SD_EESH_SX_SI_SJ_SK_EUlSX_E0_NS1_11comp_targetILNS1_3genE0ELNS1_11target_archE4294967295ELNS1_3gpuE0ELNS1_3repE0EEENS1_38merge_mergepath_config_static_selectorELNS0_4arch9wavefront6targetE1EEEvSJ_.uses_vcc, 1
	.set _ZN7rocprim17ROCPRIM_400000_NS6detail17trampoline_kernelINS0_14default_configENS1_38merge_sort_block_merge_config_selectorIiiEEZZNS1_27merge_sort_block_merge_implIS3_N6thrust23THRUST_200600_302600_NS6detail15normal_iteratorINS8_10device_ptrIiEEEESD_jNS1_19radix_merge_compareILb0ELb0EiNS0_19identity_decomposerEEEEE10hipError_tT0_T1_T2_jT3_P12ihipStream_tbPNSt15iterator_traitsISI_E10value_typeEPNSO_ISJ_E10value_typeEPSK_NS1_7vsmem_tEENKUlT_SI_SJ_SK_E_clIPiSD_S10_SD_EESH_SX_SI_SJ_SK_EUlSX_E0_NS1_11comp_targetILNS1_3genE0ELNS1_11target_archE4294967295ELNS1_3gpuE0ELNS1_3repE0EEENS1_38merge_mergepath_config_static_selectorELNS0_4arch9wavefront6targetE1EEEvSJ_.uses_flat_scratch, 0
	.set _ZN7rocprim17ROCPRIM_400000_NS6detail17trampoline_kernelINS0_14default_configENS1_38merge_sort_block_merge_config_selectorIiiEEZZNS1_27merge_sort_block_merge_implIS3_N6thrust23THRUST_200600_302600_NS6detail15normal_iteratorINS8_10device_ptrIiEEEESD_jNS1_19radix_merge_compareILb0ELb0EiNS0_19identity_decomposerEEEEE10hipError_tT0_T1_T2_jT3_P12ihipStream_tbPNSt15iterator_traitsISI_E10value_typeEPNSO_ISJ_E10value_typeEPSK_NS1_7vsmem_tEENKUlT_SI_SJ_SK_E_clIPiSD_S10_SD_EESH_SX_SI_SJ_SK_EUlSX_E0_NS1_11comp_targetILNS1_3genE0ELNS1_11target_archE4294967295ELNS1_3gpuE0ELNS1_3repE0EEENS1_38merge_mergepath_config_static_selectorELNS0_4arch9wavefront6targetE1EEEvSJ_.has_dyn_sized_stack, 0
	.set _ZN7rocprim17ROCPRIM_400000_NS6detail17trampoline_kernelINS0_14default_configENS1_38merge_sort_block_merge_config_selectorIiiEEZZNS1_27merge_sort_block_merge_implIS3_N6thrust23THRUST_200600_302600_NS6detail15normal_iteratorINS8_10device_ptrIiEEEESD_jNS1_19radix_merge_compareILb0ELb0EiNS0_19identity_decomposerEEEEE10hipError_tT0_T1_T2_jT3_P12ihipStream_tbPNSt15iterator_traitsISI_E10value_typeEPNSO_ISJ_E10value_typeEPSK_NS1_7vsmem_tEENKUlT_SI_SJ_SK_E_clIPiSD_S10_SD_EESH_SX_SI_SJ_SK_EUlSX_E0_NS1_11comp_targetILNS1_3genE0ELNS1_11target_archE4294967295ELNS1_3gpuE0ELNS1_3repE0EEENS1_38merge_mergepath_config_static_selectorELNS0_4arch9wavefront6targetE1EEEvSJ_.has_recursion, 0
	.set _ZN7rocprim17ROCPRIM_400000_NS6detail17trampoline_kernelINS0_14default_configENS1_38merge_sort_block_merge_config_selectorIiiEEZZNS1_27merge_sort_block_merge_implIS3_N6thrust23THRUST_200600_302600_NS6detail15normal_iteratorINS8_10device_ptrIiEEEESD_jNS1_19radix_merge_compareILb0ELb0EiNS0_19identity_decomposerEEEEE10hipError_tT0_T1_T2_jT3_P12ihipStream_tbPNSt15iterator_traitsISI_E10value_typeEPNSO_ISJ_E10value_typeEPSK_NS1_7vsmem_tEENKUlT_SI_SJ_SK_E_clIPiSD_S10_SD_EESH_SX_SI_SJ_SK_EUlSX_E0_NS1_11comp_targetILNS1_3genE0ELNS1_11target_archE4294967295ELNS1_3gpuE0ELNS1_3repE0EEENS1_38merge_mergepath_config_static_selectorELNS0_4arch9wavefront6targetE1EEEvSJ_.has_indirect_call, 0
	.section	.AMDGPU.csdata,"",@progbits
; Kernel info:
; codeLenInByte = 2908
; TotalNumSgprs: 36
; NumVgprs: 20
; NumAgprs: 0
; TotalNumVgprs: 20
; ScratchSize: 0
; MemoryBound: 0
; FloatMode: 240
; IeeeMode: 1
; LDSByteSize: 4224 bytes/workgroup (compile time only)
; SGPRBlocks: 4
; VGPRBlocks: 2
; NumSGPRsForWavesPerEU: 36
; NumVGPRsForWavesPerEU: 20
; AccumOffset: 20
; Occupancy: 8
; WaveLimiterHint : 1
; COMPUTE_PGM_RSRC2:SCRATCH_EN: 0
; COMPUTE_PGM_RSRC2:USER_SGPR: 2
; COMPUTE_PGM_RSRC2:TRAP_HANDLER: 0
; COMPUTE_PGM_RSRC2:TGID_X_EN: 1
; COMPUTE_PGM_RSRC2:TGID_Y_EN: 1
; COMPUTE_PGM_RSRC2:TGID_Z_EN: 1
; COMPUTE_PGM_RSRC2:TIDIG_COMP_CNT: 0
; COMPUTE_PGM_RSRC3_GFX90A:ACCUM_OFFSET: 4
; COMPUTE_PGM_RSRC3_GFX90A:TG_SPLIT: 0
	.section	.text._ZN7rocprim17ROCPRIM_400000_NS6detail17trampoline_kernelINS0_14default_configENS1_38merge_sort_block_merge_config_selectorIiiEEZZNS1_27merge_sort_block_merge_implIS3_N6thrust23THRUST_200600_302600_NS6detail15normal_iteratorINS8_10device_ptrIiEEEESD_jNS1_19radix_merge_compareILb0ELb0EiNS0_19identity_decomposerEEEEE10hipError_tT0_T1_T2_jT3_P12ihipStream_tbPNSt15iterator_traitsISI_E10value_typeEPNSO_ISJ_E10value_typeEPSK_NS1_7vsmem_tEENKUlT_SI_SJ_SK_E_clIPiSD_S10_SD_EESH_SX_SI_SJ_SK_EUlSX_E0_NS1_11comp_targetILNS1_3genE10ELNS1_11target_archE1201ELNS1_3gpuE5ELNS1_3repE0EEENS1_38merge_mergepath_config_static_selectorELNS0_4arch9wavefront6targetE1EEEvSJ_,"axG",@progbits,_ZN7rocprim17ROCPRIM_400000_NS6detail17trampoline_kernelINS0_14default_configENS1_38merge_sort_block_merge_config_selectorIiiEEZZNS1_27merge_sort_block_merge_implIS3_N6thrust23THRUST_200600_302600_NS6detail15normal_iteratorINS8_10device_ptrIiEEEESD_jNS1_19radix_merge_compareILb0ELb0EiNS0_19identity_decomposerEEEEE10hipError_tT0_T1_T2_jT3_P12ihipStream_tbPNSt15iterator_traitsISI_E10value_typeEPNSO_ISJ_E10value_typeEPSK_NS1_7vsmem_tEENKUlT_SI_SJ_SK_E_clIPiSD_S10_SD_EESH_SX_SI_SJ_SK_EUlSX_E0_NS1_11comp_targetILNS1_3genE10ELNS1_11target_archE1201ELNS1_3gpuE5ELNS1_3repE0EEENS1_38merge_mergepath_config_static_selectorELNS0_4arch9wavefront6targetE1EEEvSJ_,comdat
	.protected	_ZN7rocprim17ROCPRIM_400000_NS6detail17trampoline_kernelINS0_14default_configENS1_38merge_sort_block_merge_config_selectorIiiEEZZNS1_27merge_sort_block_merge_implIS3_N6thrust23THRUST_200600_302600_NS6detail15normal_iteratorINS8_10device_ptrIiEEEESD_jNS1_19radix_merge_compareILb0ELb0EiNS0_19identity_decomposerEEEEE10hipError_tT0_T1_T2_jT3_P12ihipStream_tbPNSt15iterator_traitsISI_E10value_typeEPNSO_ISJ_E10value_typeEPSK_NS1_7vsmem_tEENKUlT_SI_SJ_SK_E_clIPiSD_S10_SD_EESH_SX_SI_SJ_SK_EUlSX_E0_NS1_11comp_targetILNS1_3genE10ELNS1_11target_archE1201ELNS1_3gpuE5ELNS1_3repE0EEENS1_38merge_mergepath_config_static_selectorELNS0_4arch9wavefront6targetE1EEEvSJ_ ; -- Begin function _ZN7rocprim17ROCPRIM_400000_NS6detail17trampoline_kernelINS0_14default_configENS1_38merge_sort_block_merge_config_selectorIiiEEZZNS1_27merge_sort_block_merge_implIS3_N6thrust23THRUST_200600_302600_NS6detail15normal_iteratorINS8_10device_ptrIiEEEESD_jNS1_19radix_merge_compareILb0ELb0EiNS0_19identity_decomposerEEEEE10hipError_tT0_T1_T2_jT3_P12ihipStream_tbPNSt15iterator_traitsISI_E10value_typeEPNSO_ISJ_E10value_typeEPSK_NS1_7vsmem_tEENKUlT_SI_SJ_SK_E_clIPiSD_S10_SD_EESH_SX_SI_SJ_SK_EUlSX_E0_NS1_11comp_targetILNS1_3genE10ELNS1_11target_archE1201ELNS1_3gpuE5ELNS1_3repE0EEENS1_38merge_mergepath_config_static_selectorELNS0_4arch9wavefront6targetE1EEEvSJ_
	.globl	_ZN7rocprim17ROCPRIM_400000_NS6detail17trampoline_kernelINS0_14default_configENS1_38merge_sort_block_merge_config_selectorIiiEEZZNS1_27merge_sort_block_merge_implIS3_N6thrust23THRUST_200600_302600_NS6detail15normal_iteratorINS8_10device_ptrIiEEEESD_jNS1_19radix_merge_compareILb0ELb0EiNS0_19identity_decomposerEEEEE10hipError_tT0_T1_T2_jT3_P12ihipStream_tbPNSt15iterator_traitsISI_E10value_typeEPNSO_ISJ_E10value_typeEPSK_NS1_7vsmem_tEENKUlT_SI_SJ_SK_E_clIPiSD_S10_SD_EESH_SX_SI_SJ_SK_EUlSX_E0_NS1_11comp_targetILNS1_3genE10ELNS1_11target_archE1201ELNS1_3gpuE5ELNS1_3repE0EEENS1_38merge_mergepath_config_static_selectorELNS0_4arch9wavefront6targetE1EEEvSJ_
	.p2align	8
	.type	_ZN7rocprim17ROCPRIM_400000_NS6detail17trampoline_kernelINS0_14default_configENS1_38merge_sort_block_merge_config_selectorIiiEEZZNS1_27merge_sort_block_merge_implIS3_N6thrust23THRUST_200600_302600_NS6detail15normal_iteratorINS8_10device_ptrIiEEEESD_jNS1_19radix_merge_compareILb0ELb0EiNS0_19identity_decomposerEEEEE10hipError_tT0_T1_T2_jT3_P12ihipStream_tbPNSt15iterator_traitsISI_E10value_typeEPNSO_ISJ_E10value_typeEPSK_NS1_7vsmem_tEENKUlT_SI_SJ_SK_E_clIPiSD_S10_SD_EESH_SX_SI_SJ_SK_EUlSX_E0_NS1_11comp_targetILNS1_3genE10ELNS1_11target_archE1201ELNS1_3gpuE5ELNS1_3repE0EEENS1_38merge_mergepath_config_static_selectorELNS0_4arch9wavefront6targetE1EEEvSJ_,@function
_ZN7rocprim17ROCPRIM_400000_NS6detail17trampoline_kernelINS0_14default_configENS1_38merge_sort_block_merge_config_selectorIiiEEZZNS1_27merge_sort_block_merge_implIS3_N6thrust23THRUST_200600_302600_NS6detail15normal_iteratorINS8_10device_ptrIiEEEESD_jNS1_19radix_merge_compareILb0ELb0EiNS0_19identity_decomposerEEEEE10hipError_tT0_T1_T2_jT3_P12ihipStream_tbPNSt15iterator_traitsISI_E10value_typeEPNSO_ISJ_E10value_typeEPSK_NS1_7vsmem_tEENKUlT_SI_SJ_SK_E_clIPiSD_S10_SD_EESH_SX_SI_SJ_SK_EUlSX_E0_NS1_11comp_targetILNS1_3genE10ELNS1_11target_archE1201ELNS1_3gpuE5ELNS1_3repE0EEENS1_38merge_mergepath_config_static_selectorELNS0_4arch9wavefront6targetE1EEEvSJ_: ; @_ZN7rocprim17ROCPRIM_400000_NS6detail17trampoline_kernelINS0_14default_configENS1_38merge_sort_block_merge_config_selectorIiiEEZZNS1_27merge_sort_block_merge_implIS3_N6thrust23THRUST_200600_302600_NS6detail15normal_iteratorINS8_10device_ptrIiEEEESD_jNS1_19radix_merge_compareILb0ELb0EiNS0_19identity_decomposerEEEEE10hipError_tT0_T1_T2_jT3_P12ihipStream_tbPNSt15iterator_traitsISI_E10value_typeEPNSO_ISJ_E10value_typeEPSK_NS1_7vsmem_tEENKUlT_SI_SJ_SK_E_clIPiSD_S10_SD_EESH_SX_SI_SJ_SK_EUlSX_E0_NS1_11comp_targetILNS1_3genE10ELNS1_11target_archE1201ELNS1_3gpuE5ELNS1_3repE0EEENS1_38merge_mergepath_config_static_selectorELNS0_4arch9wavefront6targetE1EEEvSJ_
; %bb.0:
	.section	.rodata,"a",@progbits
	.p2align	6, 0x0
	.amdhsa_kernel _ZN7rocprim17ROCPRIM_400000_NS6detail17trampoline_kernelINS0_14default_configENS1_38merge_sort_block_merge_config_selectorIiiEEZZNS1_27merge_sort_block_merge_implIS3_N6thrust23THRUST_200600_302600_NS6detail15normal_iteratorINS8_10device_ptrIiEEEESD_jNS1_19radix_merge_compareILb0ELb0EiNS0_19identity_decomposerEEEEE10hipError_tT0_T1_T2_jT3_P12ihipStream_tbPNSt15iterator_traitsISI_E10value_typeEPNSO_ISJ_E10value_typeEPSK_NS1_7vsmem_tEENKUlT_SI_SJ_SK_E_clIPiSD_S10_SD_EESH_SX_SI_SJ_SK_EUlSX_E0_NS1_11comp_targetILNS1_3genE10ELNS1_11target_archE1201ELNS1_3gpuE5ELNS1_3repE0EEENS1_38merge_mergepath_config_static_selectorELNS0_4arch9wavefront6targetE1EEEvSJ_
		.amdhsa_group_segment_fixed_size 0
		.amdhsa_private_segment_fixed_size 0
		.amdhsa_kernarg_size 64
		.amdhsa_user_sgpr_count 2
		.amdhsa_user_sgpr_dispatch_ptr 0
		.amdhsa_user_sgpr_queue_ptr 0
		.amdhsa_user_sgpr_kernarg_segment_ptr 1
		.amdhsa_user_sgpr_dispatch_id 0
		.amdhsa_user_sgpr_kernarg_preload_length 0
		.amdhsa_user_sgpr_kernarg_preload_offset 0
		.amdhsa_user_sgpr_private_segment_size 0
		.amdhsa_uses_dynamic_stack 0
		.amdhsa_enable_private_segment 0
		.amdhsa_system_sgpr_workgroup_id_x 1
		.amdhsa_system_sgpr_workgroup_id_y 0
		.amdhsa_system_sgpr_workgroup_id_z 0
		.amdhsa_system_sgpr_workgroup_info 0
		.amdhsa_system_vgpr_workitem_id 0
		.amdhsa_next_free_vgpr 1
		.amdhsa_next_free_sgpr 0
		.amdhsa_accum_offset 4
		.amdhsa_reserve_vcc 0
		.amdhsa_float_round_mode_32 0
		.amdhsa_float_round_mode_16_64 0
		.amdhsa_float_denorm_mode_32 3
		.amdhsa_float_denorm_mode_16_64 3
		.amdhsa_dx10_clamp 1
		.amdhsa_ieee_mode 1
		.amdhsa_fp16_overflow 0
		.amdhsa_tg_split 0
		.amdhsa_exception_fp_ieee_invalid_op 0
		.amdhsa_exception_fp_denorm_src 0
		.amdhsa_exception_fp_ieee_div_zero 0
		.amdhsa_exception_fp_ieee_overflow 0
		.amdhsa_exception_fp_ieee_underflow 0
		.amdhsa_exception_fp_ieee_inexact 0
		.amdhsa_exception_int_div_zero 0
	.end_amdhsa_kernel
	.section	.text._ZN7rocprim17ROCPRIM_400000_NS6detail17trampoline_kernelINS0_14default_configENS1_38merge_sort_block_merge_config_selectorIiiEEZZNS1_27merge_sort_block_merge_implIS3_N6thrust23THRUST_200600_302600_NS6detail15normal_iteratorINS8_10device_ptrIiEEEESD_jNS1_19radix_merge_compareILb0ELb0EiNS0_19identity_decomposerEEEEE10hipError_tT0_T1_T2_jT3_P12ihipStream_tbPNSt15iterator_traitsISI_E10value_typeEPNSO_ISJ_E10value_typeEPSK_NS1_7vsmem_tEENKUlT_SI_SJ_SK_E_clIPiSD_S10_SD_EESH_SX_SI_SJ_SK_EUlSX_E0_NS1_11comp_targetILNS1_3genE10ELNS1_11target_archE1201ELNS1_3gpuE5ELNS1_3repE0EEENS1_38merge_mergepath_config_static_selectorELNS0_4arch9wavefront6targetE1EEEvSJ_,"axG",@progbits,_ZN7rocprim17ROCPRIM_400000_NS6detail17trampoline_kernelINS0_14default_configENS1_38merge_sort_block_merge_config_selectorIiiEEZZNS1_27merge_sort_block_merge_implIS3_N6thrust23THRUST_200600_302600_NS6detail15normal_iteratorINS8_10device_ptrIiEEEESD_jNS1_19radix_merge_compareILb0ELb0EiNS0_19identity_decomposerEEEEE10hipError_tT0_T1_T2_jT3_P12ihipStream_tbPNSt15iterator_traitsISI_E10value_typeEPNSO_ISJ_E10value_typeEPSK_NS1_7vsmem_tEENKUlT_SI_SJ_SK_E_clIPiSD_S10_SD_EESH_SX_SI_SJ_SK_EUlSX_E0_NS1_11comp_targetILNS1_3genE10ELNS1_11target_archE1201ELNS1_3gpuE5ELNS1_3repE0EEENS1_38merge_mergepath_config_static_selectorELNS0_4arch9wavefront6targetE1EEEvSJ_,comdat
.Lfunc_end717:
	.size	_ZN7rocprim17ROCPRIM_400000_NS6detail17trampoline_kernelINS0_14default_configENS1_38merge_sort_block_merge_config_selectorIiiEEZZNS1_27merge_sort_block_merge_implIS3_N6thrust23THRUST_200600_302600_NS6detail15normal_iteratorINS8_10device_ptrIiEEEESD_jNS1_19radix_merge_compareILb0ELb0EiNS0_19identity_decomposerEEEEE10hipError_tT0_T1_T2_jT3_P12ihipStream_tbPNSt15iterator_traitsISI_E10value_typeEPNSO_ISJ_E10value_typeEPSK_NS1_7vsmem_tEENKUlT_SI_SJ_SK_E_clIPiSD_S10_SD_EESH_SX_SI_SJ_SK_EUlSX_E0_NS1_11comp_targetILNS1_3genE10ELNS1_11target_archE1201ELNS1_3gpuE5ELNS1_3repE0EEENS1_38merge_mergepath_config_static_selectorELNS0_4arch9wavefront6targetE1EEEvSJ_, .Lfunc_end717-_ZN7rocprim17ROCPRIM_400000_NS6detail17trampoline_kernelINS0_14default_configENS1_38merge_sort_block_merge_config_selectorIiiEEZZNS1_27merge_sort_block_merge_implIS3_N6thrust23THRUST_200600_302600_NS6detail15normal_iteratorINS8_10device_ptrIiEEEESD_jNS1_19radix_merge_compareILb0ELb0EiNS0_19identity_decomposerEEEEE10hipError_tT0_T1_T2_jT3_P12ihipStream_tbPNSt15iterator_traitsISI_E10value_typeEPNSO_ISJ_E10value_typeEPSK_NS1_7vsmem_tEENKUlT_SI_SJ_SK_E_clIPiSD_S10_SD_EESH_SX_SI_SJ_SK_EUlSX_E0_NS1_11comp_targetILNS1_3genE10ELNS1_11target_archE1201ELNS1_3gpuE5ELNS1_3repE0EEENS1_38merge_mergepath_config_static_selectorELNS0_4arch9wavefront6targetE1EEEvSJ_
                                        ; -- End function
	.set _ZN7rocprim17ROCPRIM_400000_NS6detail17trampoline_kernelINS0_14default_configENS1_38merge_sort_block_merge_config_selectorIiiEEZZNS1_27merge_sort_block_merge_implIS3_N6thrust23THRUST_200600_302600_NS6detail15normal_iteratorINS8_10device_ptrIiEEEESD_jNS1_19radix_merge_compareILb0ELb0EiNS0_19identity_decomposerEEEEE10hipError_tT0_T1_T2_jT3_P12ihipStream_tbPNSt15iterator_traitsISI_E10value_typeEPNSO_ISJ_E10value_typeEPSK_NS1_7vsmem_tEENKUlT_SI_SJ_SK_E_clIPiSD_S10_SD_EESH_SX_SI_SJ_SK_EUlSX_E0_NS1_11comp_targetILNS1_3genE10ELNS1_11target_archE1201ELNS1_3gpuE5ELNS1_3repE0EEENS1_38merge_mergepath_config_static_selectorELNS0_4arch9wavefront6targetE1EEEvSJ_.num_vgpr, 0
	.set _ZN7rocprim17ROCPRIM_400000_NS6detail17trampoline_kernelINS0_14default_configENS1_38merge_sort_block_merge_config_selectorIiiEEZZNS1_27merge_sort_block_merge_implIS3_N6thrust23THRUST_200600_302600_NS6detail15normal_iteratorINS8_10device_ptrIiEEEESD_jNS1_19radix_merge_compareILb0ELb0EiNS0_19identity_decomposerEEEEE10hipError_tT0_T1_T2_jT3_P12ihipStream_tbPNSt15iterator_traitsISI_E10value_typeEPNSO_ISJ_E10value_typeEPSK_NS1_7vsmem_tEENKUlT_SI_SJ_SK_E_clIPiSD_S10_SD_EESH_SX_SI_SJ_SK_EUlSX_E0_NS1_11comp_targetILNS1_3genE10ELNS1_11target_archE1201ELNS1_3gpuE5ELNS1_3repE0EEENS1_38merge_mergepath_config_static_selectorELNS0_4arch9wavefront6targetE1EEEvSJ_.num_agpr, 0
	.set _ZN7rocprim17ROCPRIM_400000_NS6detail17trampoline_kernelINS0_14default_configENS1_38merge_sort_block_merge_config_selectorIiiEEZZNS1_27merge_sort_block_merge_implIS3_N6thrust23THRUST_200600_302600_NS6detail15normal_iteratorINS8_10device_ptrIiEEEESD_jNS1_19radix_merge_compareILb0ELb0EiNS0_19identity_decomposerEEEEE10hipError_tT0_T1_T2_jT3_P12ihipStream_tbPNSt15iterator_traitsISI_E10value_typeEPNSO_ISJ_E10value_typeEPSK_NS1_7vsmem_tEENKUlT_SI_SJ_SK_E_clIPiSD_S10_SD_EESH_SX_SI_SJ_SK_EUlSX_E0_NS1_11comp_targetILNS1_3genE10ELNS1_11target_archE1201ELNS1_3gpuE5ELNS1_3repE0EEENS1_38merge_mergepath_config_static_selectorELNS0_4arch9wavefront6targetE1EEEvSJ_.numbered_sgpr, 0
	.set _ZN7rocprim17ROCPRIM_400000_NS6detail17trampoline_kernelINS0_14default_configENS1_38merge_sort_block_merge_config_selectorIiiEEZZNS1_27merge_sort_block_merge_implIS3_N6thrust23THRUST_200600_302600_NS6detail15normal_iteratorINS8_10device_ptrIiEEEESD_jNS1_19radix_merge_compareILb0ELb0EiNS0_19identity_decomposerEEEEE10hipError_tT0_T1_T2_jT3_P12ihipStream_tbPNSt15iterator_traitsISI_E10value_typeEPNSO_ISJ_E10value_typeEPSK_NS1_7vsmem_tEENKUlT_SI_SJ_SK_E_clIPiSD_S10_SD_EESH_SX_SI_SJ_SK_EUlSX_E0_NS1_11comp_targetILNS1_3genE10ELNS1_11target_archE1201ELNS1_3gpuE5ELNS1_3repE0EEENS1_38merge_mergepath_config_static_selectorELNS0_4arch9wavefront6targetE1EEEvSJ_.num_named_barrier, 0
	.set _ZN7rocprim17ROCPRIM_400000_NS6detail17trampoline_kernelINS0_14default_configENS1_38merge_sort_block_merge_config_selectorIiiEEZZNS1_27merge_sort_block_merge_implIS3_N6thrust23THRUST_200600_302600_NS6detail15normal_iteratorINS8_10device_ptrIiEEEESD_jNS1_19radix_merge_compareILb0ELb0EiNS0_19identity_decomposerEEEEE10hipError_tT0_T1_T2_jT3_P12ihipStream_tbPNSt15iterator_traitsISI_E10value_typeEPNSO_ISJ_E10value_typeEPSK_NS1_7vsmem_tEENKUlT_SI_SJ_SK_E_clIPiSD_S10_SD_EESH_SX_SI_SJ_SK_EUlSX_E0_NS1_11comp_targetILNS1_3genE10ELNS1_11target_archE1201ELNS1_3gpuE5ELNS1_3repE0EEENS1_38merge_mergepath_config_static_selectorELNS0_4arch9wavefront6targetE1EEEvSJ_.private_seg_size, 0
	.set _ZN7rocprim17ROCPRIM_400000_NS6detail17trampoline_kernelINS0_14default_configENS1_38merge_sort_block_merge_config_selectorIiiEEZZNS1_27merge_sort_block_merge_implIS3_N6thrust23THRUST_200600_302600_NS6detail15normal_iteratorINS8_10device_ptrIiEEEESD_jNS1_19radix_merge_compareILb0ELb0EiNS0_19identity_decomposerEEEEE10hipError_tT0_T1_T2_jT3_P12ihipStream_tbPNSt15iterator_traitsISI_E10value_typeEPNSO_ISJ_E10value_typeEPSK_NS1_7vsmem_tEENKUlT_SI_SJ_SK_E_clIPiSD_S10_SD_EESH_SX_SI_SJ_SK_EUlSX_E0_NS1_11comp_targetILNS1_3genE10ELNS1_11target_archE1201ELNS1_3gpuE5ELNS1_3repE0EEENS1_38merge_mergepath_config_static_selectorELNS0_4arch9wavefront6targetE1EEEvSJ_.uses_vcc, 0
	.set _ZN7rocprim17ROCPRIM_400000_NS6detail17trampoline_kernelINS0_14default_configENS1_38merge_sort_block_merge_config_selectorIiiEEZZNS1_27merge_sort_block_merge_implIS3_N6thrust23THRUST_200600_302600_NS6detail15normal_iteratorINS8_10device_ptrIiEEEESD_jNS1_19radix_merge_compareILb0ELb0EiNS0_19identity_decomposerEEEEE10hipError_tT0_T1_T2_jT3_P12ihipStream_tbPNSt15iterator_traitsISI_E10value_typeEPNSO_ISJ_E10value_typeEPSK_NS1_7vsmem_tEENKUlT_SI_SJ_SK_E_clIPiSD_S10_SD_EESH_SX_SI_SJ_SK_EUlSX_E0_NS1_11comp_targetILNS1_3genE10ELNS1_11target_archE1201ELNS1_3gpuE5ELNS1_3repE0EEENS1_38merge_mergepath_config_static_selectorELNS0_4arch9wavefront6targetE1EEEvSJ_.uses_flat_scratch, 0
	.set _ZN7rocprim17ROCPRIM_400000_NS6detail17trampoline_kernelINS0_14default_configENS1_38merge_sort_block_merge_config_selectorIiiEEZZNS1_27merge_sort_block_merge_implIS3_N6thrust23THRUST_200600_302600_NS6detail15normal_iteratorINS8_10device_ptrIiEEEESD_jNS1_19radix_merge_compareILb0ELb0EiNS0_19identity_decomposerEEEEE10hipError_tT0_T1_T2_jT3_P12ihipStream_tbPNSt15iterator_traitsISI_E10value_typeEPNSO_ISJ_E10value_typeEPSK_NS1_7vsmem_tEENKUlT_SI_SJ_SK_E_clIPiSD_S10_SD_EESH_SX_SI_SJ_SK_EUlSX_E0_NS1_11comp_targetILNS1_3genE10ELNS1_11target_archE1201ELNS1_3gpuE5ELNS1_3repE0EEENS1_38merge_mergepath_config_static_selectorELNS0_4arch9wavefront6targetE1EEEvSJ_.has_dyn_sized_stack, 0
	.set _ZN7rocprim17ROCPRIM_400000_NS6detail17trampoline_kernelINS0_14default_configENS1_38merge_sort_block_merge_config_selectorIiiEEZZNS1_27merge_sort_block_merge_implIS3_N6thrust23THRUST_200600_302600_NS6detail15normal_iteratorINS8_10device_ptrIiEEEESD_jNS1_19radix_merge_compareILb0ELb0EiNS0_19identity_decomposerEEEEE10hipError_tT0_T1_T2_jT3_P12ihipStream_tbPNSt15iterator_traitsISI_E10value_typeEPNSO_ISJ_E10value_typeEPSK_NS1_7vsmem_tEENKUlT_SI_SJ_SK_E_clIPiSD_S10_SD_EESH_SX_SI_SJ_SK_EUlSX_E0_NS1_11comp_targetILNS1_3genE10ELNS1_11target_archE1201ELNS1_3gpuE5ELNS1_3repE0EEENS1_38merge_mergepath_config_static_selectorELNS0_4arch9wavefront6targetE1EEEvSJ_.has_recursion, 0
	.set _ZN7rocprim17ROCPRIM_400000_NS6detail17trampoline_kernelINS0_14default_configENS1_38merge_sort_block_merge_config_selectorIiiEEZZNS1_27merge_sort_block_merge_implIS3_N6thrust23THRUST_200600_302600_NS6detail15normal_iteratorINS8_10device_ptrIiEEEESD_jNS1_19radix_merge_compareILb0ELb0EiNS0_19identity_decomposerEEEEE10hipError_tT0_T1_T2_jT3_P12ihipStream_tbPNSt15iterator_traitsISI_E10value_typeEPNSO_ISJ_E10value_typeEPSK_NS1_7vsmem_tEENKUlT_SI_SJ_SK_E_clIPiSD_S10_SD_EESH_SX_SI_SJ_SK_EUlSX_E0_NS1_11comp_targetILNS1_3genE10ELNS1_11target_archE1201ELNS1_3gpuE5ELNS1_3repE0EEENS1_38merge_mergepath_config_static_selectorELNS0_4arch9wavefront6targetE1EEEvSJ_.has_indirect_call, 0
	.section	.AMDGPU.csdata,"",@progbits
; Kernel info:
; codeLenInByte = 0
; TotalNumSgprs: 6
; NumVgprs: 0
; NumAgprs: 0
; TotalNumVgprs: 0
; ScratchSize: 0
; MemoryBound: 0
; FloatMode: 240
; IeeeMode: 1
; LDSByteSize: 0 bytes/workgroup (compile time only)
; SGPRBlocks: 0
; VGPRBlocks: 0
; NumSGPRsForWavesPerEU: 6
; NumVGPRsForWavesPerEU: 1
; AccumOffset: 4
; Occupancy: 8
; WaveLimiterHint : 0
; COMPUTE_PGM_RSRC2:SCRATCH_EN: 0
; COMPUTE_PGM_RSRC2:USER_SGPR: 2
; COMPUTE_PGM_RSRC2:TRAP_HANDLER: 0
; COMPUTE_PGM_RSRC2:TGID_X_EN: 1
; COMPUTE_PGM_RSRC2:TGID_Y_EN: 0
; COMPUTE_PGM_RSRC2:TGID_Z_EN: 0
; COMPUTE_PGM_RSRC2:TIDIG_COMP_CNT: 0
; COMPUTE_PGM_RSRC3_GFX90A:ACCUM_OFFSET: 0
; COMPUTE_PGM_RSRC3_GFX90A:TG_SPLIT: 0
	.section	.text._ZN7rocprim17ROCPRIM_400000_NS6detail17trampoline_kernelINS0_14default_configENS1_38merge_sort_block_merge_config_selectorIiiEEZZNS1_27merge_sort_block_merge_implIS3_N6thrust23THRUST_200600_302600_NS6detail15normal_iteratorINS8_10device_ptrIiEEEESD_jNS1_19radix_merge_compareILb0ELb0EiNS0_19identity_decomposerEEEEE10hipError_tT0_T1_T2_jT3_P12ihipStream_tbPNSt15iterator_traitsISI_E10value_typeEPNSO_ISJ_E10value_typeEPSK_NS1_7vsmem_tEENKUlT_SI_SJ_SK_E_clIPiSD_S10_SD_EESH_SX_SI_SJ_SK_EUlSX_E0_NS1_11comp_targetILNS1_3genE5ELNS1_11target_archE942ELNS1_3gpuE9ELNS1_3repE0EEENS1_38merge_mergepath_config_static_selectorELNS0_4arch9wavefront6targetE1EEEvSJ_,"axG",@progbits,_ZN7rocprim17ROCPRIM_400000_NS6detail17trampoline_kernelINS0_14default_configENS1_38merge_sort_block_merge_config_selectorIiiEEZZNS1_27merge_sort_block_merge_implIS3_N6thrust23THRUST_200600_302600_NS6detail15normal_iteratorINS8_10device_ptrIiEEEESD_jNS1_19radix_merge_compareILb0ELb0EiNS0_19identity_decomposerEEEEE10hipError_tT0_T1_T2_jT3_P12ihipStream_tbPNSt15iterator_traitsISI_E10value_typeEPNSO_ISJ_E10value_typeEPSK_NS1_7vsmem_tEENKUlT_SI_SJ_SK_E_clIPiSD_S10_SD_EESH_SX_SI_SJ_SK_EUlSX_E0_NS1_11comp_targetILNS1_3genE5ELNS1_11target_archE942ELNS1_3gpuE9ELNS1_3repE0EEENS1_38merge_mergepath_config_static_selectorELNS0_4arch9wavefront6targetE1EEEvSJ_,comdat
	.protected	_ZN7rocprim17ROCPRIM_400000_NS6detail17trampoline_kernelINS0_14default_configENS1_38merge_sort_block_merge_config_selectorIiiEEZZNS1_27merge_sort_block_merge_implIS3_N6thrust23THRUST_200600_302600_NS6detail15normal_iteratorINS8_10device_ptrIiEEEESD_jNS1_19radix_merge_compareILb0ELb0EiNS0_19identity_decomposerEEEEE10hipError_tT0_T1_T2_jT3_P12ihipStream_tbPNSt15iterator_traitsISI_E10value_typeEPNSO_ISJ_E10value_typeEPSK_NS1_7vsmem_tEENKUlT_SI_SJ_SK_E_clIPiSD_S10_SD_EESH_SX_SI_SJ_SK_EUlSX_E0_NS1_11comp_targetILNS1_3genE5ELNS1_11target_archE942ELNS1_3gpuE9ELNS1_3repE0EEENS1_38merge_mergepath_config_static_selectorELNS0_4arch9wavefront6targetE1EEEvSJ_ ; -- Begin function _ZN7rocprim17ROCPRIM_400000_NS6detail17trampoline_kernelINS0_14default_configENS1_38merge_sort_block_merge_config_selectorIiiEEZZNS1_27merge_sort_block_merge_implIS3_N6thrust23THRUST_200600_302600_NS6detail15normal_iteratorINS8_10device_ptrIiEEEESD_jNS1_19radix_merge_compareILb0ELb0EiNS0_19identity_decomposerEEEEE10hipError_tT0_T1_T2_jT3_P12ihipStream_tbPNSt15iterator_traitsISI_E10value_typeEPNSO_ISJ_E10value_typeEPSK_NS1_7vsmem_tEENKUlT_SI_SJ_SK_E_clIPiSD_S10_SD_EESH_SX_SI_SJ_SK_EUlSX_E0_NS1_11comp_targetILNS1_3genE5ELNS1_11target_archE942ELNS1_3gpuE9ELNS1_3repE0EEENS1_38merge_mergepath_config_static_selectorELNS0_4arch9wavefront6targetE1EEEvSJ_
	.globl	_ZN7rocprim17ROCPRIM_400000_NS6detail17trampoline_kernelINS0_14default_configENS1_38merge_sort_block_merge_config_selectorIiiEEZZNS1_27merge_sort_block_merge_implIS3_N6thrust23THRUST_200600_302600_NS6detail15normal_iteratorINS8_10device_ptrIiEEEESD_jNS1_19radix_merge_compareILb0ELb0EiNS0_19identity_decomposerEEEEE10hipError_tT0_T1_T2_jT3_P12ihipStream_tbPNSt15iterator_traitsISI_E10value_typeEPNSO_ISJ_E10value_typeEPSK_NS1_7vsmem_tEENKUlT_SI_SJ_SK_E_clIPiSD_S10_SD_EESH_SX_SI_SJ_SK_EUlSX_E0_NS1_11comp_targetILNS1_3genE5ELNS1_11target_archE942ELNS1_3gpuE9ELNS1_3repE0EEENS1_38merge_mergepath_config_static_selectorELNS0_4arch9wavefront6targetE1EEEvSJ_
	.p2align	8
	.type	_ZN7rocprim17ROCPRIM_400000_NS6detail17trampoline_kernelINS0_14default_configENS1_38merge_sort_block_merge_config_selectorIiiEEZZNS1_27merge_sort_block_merge_implIS3_N6thrust23THRUST_200600_302600_NS6detail15normal_iteratorINS8_10device_ptrIiEEEESD_jNS1_19radix_merge_compareILb0ELb0EiNS0_19identity_decomposerEEEEE10hipError_tT0_T1_T2_jT3_P12ihipStream_tbPNSt15iterator_traitsISI_E10value_typeEPNSO_ISJ_E10value_typeEPSK_NS1_7vsmem_tEENKUlT_SI_SJ_SK_E_clIPiSD_S10_SD_EESH_SX_SI_SJ_SK_EUlSX_E0_NS1_11comp_targetILNS1_3genE5ELNS1_11target_archE942ELNS1_3gpuE9ELNS1_3repE0EEENS1_38merge_mergepath_config_static_selectorELNS0_4arch9wavefront6targetE1EEEvSJ_,@function
_ZN7rocprim17ROCPRIM_400000_NS6detail17trampoline_kernelINS0_14default_configENS1_38merge_sort_block_merge_config_selectorIiiEEZZNS1_27merge_sort_block_merge_implIS3_N6thrust23THRUST_200600_302600_NS6detail15normal_iteratorINS8_10device_ptrIiEEEESD_jNS1_19radix_merge_compareILb0ELb0EiNS0_19identity_decomposerEEEEE10hipError_tT0_T1_T2_jT3_P12ihipStream_tbPNSt15iterator_traitsISI_E10value_typeEPNSO_ISJ_E10value_typeEPSK_NS1_7vsmem_tEENKUlT_SI_SJ_SK_E_clIPiSD_S10_SD_EESH_SX_SI_SJ_SK_EUlSX_E0_NS1_11comp_targetILNS1_3genE5ELNS1_11target_archE942ELNS1_3gpuE9ELNS1_3repE0EEENS1_38merge_mergepath_config_static_selectorELNS0_4arch9wavefront6targetE1EEEvSJ_: ; @_ZN7rocprim17ROCPRIM_400000_NS6detail17trampoline_kernelINS0_14default_configENS1_38merge_sort_block_merge_config_selectorIiiEEZZNS1_27merge_sort_block_merge_implIS3_N6thrust23THRUST_200600_302600_NS6detail15normal_iteratorINS8_10device_ptrIiEEEESD_jNS1_19radix_merge_compareILb0ELb0EiNS0_19identity_decomposerEEEEE10hipError_tT0_T1_T2_jT3_P12ihipStream_tbPNSt15iterator_traitsISI_E10value_typeEPNSO_ISJ_E10value_typeEPSK_NS1_7vsmem_tEENKUlT_SI_SJ_SK_E_clIPiSD_S10_SD_EESH_SX_SI_SJ_SK_EUlSX_E0_NS1_11comp_targetILNS1_3genE5ELNS1_11target_archE942ELNS1_3gpuE9ELNS1_3repE0EEENS1_38merge_mergepath_config_static_selectorELNS0_4arch9wavefront6targetE1EEEvSJ_
; %bb.0:
	.section	.rodata,"a",@progbits
	.p2align	6, 0x0
	.amdhsa_kernel _ZN7rocprim17ROCPRIM_400000_NS6detail17trampoline_kernelINS0_14default_configENS1_38merge_sort_block_merge_config_selectorIiiEEZZNS1_27merge_sort_block_merge_implIS3_N6thrust23THRUST_200600_302600_NS6detail15normal_iteratorINS8_10device_ptrIiEEEESD_jNS1_19radix_merge_compareILb0ELb0EiNS0_19identity_decomposerEEEEE10hipError_tT0_T1_T2_jT3_P12ihipStream_tbPNSt15iterator_traitsISI_E10value_typeEPNSO_ISJ_E10value_typeEPSK_NS1_7vsmem_tEENKUlT_SI_SJ_SK_E_clIPiSD_S10_SD_EESH_SX_SI_SJ_SK_EUlSX_E0_NS1_11comp_targetILNS1_3genE5ELNS1_11target_archE942ELNS1_3gpuE9ELNS1_3repE0EEENS1_38merge_mergepath_config_static_selectorELNS0_4arch9wavefront6targetE1EEEvSJ_
		.amdhsa_group_segment_fixed_size 0
		.amdhsa_private_segment_fixed_size 0
		.amdhsa_kernarg_size 64
		.amdhsa_user_sgpr_count 2
		.amdhsa_user_sgpr_dispatch_ptr 0
		.amdhsa_user_sgpr_queue_ptr 0
		.amdhsa_user_sgpr_kernarg_segment_ptr 1
		.amdhsa_user_sgpr_dispatch_id 0
		.amdhsa_user_sgpr_kernarg_preload_length 0
		.amdhsa_user_sgpr_kernarg_preload_offset 0
		.amdhsa_user_sgpr_private_segment_size 0
		.amdhsa_uses_dynamic_stack 0
		.amdhsa_enable_private_segment 0
		.amdhsa_system_sgpr_workgroup_id_x 1
		.amdhsa_system_sgpr_workgroup_id_y 0
		.amdhsa_system_sgpr_workgroup_id_z 0
		.amdhsa_system_sgpr_workgroup_info 0
		.amdhsa_system_vgpr_workitem_id 0
		.amdhsa_next_free_vgpr 1
		.amdhsa_next_free_sgpr 0
		.amdhsa_accum_offset 4
		.amdhsa_reserve_vcc 0
		.amdhsa_float_round_mode_32 0
		.amdhsa_float_round_mode_16_64 0
		.amdhsa_float_denorm_mode_32 3
		.amdhsa_float_denorm_mode_16_64 3
		.amdhsa_dx10_clamp 1
		.amdhsa_ieee_mode 1
		.amdhsa_fp16_overflow 0
		.amdhsa_tg_split 0
		.amdhsa_exception_fp_ieee_invalid_op 0
		.amdhsa_exception_fp_denorm_src 0
		.amdhsa_exception_fp_ieee_div_zero 0
		.amdhsa_exception_fp_ieee_overflow 0
		.amdhsa_exception_fp_ieee_underflow 0
		.amdhsa_exception_fp_ieee_inexact 0
		.amdhsa_exception_int_div_zero 0
	.end_amdhsa_kernel
	.section	.text._ZN7rocprim17ROCPRIM_400000_NS6detail17trampoline_kernelINS0_14default_configENS1_38merge_sort_block_merge_config_selectorIiiEEZZNS1_27merge_sort_block_merge_implIS3_N6thrust23THRUST_200600_302600_NS6detail15normal_iteratorINS8_10device_ptrIiEEEESD_jNS1_19radix_merge_compareILb0ELb0EiNS0_19identity_decomposerEEEEE10hipError_tT0_T1_T2_jT3_P12ihipStream_tbPNSt15iterator_traitsISI_E10value_typeEPNSO_ISJ_E10value_typeEPSK_NS1_7vsmem_tEENKUlT_SI_SJ_SK_E_clIPiSD_S10_SD_EESH_SX_SI_SJ_SK_EUlSX_E0_NS1_11comp_targetILNS1_3genE5ELNS1_11target_archE942ELNS1_3gpuE9ELNS1_3repE0EEENS1_38merge_mergepath_config_static_selectorELNS0_4arch9wavefront6targetE1EEEvSJ_,"axG",@progbits,_ZN7rocprim17ROCPRIM_400000_NS6detail17trampoline_kernelINS0_14default_configENS1_38merge_sort_block_merge_config_selectorIiiEEZZNS1_27merge_sort_block_merge_implIS3_N6thrust23THRUST_200600_302600_NS6detail15normal_iteratorINS8_10device_ptrIiEEEESD_jNS1_19radix_merge_compareILb0ELb0EiNS0_19identity_decomposerEEEEE10hipError_tT0_T1_T2_jT3_P12ihipStream_tbPNSt15iterator_traitsISI_E10value_typeEPNSO_ISJ_E10value_typeEPSK_NS1_7vsmem_tEENKUlT_SI_SJ_SK_E_clIPiSD_S10_SD_EESH_SX_SI_SJ_SK_EUlSX_E0_NS1_11comp_targetILNS1_3genE5ELNS1_11target_archE942ELNS1_3gpuE9ELNS1_3repE0EEENS1_38merge_mergepath_config_static_selectorELNS0_4arch9wavefront6targetE1EEEvSJ_,comdat
.Lfunc_end718:
	.size	_ZN7rocprim17ROCPRIM_400000_NS6detail17trampoline_kernelINS0_14default_configENS1_38merge_sort_block_merge_config_selectorIiiEEZZNS1_27merge_sort_block_merge_implIS3_N6thrust23THRUST_200600_302600_NS6detail15normal_iteratorINS8_10device_ptrIiEEEESD_jNS1_19radix_merge_compareILb0ELb0EiNS0_19identity_decomposerEEEEE10hipError_tT0_T1_T2_jT3_P12ihipStream_tbPNSt15iterator_traitsISI_E10value_typeEPNSO_ISJ_E10value_typeEPSK_NS1_7vsmem_tEENKUlT_SI_SJ_SK_E_clIPiSD_S10_SD_EESH_SX_SI_SJ_SK_EUlSX_E0_NS1_11comp_targetILNS1_3genE5ELNS1_11target_archE942ELNS1_3gpuE9ELNS1_3repE0EEENS1_38merge_mergepath_config_static_selectorELNS0_4arch9wavefront6targetE1EEEvSJ_, .Lfunc_end718-_ZN7rocprim17ROCPRIM_400000_NS6detail17trampoline_kernelINS0_14default_configENS1_38merge_sort_block_merge_config_selectorIiiEEZZNS1_27merge_sort_block_merge_implIS3_N6thrust23THRUST_200600_302600_NS6detail15normal_iteratorINS8_10device_ptrIiEEEESD_jNS1_19radix_merge_compareILb0ELb0EiNS0_19identity_decomposerEEEEE10hipError_tT0_T1_T2_jT3_P12ihipStream_tbPNSt15iterator_traitsISI_E10value_typeEPNSO_ISJ_E10value_typeEPSK_NS1_7vsmem_tEENKUlT_SI_SJ_SK_E_clIPiSD_S10_SD_EESH_SX_SI_SJ_SK_EUlSX_E0_NS1_11comp_targetILNS1_3genE5ELNS1_11target_archE942ELNS1_3gpuE9ELNS1_3repE0EEENS1_38merge_mergepath_config_static_selectorELNS0_4arch9wavefront6targetE1EEEvSJ_
                                        ; -- End function
	.set _ZN7rocprim17ROCPRIM_400000_NS6detail17trampoline_kernelINS0_14default_configENS1_38merge_sort_block_merge_config_selectorIiiEEZZNS1_27merge_sort_block_merge_implIS3_N6thrust23THRUST_200600_302600_NS6detail15normal_iteratorINS8_10device_ptrIiEEEESD_jNS1_19radix_merge_compareILb0ELb0EiNS0_19identity_decomposerEEEEE10hipError_tT0_T1_T2_jT3_P12ihipStream_tbPNSt15iterator_traitsISI_E10value_typeEPNSO_ISJ_E10value_typeEPSK_NS1_7vsmem_tEENKUlT_SI_SJ_SK_E_clIPiSD_S10_SD_EESH_SX_SI_SJ_SK_EUlSX_E0_NS1_11comp_targetILNS1_3genE5ELNS1_11target_archE942ELNS1_3gpuE9ELNS1_3repE0EEENS1_38merge_mergepath_config_static_selectorELNS0_4arch9wavefront6targetE1EEEvSJ_.num_vgpr, 0
	.set _ZN7rocprim17ROCPRIM_400000_NS6detail17trampoline_kernelINS0_14default_configENS1_38merge_sort_block_merge_config_selectorIiiEEZZNS1_27merge_sort_block_merge_implIS3_N6thrust23THRUST_200600_302600_NS6detail15normal_iteratorINS8_10device_ptrIiEEEESD_jNS1_19radix_merge_compareILb0ELb0EiNS0_19identity_decomposerEEEEE10hipError_tT0_T1_T2_jT3_P12ihipStream_tbPNSt15iterator_traitsISI_E10value_typeEPNSO_ISJ_E10value_typeEPSK_NS1_7vsmem_tEENKUlT_SI_SJ_SK_E_clIPiSD_S10_SD_EESH_SX_SI_SJ_SK_EUlSX_E0_NS1_11comp_targetILNS1_3genE5ELNS1_11target_archE942ELNS1_3gpuE9ELNS1_3repE0EEENS1_38merge_mergepath_config_static_selectorELNS0_4arch9wavefront6targetE1EEEvSJ_.num_agpr, 0
	.set _ZN7rocprim17ROCPRIM_400000_NS6detail17trampoline_kernelINS0_14default_configENS1_38merge_sort_block_merge_config_selectorIiiEEZZNS1_27merge_sort_block_merge_implIS3_N6thrust23THRUST_200600_302600_NS6detail15normal_iteratorINS8_10device_ptrIiEEEESD_jNS1_19radix_merge_compareILb0ELb0EiNS0_19identity_decomposerEEEEE10hipError_tT0_T1_T2_jT3_P12ihipStream_tbPNSt15iterator_traitsISI_E10value_typeEPNSO_ISJ_E10value_typeEPSK_NS1_7vsmem_tEENKUlT_SI_SJ_SK_E_clIPiSD_S10_SD_EESH_SX_SI_SJ_SK_EUlSX_E0_NS1_11comp_targetILNS1_3genE5ELNS1_11target_archE942ELNS1_3gpuE9ELNS1_3repE0EEENS1_38merge_mergepath_config_static_selectorELNS0_4arch9wavefront6targetE1EEEvSJ_.numbered_sgpr, 0
	.set _ZN7rocprim17ROCPRIM_400000_NS6detail17trampoline_kernelINS0_14default_configENS1_38merge_sort_block_merge_config_selectorIiiEEZZNS1_27merge_sort_block_merge_implIS3_N6thrust23THRUST_200600_302600_NS6detail15normal_iteratorINS8_10device_ptrIiEEEESD_jNS1_19radix_merge_compareILb0ELb0EiNS0_19identity_decomposerEEEEE10hipError_tT0_T1_T2_jT3_P12ihipStream_tbPNSt15iterator_traitsISI_E10value_typeEPNSO_ISJ_E10value_typeEPSK_NS1_7vsmem_tEENKUlT_SI_SJ_SK_E_clIPiSD_S10_SD_EESH_SX_SI_SJ_SK_EUlSX_E0_NS1_11comp_targetILNS1_3genE5ELNS1_11target_archE942ELNS1_3gpuE9ELNS1_3repE0EEENS1_38merge_mergepath_config_static_selectorELNS0_4arch9wavefront6targetE1EEEvSJ_.num_named_barrier, 0
	.set _ZN7rocprim17ROCPRIM_400000_NS6detail17trampoline_kernelINS0_14default_configENS1_38merge_sort_block_merge_config_selectorIiiEEZZNS1_27merge_sort_block_merge_implIS3_N6thrust23THRUST_200600_302600_NS6detail15normal_iteratorINS8_10device_ptrIiEEEESD_jNS1_19radix_merge_compareILb0ELb0EiNS0_19identity_decomposerEEEEE10hipError_tT0_T1_T2_jT3_P12ihipStream_tbPNSt15iterator_traitsISI_E10value_typeEPNSO_ISJ_E10value_typeEPSK_NS1_7vsmem_tEENKUlT_SI_SJ_SK_E_clIPiSD_S10_SD_EESH_SX_SI_SJ_SK_EUlSX_E0_NS1_11comp_targetILNS1_3genE5ELNS1_11target_archE942ELNS1_3gpuE9ELNS1_3repE0EEENS1_38merge_mergepath_config_static_selectorELNS0_4arch9wavefront6targetE1EEEvSJ_.private_seg_size, 0
	.set _ZN7rocprim17ROCPRIM_400000_NS6detail17trampoline_kernelINS0_14default_configENS1_38merge_sort_block_merge_config_selectorIiiEEZZNS1_27merge_sort_block_merge_implIS3_N6thrust23THRUST_200600_302600_NS6detail15normal_iteratorINS8_10device_ptrIiEEEESD_jNS1_19radix_merge_compareILb0ELb0EiNS0_19identity_decomposerEEEEE10hipError_tT0_T1_T2_jT3_P12ihipStream_tbPNSt15iterator_traitsISI_E10value_typeEPNSO_ISJ_E10value_typeEPSK_NS1_7vsmem_tEENKUlT_SI_SJ_SK_E_clIPiSD_S10_SD_EESH_SX_SI_SJ_SK_EUlSX_E0_NS1_11comp_targetILNS1_3genE5ELNS1_11target_archE942ELNS1_3gpuE9ELNS1_3repE0EEENS1_38merge_mergepath_config_static_selectorELNS0_4arch9wavefront6targetE1EEEvSJ_.uses_vcc, 0
	.set _ZN7rocprim17ROCPRIM_400000_NS6detail17trampoline_kernelINS0_14default_configENS1_38merge_sort_block_merge_config_selectorIiiEEZZNS1_27merge_sort_block_merge_implIS3_N6thrust23THRUST_200600_302600_NS6detail15normal_iteratorINS8_10device_ptrIiEEEESD_jNS1_19radix_merge_compareILb0ELb0EiNS0_19identity_decomposerEEEEE10hipError_tT0_T1_T2_jT3_P12ihipStream_tbPNSt15iterator_traitsISI_E10value_typeEPNSO_ISJ_E10value_typeEPSK_NS1_7vsmem_tEENKUlT_SI_SJ_SK_E_clIPiSD_S10_SD_EESH_SX_SI_SJ_SK_EUlSX_E0_NS1_11comp_targetILNS1_3genE5ELNS1_11target_archE942ELNS1_3gpuE9ELNS1_3repE0EEENS1_38merge_mergepath_config_static_selectorELNS0_4arch9wavefront6targetE1EEEvSJ_.uses_flat_scratch, 0
	.set _ZN7rocprim17ROCPRIM_400000_NS6detail17trampoline_kernelINS0_14default_configENS1_38merge_sort_block_merge_config_selectorIiiEEZZNS1_27merge_sort_block_merge_implIS3_N6thrust23THRUST_200600_302600_NS6detail15normal_iteratorINS8_10device_ptrIiEEEESD_jNS1_19radix_merge_compareILb0ELb0EiNS0_19identity_decomposerEEEEE10hipError_tT0_T1_T2_jT3_P12ihipStream_tbPNSt15iterator_traitsISI_E10value_typeEPNSO_ISJ_E10value_typeEPSK_NS1_7vsmem_tEENKUlT_SI_SJ_SK_E_clIPiSD_S10_SD_EESH_SX_SI_SJ_SK_EUlSX_E0_NS1_11comp_targetILNS1_3genE5ELNS1_11target_archE942ELNS1_3gpuE9ELNS1_3repE0EEENS1_38merge_mergepath_config_static_selectorELNS0_4arch9wavefront6targetE1EEEvSJ_.has_dyn_sized_stack, 0
	.set _ZN7rocprim17ROCPRIM_400000_NS6detail17trampoline_kernelINS0_14default_configENS1_38merge_sort_block_merge_config_selectorIiiEEZZNS1_27merge_sort_block_merge_implIS3_N6thrust23THRUST_200600_302600_NS6detail15normal_iteratorINS8_10device_ptrIiEEEESD_jNS1_19radix_merge_compareILb0ELb0EiNS0_19identity_decomposerEEEEE10hipError_tT0_T1_T2_jT3_P12ihipStream_tbPNSt15iterator_traitsISI_E10value_typeEPNSO_ISJ_E10value_typeEPSK_NS1_7vsmem_tEENKUlT_SI_SJ_SK_E_clIPiSD_S10_SD_EESH_SX_SI_SJ_SK_EUlSX_E0_NS1_11comp_targetILNS1_3genE5ELNS1_11target_archE942ELNS1_3gpuE9ELNS1_3repE0EEENS1_38merge_mergepath_config_static_selectorELNS0_4arch9wavefront6targetE1EEEvSJ_.has_recursion, 0
	.set _ZN7rocprim17ROCPRIM_400000_NS6detail17trampoline_kernelINS0_14default_configENS1_38merge_sort_block_merge_config_selectorIiiEEZZNS1_27merge_sort_block_merge_implIS3_N6thrust23THRUST_200600_302600_NS6detail15normal_iteratorINS8_10device_ptrIiEEEESD_jNS1_19radix_merge_compareILb0ELb0EiNS0_19identity_decomposerEEEEE10hipError_tT0_T1_T2_jT3_P12ihipStream_tbPNSt15iterator_traitsISI_E10value_typeEPNSO_ISJ_E10value_typeEPSK_NS1_7vsmem_tEENKUlT_SI_SJ_SK_E_clIPiSD_S10_SD_EESH_SX_SI_SJ_SK_EUlSX_E0_NS1_11comp_targetILNS1_3genE5ELNS1_11target_archE942ELNS1_3gpuE9ELNS1_3repE0EEENS1_38merge_mergepath_config_static_selectorELNS0_4arch9wavefront6targetE1EEEvSJ_.has_indirect_call, 0
	.section	.AMDGPU.csdata,"",@progbits
; Kernel info:
; codeLenInByte = 0
; TotalNumSgprs: 6
; NumVgprs: 0
; NumAgprs: 0
; TotalNumVgprs: 0
; ScratchSize: 0
; MemoryBound: 0
; FloatMode: 240
; IeeeMode: 1
; LDSByteSize: 0 bytes/workgroup (compile time only)
; SGPRBlocks: 0
; VGPRBlocks: 0
; NumSGPRsForWavesPerEU: 6
; NumVGPRsForWavesPerEU: 1
; AccumOffset: 4
; Occupancy: 8
; WaveLimiterHint : 0
; COMPUTE_PGM_RSRC2:SCRATCH_EN: 0
; COMPUTE_PGM_RSRC2:USER_SGPR: 2
; COMPUTE_PGM_RSRC2:TRAP_HANDLER: 0
; COMPUTE_PGM_RSRC2:TGID_X_EN: 1
; COMPUTE_PGM_RSRC2:TGID_Y_EN: 0
; COMPUTE_PGM_RSRC2:TGID_Z_EN: 0
; COMPUTE_PGM_RSRC2:TIDIG_COMP_CNT: 0
; COMPUTE_PGM_RSRC3_GFX90A:ACCUM_OFFSET: 0
; COMPUTE_PGM_RSRC3_GFX90A:TG_SPLIT: 0
	.section	.text._ZN7rocprim17ROCPRIM_400000_NS6detail17trampoline_kernelINS0_14default_configENS1_38merge_sort_block_merge_config_selectorIiiEEZZNS1_27merge_sort_block_merge_implIS3_N6thrust23THRUST_200600_302600_NS6detail15normal_iteratorINS8_10device_ptrIiEEEESD_jNS1_19radix_merge_compareILb0ELb0EiNS0_19identity_decomposerEEEEE10hipError_tT0_T1_T2_jT3_P12ihipStream_tbPNSt15iterator_traitsISI_E10value_typeEPNSO_ISJ_E10value_typeEPSK_NS1_7vsmem_tEENKUlT_SI_SJ_SK_E_clIPiSD_S10_SD_EESH_SX_SI_SJ_SK_EUlSX_E0_NS1_11comp_targetILNS1_3genE4ELNS1_11target_archE910ELNS1_3gpuE8ELNS1_3repE0EEENS1_38merge_mergepath_config_static_selectorELNS0_4arch9wavefront6targetE1EEEvSJ_,"axG",@progbits,_ZN7rocprim17ROCPRIM_400000_NS6detail17trampoline_kernelINS0_14default_configENS1_38merge_sort_block_merge_config_selectorIiiEEZZNS1_27merge_sort_block_merge_implIS3_N6thrust23THRUST_200600_302600_NS6detail15normal_iteratorINS8_10device_ptrIiEEEESD_jNS1_19radix_merge_compareILb0ELb0EiNS0_19identity_decomposerEEEEE10hipError_tT0_T1_T2_jT3_P12ihipStream_tbPNSt15iterator_traitsISI_E10value_typeEPNSO_ISJ_E10value_typeEPSK_NS1_7vsmem_tEENKUlT_SI_SJ_SK_E_clIPiSD_S10_SD_EESH_SX_SI_SJ_SK_EUlSX_E0_NS1_11comp_targetILNS1_3genE4ELNS1_11target_archE910ELNS1_3gpuE8ELNS1_3repE0EEENS1_38merge_mergepath_config_static_selectorELNS0_4arch9wavefront6targetE1EEEvSJ_,comdat
	.protected	_ZN7rocprim17ROCPRIM_400000_NS6detail17trampoline_kernelINS0_14default_configENS1_38merge_sort_block_merge_config_selectorIiiEEZZNS1_27merge_sort_block_merge_implIS3_N6thrust23THRUST_200600_302600_NS6detail15normal_iteratorINS8_10device_ptrIiEEEESD_jNS1_19radix_merge_compareILb0ELb0EiNS0_19identity_decomposerEEEEE10hipError_tT0_T1_T2_jT3_P12ihipStream_tbPNSt15iterator_traitsISI_E10value_typeEPNSO_ISJ_E10value_typeEPSK_NS1_7vsmem_tEENKUlT_SI_SJ_SK_E_clIPiSD_S10_SD_EESH_SX_SI_SJ_SK_EUlSX_E0_NS1_11comp_targetILNS1_3genE4ELNS1_11target_archE910ELNS1_3gpuE8ELNS1_3repE0EEENS1_38merge_mergepath_config_static_selectorELNS0_4arch9wavefront6targetE1EEEvSJ_ ; -- Begin function _ZN7rocprim17ROCPRIM_400000_NS6detail17trampoline_kernelINS0_14default_configENS1_38merge_sort_block_merge_config_selectorIiiEEZZNS1_27merge_sort_block_merge_implIS3_N6thrust23THRUST_200600_302600_NS6detail15normal_iteratorINS8_10device_ptrIiEEEESD_jNS1_19radix_merge_compareILb0ELb0EiNS0_19identity_decomposerEEEEE10hipError_tT0_T1_T2_jT3_P12ihipStream_tbPNSt15iterator_traitsISI_E10value_typeEPNSO_ISJ_E10value_typeEPSK_NS1_7vsmem_tEENKUlT_SI_SJ_SK_E_clIPiSD_S10_SD_EESH_SX_SI_SJ_SK_EUlSX_E0_NS1_11comp_targetILNS1_3genE4ELNS1_11target_archE910ELNS1_3gpuE8ELNS1_3repE0EEENS1_38merge_mergepath_config_static_selectorELNS0_4arch9wavefront6targetE1EEEvSJ_
	.globl	_ZN7rocprim17ROCPRIM_400000_NS6detail17trampoline_kernelINS0_14default_configENS1_38merge_sort_block_merge_config_selectorIiiEEZZNS1_27merge_sort_block_merge_implIS3_N6thrust23THRUST_200600_302600_NS6detail15normal_iteratorINS8_10device_ptrIiEEEESD_jNS1_19radix_merge_compareILb0ELb0EiNS0_19identity_decomposerEEEEE10hipError_tT0_T1_T2_jT3_P12ihipStream_tbPNSt15iterator_traitsISI_E10value_typeEPNSO_ISJ_E10value_typeEPSK_NS1_7vsmem_tEENKUlT_SI_SJ_SK_E_clIPiSD_S10_SD_EESH_SX_SI_SJ_SK_EUlSX_E0_NS1_11comp_targetILNS1_3genE4ELNS1_11target_archE910ELNS1_3gpuE8ELNS1_3repE0EEENS1_38merge_mergepath_config_static_selectorELNS0_4arch9wavefront6targetE1EEEvSJ_
	.p2align	8
	.type	_ZN7rocprim17ROCPRIM_400000_NS6detail17trampoline_kernelINS0_14default_configENS1_38merge_sort_block_merge_config_selectorIiiEEZZNS1_27merge_sort_block_merge_implIS3_N6thrust23THRUST_200600_302600_NS6detail15normal_iteratorINS8_10device_ptrIiEEEESD_jNS1_19radix_merge_compareILb0ELb0EiNS0_19identity_decomposerEEEEE10hipError_tT0_T1_T2_jT3_P12ihipStream_tbPNSt15iterator_traitsISI_E10value_typeEPNSO_ISJ_E10value_typeEPSK_NS1_7vsmem_tEENKUlT_SI_SJ_SK_E_clIPiSD_S10_SD_EESH_SX_SI_SJ_SK_EUlSX_E0_NS1_11comp_targetILNS1_3genE4ELNS1_11target_archE910ELNS1_3gpuE8ELNS1_3repE0EEENS1_38merge_mergepath_config_static_selectorELNS0_4arch9wavefront6targetE1EEEvSJ_,@function
_ZN7rocprim17ROCPRIM_400000_NS6detail17trampoline_kernelINS0_14default_configENS1_38merge_sort_block_merge_config_selectorIiiEEZZNS1_27merge_sort_block_merge_implIS3_N6thrust23THRUST_200600_302600_NS6detail15normal_iteratorINS8_10device_ptrIiEEEESD_jNS1_19radix_merge_compareILb0ELb0EiNS0_19identity_decomposerEEEEE10hipError_tT0_T1_T2_jT3_P12ihipStream_tbPNSt15iterator_traitsISI_E10value_typeEPNSO_ISJ_E10value_typeEPSK_NS1_7vsmem_tEENKUlT_SI_SJ_SK_E_clIPiSD_S10_SD_EESH_SX_SI_SJ_SK_EUlSX_E0_NS1_11comp_targetILNS1_3genE4ELNS1_11target_archE910ELNS1_3gpuE8ELNS1_3repE0EEENS1_38merge_mergepath_config_static_selectorELNS0_4arch9wavefront6targetE1EEEvSJ_: ; @_ZN7rocprim17ROCPRIM_400000_NS6detail17trampoline_kernelINS0_14default_configENS1_38merge_sort_block_merge_config_selectorIiiEEZZNS1_27merge_sort_block_merge_implIS3_N6thrust23THRUST_200600_302600_NS6detail15normal_iteratorINS8_10device_ptrIiEEEESD_jNS1_19radix_merge_compareILb0ELb0EiNS0_19identity_decomposerEEEEE10hipError_tT0_T1_T2_jT3_P12ihipStream_tbPNSt15iterator_traitsISI_E10value_typeEPNSO_ISJ_E10value_typeEPSK_NS1_7vsmem_tEENKUlT_SI_SJ_SK_E_clIPiSD_S10_SD_EESH_SX_SI_SJ_SK_EUlSX_E0_NS1_11comp_targetILNS1_3genE4ELNS1_11target_archE910ELNS1_3gpuE8ELNS1_3repE0EEENS1_38merge_mergepath_config_static_selectorELNS0_4arch9wavefront6targetE1EEEvSJ_
; %bb.0:
	.section	.rodata,"a",@progbits
	.p2align	6, 0x0
	.amdhsa_kernel _ZN7rocprim17ROCPRIM_400000_NS6detail17trampoline_kernelINS0_14default_configENS1_38merge_sort_block_merge_config_selectorIiiEEZZNS1_27merge_sort_block_merge_implIS3_N6thrust23THRUST_200600_302600_NS6detail15normal_iteratorINS8_10device_ptrIiEEEESD_jNS1_19radix_merge_compareILb0ELb0EiNS0_19identity_decomposerEEEEE10hipError_tT0_T1_T2_jT3_P12ihipStream_tbPNSt15iterator_traitsISI_E10value_typeEPNSO_ISJ_E10value_typeEPSK_NS1_7vsmem_tEENKUlT_SI_SJ_SK_E_clIPiSD_S10_SD_EESH_SX_SI_SJ_SK_EUlSX_E0_NS1_11comp_targetILNS1_3genE4ELNS1_11target_archE910ELNS1_3gpuE8ELNS1_3repE0EEENS1_38merge_mergepath_config_static_selectorELNS0_4arch9wavefront6targetE1EEEvSJ_
		.amdhsa_group_segment_fixed_size 0
		.amdhsa_private_segment_fixed_size 0
		.amdhsa_kernarg_size 64
		.amdhsa_user_sgpr_count 2
		.amdhsa_user_sgpr_dispatch_ptr 0
		.amdhsa_user_sgpr_queue_ptr 0
		.amdhsa_user_sgpr_kernarg_segment_ptr 1
		.amdhsa_user_sgpr_dispatch_id 0
		.amdhsa_user_sgpr_kernarg_preload_length 0
		.amdhsa_user_sgpr_kernarg_preload_offset 0
		.amdhsa_user_sgpr_private_segment_size 0
		.amdhsa_uses_dynamic_stack 0
		.amdhsa_enable_private_segment 0
		.amdhsa_system_sgpr_workgroup_id_x 1
		.amdhsa_system_sgpr_workgroup_id_y 0
		.amdhsa_system_sgpr_workgroup_id_z 0
		.amdhsa_system_sgpr_workgroup_info 0
		.amdhsa_system_vgpr_workitem_id 0
		.amdhsa_next_free_vgpr 1
		.amdhsa_next_free_sgpr 0
		.amdhsa_accum_offset 4
		.amdhsa_reserve_vcc 0
		.amdhsa_float_round_mode_32 0
		.amdhsa_float_round_mode_16_64 0
		.amdhsa_float_denorm_mode_32 3
		.amdhsa_float_denorm_mode_16_64 3
		.amdhsa_dx10_clamp 1
		.amdhsa_ieee_mode 1
		.amdhsa_fp16_overflow 0
		.amdhsa_tg_split 0
		.amdhsa_exception_fp_ieee_invalid_op 0
		.amdhsa_exception_fp_denorm_src 0
		.amdhsa_exception_fp_ieee_div_zero 0
		.amdhsa_exception_fp_ieee_overflow 0
		.amdhsa_exception_fp_ieee_underflow 0
		.amdhsa_exception_fp_ieee_inexact 0
		.amdhsa_exception_int_div_zero 0
	.end_amdhsa_kernel
	.section	.text._ZN7rocprim17ROCPRIM_400000_NS6detail17trampoline_kernelINS0_14default_configENS1_38merge_sort_block_merge_config_selectorIiiEEZZNS1_27merge_sort_block_merge_implIS3_N6thrust23THRUST_200600_302600_NS6detail15normal_iteratorINS8_10device_ptrIiEEEESD_jNS1_19radix_merge_compareILb0ELb0EiNS0_19identity_decomposerEEEEE10hipError_tT0_T1_T2_jT3_P12ihipStream_tbPNSt15iterator_traitsISI_E10value_typeEPNSO_ISJ_E10value_typeEPSK_NS1_7vsmem_tEENKUlT_SI_SJ_SK_E_clIPiSD_S10_SD_EESH_SX_SI_SJ_SK_EUlSX_E0_NS1_11comp_targetILNS1_3genE4ELNS1_11target_archE910ELNS1_3gpuE8ELNS1_3repE0EEENS1_38merge_mergepath_config_static_selectorELNS0_4arch9wavefront6targetE1EEEvSJ_,"axG",@progbits,_ZN7rocprim17ROCPRIM_400000_NS6detail17trampoline_kernelINS0_14default_configENS1_38merge_sort_block_merge_config_selectorIiiEEZZNS1_27merge_sort_block_merge_implIS3_N6thrust23THRUST_200600_302600_NS6detail15normal_iteratorINS8_10device_ptrIiEEEESD_jNS1_19radix_merge_compareILb0ELb0EiNS0_19identity_decomposerEEEEE10hipError_tT0_T1_T2_jT3_P12ihipStream_tbPNSt15iterator_traitsISI_E10value_typeEPNSO_ISJ_E10value_typeEPSK_NS1_7vsmem_tEENKUlT_SI_SJ_SK_E_clIPiSD_S10_SD_EESH_SX_SI_SJ_SK_EUlSX_E0_NS1_11comp_targetILNS1_3genE4ELNS1_11target_archE910ELNS1_3gpuE8ELNS1_3repE0EEENS1_38merge_mergepath_config_static_selectorELNS0_4arch9wavefront6targetE1EEEvSJ_,comdat
.Lfunc_end719:
	.size	_ZN7rocprim17ROCPRIM_400000_NS6detail17trampoline_kernelINS0_14default_configENS1_38merge_sort_block_merge_config_selectorIiiEEZZNS1_27merge_sort_block_merge_implIS3_N6thrust23THRUST_200600_302600_NS6detail15normal_iteratorINS8_10device_ptrIiEEEESD_jNS1_19radix_merge_compareILb0ELb0EiNS0_19identity_decomposerEEEEE10hipError_tT0_T1_T2_jT3_P12ihipStream_tbPNSt15iterator_traitsISI_E10value_typeEPNSO_ISJ_E10value_typeEPSK_NS1_7vsmem_tEENKUlT_SI_SJ_SK_E_clIPiSD_S10_SD_EESH_SX_SI_SJ_SK_EUlSX_E0_NS1_11comp_targetILNS1_3genE4ELNS1_11target_archE910ELNS1_3gpuE8ELNS1_3repE0EEENS1_38merge_mergepath_config_static_selectorELNS0_4arch9wavefront6targetE1EEEvSJ_, .Lfunc_end719-_ZN7rocprim17ROCPRIM_400000_NS6detail17trampoline_kernelINS0_14default_configENS1_38merge_sort_block_merge_config_selectorIiiEEZZNS1_27merge_sort_block_merge_implIS3_N6thrust23THRUST_200600_302600_NS6detail15normal_iteratorINS8_10device_ptrIiEEEESD_jNS1_19radix_merge_compareILb0ELb0EiNS0_19identity_decomposerEEEEE10hipError_tT0_T1_T2_jT3_P12ihipStream_tbPNSt15iterator_traitsISI_E10value_typeEPNSO_ISJ_E10value_typeEPSK_NS1_7vsmem_tEENKUlT_SI_SJ_SK_E_clIPiSD_S10_SD_EESH_SX_SI_SJ_SK_EUlSX_E0_NS1_11comp_targetILNS1_3genE4ELNS1_11target_archE910ELNS1_3gpuE8ELNS1_3repE0EEENS1_38merge_mergepath_config_static_selectorELNS0_4arch9wavefront6targetE1EEEvSJ_
                                        ; -- End function
	.set _ZN7rocprim17ROCPRIM_400000_NS6detail17trampoline_kernelINS0_14default_configENS1_38merge_sort_block_merge_config_selectorIiiEEZZNS1_27merge_sort_block_merge_implIS3_N6thrust23THRUST_200600_302600_NS6detail15normal_iteratorINS8_10device_ptrIiEEEESD_jNS1_19radix_merge_compareILb0ELb0EiNS0_19identity_decomposerEEEEE10hipError_tT0_T1_T2_jT3_P12ihipStream_tbPNSt15iterator_traitsISI_E10value_typeEPNSO_ISJ_E10value_typeEPSK_NS1_7vsmem_tEENKUlT_SI_SJ_SK_E_clIPiSD_S10_SD_EESH_SX_SI_SJ_SK_EUlSX_E0_NS1_11comp_targetILNS1_3genE4ELNS1_11target_archE910ELNS1_3gpuE8ELNS1_3repE0EEENS1_38merge_mergepath_config_static_selectorELNS0_4arch9wavefront6targetE1EEEvSJ_.num_vgpr, 0
	.set _ZN7rocprim17ROCPRIM_400000_NS6detail17trampoline_kernelINS0_14default_configENS1_38merge_sort_block_merge_config_selectorIiiEEZZNS1_27merge_sort_block_merge_implIS3_N6thrust23THRUST_200600_302600_NS6detail15normal_iteratorINS8_10device_ptrIiEEEESD_jNS1_19radix_merge_compareILb0ELb0EiNS0_19identity_decomposerEEEEE10hipError_tT0_T1_T2_jT3_P12ihipStream_tbPNSt15iterator_traitsISI_E10value_typeEPNSO_ISJ_E10value_typeEPSK_NS1_7vsmem_tEENKUlT_SI_SJ_SK_E_clIPiSD_S10_SD_EESH_SX_SI_SJ_SK_EUlSX_E0_NS1_11comp_targetILNS1_3genE4ELNS1_11target_archE910ELNS1_3gpuE8ELNS1_3repE0EEENS1_38merge_mergepath_config_static_selectorELNS0_4arch9wavefront6targetE1EEEvSJ_.num_agpr, 0
	.set _ZN7rocprim17ROCPRIM_400000_NS6detail17trampoline_kernelINS0_14default_configENS1_38merge_sort_block_merge_config_selectorIiiEEZZNS1_27merge_sort_block_merge_implIS3_N6thrust23THRUST_200600_302600_NS6detail15normal_iteratorINS8_10device_ptrIiEEEESD_jNS1_19radix_merge_compareILb0ELb0EiNS0_19identity_decomposerEEEEE10hipError_tT0_T1_T2_jT3_P12ihipStream_tbPNSt15iterator_traitsISI_E10value_typeEPNSO_ISJ_E10value_typeEPSK_NS1_7vsmem_tEENKUlT_SI_SJ_SK_E_clIPiSD_S10_SD_EESH_SX_SI_SJ_SK_EUlSX_E0_NS1_11comp_targetILNS1_3genE4ELNS1_11target_archE910ELNS1_3gpuE8ELNS1_3repE0EEENS1_38merge_mergepath_config_static_selectorELNS0_4arch9wavefront6targetE1EEEvSJ_.numbered_sgpr, 0
	.set _ZN7rocprim17ROCPRIM_400000_NS6detail17trampoline_kernelINS0_14default_configENS1_38merge_sort_block_merge_config_selectorIiiEEZZNS1_27merge_sort_block_merge_implIS3_N6thrust23THRUST_200600_302600_NS6detail15normal_iteratorINS8_10device_ptrIiEEEESD_jNS1_19radix_merge_compareILb0ELb0EiNS0_19identity_decomposerEEEEE10hipError_tT0_T1_T2_jT3_P12ihipStream_tbPNSt15iterator_traitsISI_E10value_typeEPNSO_ISJ_E10value_typeEPSK_NS1_7vsmem_tEENKUlT_SI_SJ_SK_E_clIPiSD_S10_SD_EESH_SX_SI_SJ_SK_EUlSX_E0_NS1_11comp_targetILNS1_3genE4ELNS1_11target_archE910ELNS1_3gpuE8ELNS1_3repE0EEENS1_38merge_mergepath_config_static_selectorELNS0_4arch9wavefront6targetE1EEEvSJ_.num_named_barrier, 0
	.set _ZN7rocprim17ROCPRIM_400000_NS6detail17trampoline_kernelINS0_14default_configENS1_38merge_sort_block_merge_config_selectorIiiEEZZNS1_27merge_sort_block_merge_implIS3_N6thrust23THRUST_200600_302600_NS6detail15normal_iteratorINS8_10device_ptrIiEEEESD_jNS1_19radix_merge_compareILb0ELb0EiNS0_19identity_decomposerEEEEE10hipError_tT0_T1_T2_jT3_P12ihipStream_tbPNSt15iterator_traitsISI_E10value_typeEPNSO_ISJ_E10value_typeEPSK_NS1_7vsmem_tEENKUlT_SI_SJ_SK_E_clIPiSD_S10_SD_EESH_SX_SI_SJ_SK_EUlSX_E0_NS1_11comp_targetILNS1_3genE4ELNS1_11target_archE910ELNS1_3gpuE8ELNS1_3repE0EEENS1_38merge_mergepath_config_static_selectorELNS0_4arch9wavefront6targetE1EEEvSJ_.private_seg_size, 0
	.set _ZN7rocprim17ROCPRIM_400000_NS6detail17trampoline_kernelINS0_14default_configENS1_38merge_sort_block_merge_config_selectorIiiEEZZNS1_27merge_sort_block_merge_implIS3_N6thrust23THRUST_200600_302600_NS6detail15normal_iteratorINS8_10device_ptrIiEEEESD_jNS1_19radix_merge_compareILb0ELb0EiNS0_19identity_decomposerEEEEE10hipError_tT0_T1_T2_jT3_P12ihipStream_tbPNSt15iterator_traitsISI_E10value_typeEPNSO_ISJ_E10value_typeEPSK_NS1_7vsmem_tEENKUlT_SI_SJ_SK_E_clIPiSD_S10_SD_EESH_SX_SI_SJ_SK_EUlSX_E0_NS1_11comp_targetILNS1_3genE4ELNS1_11target_archE910ELNS1_3gpuE8ELNS1_3repE0EEENS1_38merge_mergepath_config_static_selectorELNS0_4arch9wavefront6targetE1EEEvSJ_.uses_vcc, 0
	.set _ZN7rocprim17ROCPRIM_400000_NS6detail17trampoline_kernelINS0_14default_configENS1_38merge_sort_block_merge_config_selectorIiiEEZZNS1_27merge_sort_block_merge_implIS3_N6thrust23THRUST_200600_302600_NS6detail15normal_iteratorINS8_10device_ptrIiEEEESD_jNS1_19radix_merge_compareILb0ELb0EiNS0_19identity_decomposerEEEEE10hipError_tT0_T1_T2_jT3_P12ihipStream_tbPNSt15iterator_traitsISI_E10value_typeEPNSO_ISJ_E10value_typeEPSK_NS1_7vsmem_tEENKUlT_SI_SJ_SK_E_clIPiSD_S10_SD_EESH_SX_SI_SJ_SK_EUlSX_E0_NS1_11comp_targetILNS1_3genE4ELNS1_11target_archE910ELNS1_3gpuE8ELNS1_3repE0EEENS1_38merge_mergepath_config_static_selectorELNS0_4arch9wavefront6targetE1EEEvSJ_.uses_flat_scratch, 0
	.set _ZN7rocprim17ROCPRIM_400000_NS6detail17trampoline_kernelINS0_14default_configENS1_38merge_sort_block_merge_config_selectorIiiEEZZNS1_27merge_sort_block_merge_implIS3_N6thrust23THRUST_200600_302600_NS6detail15normal_iteratorINS8_10device_ptrIiEEEESD_jNS1_19radix_merge_compareILb0ELb0EiNS0_19identity_decomposerEEEEE10hipError_tT0_T1_T2_jT3_P12ihipStream_tbPNSt15iterator_traitsISI_E10value_typeEPNSO_ISJ_E10value_typeEPSK_NS1_7vsmem_tEENKUlT_SI_SJ_SK_E_clIPiSD_S10_SD_EESH_SX_SI_SJ_SK_EUlSX_E0_NS1_11comp_targetILNS1_3genE4ELNS1_11target_archE910ELNS1_3gpuE8ELNS1_3repE0EEENS1_38merge_mergepath_config_static_selectorELNS0_4arch9wavefront6targetE1EEEvSJ_.has_dyn_sized_stack, 0
	.set _ZN7rocprim17ROCPRIM_400000_NS6detail17trampoline_kernelINS0_14default_configENS1_38merge_sort_block_merge_config_selectorIiiEEZZNS1_27merge_sort_block_merge_implIS3_N6thrust23THRUST_200600_302600_NS6detail15normal_iteratorINS8_10device_ptrIiEEEESD_jNS1_19radix_merge_compareILb0ELb0EiNS0_19identity_decomposerEEEEE10hipError_tT0_T1_T2_jT3_P12ihipStream_tbPNSt15iterator_traitsISI_E10value_typeEPNSO_ISJ_E10value_typeEPSK_NS1_7vsmem_tEENKUlT_SI_SJ_SK_E_clIPiSD_S10_SD_EESH_SX_SI_SJ_SK_EUlSX_E0_NS1_11comp_targetILNS1_3genE4ELNS1_11target_archE910ELNS1_3gpuE8ELNS1_3repE0EEENS1_38merge_mergepath_config_static_selectorELNS0_4arch9wavefront6targetE1EEEvSJ_.has_recursion, 0
	.set _ZN7rocprim17ROCPRIM_400000_NS6detail17trampoline_kernelINS0_14default_configENS1_38merge_sort_block_merge_config_selectorIiiEEZZNS1_27merge_sort_block_merge_implIS3_N6thrust23THRUST_200600_302600_NS6detail15normal_iteratorINS8_10device_ptrIiEEEESD_jNS1_19radix_merge_compareILb0ELb0EiNS0_19identity_decomposerEEEEE10hipError_tT0_T1_T2_jT3_P12ihipStream_tbPNSt15iterator_traitsISI_E10value_typeEPNSO_ISJ_E10value_typeEPSK_NS1_7vsmem_tEENKUlT_SI_SJ_SK_E_clIPiSD_S10_SD_EESH_SX_SI_SJ_SK_EUlSX_E0_NS1_11comp_targetILNS1_3genE4ELNS1_11target_archE910ELNS1_3gpuE8ELNS1_3repE0EEENS1_38merge_mergepath_config_static_selectorELNS0_4arch9wavefront6targetE1EEEvSJ_.has_indirect_call, 0
	.section	.AMDGPU.csdata,"",@progbits
; Kernel info:
; codeLenInByte = 0
; TotalNumSgprs: 6
; NumVgprs: 0
; NumAgprs: 0
; TotalNumVgprs: 0
; ScratchSize: 0
; MemoryBound: 0
; FloatMode: 240
; IeeeMode: 1
; LDSByteSize: 0 bytes/workgroup (compile time only)
; SGPRBlocks: 0
; VGPRBlocks: 0
; NumSGPRsForWavesPerEU: 6
; NumVGPRsForWavesPerEU: 1
; AccumOffset: 4
; Occupancy: 8
; WaveLimiterHint : 0
; COMPUTE_PGM_RSRC2:SCRATCH_EN: 0
; COMPUTE_PGM_RSRC2:USER_SGPR: 2
; COMPUTE_PGM_RSRC2:TRAP_HANDLER: 0
; COMPUTE_PGM_RSRC2:TGID_X_EN: 1
; COMPUTE_PGM_RSRC2:TGID_Y_EN: 0
; COMPUTE_PGM_RSRC2:TGID_Z_EN: 0
; COMPUTE_PGM_RSRC2:TIDIG_COMP_CNT: 0
; COMPUTE_PGM_RSRC3_GFX90A:ACCUM_OFFSET: 0
; COMPUTE_PGM_RSRC3_GFX90A:TG_SPLIT: 0
	.section	.text._ZN7rocprim17ROCPRIM_400000_NS6detail17trampoline_kernelINS0_14default_configENS1_38merge_sort_block_merge_config_selectorIiiEEZZNS1_27merge_sort_block_merge_implIS3_N6thrust23THRUST_200600_302600_NS6detail15normal_iteratorINS8_10device_ptrIiEEEESD_jNS1_19radix_merge_compareILb0ELb0EiNS0_19identity_decomposerEEEEE10hipError_tT0_T1_T2_jT3_P12ihipStream_tbPNSt15iterator_traitsISI_E10value_typeEPNSO_ISJ_E10value_typeEPSK_NS1_7vsmem_tEENKUlT_SI_SJ_SK_E_clIPiSD_S10_SD_EESH_SX_SI_SJ_SK_EUlSX_E0_NS1_11comp_targetILNS1_3genE3ELNS1_11target_archE908ELNS1_3gpuE7ELNS1_3repE0EEENS1_38merge_mergepath_config_static_selectorELNS0_4arch9wavefront6targetE1EEEvSJ_,"axG",@progbits,_ZN7rocprim17ROCPRIM_400000_NS6detail17trampoline_kernelINS0_14default_configENS1_38merge_sort_block_merge_config_selectorIiiEEZZNS1_27merge_sort_block_merge_implIS3_N6thrust23THRUST_200600_302600_NS6detail15normal_iteratorINS8_10device_ptrIiEEEESD_jNS1_19radix_merge_compareILb0ELb0EiNS0_19identity_decomposerEEEEE10hipError_tT0_T1_T2_jT3_P12ihipStream_tbPNSt15iterator_traitsISI_E10value_typeEPNSO_ISJ_E10value_typeEPSK_NS1_7vsmem_tEENKUlT_SI_SJ_SK_E_clIPiSD_S10_SD_EESH_SX_SI_SJ_SK_EUlSX_E0_NS1_11comp_targetILNS1_3genE3ELNS1_11target_archE908ELNS1_3gpuE7ELNS1_3repE0EEENS1_38merge_mergepath_config_static_selectorELNS0_4arch9wavefront6targetE1EEEvSJ_,comdat
	.protected	_ZN7rocprim17ROCPRIM_400000_NS6detail17trampoline_kernelINS0_14default_configENS1_38merge_sort_block_merge_config_selectorIiiEEZZNS1_27merge_sort_block_merge_implIS3_N6thrust23THRUST_200600_302600_NS6detail15normal_iteratorINS8_10device_ptrIiEEEESD_jNS1_19radix_merge_compareILb0ELb0EiNS0_19identity_decomposerEEEEE10hipError_tT0_T1_T2_jT3_P12ihipStream_tbPNSt15iterator_traitsISI_E10value_typeEPNSO_ISJ_E10value_typeEPSK_NS1_7vsmem_tEENKUlT_SI_SJ_SK_E_clIPiSD_S10_SD_EESH_SX_SI_SJ_SK_EUlSX_E0_NS1_11comp_targetILNS1_3genE3ELNS1_11target_archE908ELNS1_3gpuE7ELNS1_3repE0EEENS1_38merge_mergepath_config_static_selectorELNS0_4arch9wavefront6targetE1EEEvSJ_ ; -- Begin function _ZN7rocprim17ROCPRIM_400000_NS6detail17trampoline_kernelINS0_14default_configENS1_38merge_sort_block_merge_config_selectorIiiEEZZNS1_27merge_sort_block_merge_implIS3_N6thrust23THRUST_200600_302600_NS6detail15normal_iteratorINS8_10device_ptrIiEEEESD_jNS1_19radix_merge_compareILb0ELb0EiNS0_19identity_decomposerEEEEE10hipError_tT0_T1_T2_jT3_P12ihipStream_tbPNSt15iterator_traitsISI_E10value_typeEPNSO_ISJ_E10value_typeEPSK_NS1_7vsmem_tEENKUlT_SI_SJ_SK_E_clIPiSD_S10_SD_EESH_SX_SI_SJ_SK_EUlSX_E0_NS1_11comp_targetILNS1_3genE3ELNS1_11target_archE908ELNS1_3gpuE7ELNS1_3repE0EEENS1_38merge_mergepath_config_static_selectorELNS0_4arch9wavefront6targetE1EEEvSJ_
	.globl	_ZN7rocprim17ROCPRIM_400000_NS6detail17trampoline_kernelINS0_14default_configENS1_38merge_sort_block_merge_config_selectorIiiEEZZNS1_27merge_sort_block_merge_implIS3_N6thrust23THRUST_200600_302600_NS6detail15normal_iteratorINS8_10device_ptrIiEEEESD_jNS1_19radix_merge_compareILb0ELb0EiNS0_19identity_decomposerEEEEE10hipError_tT0_T1_T2_jT3_P12ihipStream_tbPNSt15iterator_traitsISI_E10value_typeEPNSO_ISJ_E10value_typeEPSK_NS1_7vsmem_tEENKUlT_SI_SJ_SK_E_clIPiSD_S10_SD_EESH_SX_SI_SJ_SK_EUlSX_E0_NS1_11comp_targetILNS1_3genE3ELNS1_11target_archE908ELNS1_3gpuE7ELNS1_3repE0EEENS1_38merge_mergepath_config_static_selectorELNS0_4arch9wavefront6targetE1EEEvSJ_
	.p2align	8
	.type	_ZN7rocprim17ROCPRIM_400000_NS6detail17trampoline_kernelINS0_14default_configENS1_38merge_sort_block_merge_config_selectorIiiEEZZNS1_27merge_sort_block_merge_implIS3_N6thrust23THRUST_200600_302600_NS6detail15normal_iteratorINS8_10device_ptrIiEEEESD_jNS1_19radix_merge_compareILb0ELb0EiNS0_19identity_decomposerEEEEE10hipError_tT0_T1_T2_jT3_P12ihipStream_tbPNSt15iterator_traitsISI_E10value_typeEPNSO_ISJ_E10value_typeEPSK_NS1_7vsmem_tEENKUlT_SI_SJ_SK_E_clIPiSD_S10_SD_EESH_SX_SI_SJ_SK_EUlSX_E0_NS1_11comp_targetILNS1_3genE3ELNS1_11target_archE908ELNS1_3gpuE7ELNS1_3repE0EEENS1_38merge_mergepath_config_static_selectorELNS0_4arch9wavefront6targetE1EEEvSJ_,@function
_ZN7rocprim17ROCPRIM_400000_NS6detail17trampoline_kernelINS0_14default_configENS1_38merge_sort_block_merge_config_selectorIiiEEZZNS1_27merge_sort_block_merge_implIS3_N6thrust23THRUST_200600_302600_NS6detail15normal_iteratorINS8_10device_ptrIiEEEESD_jNS1_19radix_merge_compareILb0ELb0EiNS0_19identity_decomposerEEEEE10hipError_tT0_T1_T2_jT3_P12ihipStream_tbPNSt15iterator_traitsISI_E10value_typeEPNSO_ISJ_E10value_typeEPSK_NS1_7vsmem_tEENKUlT_SI_SJ_SK_E_clIPiSD_S10_SD_EESH_SX_SI_SJ_SK_EUlSX_E0_NS1_11comp_targetILNS1_3genE3ELNS1_11target_archE908ELNS1_3gpuE7ELNS1_3repE0EEENS1_38merge_mergepath_config_static_selectorELNS0_4arch9wavefront6targetE1EEEvSJ_: ; @_ZN7rocprim17ROCPRIM_400000_NS6detail17trampoline_kernelINS0_14default_configENS1_38merge_sort_block_merge_config_selectorIiiEEZZNS1_27merge_sort_block_merge_implIS3_N6thrust23THRUST_200600_302600_NS6detail15normal_iteratorINS8_10device_ptrIiEEEESD_jNS1_19radix_merge_compareILb0ELb0EiNS0_19identity_decomposerEEEEE10hipError_tT0_T1_T2_jT3_P12ihipStream_tbPNSt15iterator_traitsISI_E10value_typeEPNSO_ISJ_E10value_typeEPSK_NS1_7vsmem_tEENKUlT_SI_SJ_SK_E_clIPiSD_S10_SD_EESH_SX_SI_SJ_SK_EUlSX_E0_NS1_11comp_targetILNS1_3genE3ELNS1_11target_archE908ELNS1_3gpuE7ELNS1_3repE0EEENS1_38merge_mergepath_config_static_selectorELNS0_4arch9wavefront6targetE1EEEvSJ_
; %bb.0:
	.section	.rodata,"a",@progbits
	.p2align	6, 0x0
	.amdhsa_kernel _ZN7rocprim17ROCPRIM_400000_NS6detail17trampoline_kernelINS0_14default_configENS1_38merge_sort_block_merge_config_selectorIiiEEZZNS1_27merge_sort_block_merge_implIS3_N6thrust23THRUST_200600_302600_NS6detail15normal_iteratorINS8_10device_ptrIiEEEESD_jNS1_19radix_merge_compareILb0ELb0EiNS0_19identity_decomposerEEEEE10hipError_tT0_T1_T2_jT3_P12ihipStream_tbPNSt15iterator_traitsISI_E10value_typeEPNSO_ISJ_E10value_typeEPSK_NS1_7vsmem_tEENKUlT_SI_SJ_SK_E_clIPiSD_S10_SD_EESH_SX_SI_SJ_SK_EUlSX_E0_NS1_11comp_targetILNS1_3genE3ELNS1_11target_archE908ELNS1_3gpuE7ELNS1_3repE0EEENS1_38merge_mergepath_config_static_selectorELNS0_4arch9wavefront6targetE1EEEvSJ_
		.amdhsa_group_segment_fixed_size 0
		.amdhsa_private_segment_fixed_size 0
		.amdhsa_kernarg_size 64
		.amdhsa_user_sgpr_count 2
		.amdhsa_user_sgpr_dispatch_ptr 0
		.amdhsa_user_sgpr_queue_ptr 0
		.amdhsa_user_sgpr_kernarg_segment_ptr 1
		.amdhsa_user_sgpr_dispatch_id 0
		.amdhsa_user_sgpr_kernarg_preload_length 0
		.amdhsa_user_sgpr_kernarg_preload_offset 0
		.amdhsa_user_sgpr_private_segment_size 0
		.amdhsa_uses_dynamic_stack 0
		.amdhsa_enable_private_segment 0
		.amdhsa_system_sgpr_workgroup_id_x 1
		.amdhsa_system_sgpr_workgroup_id_y 0
		.amdhsa_system_sgpr_workgroup_id_z 0
		.amdhsa_system_sgpr_workgroup_info 0
		.amdhsa_system_vgpr_workitem_id 0
		.amdhsa_next_free_vgpr 1
		.amdhsa_next_free_sgpr 0
		.amdhsa_accum_offset 4
		.amdhsa_reserve_vcc 0
		.amdhsa_float_round_mode_32 0
		.amdhsa_float_round_mode_16_64 0
		.amdhsa_float_denorm_mode_32 3
		.amdhsa_float_denorm_mode_16_64 3
		.amdhsa_dx10_clamp 1
		.amdhsa_ieee_mode 1
		.amdhsa_fp16_overflow 0
		.amdhsa_tg_split 0
		.amdhsa_exception_fp_ieee_invalid_op 0
		.amdhsa_exception_fp_denorm_src 0
		.amdhsa_exception_fp_ieee_div_zero 0
		.amdhsa_exception_fp_ieee_overflow 0
		.amdhsa_exception_fp_ieee_underflow 0
		.amdhsa_exception_fp_ieee_inexact 0
		.amdhsa_exception_int_div_zero 0
	.end_amdhsa_kernel
	.section	.text._ZN7rocprim17ROCPRIM_400000_NS6detail17trampoline_kernelINS0_14default_configENS1_38merge_sort_block_merge_config_selectorIiiEEZZNS1_27merge_sort_block_merge_implIS3_N6thrust23THRUST_200600_302600_NS6detail15normal_iteratorINS8_10device_ptrIiEEEESD_jNS1_19radix_merge_compareILb0ELb0EiNS0_19identity_decomposerEEEEE10hipError_tT0_T1_T2_jT3_P12ihipStream_tbPNSt15iterator_traitsISI_E10value_typeEPNSO_ISJ_E10value_typeEPSK_NS1_7vsmem_tEENKUlT_SI_SJ_SK_E_clIPiSD_S10_SD_EESH_SX_SI_SJ_SK_EUlSX_E0_NS1_11comp_targetILNS1_3genE3ELNS1_11target_archE908ELNS1_3gpuE7ELNS1_3repE0EEENS1_38merge_mergepath_config_static_selectorELNS0_4arch9wavefront6targetE1EEEvSJ_,"axG",@progbits,_ZN7rocprim17ROCPRIM_400000_NS6detail17trampoline_kernelINS0_14default_configENS1_38merge_sort_block_merge_config_selectorIiiEEZZNS1_27merge_sort_block_merge_implIS3_N6thrust23THRUST_200600_302600_NS6detail15normal_iteratorINS8_10device_ptrIiEEEESD_jNS1_19radix_merge_compareILb0ELb0EiNS0_19identity_decomposerEEEEE10hipError_tT0_T1_T2_jT3_P12ihipStream_tbPNSt15iterator_traitsISI_E10value_typeEPNSO_ISJ_E10value_typeEPSK_NS1_7vsmem_tEENKUlT_SI_SJ_SK_E_clIPiSD_S10_SD_EESH_SX_SI_SJ_SK_EUlSX_E0_NS1_11comp_targetILNS1_3genE3ELNS1_11target_archE908ELNS1_3gpuE7ELNS1_3repE0EEENS1_38merge_mergepath_config_static_selectorELNS0_4arch9wavefront6targetE1EEEvSJ_,comdat
.Lfunc_end720:
	.size	_ZN7rocprim17ROCPRIM_400000_NS6detail17trampoline_kernelINS0_14default_configENS1_38merge_sort_block_merge_config_selectorIiiEEZZNS1_27merge_sort_block_merge_implIS3_N6thrust23THRUST_200600_302600_NS6detail15normal_iteratorINS8_10device_ptrIiEEEESD_jNS1_19radix_merge_compareILb0ELb0EiNS0_19identity_decomposerEEEEE10hipError_tT0_T1_T2_jT3_P12ihipStream_tbPNSt15iterator_traitsISI_E10value_typeEPNSO_ISJ_E10value_typeEPSK_NS1_7vsmem_tEENKUlT_SI_SJ_SK_E_clIPiSD_S10_SD_EESH_SX_SI_SJ_SK_EUlSX_E0_NS1_11comp_targetILNS1_3genE3ELNS1_11target_archE908ELNS1_3gpuE7ELNS1_3repE0EEENS1_38merge_mergepath_config_static_selectorELNS0_4arch9wavefront6targetE1EEEvSJ_, .Lfunc_end720-_ZN7rocprim17ROCPRIM_400000_NS6detail17trampoline_kernelINS0_14default_configENS1_38merge_sort_block_merge_config_selectorIiiEEZZNS1_27merge_sort_block_merge_implIS3_N6thrust23THRUST_200600_302600_NS6detail15normal_iteratorINS8_10device_ptrIiEEEESD_jNS1_19radix_merge_compareILb0ELb0EiNS0_19identity_decomposerEEEEE10hipError_tT0_T1_T2_jT3_P12ihipStream_tbPNSt15iterator_traitsISI_E10value_typeEPNSO_ISJ_E10value_typeEPSK_NS1_7vsmem_tEENKUlT_SI_SJ_SK_E_clIPiSD_S10_SD_EESH_SX_SI_SJ_SK_EUlSX_E0_NS1_11comp_targetILNS1_3genE3ELNS1_11target_archE908ELNS1_3gpuE7ELNS1_3repE0EEENS1_38merge_mergepath_config_static_selectorELNS0_4arch9wavefront6targetE1EEEvSJ_
                                        ; -- End function
	.set _ZN7rocprim17ROCPRIM_400000_NS6detail17trampoline_kernelINS0_14default_configENS1_38merge_sort_block_merge_config_selectorIiiEEZZNS1_27merge_sort_block_merge_implIS3_N6thrust23THRUST_200600_302600_NS6detail15normal_iteratorINS8_10device_ptrIiEEEESD_jNS1_19radix_merge_compareILb0ELb0EiNS0_19identity_decomposerEEEEE10hipError_tT0_T1_T2_jT3_P12ihipStream_tbPNSt15iterator_traitsISI_E10value_typeEPNSO_ISJ_E10value_typeEPSK_NS1_7vsmem_tEENKUlT_SI_SJ_SK_E_clIPiSD_S10_SD_EESH_SX_SI_SJ_SK_EUlSX_E0_NS1_11comp_targetILNS1_3genE3ELNS1_11target_archE908ELNS1_3gpuE7ELNS1_3repE0EEENS1_38merge_mergepath_config_static_selectorELNS0_4arch9wavefront6targetE1EEEvSJ_.num_vgpr, 0
	.set _ZN7rocprim17ROCPRIM_400000_NS6detail17trampoline_kernelINS0_14default_configENS1_38merge_sort_block_merge_config_selectorIiiEEZZNS1_27merge_sort_block_merge_implIS3_N6thrust23THRUST_200600_302600_NS6detail15normal_iteratorINS8_10device_ptrIiEEEESD_jNS1_19radix_merge_compareILb0ELb0EiNS0_19identity_decomposerEEEEE10hipError_tT0_T1_T2_jT3_P12ihipStream_tbPNSt15iterator_traitsISI_E10value_typeEPNSO_ISJ_E10value_typeEPSK_NS1_7vsmem_tEENKUlT_SI_SJ_SK_E_clIPiSD_S10_SD_EESH_SX_SI_SJ_SK_EUlSX_E0_NS1_11comp_targetILNS1_3genE3ELNS1_11target_archE908ELNS1_3gpuE7ELNS1_3repE0EEENS1_38merge_mergepath_config_static_selectorELNS0_4arch9wavefront6targetE1EEEvSJ_.num_agpr, 0
	.set _ZN7rocprim17ROCPRIM_400000_NS6detail17trampoline_kernelINS0_14default_configENS1_38merge_sort_block_merge_config_selectorIiiEEZZNS1_27merge_sort_block_merge_implIS3_N6thrust23THRUST_200600_302600_NS6detail15normal_iteratorINS8_10device_ptrIiEEEESD_jNS1_19radix_merge_compareILb0ELb0EiNS0_19identity_decomposerEEEEE10hipError_tT0_T1_T2_jT3_P12ihipStream_tbPNSt15iterator_traitsISI_E10value_typeEPNSO_ISJ_E10value_typeEPSK_NS1_7vsmem_tEENKUlT_SI_SJ_SK_E_clIPiSD_S10_SD_EESH_SX_SI_SJ_SK_EUlSX_E0_NS1_11comp_targetILNS1_3genE3ELNS1_11target_archE908ELNS1_3gpuE7ELNS1_3repE0EEENS1_38merge_mergepath_config_static_selectorELNS0_4arch9wavefront6targetE1EEEvSJ_.numbered_sgpr, 0
	.set _ZN7rocprim17ROCPRIM_400000_NS6detail17trampoline_kernelINS0_14default_configENS1_38merge_sort_block_merge_config_selectorIiiEEZZNS1_27merge_sort_block_merge_implIS3_N6thrust23THRUST_200600_302600_NS6detail15normal_iteratorINS8_10device_ptrIiEEEESD_jNS1_19radix_merge_compareILb0ELb0EiNS0_19identity_decomposerEEEEE10hipError_tT0_T1_T2_jT3_P12ihipStream_tbPNSt15iterator_traitsISI_E10value_typeEPNSO_ISJ_E10value_typeEPSK_NS1_7vsmem_tEENKUlT_SI_SJ_SK_E_clIPiSD_S10_SD_EESH_SX_SI_SJ_SK_EUlSX_E0_NS1_11comp_targetILNS1_3genE3ELNS1_11target_archE908ELNS1_3gpuE7ELNS1_3repE0EEENS1_38merge_mergepath_config_static_selectorELNS0_4arch9wavefront6targetE1EEEvSJ_.num_named_barrier, 0
	.set _ZN7rocprim17ROCPRIM_400000_NS6detail17trampoline_kernelINS0_14default_configENS1_38merge_sort_block_merge_config_selectorIiiEEZZNS1_27merge_sort_block_merge_implIS3_N6thrust23THRUST_200600_302600_NS6detail15normal_iteratorINS8_10device_ptrIiEEEESD_jNS1_19radix_merge_compareILb0ELb0EiNS0_19identity_decomposerEEEEE10hipError_tT0_T1_T2_jT3_P12ihipStream_tbPNSt15iterator_traitsISI_E10value_typeEPNSO_ISJ_E10value_typeEPSK_NS1_7vsmem_tEENKUlT_SI_SJ_SK_E_clIPiSD_S10_SD_EESH_SX_SI_SJ_SK_EUlSX_E0_NS1_11comp_targetILNS1_3genE3ELNS1_11target_archE908ELNS1_3gpuE7ELNS1_3repE0EEENS1_38merge_mergepath_config_static_selectorELNS0_4arch9wavefront6targetE1EEEvSJ_.private_seg_size, 0
	.set _ZN7rocprim17ROCPRIM_400000_NS6detail17trampoline_kernelINS0_14default_configENS1_38merge_sort_block_merge_config_selectorIiiEEZZNS1_27merge_sort_block_merge_implIS3_N6thrust23THRUST_200600_302600_NS6detail15normal_iteratorINS8_10device_ptrIiEEEESD_jNS1_19radix_merge_compareILb0ELb0EiNS0_19identity_decomposerEEEEE10hipError_tT0_T1_T2_jT3_P12ihipStream_tbPNSt15iterator_traitsISI_E10value_typeEPNSO_ISJ_E10value_typeEPSK_NS1_7vsmem_tEENKUlT_SI_SJ_SK_E_clIPiSD_S10_SD_EESH_SX_SI_SJ_SK_EUlSX_E0_NS1_11comp_targetILNS1_3genE3ELNS1_11target_archE908ELNS1_3gpuE7ELNS1_3repE0EEENS1_38merge_mergepath_config_static_selectorELNS0_4arch9wavefront6targetE1EEEvSJ_.uses_vcc, 0
	.set _ZN7rocprim17ROCPRIM_400000_NS6detail17trampoline_kernelINS0_14default_configENS1_38merge_sort_block_merge_config_selectorIiiEEZZNS1_27merge_sort_block_merge_implIS3_N6thrust23THRUST_200600_302600_NS6detail15normal_iteratorINS8_10device_ptrIiEEEESD_jNS1_19radix_merge_compareILb0ELb0EiNS0_19identity_decomposerEEEEE10hipError_tT0_T1_T2_jT3_P12ihipStream_tbPNSt15iterator_traitsISI_E10value_typeEPNSO_ISJ_E10value_typeEPSK_NS1_7vsmem_tEENKUlT_SI_SJ_SK_E_clIPiSD_S10_SD_EESH_SX_SI_SJ_SK_EUlSX_E0_NS1_11comp_targetILNS1_3genE3ELNS1_11target_archE908ELNS1_3gpuE7ELNS1_3repE0EEENS1_38merge_mergepath_config_static_selectorELNS0_4arch9wavefront6targetE1EEEvSJ_.uses_flat_scratch, 0
	.set _ZN7rocprim17ROCPRIM_400000_NS6detail17trampoline_kernelINS0_14default_configENS1_38merge_sort_block_merge_config_selectorIiiEEZZNS1_27merge_sort_block_merge_implIS3_N6thrust23THRUST_200600_302600_NS6detail15normal_iteratorINS8_10device_ptrIiEEEESD_jNS1_19radix_merge_compareILb0ELb0EiNS0_19identity_decomposerEEEEE10hipError_tT0_T1_T2_jT3_P12ihipStream_tbPNSt15iterator_traitsISI_E10value_typeEPNSO_ISJ_E10value_typeEPSK_NS1_7vsmem_tEENKUlT_SI_SJ_SK_E_clIPiSD_S10_SD_EESH_SX_SI_SJ_SK_EUlSX_E0_NS1_11comp_targetILNS1_3genE3ELNS1_11target_archE908ELNS1_3gpuE7ELNS1_3repE0EEENS1_38merge_mergepath_config_static_selectorELNS0_4arch9wavefront6targetE1EEEvSJ_.has_dyn_sized_stack, 0
	.set _ZN7rocprim17ROCPRIM_400000_NS6detail17trampoline_kernelINS0_14default_configENS1_38merge_sort_block_merge_config_selectorIiiEEZZNS1_27merge_sort_block_merge_implIS3_N6thrust23THRUST_200600_302600_NS6detail15normal_iteratorINS8_10device_ptrIiEEEESD_jNS1_19radix_merge_compareILb0ELb0EiNS0_19identity_decomposerEEEEE10hipError_tT0_T1_T2_jT3_P12ihipStream_tbPNSt15iterator_traitsISI_E10value_typeEPNSO_ISJ_E10value_typeEPSK_NS1_7vsmem_tEENKUlT_SI_SJ_SK_E_clIPiSD_S10_SD_EESH_SX_SI_SJ_SK_EUlSX_E0_NS1_11comp_targetILNS1_3genE3ELNS1_11target_archE908ELNS1_3gpuE7ELNS1_3repE0EEENS1_38merge_mergepath_config_static_selectorELNS0_4arch9wavefront6targetE1EEEvSJ_.has_recursion, 0
	.set _ZN7rocprim17ROCPRIM_400000_NS6detail17trampoline_kernelINS0_14default_configENS1_38merge_sort_block_merge_config_selectorIiiEEZZNS1_27merge_sort_block_merge_implIS3_N6thrust23THRUST_200600_302600_NS6detail15normal_iteratorINS8_10device_ptrIiEEEESD_jNS1_19radix_merge_compareILb0ELb0EiNS0_19identity_decomposerEEEEE10hipError_tT0_T1_T2_jT3_P12ihipStream_tbPNSt15iterator_traitsISI_E10value_typeEPNSO_ISJ_E10value_typeEPSK_NS1_7vsmem_tEENKUlT_SI_SJ_SK_E_clIPiSD_S10_SD_EESH_SX_SI_SJ_SK_EUlSX_E0_NS1_11comp_targetILNS1_3genE3ELNS1_11target_archE908ELNS1_3gpuE7ELNS1_3repE0EEENS1_38merge_mergepath_config_static_selectorELNS0_4arch9wavefront6targetE1EEEvSJ_.has_indirect_call, 0
	.section	.AMDGPU.csdata,"",@progbits
; Kernel info:
; codeLenInByte = 0
; TotalNumSgprs: 6
; NumVgprs: 0
; NumAgprs: 0
; TotalNumVgprs: 0
; ScratchSize: 0
; MemoryBound: 0
; FloatMode: 240
; IeeeMode: 1
; LDSByteSize: 0 bytes/workgroup (compile time only)
; SGPRBlocks: 0
; VGPRBlocks: 0
; NumSGPRsForWavesPerEU: 6
; NumVGPRsForWavesPerEU: 1
; AccumOffset: 4
; Occupancy: 8
; WaveLimiterHint : 0
; COMPUTE_PGM_RSRC2:SCRATCH_EN: 0
; COMPUTE_PGM_RSRC2:USER_SGPR: 2
; COMPUTE_PGM_RSRC2:TRAP_HANDLER: 0
; COMPUTE_PGM_RSRC2:TGID_X_EN: 1
; COMPUTE_PGM_RSRC2:TGID_Y_EN: 0
; COMPUTE_PGM_RSRC2:TGID_Z_EN: 0
; COMPUTE_PGM_RSRC2:TIDIG_COMP_CNT: 0
; COMPUTE_PGM_RSRC3_GFX90A:ACCUM_OFFSET: 0
; COMPUTE_PGM_RSRC3_GFX90A:TG_SPLIT: 0
	.section	.text._ZN7rocprim17ROCPRIM_400000_NS6detail17trampoline_kernelINS0_14default_configENS1_38merge_sort_block_merge_config_selectorIiiEEZZNS1_27merge_sort_block_merge_implIS3_N6thrust23THRUST_200600_302600_NS6detail15normal_iteratorINS8_10device_ptrIiEEEESD_jNS1_19radix_merge_compareILb0ELb0EiNS0_19identity_decomposerEEEEE10hipError_tT0_T1_T2_jT3_P12ihipStream_tbPNSt15iterator_traitsISI_E10value_typeEPNSO_ISJ_E10value_typeEPSK_NS1_7vsmem_tEENKUlT_SI_SJ_SK_E_clIPiSD_S10_SD_EESH_SX_SI_SJ_SK_EUlSX_E0_NS1_11comp_targetILNS1_3genE2ELNS1_11target_archE906ELNS1_3gpuE6ELNS1_3repE0EEENS1_38merge_mergepath_config_static_selectorELNS0_4arch9wavefront6targetE1EEEvSJ_,"axG",@progbits,_ZN7rocprim17ROCPRIM_400000_NS6detail17trampoline_kernelINS0_14default_configENS1_38merge_sort_block_merge_config_selectorIiiEEZZNS1_27merge_sort_block_merge_implIS3_N6thrust23THRUST_200600_302600_NS6detail15normal_iteratorINS8_10device_ptrIiEEEESD_jNS1_19radix_merge_compareILb0ELb0EiNS0_19identity_decomposerEEEEE10hipError_tT0_T1_T2_jT3_P12ihipStream_tbPNSt15iterator_traitsISI_E10value_typeEPNSO_ISJ_E10value_typeEPSK_NS1_7vsmem_tEENKUlT_SI_SJ_SK_E_clIPiSD_S10_SD_EESH_SX_SI_SJ_SK_EUlSX_E0_NS1_11comp_targetILNS1_3genE2ELNS1_11target_archE906ELNS1_3gpuE6ELNS1_3repE0EEENS1_38merge_mergepath_config_static_selectorELNS0_4arch9wavefront6targetE1EEEvSJ_,comdat
	.protected	_ZN7rocprim17ROCPRIM_400000_NS6detail17trampoline_kernelINS0_14default_configENS1_38merge_sort_block_merge_config_selectorIiiEEZZNS1_27merge_sort_block_merge_implIS3_N6thrust23THRUST_200600_302600_NS6detail15normal_iteratorINS8_10device_ptrIiEEEESD_jNS1_19radix_merge_compareILb0ELb0EiNS0_19identity_decomposerEEEEE10hipError_tT0_T1_T2_jT3_P12ihipStream_tbPNSt15iterator_traitsISI_E10value_typeEPNSO_ISJ_E10value_typeEPSK_NS1_7vsmem_tEENKUlT_SI_SJ_SK_E_clIPiSD_S10_SD_EESH_SX_SI_SJ_SK_EUlSX_E0_NS1_11comp_targetILNS1_3genE2ELNS1_11target_archE906ELNS1_3gpuE6ELNS1_3repE0EEENS1_38merge_mergepath_config_static_selectorELNS0_4arch9wavefront6targetE1EEEvSJ_ ; -- Begin function _ZN7rocprim17ROCPRIM_400000_NS6detail17trampoline_kernelINS0_14default_configENS1_38merge_sort_block_merge_config_selectorIiiEEZZNS1_27merge_sort_block_merge_implIS3_N6thrust23THRUST_200600_302600_NS6detail15normal_iteratorINS8_10device_ptrIiEEEESD_jNS1_19radix_merge_compareILb0ELb0EiNS0_19identity_decomposerEEEEE10hipError_tT0_T1_T2_jT3_P12ihipStream_tbPNSt15iterator_traitsISI_E10value_typeEPNSO_ISJ_E10value_typeEPSK_NS1_7vsmem_tEENKUlT_SI_SJ_SK_E_clIPiSD_S10_SD_EESH_SX_SI_SJ_SK_EUlSX_E0_NS1_11comp_targetILNS1_3genE2ELNS1_11target_archE906ELNS1_3gpuE6ELNS1_3repE0EEENS1_38merge_mergepath_config_static_selectorELNS0_4arch9wavefront6targetE1EEEvSJ_
	.globl	_ZN7rocprim17ROCPRIM_400000_NS6detail17trampoline_kernelINS0_14default_configENS1_38merge_sort_block_merge_config_selectorIiiEEZZNS1_27merge_sort_block_merge_implIS3_N6thrust23THRUST_200600_302600_NS6detail15normal_iteratorINS8_10device_ptrIiEEEESD_jNS1_19radix_merge_compareILb0ELb0EiNS0_19identity_decomposerEEEEE10hipError_tT0_T1_T2_jT3_P12ihipStream_tbPNSt15iterator_traitsISI_E10value_typeEPNSO_ISJ_E10value_typeEPSK_NS1_7vsmem_tEENKUlT_SI_SJ_SK_E_clIPiSD_S10_SD_EESH_SX_SI_SJ_SK_EUlSX_E0_NS1_11comp_targetILNS1_3genE2ELNS1_11target_archE906ELNS1_3gpuE6ELNS1_3repE0EEENS1_38merge_mergepath_config_static_selectorELNS0_4arch9wavefront6targetE1EEEvSJ_
	.p2align	8
	.type	_ZN7rocprim17ROCPRIM_400000_NS6detail17trampoline_kernelINS0_14default_configENS1_38merge_sort_block_merge_config_selectorIiiEEZZNS1_27merge_sort_block_merge_implIS3_N6thrust23THRUST_200600_302600_NS6detail15normal_iteratorINS8_10device_ptrIiEEEESD_jNS1_19radix_merge_compareILb0ELb0EiNS0_19identity_decomposerEEEEE10hipError_tT0_T1_T2_jT3_P12ihipStream_tbPNSt15iterator_traitsISI_E10value_typeEPNSO_ISJ_E10value_typeEPSK_NS1_7vsmem_tEENKUlT_SI_SJ_SK_E_clIPiSD_S10_SD_EESH_SX_SI_SJ_SK_EUlSX_E0_NS1_11comp_targetILNS1_3genE2ELNS1_11target_archE906ELNS1_3gpuE6ELNS1_3repE0EEENS1_38merge_mergepath_config_static_selectorELNS0_4arch9wavefront6targetE1EEEvSJ_,@function
_ZN7rocprim17ROCPRIM_400000_NS6detail17trampoline_kernelINS0_14default_configENS1_38merge_sort_block_merge_config_selectorIiiEEZZNS1_27merge_sort_block_merge_implIS3_N6thrust23THRUST_200600_302600_NS6detail15normal_iteratorINS8_10device_ptrIiEEEESD_jNS1_19radix_merge_compareILb0ELb0EiNS0_19identity_decomposerEEEEE10hipError_tT0_T1_T2_jT3_P12ihipStream_tbPNSt15iterator_traitsISI_E10value_typeEPNSO_ISJ_E10value_typeEPSK_NS1_7vsmem_tEENKUlT_SI_SJ_SK_E_clIPiSD_S10_SD_EESH_SX_SI_SJ_SK_EUlSX_E0_NS1_11comp_targetILNS1_3genE2ELNS1_11target_archE906ELNS1_3gpuE6ELNS1_3repE0EEENS1_38merge_mergepath_config_static_selectorELNS0_4arch9wavefront6targetE1EEEvSJ_: ; @_ZN7rocprim17ROCPRIM_400000_NS6detail17trampoline_kernelINS0_14default_configENS1_38merge_sort_block_merge_config_selectorIiiEEZZNS1_27merge_sort_block_merge_implIS3_N6thrust23THRUST_200600_302600_NS6detail15normal_iteratorINS8_10device_ptrIiEEEESD_jNS1_19radix_merge_compareILb0ELb0EiNS0_19identity_decomposerEEEEE10hipError_tT0_T1_T2_jT3_P12ihipStream_tbPNSt15iterator_traitsISI_E10value_typeEPNSO_ISJ_E10value_typeEPSK_NS1_7vsmem_tEENKUlT_SI_SJ_SK_E_clIPiSD_S10_SD_EESH_SX_SI_SJ_SK_EUlSX_E0_NS1_11comp_targetILNS1_3genE2ELNS1_11target_archE906ELNS1_3gpuE6ELNS1_3repE0EEENS1_38merge_mergepath_config_static_selectorELNS0_4arch9wavefront6targetE1EEEvSJ_
; %bb.0:
	.section	.rodata,"a",@progbits
	.p2align	6, 0x0
	.amdhsa_kernel _ZN7rocprim17ROCPRIM_400000_NS6detail17trampoline_kernelINS0_14default_configENS1_38merge_sort_block_merge_config_selectorIiiEEZZNS1_27merge_sort_block_merge_implIS3_N6thrust23THRUST_200600_302600_NS6detail15normal_iteratorINS8_10device_ptrIiEEEESD_jNS1_19radix_merge_compareILb0ELb0EiNS0_19identity_decomposerEEEEE10hipError_tT0_T1_T2_jT3_P12ihipStream_tbPNSt15iterator_traitsISI_E10value_typeEPNSO_ISJ_E10value_typeEPSK_NS1_7vsmem_tEENKUlT_SI_SJ_SK_E_clIPiSD_S10_SD_EESH_SX_SI_SJ_SK_EUlSX_E0_NS1_11comp_targetILNS1_3genE2ELNS1_11target_archE906ELNS1_3gpuE6ELNS1_3repE0EEENS1_38merge_mergepath_config_static_selectorELNS0_4arch9wavefront6targetE1EEEvSJ_
		.amdhsa_group_segment_fixed_size 0
		.amdhsa_private_segment_fixed_size 0
		.amdhsa_kernarg_size 64
		.amdhsa_user_sgpr_count 2
		.amdhsa_user_sgpr_dispatch_ptr 0
		.amdhsa_user_sgpr_queue_ptr 0
		.amdhsa_user_sgpr_kernarg_segment_ptr 1
		.amdhsa_user_sgpr_dispatch_id 0
		.amdhsa_user_sgpr_kernarg_preload_length 0
		.amdhsa_user_sgpr_kernarg_preload_offset 0
		.amdhsa_user_sgpr_private_segment_size 0
		.amdhsa_uses_dynamic_stack 0
		.amdhsa_enable_private_segment 0
		.amdhsa_system_sgpr_workgroup_id_x 1
		.amdhsa_system_sgpr_workgroup_id_y 0
		.amdhsa_system_sgpr_workgroup_id_z 0
		.amdhsa_system_sgpr_workgroup_info 0
		.amdhsa_system_vgpr_workitem_id 0
		.amdhsa_next_free_vgpr 1
		.amdhsa_next_free_sgpr 0
		.amdhsa_accum_offset 4
		.amdhsa_reserve_vcc 0
		.amdhsa_float_round_mode_32 0
		.amdhsa_float_round_mode_16_64 0
		.amdhsa_float_denorm_mode_32 3
		.amdhsa_float_denorm_mode_16_64 3
		.amdhsa_dx10_clamp 1
		.amdhsa_ieee_mode 1
		.amdhsa_fp16_overflow 0
		.amdhsa_tg_split 0
		.amdhsa_exception_fp_ieee_invalid_op 0
		.amdhsa_exception_fp_denorm_src 0
		.amdhsa_exception_fp_ieee_div_zero 0
		.amdhsa_exception_fp_ieee_overflow 0
		.amdhsa_exception_fp_ieee_underflow 0
		.amdhsa_exception_fp_ieee_inexact 0
		.amdhsa_exception_int_div_zero 0
	.end_amdhsa_kernel
	.section	.text._ZN7rocprim17ROCPRIM_400000_NS6detail17trampoline_kernelINS0_14default_configENS1_38merge_sort_block_merge_config_selectorIiiEEZZNS1_27merge_sort_block_merge_implIS3_N6thrust23THRUST_200600_302600_NS6detail15normal_iteratorINS8_10device_ptrIiEEEESD_jNS1_19radix_merge_compareILb0ELb0EiNS0_19identity_decomposerEEEEE10hipError_tT0_T1_T2_jT3_P12ihipStream_tbPNSt15iterator_traitsISI_E10value_typeEPNSO_ISJ_E10value_typeEPSK_NS1_7vsmem_tEENKUlT_SI_SJ_SK_E_clIPiSD_S10_SD_EESH_SX_SI_SJ_SK_EUlSX_E0_NS1_11comp_targetILNS1_3genE2ELNS1_11target_archE906ELNS1_3gpuE6ELNS1_3repE0EEENS1_38merge_mergepath_config_static_selectorELNS0_4arch9wavefront6targetE1EEEvSJ_,"axG",@progbits,_ZN7rocprim17ROCPRIM_400000_NS6detail17trampoline_kernelINS0_14default_configENS1_38merge_sort_block_merge_config_selectorIiiEEZZNS1_27merge_sort_block_merge_implIS3_N6thrust23THRUST_200600_302600_NS6detail15normal_iteratorINS8_10device_ptrIiEEEESD_jNS1_19radix_merge_compareILb0ELb0EiNS0_19identity_decomposerEEEEE10hipError_tT0_T1_T2_jT3_P12ihipStream_tbPNSt15iterator_traitsISI_E10value_typeEPNSO_ISJ_E10value_typeEPSK_NS1_7vsmem_tEENKUlT_SI_SJ_SK_E_clIPiSD_S10_SD_EESH_SX_SI_SJ_SK_EUlSX_E0_NS1_11comp_targetILNS1_3genE2ELNS1_11target_archE906ELNS1_3gpuE6ELNS1_3repE0EEENS1_38merge_mergepath_config_static_selectorELNS0_4arch9wavefront6targetE1EEEvSJ_,comdat
.Lfunc_end721:
	.size	_ZN7rocprim17ROCPRIM_400000_NS6detail17trampoline_kernelINS0_14default_configENS1_38merge_sort_block_merge_config_selectorIiiEEZZNS1_27merge_sort_block_merge_implIS3_N6thrust23THRUST_200600_302600_NS6detail15normal_iteratorINS8_10device_ptrIiEEEESD_jNS1_19radix_merge_compareILb0ELb0EiNS0_19identity_decomposerEEEEE10hipError_tT0_T1_T2_jT3_P12ihipStream_tbPNSt15iterator_traitsISI_E10value_typeEPNSO_ISJ_E10value_typeEPSK_NS1_7vsmem_tEENKUlT_SI_SJ_SK_E_clIPiSD_S10_SD_EESH_SX_SI_SJ_SK_EUlSX_E0_NS1_11comp_targetILNS1_3genE2ELNS1_11target_archE906ELNS1_3gpuE6ELNS1_3repE0EEENS1_38merge_mergepath_config_static_selectorELNS0_4arch9wavefront6targetE1EEEvSJ_, .Lfunc_end721-_ZN7rocprim17ROCPRIM_400000_NS6detail17trampoline_kernelINS0_14default_configENS1_38merge_sort_block_merge_config_selectorIiiEEZZNS1_27merge_sort_block_merge_implIS3_N6thrust23THRUST_200600_302600_NS6detail15normal_iteratorINS8_10device_ptrIiEEEESD_jNS1_19radix_merge_compareILb0ELb0EiNS0_19identity_decomposerEEEEE10hipError_tT0_T1_T2_jT3_P12ihipStream_tbPNSt15iterator_traitsISI_E10value_typeEPNSO_ISJ_E10value_typeEPSK_NS1_7vsmem_tEENKUlT_SI_SJ_SK_E_clIPiSD_S10_SD_EESH_SX_SI_SJ_SK_EUlSX_E0_NS1_11comp_targetILNS1_3genE2ELNS1_11target_archE906ELNS1_3gpuE6ELNS1_3repE0EEENS1_38merge_mergepath_config_static_selectorELNS0_4arch9wavefront6targetE1EEEvSJ_
                                        ; -- End function
	.set _ZN7rocprim17ROCPRIM_400000_NS6detail17trampoline_kernelINS0_14default_configENS1_38merge_sort_block_merge_config_selectorIiiEEZZNS1_27merge_sort_block_merge_implIS3_N6thrust23THRUST_200600_302600_NS6detail15normal_iteratorINS8_10device_ptrIiEEEESD_jNS1_19radix_merge_compareILb0ELb0EiNS0_19identity_decomposerEEEEE10hipError_tT0_T1_T2_jT3_P12ihipStream_tbPNSt15iterator_traitsISI_E10value_typeEPNSO_ISJ_E10value_typeEPSK_NS1_7vsmem_tEENKUlT_SI_SJ_SK_E_clIPiSD_S10_SD_EESH_SX_SI_SJ_SK_EUlSX_E0_NS1_11comp_targetILNS1_3genE2ELNS1_11target_archE906ELNS1_3gpuE6ELNS1_3repE0EEENS1_38merge_mergepath_config_static_selectorELNS0_4arch9wavefront6targetE1EEEvSJ_.num_vgpr, 0
	.set _ZN7rocprim17ROCPRIM_400000_NS6detail17trampoline_kernelINS0_14default_configENS1_38merge_sort_block_merge_config_selectorIiiEEZZNS1_27merge_sort_block_merge_implIS3_N6thrust23THRUST_200600_302600_NS6detail15normal_iteratorINS8_10device_ptrIiEEEESD_jNS1_19radix_merge_compareILb0ELb0EiNS0_19identity_decomposerEEEEE10hipError_tT0_T1_T2_jT3_P12ihipStream_tbPNSt15iterator_traitsISI_E10value_typeEPNSO_ISJ_E10value_typeEPSK_NS1_7vsmem_tEENKUlT_SI_SJ_SK_E_clIPiSD_S10_SD_EESH_SX_SI_SJ_SK_EUlSX_E0_NS1_11comp_targetILNS1_3genE2ELNS1_11target_archE906ELNS1_3gpuE6ELNS1_3repE0EEENS1_38merge_mergepath_config_static_selectorELNS0_4arch9wavefront6targetE1EEEvSJ_.num_agpr, 0
	.set _ZN7rocprim17ROCPRIM_400000_NS6detail17trampoline_kernelINS0_14default_configENS1_38merge_sort_block_merge_config_selectorIiiEEZZNS1_27merge_sort_block_merge_implIS3_N6thrust23THRUST_200600_302600_NS6detail15normal_iteratorINS8_10device_ptrIiEEEESD_jNS1_19radix_merge_compareILb0ELb0EiNS0_19identity_decomposerEEEEE10hipError_tT0_T1_T2_jT3_P12ihipStream_tbPNSt15iterator_traitsISI_E10value_typeEPNSO_ISJ_E10value_typeEPSK_NS1_7vsmem_tEENKUlT_SI_SJ_SK_E_clIPiSD_S10_SD_EESH_SX_SI_SJ_SK_EUlSX_E0_NS1_11comp_targetILNS1_3genE2ELNS1_11target_archE906ELNS1_3gpuE6ELNS1_3repE0EEENS1_38merge_mergepath_config_static_selectorELNS0_4arch9wavefront6targetE1EEEvSJ_.numbered_sgpr, 0
	.set _ZN7rocprim17ROCPRIM_400000_NS6detail17trampoline_kernelINS0_14default_configENS1_38merge_sort_block_merge_config_selectorIiiEEZZNS1_27merge_sort_block_merge_implIS3_N6thrust23THRUST_200600_302600_NS6detail15normal_iteratorINS8_10device_ptrIiEEEESD_jNS1_19radix_merge_compareILb0ELb0EiNS0_19identity_decomposerEEEEE10hipError_tT0_T1_T2_jT3_P12ihipStream_tbPNSt15iterator_traitsISI_E10value_typeEPNSO_ISJ_E10value_typeEPSK_NS1_7vsmem_tEENKUlT_SI_SJ_SK_E_clIPiSD_S10_SD_EESH_SX_SI_SJ_SK_EUlSX_E0_NS1_11comp_targetILNS1_3genE2ELNS1_11target_archE906ELNS1_3gpuE6ELNS1_3repE0EEENS1_38merge_mergepath_config_static_selectorELNS0_4arch9wavefront6targetE1EEEvSJ_.num_named_barrier, 0
	.set _ZN7rocprim17ROCPRIM_400000_NS6detail17trampoline_kernelINS0_14default_configENS1_38merge_sort_block_merge_config_selectorIiiEEZZNS1_27merge_sort_block_merge_implIS3_N6thrust23THRUST_200600_302600_NS6detail15normal_iteratorINS8_10device_ptrIiEEEESD_jNS1_19radix_merge_compareILb0ELb0EiNS0_19identity_decomposerEEEEE10hipError_tT0_T1_T2_jT3_P12ihipStream_tbPNSt15iterator_traitsISI_E10value_typeEPNSO_ISJ_E10value_typeEPSK_NS1_7vsmem_tEENKUlT_SI_SJ_SK_E_clIPiSD_S10_SD_EESH_SX_SI_SJ_SK_EUlSX_E0_NS1_11comp_targetILNS1_3genE2ELNS1_11target_archE906ELNS1_3gpuE6ELNS1_3repE0EEENS1_38merge_mergepath_config_static_selectorELNS0_4arch9wavefront6targetE1EEEvSJ_.private_seg_size, 0
	.set _ZN7rocprim17ROCPRIM_400000_NS6detail17trampoline_kernelINS0_14default_configENS1_38merge_sort_block_merge_config_selectorIiiEEZZNS1_27merge_sort_block_merge_implIS3_N6thrust23THRUST_200600_302600_NS6detail15normal_iteratorINS8_10device_ptrIiEEEESD_jNS1_19radix_merge_compareILb0ELb0EiNS0_19identity_decomposerEEEEE10hipError_tT0_T1_T2_jT3_P12ihipStream_tbPNSt15iterator_traitsISI_E10value_typeEPNSO_ISJ_E10value_typeEPSK_NS1_7vsmem_tEENKUlT_SI_SJ_SK_E_clIPiSD_S10_SD_EESH_SX_SI_SJ_SK_EUlSX_E0_NS1_11comp_targetILNS1_3genE2ELNS1_11target_archE906ELNS1_3gpuE6ELNS1_3repE0EEENS1_38merge_mergepath_config_static_selectorELNS0_4arch9wavefront6targetE1EEEvSJ_.uses_vcc, 0
	.set _ZN7rocprim17ROCPRIM_400000_NS6detail17trampoline_kernelINS0_14default_configENS1_38merge_sort_block_merge_config_selectorIiiEEZZNS1_27merge_sort_block_merge_implIS3_N6thrust23THRUST_200600_302600_NS6detail15normal_iteratorINS8_10device_ptrIiEEEESD_jNS1_19radix_merge_compareILb0ELb0EiNS0_19identity_decomposerEEEEE10hipError_tT0_T1_T2_jT3_P12ihipStream_tbPNSt15iterator_traitsISI_E10value_typeEPNSO_ISJ_E10value_typeEPSK_NS1_7vsmem_tEENKUlT_SI_SJ_SK_E_clIPiSD_S10_SD_EESH_SX_SI_SJ_SK_EUlSX_E0_NS1_11comp_targetILNS1_3genE2ELNS1_11target_archE906ELNS1_3gpuE6ELNS1_3repE0EEENS1_38merge_mergepath_config_static_selectorELNS0_4arch9wavefront6targetE1EEEvSJ_.uses_flat_scratch, 0
	.set _ZN7rocprim17ROCPRIM_400000_NS6detail17trampoline_kernelINS0_14default_configENS1_38merge_sort_block_merge_config_selectorIiiEEZZNS1_27merge_sort_block_merge_implIS3_N6thrust23THRUST_200600_302600_NS6detail15normal_iteratorINS8_10device_ptrIiEEEESD_jNS1_19radix_merge_compareILb0ELb0EiNS0_19identity_decomposerEEEEE10hipError_tT0_T1_T2_jT3_P12ihipStream_tbPNSt15iterator_traitsISI_E10value_typeEPNSO_ISJ_E10value_typeEPSK_NS1_7vsmem_tEENKUlT_SI_SJ_SK_E_clIPiSD_S10_SD_EESH_SX_SI_SJ_SK_EUlSX_E0_NS1_11comp_targetILNS1_3genE2ELNS1_11target_archE906ELNS1_3gpuE6ELNS1_3repE0EEENS1_38merge_mergepath_config_static_selectorELNS0_4arch9wavefront6targetE1EEEvSJ_.has_dyn_sized_stack, 0
	.set _ZN7rocprim17ROCPRIM_400000_NS6detail17trampoline_kernelINS0_14default_configENS1_38merge_sort_block_merge_config_selectorIiiEEZZNS1_27merge_sort_block_merge_implIS3_N6thrust23THRUST_200600_302600_NS6detail15normal_iteratorINS8_10device_ptrIiEEEESD_jNS1_19radix_merge_compareILb0ELb0EiNS0_19identity_decomposerEEEEE10hipError_tT0_T1_T2_jT3_P12ihipStream_tbPNSt15iterator_traitsISI_E10value_typeEPNSO_ISJ_E10value_typeEPSK_NS1_7vsmem_tEENKUlT_SI_SJ_SK_E_clIPiSD_S10_SD_EESH_SX_SI_SJ_SK_EUlSX_E0_NS1_11comp_targetILNS1_3genE2ELNS1_11target_archE906ELNS1_3gpuE6ELNS1_3repE0EEENS1_38merge_mergepath_config_static_selectorELNS0_4arch9wavefront6targetE1EEEvSJ_.has_recursion, 0
	.set _ZN7rocprim17ROCPRIM_400000_NS6detail17trampoline_kernelINS0_14default_configENS1_38merge_sort_block_merge_config_selectorIiiEEZZNS1_27merge_sort_block_merge_implIS3_N6thrust23THRUST_200600_302600_NS6detail15normal_iteratorINS8_10device_ptrIiEEEESD_jNS1_19radix_merge_compareILb0ELb0EiNS0_19identity_decomposerEEEEE10hipError_tT0_T1_T2_jT3_P12ihipStream_tbPNSt15iterator_traitsISI_E10value_typeEPNSO_ISJ_E10value_typeEPSK_NS1_7vsmem_tEENKUlT_SI_SJ_SK_E_clIPiSD_S10_SD_EESH_SX_SI_SJ_SK_EUlSX_E0_NS1_11comp_targetILNS1_3genE2ELNS1_11target_archE906ELNS1_3gpuE6ELNS1_3repE0EEENS1_38merge_mergepath_config_static_selectorELNS0_4arch9wavefront6targetE1EEEvSJ_.has_indirect_call, 0
	.section	.AMDGPU.csdata,"",@progbits
; Kernel info:
; codeLenInByte = 0
; TotalNumSgprs: 6
; NumVgprs: 0
; NumAgprs: 0
; TotalNumVgprs: 0
; ScratchSize: 0
; MemoryBound: 0
; FloatMode: 240
; IeeeMode: 1
; LDSByteSize: 0 bytes/workgroup (compile time only)
; SGPRBlocks: 0
; VGPRBlocks: 0
; NumSGPRsForWavesPerEU: 6
; NumVGPRsForWavesPerEU: 1
; AccumOffset: 4
; Occupancy: 8
; WaveLimiterHint : 0
; COMPUTE_PGM_RSRC2:SCRATCH_EN: 0
; COMPUTE_PGM_RSRC2:USER_SGPR: 2
; COMPUTE_PGM_RSRC2:TRAP_HANDLER: 0
; COMPUTE_PGM_RSRC2:TGID_X_EN: 1
; COMPUTE_PGM_RSRC2:TGID_Y_EN: 0
; COMPUTE_PGM_RSRC2:TGID_Z_EN: 0
; COMPUTE_PGM_RSRC2:TIDIG_COMP_CNT: 0
; COMPUTE_PGM_RSRC3_GFX90A:ACCUM_OFFSET: 0
; COMPUTE_PGM_RSRC3_GFX90A:TG_SPLIT: 0
	.section	.text._ZN7rocprim17ROCPRIM_400000_NS6detail17trampoline_kernelINS0_14default_configENS1_38merge_sort_block_merge_config_selectorIiiEEZZNS1_27merge_sort_block_merge_implIS3_N6thrust23THRUST_200600_302600_NS6detail15normal_iteratorINS8_10device_ptrIiEEEESD_jNS1_19radix_merge_compareILb0ELb0EiNS0_19identity_decomposerEEEEE10hipError_tT0_T1_T2_jT3_P12ihipStream_tbPNSt15iterator_traitsISI_E10value_typeEPNSO_ISJ_E10value_typeEPSK_NS1_7vsmem_tEENKUlT_SI_SJ_SK_E_clIPiSD_S10_SD_EESH_SX_SI_SJ_SK_EUlSX_E0_NS1_11comp_targetILNS1_3genE9ELNS1_11target_archE1100ELNS1_3gpuE3ELNS1_3repE0EEENS1_38merge_mergepath_config_static_selectorELNS0_4arch9wavefront6targetE1EEEvSJ_,"axG",@progbits,_ZN7rocprim17ROCPRIM_400000_NS6detail17trampoline_kernelINS0_14default_configENS1_38merge_sort_block_merge_config_selectorIiiEEZZNS1_27merge_sort_block_merge_implIS3_N6thrust23THRUST_200600_302600_NS6detail15normal_iteratorINS8_10device_ptrIiEEEESD_jNS1_19radix_merge_compareILb0ELb0EiNS0_19identity_decomposerEEEEE10hipError_tT0_T1_T2_jT3_P12ihipStream_tbPNSt15iterator_traitsISI_E10value_typeEPNSO_ISJ_E10value_typeEPSK_NS1_7vsmem_tEENKUlT_SI_SJ_SK_E_clIPiSD_S10_SD_EESH_SX_SI_SJ_SK_EUlSX_E0_NS1_11comp_targetILNS1_3genE9ELNS1_11target_archE1100ELNS1_3gpuE3ELNS1_3repE0EEENS1_38merge_mergepath_config_static_selectorELNS0_4arch9wavefront6targetE1EEEvSJ_,comdat
	.protected	_ZN7rocprim17ROCPRIM_400000_NS6detail17trampoline_kernelINS0_14default_configENS1_38merge_sort_block_merge_config_selectorIiiEEZZNS1_27merge_sort_block_merge_implIS3_N6thrust23THRUST_200600_302600_NS6detail15normal_iteratorINS8_10device_ptrIiEEEESD_jNS1_19radix_merge_compareILb0ELb0EiNS0_19identity_decomposerEEEEE10hipError_tT0_T1_T2_jT3_P12ihipStream_tbPNSt15iterator_traitsISI_E10value_typeEPNSO_ISJ_E10value_typeEPSK_NS1_7vsmem_tEENKUlT_SI_SJ_SK_E_clIPiSD_S10_SD_EESH_SX_SI_SJ_SK_EUlSX_E0_NS1_11comp_targetILNS1_3genE9ELNS1_11target_archE1100ELNS1_3gpuE3ELNS1_3repE0EEENS1_38merge_mergepath_config_static_selectorELNS0_4arch9wavefront6targetE1EEEvSJ_ ; -- Begin function _ZN7rocprim17ROCPRIM_400000_NS6detail17trampoline_kernelINS0_14default_configENS1_38merge_sort_block_merge_config_selectorIiiEEZZNS1_27merge_sort_block_merge_implIS3_N6thrust23THRUST_200600_302600_NS6detail15normal_iteratorINS8_10device_ptrIiEEEESD_jNS1_19radix_merge_compareILb0ELb0EiNS0_19identity_decomposerEEEEE10hipError_tT0_T1_T2_jT3_P12ihipStream_tbPNSt15iterator_traitsISI_E10value_typeEPNSO_ISJ_E10value_typeEPSK_NS1_7vsmem_tEENKUlT_SI_SJ_SK_E_clIPiSD_S10_SD_EESH_SX_SI_SJ_SK_EUlSX_E0_NS1_11comp_targetILNS1_3genE9ELNS1_11target_archE1100ELNS1_3gpuE3ELNS1_3repE0EEENS1_38merge_mergepath_config_static_selectorELNS0_4arch9wavefront6targetE1EEEvSJ_
	.globl	_ZN7rocprim17ROCPRIM_400000_NS6detail17trampoline_kernelINS0_14default_configENS1_38merge_sort_block_merge_config_selectorIiiEEZZNS1_27merge_sort_block_merge_implIS3_N6thrust23THRUST_200600_302600_NS6detail15normal_iteratorINS8_10device_ptrIiEEEESD_jNS1_19radix_merge_compareILb0ELb0EiNS0_19identity_decomposerEEEEE10hipError_tT0_T1_T2_jT3_P12ihipStream_tbPNSt15iterator_traitsISI_E10value_typeEPNSO_ISJ_E10value_typeEPSK_NS1_7vsmem_tEENKUlT_SI_SJ_SK_E_clIPiSD_S10_SD_EESH_SX_SI_SJ_SK_EUlSX_E0_NS1_11comp_targetILNS1_3genE9ELNS1_11target_archE1100ELNS1_3gpuE3ELNS1_3repE0EEENS1_38merge_mergepath_config_static_selectorELNS0_4arch9wavefront6targetE1EEEvSJ_
	.p2align	8
	.type	_ZN7rocprim17ROCPRIM_400000_NS6detail17trampoline_kernelINS0_14default_configENS1_38merge_sort_block_merge_config_selectorIiiEEZZNS1_27merge_sort_block_merge_implIS3_N6thrust23THRUST_200600_302600_NS6detail15normal_iteratorINS8_10device_ptrIiEEEESD_jNS1_19radix_merge_compareILb0ELb0EiNS0_19identity_decomposerEEEEE10hipError_tT0_T1_T2_jT3_P12ihipStream_tbPNSt15iterator_traitsISI_E10value_typeEPNSO_ISJ_E10value_typeEPSK_NS1_7vsmem_tEENKUlT_SI_SJ_SK_E_clIPiSD_S10_SD_EESH_SX_SI_SJ_SK_EUlSX_E0_NS1_11comp_targetILNS1_3genE9ELNS1_11target_archE1100ELNS1_3gpuE3ELNS1_3repE0EEENS1_38merge_mergepath_config_static_selectorELNS0_4arch9wavefront6targetE1EEEvSJ_,@function
_ZN7rocprim17ROCPRIM_400000_NS6detail17trampoline_kernelINS0_14default_configENS1_38merge_sort_block_merge_config_selectorIiiEEZZNS1_27merge_sort_block_merge_implIS3_N6thrust23THRUST_200600_302600_NS6detail15normal_iteratorINS8_10device_ptrIiEEEESD_jNS1_19radix_merge_compareILb0ELb0EiNS0_19identity_decomposerEEEEE10hipError_tT0_T1_T2_jT3_P12ihipStream_tbPNSt15iterator_traitsISI_E10value_typeEPNSO_ISJ_E10value_typeEPSK_NS1_7vsmem_tEENKUlT_SI_SJ_SK_E_clIPiSD_S10_SD_EESH_SX_SI_SJ_SK_EUlSX_E0_NS1_11comp_targetILNS1_3genE9ELNS1_11target_archE1100ELNS1_3gpuE3ELNS1_3repE0EEENS1_38merge_mergepath_config_static_selectorELNS0_4arch9wavefront6targetE1EEEvSJ_: ; @_ZN7rocprim17ROCPRIM_400000_NS6detail17trampoline_kernelINS0_14default_configENS1_38merge_sort_block_merge_config_selectorIiiEEZZNS1_27merge_sort_block_merge_implIS3_N6thrust23THRUST_200600_302600_NS6detail15normal_iteratorINS8_10device_ptrIiEEEESD_jNS1_19radix_merge_compareILb0ELb0EiNS0_19identity_decomposerEEEEE10hipError_tT0_T1_T2_jT3_P12ihipStream_tbPNSt15iterator_traitsISI_E10value_typeEPNSO_ISJ_E10value_typeEPSK_NS1_7vsmem_tEENKUlT_SI_SJ_SK_E_clIPiSD_S10_SD_EESH_SX_SI_SJ_SK_EUlSX_E0_NS1_11comp_targetILNS1_3genE9ELNS1_11target_archE1100ELNS1_3gpuE3ELNS1_3repE0EEENS1_38merge_mergepath_config_static_selectorELNS0_4arch9wavefront6targetE1EEEvSJ_
; %bb.0:
	.section	.rodata,"a",@progbits
	.p2align	6, 0x0
	.amdhsa_kernel _ZN7rocprim17ROCPRIM_400000_NS6detail17trampoline_kernelINS0_14default_configENS1_38merge_sort_block_merge_config_selectorIiiEEZZNS1_27merge_sort_block_merge_implIS3_N6thrust23THRUST_200600_302600_NS6detail15normal_iteratorINS8_10device_ptrIiEEEESD_jNS1_19radix_merge_compareILb0ELb0EiNS0_19identity_decomposerEEEEE10hipError_tT0_T1_T2_jT3_P12ihipStream_tbPNSt15iterator_traitsISI_E10value_typeEPNSO_ISJ_E10value_typeEPSK_NS1_7vsmem_tEENKUlT_SI_SJ_SK_E_clIPiSD_S10_SD_EESH_SX_SI_SJ_SK_EUlSX_E0_NS1_11comp_targetILNS1_3genE9ELNS1_11target_archE1100ELNS1_3gpuE3ELNS1_3repE0EEENS1_38merge_mergepath_config_static_selectorELNS0_4arch9wavefront6targetE1EEEvSJ_
		.amdhsa_group_segment_fixed_size 0
		.amdhsa_private_segment_fixed_size 0
		.amdhsa_kernarg_size 64
		.amdhsa_user_sgpr_count 2
		.amdhsa_user_sgpr_dispatch_ptr 0
		.amdhsa_user_sgpr_queue_ptr 0
		.amdhsa_user_sgpr_kernarg_segment_ptr 1
		.amdhsa_user_sgpr_dispatch_id 0
		.amdhsa_user_sgpr_kernarg_preload_length 0
		.amdhsa_user_sgpr_kernarg_preload_offset 0
		.amdhsa_user_sgpr_private_segment_size 0
		.amdhsa_uses_dynamic_stack 0
		.amdhsa_enable_private_segment 0
		.amdhsa_system_sgpr_workgroup_id_x 1
		.amdhsa_system_sgpr_workgroup_id_y 0
		.amdhsa_system_sgpr_workgroup_id_z 0
		.amdhsa_system_sgpr_workgroup_info 0
		.amdhsa_system_vgpr_workitem_id 0
		.amdhsa_next_free_vgpr 1
		.amdhsa_next_free_sgpr 0
		.amdhsa_accum_offset 4
		.amdhsa_reserve_vcc 0
		.amdhsa_float_round_mode_32 0
		.amdhsa_float_round_mode_16_64 0
		.amdhsa_float_denorm_mode_32 3
		.amdhsa_float_denorm_mode_16_64 3
		.amdhsa_dx10_clamp 1
		.amdhsa_ieee_mode 1
		.amdhsa_fp16_overflow 0
		.amdhsa_tg_split 0
		.amdhsa_exception_fp_ieee_invalid_op 0
		.amdhsa_exception_fp_denorm_src 0
		.amdhsa_exception_fp_ieee_div_zero 0
		.amdhsa_exception_fp_ieee_overflow 0
		.amdhsa_exception_fp_ieee_underflow 0
		.amdhsa_exception_fp_ieee_inexact 0
		.amdhsa_exception_int_div_zero 0
	.end_amdhsa_kernel
	.section	.text._ZN7rocprim17ROCPRIM_400000_NS6detail17trampoline_kernelINS0_14default_configENS1_38merge_sort_block_merge_config_selectorIiiEEZZNS1_27merge_sort_block_merge_implIS3_N6thrust23THRUST_200600_302600_NS6detail15normal_iteratorINS8_10device_ptrIiEEEESD_jNS1_19radix_merge_compareILb0ELb0EiNS0_19identity_decomposerEEEEE10hipError_tT0_T1_T2_jT3_P12ihipStream_tbPNSt15iterator_traitsISI_E10value_typeEPNSO_ISJ_E10value_typeEPSK_NS1_7vsmem_tEENKUlT_SI_SJ_SK_E_clIPiSD_S10_SD_EESH_SX_SI_SJ_SK_EUlSX_E0_NS1_11comp_targetILNS1_3genE9ELNS1_11target_archE1100ELNS1_3gpuE3ELNS1_3repE0EEENS1_38merge_mergepath_config_static_selectorELNS0_4arch9wavefront6targetE1EEEvSJ_,"axG",@progbits,_ZN7rocprim17ROCPRIM_400000_NS6detail17trampoline_kernelINS0_14default_configENS1_38merge_sort_block_merge_config_selectorIiiEEZZNS1_27merge_sort_block_merge_implIS3_N6thrust23THRUST_200600_302600_NS6detail15normal_iteratorINS8_10device_ptrIiEEEESD_jNS1_19radix_merge_compareILb0ELb0EiNS0_19identity_decomposerEEEEE10hipError_tT0_T1_T2_jT3_P12ihipStream_tbPNSt15iterator_traitsISI_E10value_typeEPNSO_ISJ_E10value_typeEPSK_NS1_7vsmem_tEENKUlT_SI_SJ_SK_E_clIPiSD_S10_SD_EESH_SX_SI_SJ_SK_EUlSX_E0_NS1_11comp_targetILNS1_3genE9ELNS1_11target_archE1100ELNS1_3gpuE3ELNS1_3repE0EEENS1_38merge_mergepath_config_static_selectorELNS0_4arch9wavefront6targetE1EEEvSJ_,comdat
.Lfunc_end722:
	.size	_ZN7rocprim17ROCPRIM_400000_NS6detail17trampoline_kernelINS0_14default_configENS1_38merge_sort_block_merge_config_selectorIiiEEZZNS1_27merge_sort_block_merge_implIS3_N6thrust23THRUST_200600_302600_NS6detail15normal_iteratorINS8_10device_ptrIiEEEESD_jNS1_19radix_merge_compareILb0ELb0EiNS0_19identity_decomposerEEEEE10hipError_tT0_T1_T2_jT3_P12ihipStream_tbPNSt15iterator_traitsISI_E10value_typeEPNSO_ISJ_E10value_typeEPSK_NS1_7vsmem_tEENKUlT_SI_SJ_SK_E_clIPiSD_S10_SD_EESH_SX_SI_SJ_SK_EUlSX_E0_NS1_11comp_targetILNS1_3genE9ELNS1_11target_archE1100ELNS1_3gpuE3ELNS1_3repE0EEENS1_38merge_mergepath_config_static_selectorELNS0_4arch9wavefront6targetE1EEEvSJ_, .Lfunc_end722-_ZN7rocprim17ROCPRIM_400000_NS6detail17trampoline_kernelINS0_14default_configENS1_38merge_sort_block_merge_config_selectorIiiEEZZNS1_27merge_sort_block_merge_implIS3_N6thrust23THRUST_200600_302600_NS6detail15normal_iteratorINS8_10device_ptrIiEEEESD_jNS1_19radix_merge_compareILb0ELb0EiNS0_19identity_decomposerEEEEE10hipError_tT0_T1_T2_jT3_P12ihipStream_tbPNSt15iterator_traitsISI_E10value_typeEPNSO_ISJ_E10value_typeEPSK_NS1_7vsmem_tEENKUlT_SI_SJ_SK_E_clIPiSD_S10_SD_EESH_SX_SI_SJ_SK_EUlSX_E0_NS1_11comp_targetILNS1_3genE9ELNS1_11target_archE1100ELNS1_3gpuE3ELNS1_3repE0EEENS1_38merge_mergepath_config_static_selectorELNS0_4arch9wavefront6targetE1EEEvSJ_
                                        ; -- End function
	.set _ZN7rocprim17ROCPRIM_400000_NS6detail17trampoline_kernelINS0_14default_configENS1_38merge_sort_block_merge_config_selectorIiiEEZZNS1_27merge_sort_block_merge_implIS3_N6thrust23THRUST_200600_302600_NS6detail15normal_iteratorINS8_10device_ptrIiEEEESD_jNS1_19radix_merge_compareILb0ELb0EiNS0_19identity_decomposerEEEEE10hipError_tT0_T1_T2_jT3_P12ihipStream_tbPNSt15iterator_traitsISI_E10value_typeEPNSO_ISJ_E10value_typeEPSK_NS1_7vsmem_tEENKUlT_SI_SJ_SK_E_clIPiSD_S10_SD_EESH_SX_SI_SJ_SK_EUlSX_E0_NS1_11comp_targetILNS1_3genE9ELNS1_11target_archE1100ELNS1_3gpuE3ELNS1_3repE0EEENS1_38merge_mergepath_config_static_selectorELNS0_4arch9wavefront6targetE1EEEvSJ_.num_vgpr, 0
	.set _ZN7rocprim17ROCPRIM_400000_NS6detail17trampoline_kernelINS0_14default_configENS1_38merge_sort_block_merge_config_selectorIiiEEZZNS1_27merge_sort_block_merge_implIS3_N6thrust23THRUST_200600_302600_NS6detail15normal_iteratorINS8_10device_ptrIiEEEESD_jNS1_19radix_merge_compareILb0ELb0EiNS0_19identity_decomposerEEEEE10hipError_tT0_T1_T2_jT3_P12ihipStream_tbPNSt15iterator_traitsISI_E10value_typeEPNSO_ISJ_E10value_typeEPSK_NS1_7vsmem_tEENKUlT_SI_SJ_SK_E_clIPiSD_S10_SD_EESH_SX_SI_SJ_SK_EUlSX_E0_NS1_11comp_targetILNS1_3genE9ELNS1_11target_archE1100ELNS1_3gpuE3ELNS1_3repE0EEENS1_38merge_mergepath_config_static_selectorELNS0_4arch9wavefront6targetE1EEEvSJ_.num_agpr, 0
	.set _ZN7rocprim17ROCPRIM_400000_NS6detail17trampoline_kernelINS0_14default_configENS1_38merge_sort_block_merge_config_selectorIiiEEZZNS1_27merge_sort_block_merge_implIS3_N6thrust23THRUST_200600_302600_NS6detail15normal_iteratorINS8_10device_ptrIiEEEESD_jNS1_19radix_merge_compareILb0ELb0EiNS0_19identity_decomposerEEEEE10hipError_tT0_T1_T2_jT3_P12ihipStream_tbPNSt15iterator_traitsISI_E10value_typeEPNSO_ISJ_E10value_typeEPSK_NS1_7vsmem_tEENKUlT_SI_SJ_SK_E_clIPiSD_S10_SD_EESH_SX_SI_SJ_SK_EUlSX_E0_NS1_11comp_targetILNS1_3genE9ELNS1_11target_archE1100ELNS1_3gpuE3ELNS1_3repE0EEENS1_38merge_mergepath_config_static_selectorELNS0_4arch9wavefront6targetE1EEEvSJ_.numbered_sgpr, 0
	.set _ZN7rocprim17ROCPRIM_400000_NS6detail17trampoline_kernelINS0_14default_configENS1_38merge_sort_block_merge_config_selectorIiiEEZZNS1_27merge_sort_block_merge_implIS3_N6thrust23THRUST_200600_302600_NS6detail15normal_iteratorINS8_10device_ptrIiEEEESD_jNS1_19radix_merge_compareILb0ELb0EiNS0_19identity_decomposerEEEEE10hipError_tT0_T1_T2_jT3_P12ihipStream_tbPNSt15iterator_traitsISI_E10value_typeEPNSO_ISJ_E10value_typeEPSK_NS1_7vsmem_tEENKUlT_SI_SJ_SK_E_clIPiSD_S10_SD_EESH_SX_SI_SJ_SK_EUlSX_E0_NS1_11comp_targetILNS1_3genE9ELNS1_11target_archE1100ELNS1_3gpuE3ELNS1_3repE0EEENS1_38merge_mergepath_config_static_selectorELNS0_4arch9wavefront6targetE1EEEvSJ_.num_named_barrier, 0
	.set _ZN7rocprim17ROCPRIM_400000_NS6detail17trampoline_kernelINS0_14default_configENS1_38merge_sort_block_merge_config_selectorIiiEEZZNS1_27merge_sort_block_merge_implIS3_N6thrust23THRUST_200600_302600_NS6detail15normal_iteratorINS8_10device_ptrIiEEEESD_jNS1_19radix_merge_compareILb0ELb0EiNS0_19identity_decomposerEEEEE10hipError_tT0_T1_T2_jT3_P12ihipStream_tbPNSt15iterator_traitsISI_E10value_typeEPNSO_ISJ_E10value_typeEPSK_NS1_7vsmem_tEENKUlT_SI_SJ_SK_E_clIPiSD_S10_SD_EESH_SX_SI_SJ_SK_EUlSX_E0_NS1_11comp_targetILNS1_3genE9ELNS1_11target_archE1100ELNS1_3gpuE3ELNS1_3repE0EEENS1_38merge_mergepath_config_static_selectorELNS0_4arch9wavefront6targetE1EEEvSJ_.private_seg_size, 0
	.set _ZN7rocprim17ROCPRIM_400000_NS6detail17trampoline_kernelINS0_14default_configENS1_38merge_sort_block_merge_config_selectorIiiEEZZNS1_27merge_sort_block_merge_implIS3_N6thrust23THRUST_200600_302600_NS6detail15normal_iteratorINS8_10device_ptrIiEEEESD_jNS1_19radix_merge_compareILb0ELb0EiNS0_19identity_decomposerEEEEE10hipError_tT0_T1_T2_jT3_P12ihipStream_tbPNSt15iterator_traitsISI_E10value_typeEPNSO_ISJ_E10value_typeEPSK_NS1_7vsmem_tEENKUlT_SI_SJ_SK_E_clIPiSD_S10_SD_EESH_SX_SI_SJ_SK_EUlSX_E0_NS1_11comp_targetILNS1_3genE9ELNS1_11target_archE1100ELNS1_3gpuE3ELNS1_3repE0EEENS1_38merge_mergepath_config_static_selectorELNS0_4arch9wavefront6targetE1EEEvSJ_.uses_vcc, 0
	.set _ZN7rocprim17ROCPRIM_400000_NS6detail17trampoline_kernelINS0_14default_configENS1_38merge_sort_block_merge_config_selectorIiiEEZZNS1_27merge_sort_block_merge_implIS3_N6thrust23THRUST_200600_302600_NS6detail15normal_iteratorINS8_10device_ptrIiEEEESD_jNS1_19radix_merge_compareILb0ELb0EiNS0_19identity_decomposerEEEEE10hipError_tT0_T1_T2_jT3_P12ihipStream_tbPNSt15iterator_traitsISI_E10value_typeEPNSO_ISJ_E10value_typeEPSK_NS1_7vsmem_tEENKUlT_SI_SJ_SK_E_clIPiSD_S10_SD_EESH_SX_SI_SJ_SK_EUlSX_E0_NS1_11comp_targetILNS1_3genE9ELNS1_11target_archE1100ELNS1_3gpuE3ELNS1_3repE0EEENS1_38merge_mergepath_config_static_selectorELNS0_4arch9wavefront6targetE1EEEvSJ_.uses_flat_scratch, 0
	.set _ZN7rocprim17ROCPRIM_400000_NS6detail17trampoline_kernelINS0_14default_configENS1_38merge_sort_block_merge_config_selectorIiiEEZZNS1_27merge_sort_block_merge_implIS3_N6thrust23THRUST_200600_302600_NS6detail15normal_iteratorINS8_10device_ptrIiEEEESD_jNS1_19radix_merge_compareILb0ELb0EiNS0_19identity_decomposerEEEEE10hipError_tT0_T1_T2_jT3_P12ihipStream_tbPNSt15iterator_traitsISI_E10value_typeEPNSO_ISJ_E10value_typeEPSK_NS1_7vsmem_tEENKUlT_SI_SJ_SK_E_clIPiSD_S10_SD_EESH_SX_SI_SJ_SK_EUlSX_E0_NS1_11comp_targetILNS1_3genE9ELNS1_11target_archE1100ELNS1_3gpuE3ELNS1_3repE0EEENS1_38merge_mergepath_config_static_selectorELNS0_4arch9wavefront6targetE1EEEvSJ_.has_dyn_sized_stack, 0
	.set _ZN7rocprim17ROCPRIM_400000_NS6detail17trampoline_kernelINS0_14default_configENS1_38merge_sort_block_merge_config_selectorIiiEEZZNS1_27merge_sort_block_merge_implIS3_N6thrust23THRUST_200600_302600_NS6detail15normal_iteratorINS8_10device_ptrIiEEEESD_jNS1_19radix_merge_compareILb0ELb0EiNS0_19identity_decomposerEEEEE10hipError_tT0_T1_T2_jT3_P12ihipStream_tbPNSt15iterator_traitsISI_E10value_typeEPNSO_ISJ_E10value_typeEPSK_NS1_7vsmem_tEENKUlT_SI_SJ_SK_E_clIPiSD_S10_SD_EESH_SX_SI_SJ_SK_EUlSX_E0_NS1_11comp_targetILNS1_3genE9ELNS1_11target_archE1100ELNS1_3gpuE3ELNS1_3repE0EEENS1_38merge_mergepath_config_static_selectorELNS0_4arch9wavefront6targetE1EEEvSJ_.has_recursion, 0
	.set _ZN7rocprim17ROCPRIM_400000_NS6detail17trampoline_kernelINS0_14default_configENS1_38merge_sort_block_merge_config_selectorIiiEEZZNS1_27merge_sort_block_merge_implIS3_N6thrust23THRUST_200600_302600_NS6detail15normal_iteratorINS8_10device_ptrIiEEEESD_jNS1_19radix_merge_compareILb0ELb0EiNS0_19identity_decomposerEEEEE10hipError_tT0_T1_T2_jT3_P12ihipStream_tbPNSt15iterator_traitsISI_E10value_typeEPNSO_ISJ_E10value_typeEPSK_NS1_7vsmem_tEENKUlT_SI_SJ_SK_E_clIPiSD_S10_SD_EESH_SX_SI_SJ_SK_EUlSX_E0_NS1_11comp_targetILNS1_3genE9ELNS1_11target_archE1100ELNS1_3gpuE3ELNS1_3repE0EEENS1_38merge_mergepath_config_static_selectorELNS0_4arch9wavefront6targetE1EEEvSJ_.has_indirect_call, 0
	.section	.AMDGPU.csdata,"",@progbits
; Kernel info:
; codeLenInByte = 0
; TotalNumSgprs: 6
; NumVgprs: 0
; NumAgprs: 0
; TotalNumVgprs: 0
; ScratchSize: 0
; MemoryBound: 0
; FloatMode: 240
; IeeeMode: 1
; LDSByteSize: 0 bytes/workgroup (compile time only)
; SGPRBlocks: 0
; VGPRBlocks: 0
; NumSGPRsForWavesPerEU: 6
; NumVGPRsForWavesPerEU: 1
; AccumOffset: 4
; Occupancy: 8
; WaveLimiterHint : 0
; COMPUTE_PGM_RSRC2:SCRATCH_EN: 0
; COMPUTE_PGM_RSRC2:USER_SGPR: 2
; COMPUTE_PGM_RSRC2:TRAP_HANDLER: 0
; COMPUTE_PGM_RSRC2:TGID_X_EN: 1
; COMPUTE_PGM_RSRC2:TGID_Y_EN: 0
; COMPUTE_PGM_RSRC2:TGID_Z_EN: 0
; COMPUTE_PGM_RSRC2:TIDIG_COMP_CNT: 0
; COMPUTE_PGM_RSRC3_GFX90A:ACCUM_OFFSET: 0
; COMPUTE_PGM_RSRC3_GFX90A:TG_SPLIT: 0
	.section	.text._ZN7rocprim17ROCPRIM_400000_NS6detail17trampoline_kernelINS0_14default_configENS1_38merge_sort_block_merge_config_selectorIiiEEZZNS1_27merge_sort_block_merge_implIS3_N6thrust23THRUST_200600_302600_NS6detail15normal_iteratorINS8_10device_ptrIiEEEESD_jNS1_19radix_merge_compareILb0ELb0EiNS0_19identity_decomposerEEEEE10hipError_tT0_T1_T2_jT3_P12ihipStream_tbPNSt15iterator_traitsISI_E10value_typeEPNSO_ISJ_E10value_typeEPSK_NS1_7vsmem_tEENKUlT_SI_SJ_SK_E_clIPiSD_S10_SD_EESH_SX_SI_SJ_SK_EUlSX_E0_NS1_11comp_targetILNS1_3genE8ELNS1_11target_archE1030ELNS1_3gpuE2ELNS1_3repE0EEENS1_38merge_mergepath_config_static_selectorELNS0_4arch9wavefront6targetE1EEEvSJ_,"axG",@progbits,_ZN7rocprim17ROCPRIM_400000_NS6detail17trampoline_kernelINS0_14default_configENS1_38merge_sort_block_merge_config_selectorIiiEEZZNS1_27merge_sort_block_merge_implIS3_N6thrust23THRUST_200600_302600_NS6detail15normal_iteratorINS8_10device_ptrIiEEEESD_jNS1_19radix_merge_compareILb0ELb0EiNS0_19identity_decomposerEEEEE10hipError_tT0_T1_T2_jT3_P12ihipStream_tbPNSt15iterator_traitsISI_E10value_typeEPNSO_ISJ_E10value_typeEPSK_NS1_7vsmem_tEENKUlT_SI_SJ_SK_E_clIPiSD_S10_SD_EESH_SX_SI_SJ_SK_EUlSX_E0_NS1_11comp_targetILNS1_3genE8ELNS1_11target_archE1030ELNS1_3gpuE2ELNS1_3repE0EEENS1_38merge_mergepath_config_static_selectorELNS0_4arch9wavefront6targetE1EEEvSJ_,comdat
	.protected	_ZN7rocprim17ROCPRIM_400000_NS6detail17trampoline_kernelINS0_14default_configENS1_38merge_sort_block_merge_config_selectorIiiEEZZNS1_27merge_sort_block_merge_implIS3_N6thrust23THRUST_200600_302600_NS6detail15normal_iteratorINS8_10device_ptrIiEEEESD_jNS1_19radix_merge_compareILb0ELb0EiNS0_19identity_decomposerEEEEE10hipError_tT0_T1_T2_jT3_P12ihipStream_tbPNSt15iterator_traitsISI_E10value_typeEPNSO_ISJ_E10value_typeEPSK_NS1_7vsmem_tEENKUlT_SI_SJ_SK_E_clIPiSD_S10_SD_EESH_SX_SI_SJ_SK_EUlSX_E0_NS1_11comp_targetILNS1_3genE8ELNS1_11target_archE1030ELNS1_3gpuE2ELNS1_3repE0EEENS1_38merge_mergepath_config_static_selectorELNS0_4arch9wavefront6targetE1EEEvSJ_ ; -- Begin function _ZN7rocprim17ROCPRIM_400000_NS6detail17trampoline_kernelINS0_14default_configENS1_38merge_sort_block_merge_config_selectorIiiEEZZNS1_27merge_sort_block_merge_implIS3_N6thrust23THRUST_200600_302600_NS6detail15normal_iteratorINS8_10device_ptrIiEEEESD_jNS1_19radix_merge_compareILb0ELb0EiNS0_19identity_decomposerEEEEE10hipError_tT0_T1_T2_jT3_P12ihipStream_tbPNSt15iterator_traitsISI_E10value_typeEPNSO_ISJ_E10value_typeEPSK_NS1_7vsmem_tEENKUlT_SI_SJ_SK_E_clIPiSD_S10_SD_EESH_SX_SI_SJ_SK_EUlSX_E0_NS1_11comp_targetILNS1_3genE8ELNS1_11target_archE1030ELNS1_3gpuE2ELNS1_3repE0EEENS1_38merge_mergepath_config_static_selectorELNS0_4arch9wavefront6targetE1EEEvSJ_
	.globl	_ZN7rocprim17ROCPRIM_400000_NS6detail17trampoline_kernelINS0_14default_configENS1_38merge_sort_block_merge_config_selectorIiiEEZZNS1_27merge_sort_block_merge_implIS3_N6thrust23THRUST_200600_302600_NS6detail15normal_iteratorINS8_10device_ptrIiEEEESD_jNS1_19radix_merge_compareILb0ELb0EiNS0_19identity_decomposerEEEEE10hipError_tT0_T1_T2_jT3_P12ihipStream_tbPNSt15iterator_traitsISI_E10value_typeEPNSO_ISJ_E10value_typeEPSK_NS1_7vsmem_tEENKUlT_SI_SJ_SK_E_clIPiSD_S10_SD_EESH_SX_SI_SJ_SK_EUlSX_E0_NS1_11comp_targetILNS1_3genE8ELNS1_11target_archE1030ELNS1_3gpuE2ELNS1_3repE0EEENS1_38merge_mergepath_config_static_selectorELNS0_4arch9wavefront6targetE1EEEvSJ_
	.p2align	8
	.type	_ZN7rocprim17ROCPRIM_400000_NS6detail17trampoline_kernelINS0_14default_configENS1_38merge_sort_block_merge_config_selectorIiiEEZZNS1_27merge_sort_block_merge_implIS3_N6thrust23THRUST_200600_302600_NS6detail15normal_iteratorINS8_10device_ptrIiEEEESD_jNS1_19radix_merge_compareILb0ELb0EiNS0_19identity_decomposerEEEEE10hipError_tT0_T1_T2_jT3_P12ihipStream_tbPNSt15iterator_traitsISI_E10value_typeEPNSO_ISJ_E10value_typeEPSK_NS1_7vsmem_tEENKUlT_SI_SJ_SK_E_clIPiSD_S10_SD_EESH_SX_SI_SJ_SK_EUlSX_E0_NS1_11comp_targetILNS1_3genE8ELNS1_11target_archE1030ELNS1_3gpuE2ELNS1_3repE0EEENS1_38merge_mergepath_config_static_selectorELNS0_4arch9wavefront6targetE1EEEvSJ_,@function
_ZN7rocprim17ROCPRIM_400000_NS6detail17trampoline_kernelINS0_14default_configENS1_38merge_sort_block_merge_config_selectorIiiEEZZNS1_27merge_sort_block_merge_implIS3_N6thrust23THRUST_200600_302600_NS6detail15normal_iteratorINS8_10device_ptrIiEEEESD_jNS1_19radix_merge_compareILb0ELb0EiNS0_19identity_decomposerEEEEE10hipError_tT0_T1_T2_jT3_P12ihipStream_tbPNSt15iterator_traitsISI_E10value_typeEPNSO_ISJ_E10value_typeEPSK_NS1_7vsmem_tEENKUlT_SI_SJ_SK_E_clIPiSD_S10_SD_EESH_SX_SI_SJ_SK_EUlSX_E0_NS1_11comp_targetILNS1_3genE8ELNS1_11target_archE1030ELNS1_3gpuE2ELNS1_3repE0EEENS1_38merge_mergepath_config_static_selectorELNS0_4arch9wavefront6targetE1EEEvSJ_: ; @_ZN7rocprim17ROCPRIM_400000_NS6detail17trampoline_kernelINS0_14default_configENS1_38merge_sort_block_merge_config_selectorIiiEEZZNS1_27merge_sort_block_merge_implIS3_N6thrust23THRUST_200600_302600_NS6detail15normal_iteratorINS8_10device_ptrIiEEEESD_jNS1_19radix_merge_compareILb0ELb0EiNS0_19identity_decomposerEEEEE10hipError_tT0_T1_T2_jT3_P12ihipStream_tbPNSt15iterator_traitsISI_E10value_typeEPNSO_ISJ_E10value_typeEPSK_NS1_7vsmem_tEENKUlT_SI_SJ_SK_E_clIPiSD_S10_SD_EESH_SX_SI_SJ_SK_EUlSX_E0_NS1_11comp_targetILNS1_3genE8ELNS1_11target_archE1030ELNS1_3gpuE2ELNS1_3repE0EEENS1_38merge_mergepath_config_static_selectorELNS0_4arch9wavefront6targetE1EEEvSJ_
; %bb.0:
	.section	.rodata,"a",@progbits
	.p2align	6, 0x0
	.amdhsa_kernel _ZN7rocprim17ROCPRIM_400000_NS6detail17trampoline_kernelINS0_14default_configENS1_38merge_sort_block_merge_config_selectorIiiEEZZNS1_27merge_sort_block_merge_implIS3_N6thrust23THRUST_200600_302600_NS6detail15normal_iteratorINS8_10device_ptrIiEEEESD_jNS1_19radix_merge_compareILb0ELb0EiNS0_19identity_decomposerEEEEE10hipError_tT0_T1_T2_jT3_P12ihipStream_tbPNSt15iterator_traitsISI_E10value_typeEPNSO_ISJ_E10value_typeEPSK_NS1_7vsmem_tEENKUlT_SI_SJ_SK_E_clIPiSD_S10_SD_EESH_SX_SI_SJ_SK_EUlSX_E0_NS1_11comp_targetILNS1_3genE8ELNS1_11target_archE1030ELNS1_3gpuE2ELNS1_3repE0EEENS1_38merge_mergepath_config_static_selectorELNS0_4arch9wavefront6targetE1EEEvSJ_
		.amdhsa_group_segment_fixed_size 0
		.amdhsa_private_segment_fixed_size 0
		.amdhsa_kernarg_size 64
		.amdhsa_user_sgpr_count 2
		.amdhsa_user_sgpr_dispatch_ptr 0
		.amdhsa_user_sgpr_queue_ptr 0
		.amdhsa_user_sgpr_kernarg_segment_ptr 1
		.amdhsa_user_sgpr_dispatch_id 0
		.amdhsa_user_sgpr_kernarg_preload_length 0
		.amdhsa_user_sgpr_kernarg_preload_offset 0
		.amdhsa_user_sgpr_private_segment_size 0
		.amdhsa_uses_dynamic_stack 0
		.amdhsa_enable_private_segment 0
		.amdhsa_system_sgpr_workgroup_id_x 1
		.amdhsa_system_sgpr_workgroup_id_y 0
		.amdhsa_system_sgpr_workgroup_id_z 0
		.amdhsa_system_sgpr_workgroup_info 0
		.amdhsa_system_vgpr_workitem_id 0
		.amdhsa_next_free_vgpr 1
		.amdhsa_next_free_sgpr 0
		.amdhsa_accum_offset 4
		.amdhsa_reserve_vcc 0
		.amdhsa_float_round_mode_32 0
		.amdhsa_float_round_mode_16_64 0
		.amdhsa_float_denorm_mode_32 3
		.amdhsa_float_denorm_mode_16_64 3
		.amdhsa_dx10_clamp 1
		.amdhsa_ieee_mode 1
		.amdhsa_fp16_overflow 0
		.amdhsa_tg_split 0
		.amdhsa_exception_fp_ieee_invalid_op 0
		.amdhsa_exception_fp_denorm_src 0
		.amdhsa_exception_fp_ieee_div_zero 0
		.amdhsa_exception_fp_ieee_overflow 0
		.amdhsa_exception_fp_ieee_underflow 0
		.amdhsa_exception_fp_ieee_inexact 0
		.amdhsa_exception_int_div_zero 0
	.end_amdhsa_kernel
	.section	.text._ZN7rocprim17ROCPRIM_400000_NS6detail17trampoline_kernelINS0_14default_configENS1_38merge_sort_block_merge_config_selectorIiiEEZZNS1_27merge_sort_block_merge_implIS3_N6thrust23THRUST_200600_302600_NS6detail15normal_iteratorINS8_10device_ptrIiEEEESD_jNS1_19radix_merge_compareILb0ELb0EiNS0_19identity_decomposerEEEEE10hipError_tT0_T1_T2_jT3_P12ihipStream_tbPNSt15iterator_traitsISI_E10value_typeEPNSO_ISJ_E10value_typeEPSK_NS1_7vsmem_tEENKUlT_SI_SJ_SK_E_clIPiSD_S10_SD_EESH_SX_SI_SJ_SK_EUlSX_E0_NS1_11comp_targetILNS1_3genE8ELNS1_11target_archE1030ELNS1_3gpuE2ELNS1_3repE0EEENS1_38merge_mergepath_config_static_selectorELNS0_4arch9wavefront6targetE1EEEvSJ_,"axG",@progbits,_ZN7rocprim17ROCPRIM_400000_NS6detail17trampoline_kernelINS0_14default_configENS1_38merge_sort_block_merge_config_selectorIiiEEZZNS1_27merge_sort_block_merge_implIS3_N6thrust23THRUST_200600_302600_NS6detail15normal_iteratorINS8_10device_ptrIiEEEESD_jNS1_19radix_merge_compareILb0ELb0EiNS0_19identity_decomposerEEEEE10hipError_tT0_T1_T2_jT3_P12ihipStream_tbPNSt15iterator_traitsISI_E10value_typeEPNSO_ISJ_E10value_typeEPSK_NS1_7vsmem_tEENKUlT_SI_SJ_SK_E_clIPiSD_S10_SD_EESH_SX_SI_SJ_SK_EUlSX_E0_NS1_11comp_targetILNS1_3genE8ELNS1_11target_archE1030ELNS1_3gpuE2ELNS1_3repE0EEENS1_38merge_mergepath_config_static_selectorELNS0_4arch9wavefront6targetE1EEEvSJ_,comdat
.Lfunc_end723:
	.size	_ZN7rocprim17ROCPRIM_400000_NS6detail17trampoline_kernelINS0_14default_configENS1_38merge_sort_block_merge_config_selectorIiiEEZZNS1_27merge_sort_block_merge_implIS3_N6thrust23THRUST_200600_302600_NS6detail15normal_iteratorINS8_10device_ptrIiEEEESD_jNS1_19radix_merge_compareILb0ELb0EiNS0_19identity_decomposerEEEEE10hipError_tT0_T1_T2_jT3_P12ihipStream_tbPNSt15iterator_traitsISI_E10value_typeEPNSO_ISJ_E10value_typeEPSK_NS1_7vsmem_tEENKUlT_SI_SJ_SK_E_clIPiSD_S10_SD_EESH_SX_SI_SJ_SK_EUlSX_E0_NS1_11comp_targetILNS1_3genE8ELNS1_11target_archE1030ELNS1_3gpuE2ELNS1_3repE0EEENS1_38merge_mergepath_config_static_selectorELNS0_4arch9wavefront6targetE1EEEvSJ_, .Lfunc_end723-_ZN7rocprim17ROCPRIM_400000_NS6detail17trampoline_kernelINS0_14default_configENS1_38merge_sort_block_merge_config_selectorIiiEEZZNS1_27merge_sort_block_merge_implIS3_N6thrust23THRUST_200600_302600_NS6detail15normal_iteratorINS8_10device_ptrIiEEEESD_jNS1_19radix_merge_compareILb0ELb0EiNS0_19identity_decomposerEEEEE10hipError_tT0_T1_T2_jT3_P12ihipStream_tbPNSt15iterator_traitsISI_E10value_typeEPNSO_ISJ_E10value_typeEPSK_NS1_7vsmem_tEENKUlT_SI_SJ_SK_E_clIPiSD_S10_SD_EESH_SX_SI_SJ_SK_EUlSX_E0_NS1_11comp_targetILNS1_3genE8ELNS1_11target_archE1030ELNS1_3gpuE2ELNS1_3repE0EEENS1_38merge_mergepath_config_static_selectorELNS0_4arch9wavefront6targetE1EEEvSJ_
                                        ; -- End function
	.set _ZN7rocprim17ROCPRIM_400000_NS6detail17trampoline_kernelINS0_14default_configENS1_38merge_sort_block_merge_config_selectorIiiEEZZNS1_27merge_sort_block_merge_implIS3_N6thrust23THRUST_200600_302600_NS6detail15normal_iteratorINS8_10device_ptrIiEEEESD_jNS1_19radix_merge_compareILb0ELb0EiNS0_19identity_decomposerEEEEE10hipError_tT0_T1_T2_jT3_P12ihipStream_tbPNSt15iterator_traitsISI_E10value_typeEPNSO_ISJ_E10value_typeEPSK_NS1_7vsmem_tEENKUlT_SI_SJ_SK_E_clIPiSD_S10_SD_EESH_SX_SI_SJ_SK_EUlSX_E0_NS1_11comp_targetILNS1_3genE8ELNS1_11target_archE1030ELNS1_3gpuE2ELNS1_3repE0EEENS1_38merge_mergepath_config_static_selectorELNS0_4arch9wavefront6targetE1EEEvSJ_.num_vgpr, 0
	.set _ZN7rocprim17ROCPRIM_400000_NS6detail17trampoline_kernelINS0_14default_configENS1_38merge_sort_block_merge_config_selectorIiiEEZZNS1_27merge_sort_block_merge_implIS3_N6thrust23THRUST_200600_302600_NS6detail15normal_iteratorINS8_10device_ptrIiEEEESD_jNS1_19radix_merge_compareILb0ELb0EiNS0_19identity_decomposerEEEEE10hipError_tT0_T1_T2_jT3_P12ihipStream_tbPNSt15iterator_traitsISI_E10value_typeEPNSO_ISJ_E10value_typeEPSK_NS1_7vsmem_tEENKUlT_SI_SJ_SK_E_clIPiSD_S10_SD_EESH_SX_SI_SJ_SK_EUlSX_E0_NS1_11comp_targetILNS1_3genE8ELNS1_11target_archE1030ELNS1_3gpuE2ELNS1_3repE0EEENS1_38merge_mergepath_config_static_selectorELNS0_4arch9wavefront6targetE1EEEvSJ_.num_agpr, 0
	.set _ZN7rocprim17ROCPRIM_400000_NS6detail17trampoline_kernelINS0_14default_configENS1_38merge_sort_block_merge_config_selectorIiiEEZZNS1_27merge_sort_block_merge_implIS3_N6thrust23THRUST_200600_302600_NS6detail15normal_iteratorINS8_10device_ptrIiEEEESD_jNS1_19radix_merge_compareILb0ELb0EiNS0_19identity_decomposerEEEEE10hipError_tT0_T1_T2_jT3_P12ihipStream_tbPNSt15iterator_traitsISI_E10value_typeEPNSO_ISJ_E10value_typeEPSK_NS1_7vsmem_tEENKUlT_SI_SJ_SK_E_clIPiSD_S10_SD_EESH_SX_SI_SJ_SK_EUlSX_E0_NS1_11comp_targetILNS1_3genE8ELNS1_11target_archE1030ELNS1_3gpuE2ELNS1_3repE0EEENS1_38merge_mergepath_config_static_selectorELNS0_4arch9wavefront6targetE1EEEvSJ_.numbered_sgpr, 0
	.set _ZN7rocprim17ROCPRIM_400000_NS6detail17trampoline_kernelINS0_14default_configENS1_38merge_sort_block_merge_config_selectorIiiEEZZNS1_27merge_sort_block_merge_implIS3_N6thrust23THRUST_200600_302600_NS6detail15normal_iteratorINS8_10device_ptrIiEEEESD_jNS1_19radix_merge_compareILb0ELb0EiNS0_19identity_decomposerEEEEE10hipError_tT0_T1_T2_jT3_P12ihipStream_tbPNSt15iterator_traitsISI_E10value_typeEPNSO_ISJ_E10value_typeEPSK_NS1_7vsmem_tEENKUlT_SI_SJ_SK_E_clIPiSD_S10_SD_EESH_SX_SI_SJ_SK_EUlSX_E0_NS1_11comp_targetILNS1_3genE8ELNS1_11target_archE1030ELNS1_3gpuE2ELNS1_3repE0EEENS1_38merge_mergepath_config_static_selectorELNS0_4arch9wavefront6targetE1EEEvSJ_.num_named_barrier, 0
	.set _ZN7rocprim17ROCPRIM_400000_NS6detail17trampoline_kernelINS0_14default_configENS1_38merge_sort_block_merge_config_selectorIiiEEZZNS1_27merge_sort_block_merge_implIS3_N6thrust23THRUST_200600_302600_NS6detail15normal_iteratorINS8_10device_ptrIiEEEESD_jNS1_19radix_merge_compareILb0ELb0EiNS0_19identity_decomposerEEEEE10hipError_tT0_T1_T2_jT3_P12ihipStream_tbPNSt15iterator_traitsISI_E10value_typeEPNSO_ISJ_E10value_typeEPSK_NS1_7vsmem_tEENKUlT_SI_SJ_SK_E_clIPiSD_S10_SD_EESH_SX_SI_SJ_SK_EUlSX_E0_NS1_11comp_targetILNS1_3genE8ELNS1_11target_archE1030ELNS1_3gpuE2ELNS1_3repE0EEENS1_38merge_mergepath_config_static_selectorELNS0_4arch9wavefront6targetE1EEEvSJ_.private_seg_size, 0
	.set _ZN7rocprim17ROCPRIM_400000_NS6detail17trampoline_kernelINS0_14default_configENS1_38merge_sort_block_merge_config_selectorIiiEEZZNS1_27merge_sort_block_merge_implIS3_N6thrust23THRUST_200600_302600_NS6detail15normal_iteratorINS8_10device_ptrIiEEEESD_jNS1_19radix_merge_compareILb0ELb0EiNS0_19identity_decomposerEEEEE10hipError_tT0_T1_T2_jT3_P12ihipStream_tbPNSt15iterator_traitsISI_E10value_typeEPNSO_ISJ_E10value_typeEPSK_NS1_7vsmem_tEENKUlT_SI_SJ_SK_E_clIPiSD_S10_SD_EESH_SX_SI_SJ_SK_EUlSX_E0_NS1_11comp_targetILNS1_3genE8ELNS1_11target_archE1030ELNS1_3gpuE2ELNS1_3repE0EEENS1_38merge_mergepath_config_static_selectorELNS0_4arch9wavefront6targetE1EEEvSJ_.uses_vcc, 0
	.set _ZN7rocprim17ROCPRIM_400000_NS6detail17trampoline_kernelINS0_14default_configENS1_38merge_sort_block_merge_config_selectorIiiEEZZNS1_27merge_sort_block_merge_implIS3_N6thrust23THRUST_200600_302600_NS6detail15normal_iteratorINS8_10device_ptrIiEEEESD_jNS1_19radix_merge_compareILb0ELb0EiNS0_19identity_decomposerEEEEE10hipError_tT0_T1_T2_jT3_P12ihipStream_tbPNSt15iterator_traitsISI_E10value_typeEPNSO_ISJ_E10value_typeEPSK_NS1_7vsmem_tEENKUlT_SI_SJ_SK_E_clIPiSD_S10_SD_EESH_SX_SI_SJ_SK_EUlSX_E0_NS1_11comp_targetILNS1_3genE8ELNS1_11target_archE1030ELNS1_3gpuE2ELNS1_3repE0EEENS1_38merge_mergepath_config_static_selectorELNS0_4arch9wavefront6targetE1EEEvSJ_.uses_flat_scratch, 0
	.set _ZN7rocprim17ROCPRIM_400000_NS6detail17trampoline_kernelINS0_14default_configENS1_38merge_sort_block_merge_config_selectorIiiEEZZNS1_27merge_sort_block_merge_implIS3_N6thrust23THRUST_200600_302600_NS6detail15normal_iteratorINS8_10device_ptrIiEEEESD_jNS1_19radix_merge_compareILb0ELb0EiNS0_19identity_decomposerEEEEE10hipError_tT0_T1_T2_jT3_P12ihipStream_tbPNSt15iterator_traitsISI_E10value_typeEPNSO_ISJ_E10value_typeEPSK_NS1_7vsmem_tEENKUlT_SI_SJ_SK_E_clIPiSD_S10_SD_EESH_SX_SI_SJ_SK_EUlSX_E0_NS1_11comp_targetILNS1_3genE8ELNS1_11target_archE1030ELNS1_3gpuE2ELNS1_3repE0EEENS1_38merge_mergepath_config_static_selectorELNS0_4arch9wavefront6targetE1EEEvSJ_.has_dyn_sized_stack, 0
	.set _ZN7rocprim17ROCPRIM_400000_NS6detail17trampoline_kernelINS0_14default_configENS1_38merge_sort_block_merge_config_selectorIiiEEZZNS1_27merge_sort_block_merge_implIS3_N6thrust23THRUST_200600_302600_NS6detail15normal_iteratorINS8_10device_ptrIiEEEESD_jNS1_19radix_merge_compareILb0ELb0EiNS0_19identity_decomposerEEEEE10hipError_tT0_T1_T2_jT3_P12ihipStream_tbPNSt15iterator_traitsISI_E10value_typeEPNSO_ISJ_E10value_typeEPSK_NS1_7vsmem_tEENKUlT_SI_SJ_SK_E_clIPiSD_S10_SD_EESH_SX_SI_SJ_SK_EUlSX_E0_NS1_11comp_targetILNS1_3genE8ELNS1_11target_archE1030ELNS1_3gpuE2ELNS1_3repE0EEENS1_38merge_mergepath_config_static_selectorELNS0_4arch9wavefront6targetE1EEEvSJ_.has_recursion, 0
	.set _ZN7rocprim17ROCPRIM_400000_NS6detail17trampoline_kernelINS0_14default_configENS1_38merge_sort_block_merge_config_selectorIiiEEZZNS1_27merge_sort_block_merge_implIS3_N6thrust23THRUST_200600_302600_NS6detail15normal_iteratorINS8_10device_ptrIiEEEESD_jNS1_19radix_merge_compareILb0ELb0EiNS0_19identity_decomposerEEEEE10hipError_tT0_T1_T2_jT3_P12ihipStream_tbPNSt15iterator_traitsISI_E10value_typeEPNSO_ISJ_E10value_typeEPSK_NS1_7vsmem_tEENKUlT_SI_SJ_SK_E_clIPiSD_S10_SD_EESH_SX_SI_SJ_SK_EUlSX_E0_NS1_11comp_targetILNS1_3genE8ELNS1_11target_archE1030ELNS1_3gpuE2ELNS1_3repE0EEENS1_38merge_mergepath_config_static_selectorELNS0_4arch9wavefront6targetE1EEEvSJ_.has_indirect_call, 0
	.section	.AMDGPU.csdata,"",@progbits
; Kernel info:
; codeLenInByte = 0
; TotalNumSgprs: 6
; NumVgprs: 0
; NumAgprs: 0
; TotalNumVgprs: 0
; ScratchSize: 0
; MemoryBound: 0
; FloatMode: 240
; IeeeMode: 1
; LDSByteSize: 0 bytes/workgroup (compile time only)
; SGPRBlocks: 0
; VGPRBlocks: 0
; NumSGPRsForWavesPerEU: 6
; NumVGPRsForWavesPerEU: 1
; AccumOffset: 4
; Occupancy: 8
; WaveLimiterHint : 0
; COMPUTE_PGM_RSRC2:SCRATCH_EN: 0
; COMPUTE_PGM_RSRC2:USER_SGPR: 2
; COMPUTE_PGM_RSRC2:TRAP_HANDLER: 0
; COMPUTE_PGM_RSRC2:TGID_X_EN: 1
; COMPUTE_PGM_RSRC2:TGID_Y_EN: 0
; COMPUTE_PGM_RSRC2:TGID_Z_EN: 0
; COMPUTE_PGM_RSRC2:TIDIG_COMP_CNT: 0
; COMPUTE_PGM_RSRC3_GFX90A:ACCUM_OFFSET: 0
; COMPUTE_PGM_RSRC3_GFX90A:TG_SPLIT: 0
	.section	.text._ZN7rocprim17ROCPRIM_400000_NS6detail17trampoline_kernelINS0_14default_configENS1_38merge_sort_block_merge_config_selectorIiiEEZZNS1_27merge_sort_block_merge_implIS3_N6thrust23THRUST_200600_302600_NS6detail15normal_iteratorINS8_10device_ptrIiEEEESD_jNS1_19radix_merge_compareILb0ELb0EiNS0_19identity_decomposerEEEEE10hipError_tT0_T1_T2_jT3_P12ihipStream_tbPNSt15iterator_traitsISI_E10value_typeEPNSO_ISJ_E10value_typeEPSK_NS1_7vsmem_tEENKUlT_SI_SJ_SK_E_clIPiSD_S10_SD_EESH_SX_SI_SJ_SK_EUlSX_E1_NS1_11comp_targetILNS1_3genE0ELNS1_11target_archE4294967295ELNS1_3gpuE0ELNS1_3repE0EEENS1_36merge_oddeven_config_static_selectorELNS0_4arch9wavefront6targetE1EEEvSJ_,"axG",@progbits,_ZN7rocprim17ROCPRIM_400000_NS6detail17trampoline_kernelINS0_14default_configENS1_38merge_sort_block_merge_config_selectorIiiEEZZNS1_27merge_sort_block_merge_implIS3_N6thrust23THRUST_200600_302600_NS6detail15normal_iteratorINS8_10device_ptrIiEEEESD_jNS1_19radix_merge_compareILb0ELb0EiNS0_19identity_decomposerEEEEE10hipError_tT0_T1_T2_jT3_P12ihipStream_tbPNSt15iterator_traitsISI_E10value_typeEPNSO_ISJ_E10value_typeEPSK_NS1_7vsmem_tEENKUlT_SI_SJ_SK_E_clIPiSD_S10_SD_EESH_SX_SI_SJ_SK_EUlSX_E1_NS1_11comp_targetILNS1_3genE0ELNS1_11target_archE4294967295ELNS1_3gpuE0ELNS1_3repE0EEENS1_36merge_oddeven_config_static_selectorELNS0_4arch9wavefront6targetE1EEEvSJ_,comdat
	.protected	_ZN7rocprim17ROCPRIM_400000_NS6detail17trampoline_kernelINS0_14default_configENS1_38merge_sort_block_merge_config_selectorIiiEEZZNS1_27merge_sort_block_merge_implIS3_N6thrust23THRUST_200600_302600_NS6detail15normal_iteratorINS8_10device_ptrIiEEEESD_jNS1_19radix_merge_compareILb0ELb0EiNS0_19identity_decomposerEEEEE10hipError_tT0_T1_T2_jT3_P12ihipStream_tbPNSt15iterator_traitsISI_E10value_typeEPNSO_ISJ_E10value_typeEPSK_NS1_7vsmem_tEENKUlT_SI_SJ_SK_E_clIPiSD_S10_SD_EESH_SX_SI_SJ_SK_EUlSX_E1_NS1_11comp_targetILNS1_3genE0ELNS1_11target_archE4294967295ELNS1_3gpuE0ELNS1_3repE0EEENS1_36merge_oddeven_config_static_selectorELNS0_4arch9wavefront6targetE1EEEvSJ_ ; -- Begin function _ZN7rocprim17ROCPRIM_400000_NS6detail17trampoline_kernelINS0_14default_configENS1_38merge_sort_block_merge_config_selectorIiiEEZZNS1_27merge_sort_block_merge_implIS3_N6thrust23THRUST_200600_302600_NS6detail15normal_iteratorINS8_10device_ptrIiEEEESD_jNS1_19radix_merge_compareILb0ELb0EiNS0_19identity_decomposerEEEEE10hipError_tT0_T1_T2_jT3_P12ihipStream_tbPNSt15iterator_traitsISI_E10value_typeEPNSO_ISJ_E10value_typeEPSK_NS1_7vsmem_tEENKUlT_SI_SJ_SK_E_clIPiSD_S10_SD_EESH_SX_SI_SJ_SK_EUlSX_E1_NS1_11comp_targetILNS1_3genE0ELNS1_11target_archE4294967295ELNS1_3gpuE0ELNS1_3repE0EEENS1_36merge_oddeven_config_static_selectorELNS0_4arch9wavefront6targetE1EEEvSJ_
	.globl	_ZN7rocprim17ROCPRIM_400000_NS6detail17trampoline_kernelINS0_14default_configENS1_38merge_sort_block_merge_config_selectorIiiEEZZNS1_27merge_sort_block_merge_implIS3_N6thrust23THRUST_200600_302600_NS6detail15normal_iteratorINS8_10device_ptrIiEEEESD_jNS1_19radix_merge_compareILb0ELb0EiNS0_19identity_decomposerEEEEE10hipError_tT0_T1_T2_jT3_P12ihipStream_tbPNSt15iterator_traitsISI_E10value_typeEPNSO_ISJ_E10value_typeEPSK_NS1_7vsmem_tEENKUlT_SI_SJ_SK_E_clIPiSD_S10_SD_EESH_SX_SI_SJ_SK_EUlSX_E1_NS1_11comp_targetILNS1_3genE0ELNS1_11target_archE4294967295ELNS1_3gpuE0ELNS1_3repE0EEENS1_36merge_oddeven_config_static_selectorELNS0_4arch9wavefront6targetE1EEEvSJ_
	.p2align	8
	.type	_ZN7rocprim17ROCPRIM_400000_NS6detail17trampoline_kernelINS0_14default_configENS1_38merge_sort_block_merge_config_selectorIiiEEZZNS1_27merge_sort_block_merge_implIS3_N6thrust23THRUST_200600_302600_NS6detail15normal_iteratorINS8_10device_ptrIiEEEESD_jNS1_19radix_merge_compareILb0ELb0EiNS0_19identity_decomposerEEEEE10hipError_tT0_T1_T2_jT3_P12ihipStream_tbPNSt15iterator_traitsISI_E10value_typeEPNSO_ISJ_E10value_typeEPSK_NS1_7vsmem_tEENKUlT_SI_SJ_SK_E_clIPiSD_S10_SD_EESH_SX_SI_SJ_SK_EUlSX_E1_NS1_11comp_targetILNS1_3genE0ELNS1_11target_archE4294967295ELNS1_3gpuE0ELNS1_3repE0EEENS1_36merge_oddeven_config_static_selectorELNS0_4arch9wavefront6targetE1EEEvSJ_,@function
_ZN7rocprim17ROCPRIM_400000_NS6detail17trampoline_kernelINS0_14default_configENS1_38merge_sort_block_merge_config_selectorIiiEEZZNS1_27merge_sort_block_merge_implIS3_N6thrust23THRUST_200600_302600_NS6detail15normal_iteratorINS8_10device_ptrIiEEEESD_jNS1_19radix_merge_compareILb0ELb0EiNS0_19identity_decomposerEEEEE10hipError_tT0_T1_T2_jT3_P12ihipStream_tbPNSt15iterator_traitsISI_E10value_typeEPNSO_ISJ_E10value_typeEPSK_NS1_7vsmem_tEENKUlT_SI_SJ_SK_E_clIPiSD_S10_SD_EESH_SX_SI_SJ_SK_EUlSX_E1_NS1_11comp_targetILNS1_3genE0ELNS1_11target_archE4294967295ELNS1_3gpuE0ELNS1_3repE0EEENS1_36merge_oddeven_config_static_selectorELNS0_4arch9wavefront6targetE1EEEvSJ_: ; @_ZN7rocprim17ROCPRIM_400000_NS6detail17trampoline_kernelINS0_14default_configENS1_38merge_sort_block_merge_config_selectorIiiEEZZNS1_27merge_sort_block_merge_implIS3_N6thrust23THRUST_200600_302600_NS6detail15normal_iteratorINS8_10device_ptrIiEEEESD_jNS1_19radix_merge_compareILb0ELb0EiNS0_19identity_decomposerEEEEE10hipError_tT0_T1_T2_jT3_P12ihipStream_tbPNSt15iterator_traitsISI_E10value_typeEPNSO_ISJ_E10value_typeEPSK_NS1_7vsmem_tEENKUlT_SI_SJ_SK_E_clIPiSD_S10_SD_EESH_SX_SI_SJ_SK_EUlSX_E1_NS1_11comp_targetILNS1_3genE0ELNS1_11target_archE4294967295ELNS1_3gpuE0ELNS1_3repE0EEENS1_36merge_oddeven_config_static_selectorELNS0_4arch9wavefront6targetE1EEEvSJ_
; %bb.0:
	s_load_dword s18, s[0:1], 0x20
	s_waitcnt lgkmcnt(0)
	s_lshr_b32 s3, s18, 8
	s_cmp_eq_u32 s2, s3
	s_cselect_b64 s[6:7], -1, 0
	s_cmp_lg_u32 s2, s3
	s_cselect_b64 s[8:9], -1, 0
	s_lshl_b32 s16, s2, 8
	s_sub_i32 s3, s18, s16
	v_cmp_gt_u32_e64 s[4:5], s3, v0
	s_or_b64 s[8:9], s[8:9], s[4:5]
	s_and_saveexec_b64 s[10:11], s[8:9]
	s_cbranch_execz .LBB724_24
; %bb.1:
	s_load_dwordx8 s[8:15], s[0:1], 0x0
	s_mov_b32 s17, 0
	s_lshl_b64 s[20:21], s[16:17], 2
	v_lshlrev_b32_e32 v1, 2, v0
	s_load_dword s17, s[0:1], 0x24
	s_waitcnt lgkmcnt(0)
	s_add_u32 s22, s8, s20
	s_addc_u32 s23, s9, s21
	s_add_u32 s12, s12, s20
	s_addc_u32 s13, s13, s21
	global_load_dword v2, v1, s[12:13]
	global_load_dword v3, v1, s[22:23]
	s_lshr_b32 s0, s17, 8
	s_sub_i32 s1, 0, s0
	s_and_b32 s1, s2, s1
	s_and_b32 s0, s1, s0
	s_lshl_b32 s19, s1, 8
	s_sub_i32 s12, 0, s17
	s_cmp_eq_u32 s0, 0
	s_cselect_b64 s[0:1], -1, 0
	s_and_b64 s[2:3], s[0:1], exec
	s_cselect_b32 s12, s17, s12
	s_add_i32 s12, s12, s19
	s_mov_b64 s[2:3], -1
	s_cmp_gt_u32 s18, s12
	v_add_u32_e32 v0, s16, v0
	s_cbranch_scc1 .LBB724_9
; %bb.2:
	s_and_b64 vcc, exec, s[6:7]
	s_cbranch_vccz .LBB724_6
; %bb.3:
	v_cmp_gt_u32_e32 vcc, s18, v0
	s_and_saveexec_b64 s[2:3], vcc
	s_cbranch_execz .LBB724_5
; %bb.4:
	v_mov_b32_e32 v1, 0
	v_lshlrev_b64 v[4:5], 2, v[0:1]
	v_lshl_add_u64 v[6:7], s[10:11], 0, v[4:5]
	v_lshl_add_u64 v[4:5], s[14:15], 0, v[4:5]
	s_waitcnt vmcnt(0)
	global_store_dword v[6:7], v3, off
	global_store_dword v[4:5], v2, off
.LBB724_5:
	s_or_b64 exec, exec, s[2:3]
	s_mov_b64 s[2:3], 0
.LBB724_6:
	s_andn2_b64 vcc, exec, s[2:3]
	s_cbranch_vccnz .LBB724_8
; %bb.7:
	v_mov_b32_e32 v1, 0
	v_lshlrev_b64 v[4:5], 2, v[0:1]
	v_lshl_add_u64 v[6:7], s[10:11], 0, v[4:5]
	v_lshl_add_u64 v[4:5], s[14:15], 0, v[4:5]
	s_waitcnt vmcnt(0)
	global_store_dword v[6:7], v3, off
	global_store_dword v[4:5], v2, off
.LBB724_8:
	s_mov_b64 s[2:3], 0
.LBB724_9:
	s_andn2_b64 vcc, exec, s[2:3]
	s_cbranch_vccnz .LBB724_24
; %bb.10:
	s_min_u32 s13, s12, s18
	s_add_i32 s2, s13, s17
	s_min_u32 s16, s2, s18
	s_min_u32 s2, s19, s13
	s_add_i32 s19, s19, s13
	v_subrev_u32_e32 v0, s19, v0
	v_add_u32_e32 v4, s2, v0
	s_andn2_b64 vcc, exec, s[6:7]
	s_mov_b64 s[2:3], -1
	s_cbranch_vccnz .LBB724_18
; %bb.11:
	s_and_saveexec_b64 s[2:3], s[4:5]
	s_cbranch_execz .LBB724_17
; %bb.12:
	s_cmp_ge_u32 s12, s16
	v_mov_b32_e32 v5, s13
	s_cbranch_scc1 .LBB724_16
; %bb.13:
	s_mov_b64 s[4:5], 0
	v_mov_b32_e32 v6, s16
	v_mov_b32_e32 v5, s13
	;; [unrolled: 1-line block ×3, first 2 shown]
.LBB724_14:                             ; =>This Inner Loop Header: Depth=1
	v_add_u32_e32 v0, v5, v6
	v_lshrrev_b32_e32 v0, 1, v0
	v_lshl_add_u64 v[8:9], v[0:1], 2, s[8:9]
	global_load_dword v7, v[8:9], off
	v_add_u32_e32 v8, 1, v0
	s_waitcnt vmcnt(0)
	v_cmp_gt_i32_e32 vcc, v3, v7
	s_nop 1
	v_cndmask_b32_e64 v9, 0, 1, vcc
	v_cmp_le_i32_e32 vcc, v7, v3
	s_nop 1
	v_cndmask_b32_e64 v7, 0, 1, vcc
	v_cndmask_b32_e64 v7, v7, v9, s[0:1]
	v_and_b32_e32 v7, 1, v7
	v_cmp_eq_u32_e32 vcc, 1, v7
	s_nop 1
	v_cndmask_b32_e32 v6, v0, v6, vcc
	v_cndmask_b32_e32 v5, v5, v8, vcc
	v_cmp_ge_u32_e32 vcc, v5, v6
	s_or_b64 s[4:5], vcc, s[4:5]
	s_andn2_b64 exec, exec, s[4:5]
	s_cbranch_execnz .LBB724_14
; %bb.15:
	s_or_b64 exec, exec, s[4:5]
.LBB724_16:
	v_add_u32_e32 v0, v5, v4
	v_mov_b32_e32 v1, 0
	v_lshlrev_b64 v[0:1], 2, v[0:1]
	v_lshl_add_u64 v[6:7], s[10:11], 0, v[0:1]
	v_lshl_add_u64 v[0:1], s[14:15], 0, v[0:1]
	s_waitcnt vmcnt(0)
	global_store_dword v[6:7], v3, off
	global_store_dword v[0:1], v2, off
.LBB724_17:
	s_or_b64 exec, exec, s[2:3]
	s_mov_b64 s[2:3], 0
.LBB724_18:
	s_andn2_b64 vcc, exec, s[2:3]
	s_cbranch_vccnz .LBB724_24
; %bb.19:
	s_cmp_ge_u32 s12, s16
	v_mov_b32_e32 v5, s13
	s_cbranch_scc1 .LBB724_23
; %bb.20:
	s_mov_b64 s[2:3], 0
	v_mov_b32_e32 v6, s16
	v_mov_b32_e32 v5, s13
	;; [unrolled: 1-line block ×3, first 2 shown]
.LBB724_21:                             ; =>This Inner Loop Header: Depth=1
	v_add_u32_e32 v0, v5, v6
	v_lshrrev_b32_e32 v0, 1, v0
	v_lshl_add_u64 v[8:9], v[0:1], 2, s[8:9]
	global_load_dword v7, v[8:9], off
	v_add_u32_e32 v8, 1, v0
	s_waitcnt vmcnt(0)
	v_cmp_gt_i32_e32 vcc, v3, v7
	s_nop 1
	v_cndmask_b32_e64 v9, 0, 1, vcc
	v_cmp_le_i32_e32 vcc, v7, v3
	s_nop 1
	v_cndmask_b32_e64 v7, 0, 1, vcc
	v_cndmask_b32_e64 v7, v7, v9, s[0:1]
	v_and_b32_e32 v7, 1, v7
	v_cmp_eq_u32_e32 vcc, 1, v7
	s_nop 1
	v_cndmask_b32_e32 v6, v0, v6, vcc
	v_cndmask_b32_e32 v5, v5, v8, vcc
	v_cmp_ge_u32_e32 vcc, v5, v6
	s_or_b64 s[2:3], vcc, s[2:3]
	s_andn2_b64 exec, exec, s[2:3]
	s_cbranch_execnz .LBB724_21
; %bb.22:
	s_or_b64 exec, exec, s[2:3]
.LBB724_23:
	v_add_u32_e32 v0, v5, v4
	v_mov_b32_e32 v1, 0
	v_lshlrev_b64 v[0:1], 2, v[0:1]
	v_lshl_add_u64 v[4:5], s[10:11], 0, v[0:1]
	v_lshl_add_u64 v[0:1], s[14:15], 0, v[0:1]
	s_waitcnt vmcnt(0)
	global_store_dword v[4:5], v3, off
	global_store_dword v[0:1], v2, off
.LBB724_24:
	s_endpgm
	.section	.rodata,"a",@progbits
	.p2align	6, 0x0
	.amdhsa_kernel _ZN7rocprim17ROCPRIM_400000_NS6detail17trampoline_kernelINS0_14default_configENS1_38merge_sort_block_merge_config_selectorIiiEEZZNS1_27merge_sort_block_merge_implIS3_N6thrust23THRUST_200600_302600_NS6detail15normal_iteratorINS8_10device_ptrIiEEEESD_jNS1_19radix_merge_compareILb0ELb0EiNS0_19identity_decomposerEEEEE10hipError_tT0_T1_T2_jT3_P12ihipStream_tbPNSt15iterator_traitsISI_E10value_typeEPNSO_ISJ_E10value_typeEPSK_NS1_7vsmem_tEENKUlT_SI_SJ_SK_E_clIPiSD_S10_SD_EESH_SX_SI_SJ_SK_EUlSX_E1_NS1_11comp_targetILNS1_3genE0ELNS1_11target_archE4294967295ELNS1_3gpuE0ELNS1_3repE0EEENS1_36merge_oddeven_config_static_selectorELNS0_4arch9wavefront6targetE1EEEvSJ_
		.amdhsa_group_segment_fixed_size 0
		.amdhsa_private_segment_fixed_size 0
		.amdhsa_kernarg_size 48
		.amdhsa_user_sgpr_count 2
		.amdhsa_user_sgpr_dispatch_ptr 0
		.amdhsa_user_sgpr_queue_ptr 0
		.amdhsa_user_sgpr_kernarg_segment_ptr 1
		.amdhsa_user_sgpr_dispatch_id 0
		.amdhsa_user_sgpr_kernarg_preload_length 0
		.amdhsa_user_sgpr_kernarg_preload_offset 0
		.amdhsa_user_sgpr_private_segment_size 0
		.amdhsa_uses_dynamic_stack 0
		.amdhsa_enable_private_segment 0
		.amdhsa_system_sgpr_workgroup_id_x 1
		.amdhsa_system_sgpr_workgroup_id_y 0
		.amdhsa_system_sgpr_workgroup_id_z 0
		.amdhsa_system_sgpr_workgroup_info 0
		.amdhsa_system_vgpr_workitem_id 0
		.amdhsa_next_free_vgpr 10
		.amdhsa_next_free_sgpr 24
		.amdhsa_accum_offset 12
		.amdhsa_reserve_vcc 1
		.amdhsa_float_round_mode_32 0
		.amdhsa_float_round_mode_16_64 0
		.amdhsa_float_denorm_mode_32 3
		.amdhsa_float_denorm_mode_16_64 3
		.amdhsa_dx10_clamp 1
		.amdhsa_ieee_mode 1
		.amdhsa_fp16_overflow 0
		.amdhsa_tg_split 0
		.amdhsa_exception_fp_ieee_invalid_op 0
		.amdhsa_exception_fp_denorm_src 0
		.amdhsa_exception_fp_ieee_div_zero 0
		.amdhsa_exception_fp_ieee_overflow 0
		.amdhsa_exception_fp_ieee_underflow 0
		.amdhsa_exception_fp_ieee_inexact 0
		.amdhsa_exception_int_div_zero 0
	.end_amdhsa_kernel
	.section	.text._ZN7rocprim17ROCPRIM_400000_NS6detail17trampoline_kernelINS0_14default_configENS1_38merge_sort_block_merge_config_selectorIiiEEZZNS1_27merge_sort_block_merge_implIS3_N6thrust23THRUST_200600_302600_NS6detail15normal_iteratorINS8_10device_ptrIiEEEESD_jNS1_19radix_merge_compareILb0ELb0EiNS0_19identity_decomposerEEEEE10hipError_tT0_T1_T2_jT3_P12ihipStream_tbPNSt15iterator_traitsISI_E10value_typeEPNSO_ISJ_E10value_typeEPSK_NS1_7vsmem_tEENKUlT_SI_SJ_SK_E_clIPiSD_S10_SD_EESH_SX_SI_SJ_SK_EUlSX_E1_NS1_11comp_targetILNS1_3genE0ELNS1_11target_archE4294967295ELNS1_3gpuE0ELNS1_3repE0EEENS1_36merge_oddeven_config_static_selectorELNS0_4arch9wavefront6targetE1EEEvSJ_,"axG",@progbits,_ZN7rocprim17ROCPRIM_400000_NS6detail17trampoline_kernelINS0_14default_configENS1_38merge_sort_block_merge_config_selectorIiiEEZZNS1_27merge_sort_block_merge_implIS3_N6thrust23THRUST_200600_302600_NS6detail15normal_iteratorINS8_10device_ptrIiEEEESD_jNS1_19radix_merge_compareILb0ELb0EiNS0_19identity_decomposerEEEEE10hipError_tT0_T1_T2_jT3_P12ihipStream_tbPNSt15iterator_traitsISI_E10value_typeEPNSO_ISJ_E10value_typeEPSK_NS1_7vsmem_tEENKUlT_SI_SJ_SK_E_clIPiSD_S10_SD_EESH_SX_SI_SJ_SK_EUlSX_E1_NS1_11comp_targetILNS1_3genE0ELNS1_11target_archE4294967295ELNS1_3gpuE0ELNS1_3repE0EEENS1_36merge_oddeven_config_static_selectorELNS0_4arch9wavefront6targetE1EEEvSJ_,comdat
.Lfunc_end724:
	.size	_ZN7rocprim17ROCPRIM_400000_NS6detail17trampoline_kernelINS0_14default_configENS1_38merge_sort_block_merge_config_selectorIiiEEZZNS1_27merge_sort_block_merge_implIS3_N6thrust23THRUST_200600_302600_NS6detail15normal_iteratorINS8_10device_ptrIiEEEESD_jNS1_19radix_merge_compareILb0ELb0EiNS0_19identity_decomposerEEEEE10hipError_tT0_T1_T2_jT3_P12ihipStream_tbPNSt15iterator_traitsISI_E10value_typeEPNSO_ISJ_E10value_typeEPSK_NS1_7vsmem_tEENKUlT_SI_SJ_SK_E_clIPiSD_S10_SD_EESH_SX_SI_SJ_SK_EUlSX_E1_NS1_11comp_targetILNS1_3genE0ELNS1_11target_archE4294967295ELNS1_3gpuE0ELNS1_3repE0EEENS1_36merge_oddeven_config_static_selectorELNS0_4arch9wavefront6targetE1EEEvSJ_, .Lfunc_end724-_ZN7rocprim17ROCPRIM_400000_NS6detail17trampoline_kernelINS0_14default_configENS1_38merge_sort_block_merge_config_selectorIiiEEZZNS1_27merge_sort_block_merge_implIS3_N6thrust23THRUST_200600_302600_NS6detail15normal_iteratorINS8_10device_ptrIiEEEESD_jNS1_19radix_merge_compareILb0ELb0EiNS0_19identity_decomposerEEEEE10hipError_tT0_T1_T2_jT3_P12ihipStream_tbPNSt15iterator_traitsISI_E10value_typeEPNSO_ISJ_E10value_typeEPSK_NS1_7vsmem_tEENKUlT_SI_SJ_SK_E_clIPiSD_S10_SD_EESH_SX_SI_SJ_SK_EUlSX_E1_NS1_11comp_targetILNS1_3genE0ELNS1_11target_archE4294967295ELNS1_3gpuE0ELNS1_3repE0EEENS1_36merge_oddeven_config_static_selectorELNS0_4arch9wavefront6targetE1EEEvSJ_
                                        ; -- End function
	.set _ZN7rocprim17ROCPRIM_400000_NS6detail17trampoline_kernelINS0_14default_configENS1_38merge_sort_block_merge_config_selectorIiiEEZZNS1_27merge_sort_block_merge_implIS3_N6thrust23THRUST_200600_302600_NS6detail15normal_iteratorINS8_10device_ptrIiEEEESD_jNS1_19radix_merge_compareILb0ELb0EiNS0_19identity_decomposerEEEEE10hipError_tT0_T1_T2_jT3_P12ihipStream_tbPNSt15iterator_traitsISI_E10value_typeEPNSO_ISJ_E10value_typeEPSK_NS1_7vsmem_tEENKUlT_SI_SJ_SK_E_clIPiSD_S10_SD_EESH_SX_SI_SJ_SK_EUlSX_E1_NS1_11comp_targetILNS1_3genE0ELNS1_11target_archE4294967295ELNS1_3gpuE0ELNS1_3repE0EEENS1_36merge_oddeven_config_static_selectorELNS0_4arch9wavefront6targetE1EEEvSJ_.num_vgpr, 10
	.set _ZN7rocprim17ROCPRIM_400000_NS6detail17trampoline_kernelINS0_14default_configENS1_38merge_sort_block_merge_config_selectorIiiEEZZNS1_27merge_sort_block_merge_implIS3_N6thrust23THRUST_200600_302600_NS6detail15normal_iteratorINS8_10device_ptrIiEEEESD_jNS1_19radix_merge_compareILb0ELb0EiNS0_19identity_decomposerEEEEE10hipError_tT0_T1_T2_jT3_P12ihipStream_tbPNSt15iterator_traitsISI_E10value_typeEPNSO_ISJ_E10value_typeEPSK_NS1_7vsmem_tEENKUlT_SI_SJ_SK_E_clIPiSD_S10_SD_EESH_SX_SI_SJ_SK_EUlSX_E1_NS1_11comp_targetILNS1_3genE0ELNS1_11target_archE4294967295ELNS1_3gpuE0ELNS1_3repE0EEENS1_36merge_oddeven_config_static_selectorELNS0_4arch9wavefront6targetE1EEEvSJ_.num_agpr, 0
	.set _ZN7rocprim17ROCPRIM_400000_NS6detail17trampoline_kernelINS0_14default_configENS1_38merge_sort_block_merge_config_selectorIiiEEZZNS1_27merge_sort_block_merge_implIS3_N6thrust23THRUST_200600_302600_NS6detail15normal_iteratorINS8_10device_ptrIiEEEESD_jNS1_19radix_merge_compareILb0ELb0EiNS0_19identity_decomposerEEEEE10hipError_tT0_T1_T2_jT3_P12ihipStream_tbPNSt15iterator_traitsISI_E10value_typeEPNSO_ISJ_E10value_typeEPSK_NS1_7vsmem_tEENKUlT_SI_SJ_SK_E_clIPiSD_S10_SD_EESH_SX_SI_SJ_SK_EUlSX_E1_NS1_11comp_targetILNS1_3genE0ELNS1_11target_archE4294967295ELNS1_3gpuE0ELNS1_3repE0EEENS1_36merge_oddeven_config_static_selectorELNS0_4arch9wavefront6targetE1EEEvSJ_.numbered_sgpr, 24
	.set _ZN7rocprim17ROCPRIM_400000_NS6detail17trampoline_kernelINS0_14default_configENS1_38merge_sort_block_merge_config_selectorIiiEEZZNS1_27merge_sort_block_merge_implIS3_N6thrust23THRUST_200600_302600_NS6detail15normal_iteratorINS8_10device_ptrIiEEEESD_jNS1_19radix_merge_compareILb0ELb0EiNS0_19identity_decomposerEEEEE10hipError_tT0_T1_T2_jT3_P12ihipStream_tbPNSt15iterator_traitsISI_E10value_typeEPNSO_ISJ_E10value_typeEPSK_NS1_7vsmem_tEENKUlT_SI_SJ_SK_E_clIPiSD_S10_SD_EESH_SX_SI_SJ_SK_EUlSX_E1_NS1_11comp_targetILNS1_3genE0ELNS1_11target_archE4294967295ELNS1_3gpuE0ELNS1_3repE0EEENS1_36merge_oddeven_config_static_selectorELNS0_4arch9wavefront6targetE1EEEvSJ_.num_named_barrier, 0
	.set _ZN7rocprim17ROCPRIM_400000_NS6detail17trampoline_kernelINS0_14default_configENS1_38merge_sort_block_merge_config_selectorIiiEEZZNS1_27merge_sort_block_merge_implIS3_N6thrust23THRUST_200600_302600_NS6detail15normal_iteratorINS8_10device_ptrIiEEEESD_jNS1_19radix_merge_compareILb0ELb0EiNS0_19identity_decomposerEEEEE10hipError_tT0_T1_T2_jT3_P12ihipStream_tbPNSt15iterator_traitsISI_E10value_typeEPNSO_ISJ_E10value_typeEPSK_NS1_7vsmem_tEENKUlT_SI_SJ_SK_E_clIPiSD_S10_SD_EESH_SX_SI_SJ_SK_EUlSX_E1_NS1_11comp_targetILNS1_3genE0ELNS1_11target_archE4294967295ELNS1_3gpuE0ELNS1_3repE0EEENS1_36merge_oddeven_config_static_selectorELNS0_4arch9wavefront6targetE1EEEvSJ_.private_seg_size, 0
	.set _ZN7rocprim17ROCPRIM_400000_NS6detail17trampoline_kernelINS0_14default_configENS1_38merge_sort_block_merge_config_selectorIiiEEZZNS1_27merge_sort_block_merge_implIS3_N6thrust23THRUST_200600_302600_NS6detail15normal_iteratorINS8_10device_ptrIiEEEESD_jNS1_19radix_merge_compareILb0ELb0EiNS0_19identity_decomposerEEEEE10hipError_tT0_T1_T2_jT3_P12ihipStream_tbPNSt15iterator_traitsISI_E10value_typeEPNSO_ISJ_E10value_typeEPSK_NS1_7vsmem_tEENKUlT_SI_SJ_SK_E_clIPiSD_S10_SD_EESH_SX_SI_SJ_SK_EUlSX_E1_NS1_11comp_targetILNS1_3genE0ELNS1_11target_archE4294967295ELNS1_3gpuE0ELNS1_3repE0EEENS1_36merge_oddeven_config_static_selectorELNS0_4arch9wavefront6targetE1EEEvSJ_.uses_vcc, 1
	.set _ZN7rocprim17ROCPRIM_400000_NS6detail17trampoline_kernelINS0_14default_configENS1_38merge_sort_block_merge_config_selectorIiiEEZZNS1_27merge_sort_block_merge_implIS3_N6thrust23THRUST_200600_302600_NS6detail15normal_iteratorINS8_10device_ptrIiEEEESD_jNS1_19radix_merge_compareILb0ELb0EiNS0_19identity_decomposerEEEEE10hipError_tT0_T1_T2_jT3_P12ihipStream_tbPNSt15iterator_traitsISI_E10value_typeEPNSO_ISJ_E10value_typeEPSK_NS1_7vsmem_tEENKUlT_SI_SJ_SK_E_clIPiSD_S10_SD_EESH_SX_SI_SJ_SK_EUlSX_E1_NS1_11comp_targetILNS1_3genE0ELNS1_11target_archE4294967295ELNS1_3gpuE0ELNS1_3repE0EEENS1_36merge_oddeven_config_static_selectorELNS0_4arch9wavefront6targetE1EEEvSJ_.uses_flat_scratch, 0
	.set _ZN7rocprim17ROCPRIM_400000_NS6detail17trampoline_kernelINS0_14default_configENS1_38merge_sort_block_merge_config_selectorIiiEEZZNS1_27merge_sort_block_merge_implIS3_N6thrust23THRUST_200600_302600_NS6detail15normal_iteratorINS8_10device_ptrIiEEEESD_jNS1_19radix_merge_compareILb0ELb0EiNS0_19identity_decomposerEEEEE10hipError_tT0_T1_T2_jT3_P12ihipStream_tbPNSt15iterator_traitsISI_E10value_typeEPNSO_ISJ_E10value_typeEPSK_NS1_7vsmem_tEENKUlT_SI_SJ_SK_E_clIPiSD_S10_SD_EESH_SX_SI_SJ_SK_EUlSX_E1_NS1_11comp_targetILNS1_3genE0ELNS1_11target_archE4294967295ELNS1_3gpuE0ELNS1_3repE0EEENS1_36merge_oddeven_config_static_selectorELNS0_4arch9wavefront6targetE1EEEvSJ_.has_dyn_sized_stack, 0
	.set _ZN7rocprim17ROCPRIM_400000_NS6detail17trampoline_kernelINS0_14default_configENS1_38merge_sort_block_merge_config_selectorIiiEEZZNS1_27merge_sort_block_merge_implIS3_N6thrust23THRUST_200600_302600_NS6detail15normal_iteratorINS8_10device_ptrIiEEEESD_jNS1_19radix_merge_compareILb0ELb0EiNS0_19identity_decomposerEEEEE10hipError_tT0_T1_T2_jT3_P12ihipStream_tbPNSt15iterator_traitsISI_E10value_typeEPNSO_ISJ_E10value_typeEPSK_NS1_7vsmem_tEENKUlT_SI_SJ_SK_E_clIPiSD_S10_SD_EESH_SX_SI_SJ_SK_EUlSX_E1_NS1_11comp_targetILNS1_3genE0ELNS1_11target_archE4294967295ELNS1_3gpuE0ELNS1_3repE0EEENS1_36merge_oddeven_config_static_selectorELNS0_4arch9wavefront6targetE1EEEvSJ_.has_recursion, 0
	.set _ZN7rocprim17ROCPRIM_400000_NS6detail17trampoline_kernelINS0_14default_configENS1_38merge_sort_block_merge_config_selectorIiiEEZZNS1_27merge_sort_block_merge_implIS3_N6thrust23THRUST_200600_302600_NS6detail15normal_iteratorINS8_10device_ptrIiEEEESD_jNS1_19radix_merge_compareILb0ELb0EiNS0_19identity_decomposerEEEEE10hipError_tT0_T1_T2_jT3_P12ihipStream_tbPNSt15iterator_traitsISI_E10value_typeEPNSO_ISJ_E10value_typeEPSK_NS1_7vsmem_tEENKUlT_SI_SJ_SK_E_clIPiSD_S10_SD_EESH_SX_SI_SJ_SK_EUlSX_E1_NS1_11comp_targetILNS1_3genE0ELNS1_11target_archE4294967295ELNS1_3gpuE0ELNS1_3repE0EEENS1_36merge_oddeven_config_static_selectorELNS0_4arch9wavefront6targetE1EEEvSJ_.has_indirect_call, 0
	.section	.AMDGPU.csdata,"",@progbits
; Kernel info:
; codeLenInByte = 780
; TotalNumSgprs: 30
; NumVgprs: 10
; NumAgprs: 0
; TotalNumVgprs: 10
; ScratchSize: 0
; MemoryBound: 0
; FloatMode: 240
; IeeeMode: 1
; LDSByteSize: 0 bytes/workgroup (compile time only)
; SGPRBlocks: 3
; VGPRBlocks: 1
; NumSGPRsForWavesPerEU: 30
; NumVGPRsForWavesPerEU: 10
; AccumOffset: 12
; Occupancy: 8
; WaveLimiterHint : 0
; COMPUTE_PGM_RSRC2:SCRATCH_EN: 0
; COMPUTE_PGM_RSRC2:USER_SGPR: 2
; COMPUTE_PGM_RSRC2:TRAP_HANDLER: 0
; COMPUTE_PGM_RSRC2:TGID_X_EN: 1
; COMPUTE_PGM_RSRC2:TGID_Y_EN: 0
; COMPUTE_PGM_RSRC2:TGID_Z_EN: 0
; COMPUTE_PGM_RSRC2:TIDIG_COMP_CNT: 0
; COMPUTE_PGM_RSRC3_GFX90A:ACCUM_OFFSET: 2
; COMPUTE_PGM_RSRC3_GFX90A:TG_SPLIT: 0
	.section	.text._ZN7rocprim17ROCPRIM_400000_NS6detail17trampoline_kernelINS0_14default_configENS1_38merge_sort_block_merge_config_selectorIiiEEZZNS1_27merge_sort_block_merge_implIS3_N6thrust23THRUST_200600_302600_NS6detail15normal_iteratorINS8_10device_ptrIiEEEESD_jNS1_19radix_merge_compareILb0ELb0EiNS0_19identity_decomposerEEEEE10hipError_tT0_T1_T2_jT3_P12ihipStream_tbPNSt15iterator_traitsISI_E10value_typeEPNSO_ISJ_E10value_typeEPSK_NS1_7vsmem_tEENKUlT_SI_SJ_SK_E_clIPiSD_S10_SD_EESH_SX_SI_SJ_SK_EUlSX_E1_NS1_11comp_targetILNS1_3genE10ELNS1_11target_archE1201ELNS1_3gpuE5ELNS1_3repE0EEENS1_36merge_oddeven_config_static_selectorELNS0_4arch9wavefront6targetE1EEEvSJ_,"axG",@progbits,_ZN7rocprim17ROCPRIM_400000_NS6detail17trampoline_kernelINS0_14default_configENS1_38merge_sort_block_merge_config_selectorIiiEEZZNS1_27merge_sort_block_merge_implIS3_N6thrust23THRUST_200600_302600_NS6detail15normal_iteratorINS8_10device_ptrIiEEEESD_jNS1_19radix_merge_compareILb0ELb0EiNS0_19identity_decomposerEEEEE10hipError_tT0_T1_T2_jT3_P12ihipStream_tbPNSt15iterator_traitsISI_E10value_typeEPNSO_ISJ_E10value_typeEPSK_NS1_7vsmem_tEENKUlT_SI_SJ_SK_E_clIPiSD_S10_SD_EESH_SX_SI_SJ_SK_EUlSX_E1_NS1_11comp_targetILNS1_3genE10ELNS1_11target_archE1201ELNS1_3gpuE5ELNS1_3repE0EEENS1_36merge_oddeven_config_static_selectorELNS0_4arch9wavefront6targetE1EEEvSJ_,comdat
	.protected	_ZN7rocprim17ROCPRIM_400000_NS6detail17trampoline_kernelINS0_14default_configENS1_38merge_sort_block_merge_config_selectorIiiEEZZNS1_27merge_sort_block_merge_implIS3_N6thrust23THRUST_200600_302600_NS6detail15normal_iteratorINS8_10device_ptrIiEEEESD_jNS1_19radix_merge_compareILb0ELb0EiNS0_19identity_decomposerEEEEE10hipError_tT0_T1_T2_jT3_P12ihipStream_tbPNSt15iterator_traitsISI_E10value_typeEPNSO_ISJ_E10value_typeEPSK_NS1_7vsmem_tEENKUlT_SI_SJ_SK_E_clIPiSD_S10_SD_EESH_SX_SI_SJ_SK_EUlSX_E1_NS1_11comp_targetILNS1_3genE10ELNS1_11target_archE1201ELNS1_3gpuE5ELNS1_3repE0EEENS1_36merge_oddeven_config_static_selectorELNS0_4arch9wavefront6targetE1EEEvSJ_ ; -- Begin function _ZN7rocprim17ROCPRIM_400000_NS6detail17trampoline_kernelINS0_14default_configENS1_38merge_sort_block_merge_config_selectorIiiEEZZNS1_27merge_sort_block_merge_implIS3_N6thrust23THRUST_200600_302600_NS6detail15normal_iteratorINS8_10device_ptrIiEEEESD_jNS1_19radix_merge_compareILb0ELb0EiNS0_19identity_decomposerEEEEE10hipError_tT0_T1_T2_jT3_P12ihipStream_tbPNSt15iterator_traitsISI_E10value_typeEPNSO_ISJ_E10value_typeEPSK_NS1_7vsmem_tEENKUlT_SI_SJ_SK_E_clIPiSD_S10_SD_EESH_SX_SI_SJ_SK_EUlSX_E1_NS1_11comp_targetILNS1_3genE10ELNS1_11target_archE1201ELNS1_3gpuE5ELNS1_3repE0EEENS1_36merge_oddeven_config_static_selectorELNS0_4arch9wavefront6targetE1EEEvSJ_
	.globl	_ZN7rocprim17ROCPRIM_400000_NS6detail17trampoline_kernelINS0_14default_configENS1_38merge_sort_block_merge_config_selectorIiiEEZZNS1_27merge_sort_block_merge_implIS3_N6thrust23THRUST_200600_302600_NS6detail15normal_iteratorINS8_10device_ptrIiEEEESD_jNS1_19radix_merge_compareILb0ELb0EiNS0_19identity_decomposerEEEEE10hipError_tT0_T1_T2_jT3_P12ihipStream_tbPNSt15iterator_traitsISI_E10value_typeEPNSO_ISJ_E10value_typeEPSK_NS1_7vsmem_tEENKUlT_SI_SJ_SK_E_clIPiSD_S10_SD_EESH_SX_SI_SJ_SK_EUlSX_E1_NS1_11comp_targetILNS1_3genE10ELNS1_11target_archE1201ELNS1_3gpuE5ELNS1_3repE0EEENS1_36merge_oddeven_config_static_selectorELNS0_4arch9wavefront6targetE1EEEvSJ_
	.p2align	8
	.type	_ZN7rocprim17ROCPRIM_400000_NS6detail17trampoline_kernelINS0_14default_configENS1_38merge_sort_block_merge_config_selectorIiiEEZZNS1_27merge_sort_block_merge_implIS3_N6thrust23THRUST_200600_302600_NS6detail15normal_iteratorINS8_10device_ptrIiEEEESD_jNS1_19radix_merge_compareILb0ELb0EiNS0_19identity_decomposerEEEEE10hipError_tT0_T1_T2_jT3_P12ihipStream_tbPNSt15iterator_traitsISI_E10value_typeEPNSO_ISJ_E10value_typeEPSK_NS1_7vsmem_tEENKUlT_SI_SJ_SK_E_clIPiSD_S10_SD_EESH_SX_SI_SJ_SK_EUlSX_E1_NS1_11comp_targetILNS1_3genE10ELNS1_11target_archE1201ELNS1_3gpuE5ELNS1_3repE0EEENS1_36merge_oddeven_config_static_selectorELNS0_4arch9wavefront6targetE1EEEvSJ_,@function
_ZN7rocprim17ROCPRIM_400000_NS6detail17trampoline_kernelINS0_14default_configENS1_38merge_sort_block_merge_config_selectorIiiEEZZNS1_27merge_sort_block_merge_implIS3_N6thrust23THRUST_200600_302600_NS6detail15normal_iteratorINS8_10device_ptrIiEEEESD_jNS1_19radix_merge_compareILb0ELb0EiNS0_19identity_decomposerEEEEE10hipError_tT0_T1_T2_jT3_P12ihipStream_tbPNSt15iterator_traitsISI_E10value_typeEPNSO_ISJ_E10value_typeEPSK_NS1_7vsmem_tEENKUlT_SI_SJ_SK_E_clIPiSD_S10_SD_EESH_SX_SI_SJ_SK_EUlSX_E1_NS1_11comp_targetILNS1_3genE10ELNS1_11target_archE1201ELNS1_3gpuE5ELNS1_3repE0EEENS1_36merge_oddeven_config_static_selectorELNS0_4arch9wavefront6targetE1EEEvSJ_: ; @_ZN7rocprim17ROCPRIM_400000_NS6detail17trampoline_kernelINS0_14default_configENS1_38merge_sort_block_merge_config_selectorIiiEEZZNS1_27merge_sort_block_merge_implIS3_N6thrust23THRUST_200600_302600_NS6detail15normal_iteratorINS8_10device_ptrIiEEEESD_jNS1_19radix_merge_compareILb0ELb0EiNS0_19identity_decomposerEEEEE10hipError_tT0_T1_T2_jT3_P12ihipStream_tbPNSt15iterator_traitsISI_E10value_typeEPNSO_ISJ_E10value_typeEPSK_NS1_7vsmem_tEENKUlT_SI_SJ_SK_E_clIPiSD_S10_SD_EESH_SX_SI_SJ_SK_EUlSX_E1_NS1_11comp_targetILNS1_3genE10ELNS1_11target_archE1201ELNS1_3gpuE5ELNS1_3repE0EEENS1_36merge_oddeven_config_static_selectorELNS0_4arch9wavefront6targetE1EEEvSJ_
; %bb.0:
	.section	.rodata,"a",@progbits
	.p2align	6, 0x0
	.amdhsa_kernel _ZN7rocprim17ROCPRIM_400000_NS6detail17trampoline_kernelINS0_14default_configENS1_38merge_sort_block_merge_config_selectorIiiEEZZNS1_27merge_sort_block_merge_implIS3_N6thrust23THRUST_200600_302600_NS6detail15normal_iteratorINS8_10device_ptrIiEEEESD_jNS1_19radix_merge_compareILb0ELb0EiNS0_19identity_decomposerEEEEE10hipError_tT0_T1_T2_jT3_P12ihipStream_tbPNSt15iterator_traitsISI_E10value_typeEPNSO_ISJ_E10value_typeEPSK_NS1_7vsmem_tEENKUlT_SI_SJ_SK_E_clIPiSD_S10_SD_EESH_SX_SI_SJ_SK_EUlSX_E1_NS1_11comp_targetILNS1_3genE10ELNS1_11target_archE1201ELNS1_3gpuE5ELNS1_3repE0EEENS1_36merge_oddeven_config_static_selectorELNS0_4arch9wavefront6targetE1EEEvSJ_
		.amdhsa_group_segment_fixed_size 0
		.amdhsa_private_segment_fixed_size 0
		.amdhsa_kernarg_size 48
		.amdhsa_user_sgpr_count 2
		.amdhsa_user_sgpr_dispatch_ptr 0
		.amdhsa_user_sgpr_queue_ptr 0
		.amdhsa_user_sgpr_kernarg_segment_ptr 1
		.amdhsa_user_sgpr_dispatch_id 0
		.amdhsa_user_sgpr_kernarg_preload_length 0
		.amdhsa_user_sgpr_kernarg_preload_offset 0
		.amdhsa_user_sgpr_private_segment_size 0
		.amdhsa_uses_dynamic_stack 0
		.amdhsa_enable_private_segment 0
		.amdhsa_system_sgpr_workgroup_id_x 1
		.amdhsa_system_sgpr_workgroup_id_y 0
		.amdhsa_system_sgpr_workgroup_id_z 0
		.amdhsa_system_sgpr_workgroup_info 0
		.amdhsa_system_vgpr_workitem_id 0
		.amdhsa_next_free_vgpr 1
		.amdhsa_next_free_sgpr 0
		.amdhsa_accum_offset 4
		.amdhsa_reserve_vcc 0
		.amdhsa_float_round_mode_32 0
		.amdhsa_float_round_mode_16_64 0
		.amdhsa_float_denorm_mode_32 3
		.amdhsa_float_denorm_mode_16_64 3
		.amdhsa_dx10_clamp 1
		.amdhsa_ieee_mode 1
		.amdhsa_fp16_overflow 0
		.amdhsa_tg_split 0
		.amdhsa_exception_fp_ieee_invalid_op 0
		.amdhsa_exception_fp_denorm_src 0
		.amdhsa_exception_fp_ieee_div_zero 0
		.amdhsa_exception_fp_ieee_overflow 0
		.amdhsa_exception_fp_ieee_underflow 0
		.amdhsa_exception_fp_ieee_inexact 0
		.amdhsa_exception_int_div_zero 0
	.end_amdhsa_kernel
	.section	.text._ZN7rocprim17ROCPRIM_400000_NS6detail17trampoline_kernelINS0_14default_configENS1_38merge_sort_block_merge_config_selectorIiiEEZZNS1_27merge_sort_block_merge_implIS3_N6thrust23THRUST_200600_302600_NS6detail15normal_iteratorINS8_10device_ptrIiEEEESD_jNS1_19radix_merge_compareILb0ELb0EiNS0_19identity_decomposerEEEEE10hipError_tT0_T1_T2_jT3_P12ihipStream_tbPNSt15iterator_traitsISI_E10value_typeEPNSO_ISJ_E10value_typeEPSK_NS1_7vsmem_tEENKUlT_SI_SJ_SK_E_clIPiSD_S10_SD_EESH_SX_SI_SJ_SK_EUlSX_E1_NS1_11comp_targetILNS1_3genE10ELNS1_11target_archE1201ELNS1_3gpuE5ELNS1_3repE0EEENS1_36merge_oddeven_config_static_selectorELNS0_4arch9wavefront6targetE1EEEvSJ_,"axG",@progbits,_ZN7rocprim17ROCPRIM_400000_NS6detail17trampoline_kernelINS0_14default_configENS1_38merge_sort_block_merge_config_selectorIiiEEZZNS1_27merge_sort_block_merge_implIS3_N6thrust23THRUST_200600_302600_NS6detail15normal_iteratorINS8_10device_ptrIiEEEESD_jNS1_19radix_merge_compareILb0ELb0EiNS0_19identity_decomposerEEEEE10hipError_tT0_T1_T2_jT3_P12ihipStream_tbPNSt15iterator_traitsISI_E10value_typeEPNSO_ISJ_E10value_typeEPSK_NS1_7vsmem_tEENKUlT_SI_SJ_SK_E_clIPiSD_S10_SD_EESH_SX_SI_SJ_SK_EUlSX_E1_NS1_11comp_targetILNS1_3genE10ELNS1_11target_archE1201ELNS1_3gpuE5ELNS1_3repE0EEENS1_36merge_oddeven_config_static_selectorELNS0_4arch9wavefront6targetE1EEEvSJ_,comdat
.Lfunc_end725:
	.size	_ZN7rocprim17ROCPRIM_400000_NS6detail17trampoline_kernelINS0_14default_configENS1_38merge_sort_block_merge_config_selectorIiiEEZZNS1_27merge_sort_block_merge_implIS3_N6thrust23THRUST_200600_302600_NS6detail15normal_iteratorINS8_10device_ptrIiEEEESD_jNS1_19radix_merge_compareILb0ELb0EiNS0_19identity_decomposerEEEEE10hipError_tT0_T1_T2_jT3_P12ihipStream_tbPNSt15iterator_traitsISI_E10value_typeEPNSO_ISJ_E10value_typeEPSK_NS1_7vsmem_tEENKUlT_SI_SJ_SK_E_clIPiSD_S10_SD_EESH_SX_SI_SJ_SK_EUlSX_E1_NS1_11comp_targetILNS1_3genE10ELNS1_11target_archE1201ELNS1_3gpuE5ELNS1_3repE0EEENS1_36merge_oddeven_config_static_selectorELNS0_4arch9wavefront6targetE1EEEvSJ_, .Lfunc_end725-_ZN7rocprim17ROCPRIM_400000_NS6detail17trampoline_kernelINS0_14default_configENS1_38merge_sort_block_merge_config_selectorIiiEEZZNS1_27merge_sort_block_merge_implIS3_N6thrust23THRUST_200600_302600_NS6detail15normal_iteratorINS8_10device_ptrIiEEEESD_jNS1_19radix_merge_compareILb0ELb0EiNS0_19identity_decomposerEEEEE10hipError_tT0_T1_T2_jT3_P12ihipStream_tbPNSt15iterator_traitsISI_E10value_typeEPNSO_ISJ_E10value_typeEPSK_NS1_7vsmem_tEENKUlT_SI_SJ_SK_E_clIPiSD_S10_SD_EESH_SX_SI_SJ_SK_EUlSX_E1_NS1_11comp_targetILNS1_3genE10ELNS1_11target_archE1201ELNS1_3gpuE5ELNS1_3repE0EEENS1_36merge_oddeven_config_static_selectorELNS0_4arch9wavefront6targetE1EEEvSJ_
                                        ; -- End function
	.set _ZN7rocprim17ROCPRIM_400000_NS6detail17trampoline_kernelINS0_14default_configENS1_38merge_sort_block_merge_config_selectorIiiEEZZNS1_27merge_sort_block_merge_implIS3_N6thrust23THRUST_200600_302600_NS6detail15normal_iteratorINS8_10device_ptrIiEEEESD_jNS1_19radix_merge_compareILb0ELb0EiNS0_19identity_decomposerEEEEE10hipError_tT0_T1_T2_jT3_P12ihipStream_tbPNSt15iterator_traitsISI_E10value_typeEPNSO_ISJ_E10value_typeEPSK_NS1_7vsmem_tEENKUlT_SI_SJ_SK_E_clIPiSD_S10_SD_EESH_SX_SI_SJ_SK_EUlSX_E1_NS1_11comp_targetILNS1_3genE10ELNS1_11target_archE1201ELNS1_3gpuE5ELNS1_3repE0EEENS1_36merge_oddeven_config_static_selectorELNS0_4arch9wavefront6targetE1EEEvSJ_.num_vgpr, 0
	.set _ZN7rocprim17ROCPRIM_400000_NS6detail17trampoline_kernelINS0_14default_configENS1_38merge_sort_block_merge_config_selectorIiiEEZZNS1_27merge_sort_block_merge_implIS3_N6thrust23THRUST_200600_302600_NS6detail15normal_iteratorINS8_10device_ptrIiEEEESD_jNS1_19radix_merge_compareILb0ELb0EiNS0_19identity_decomposerEEEEE10hipError_tT0_T1_T2_jT3_P12ihipStream_tbPNSt15iterator_traitsISI_E10value_typeEPNSO_ISJ_E10value_typeEPSK_NS1_7vsmem_tEENKUlT_SI_SJ_SK_E_clIPiSD_S10_SD_EESH_SX_SI_SJ_SK_EUlSX_E1_NS1_11comp_targetILNS1_3genE10ELNS1_11target_archE1201ELNS1_3gpuE5ELNS1_3repE0EEENS1_36merge_oddeven_config_static_selectorELNS0_4arch9wavefront6targetE1EEEvSJ_.num_agpr, 0
	.set _ZN7rocprim17ROCPRIM_400000_NS6detail17trampoline_kernelINS0_14default_configENS1_38merge_sort_block_merge_config_selectorIiiEEZZNS1_27merge_sort_block_merge_implIS3_N6thrust23THRUST_200600_302600_NS6detail15normal_iteratorINS8_10device_ptrIiEEEESD_jNS1_19radix_merge_compareILb0ELb0EiNS0_19identity_decomposerEEEEE10hipError_tT0_T1_T2_jT3_P12ihipStream_tbPNSt15iterator_traitsISI_E10value_typeEPNSO_ISJ_E10value_typeEPSK_NS1_7vsmem_tEENKUlT_SI_SJ_SK_E_clIPiSD_S10_SD_EESH_SX_SI_SJ_SK_EUlSX_E1_NS1_11comp_targetILNS1_3genE10ELNS1_11target_archE1201ELNS1_3gpuE5ELNS1_3repE0EEENS1_36merge_oddeven_config_static_selectorELNS0_4arch9wavefront6targetE1EEEvSJ_.numbered_sgpr, 0
	.set _ZN7rocprim17ROCPRIM_400000_NS6detail17trampoline_kernelINS0_14default_configENS1_38merge_sort_block_merge_config_selectorIiiEEZZNS1_27merge_sort_block_merge_implIS3_N6thrust23THRUST_200600_302600_NS6detail15normal_iteratorINS8_10device_ptrIiEEEESD_jNS1_19radix_merge_compareILb0ELb0EiNS0_19identity_decomposerEEEEE10hipError_tT0_T1_T2_jT3_P12ihipStream_tbPNSt15iterator_traitsISI_E10value_typeEPNSO_ISJ_E10value_typeEPSK_NS1_7vsmem_tEENKUlT_SI_SJ_SK_E_clIPiSD_S10_SD_EESH_SX_SI_SJ_SK_EUlSX_E1_NS1_11comp_targetILNS1_3genE10ELNS1_11target_archE1201ELNS1_3gpuE5ELNS1_3repE0EEENS1_36merge_oddeven_config_static_selectorELNS0_4arch9wavefront6targetE1EEEvSJ_.num_named_barrier, 0
	.set _ZN7rocprim17ROCPRIM_400000_NS6detail17trampoline_kernelINS0_14default_configENS1_38merge_sort_block_merge_config_selectorIiiEEZZNS1_27merge_sort_block_merge_implIS3_N6thrust23THRUST_200600_302600_NS6detail15normal_iteratorINS8_10device_ptrIiEEEESD_jNS1_19radix_merge_compareILb0ELb0EiNS0_19identity_decomposerEEEEE10hipError_tT0_T1_T2_jT3_P12ihipStream_tbPNSt15iterator_traitsISI_E10value_typeEPNSO_ISJ_E10value_typeEPSK_NS1_7vsmem_tEENKUlT_SI_SJ_SK_E_clIPiSD_S10_SD_EESH_SX_SI_SJ_SK_EUlSX_E1_NS1_11comp_targetILNS1_3genE10ELNS1_11target_archE1201ELNS1_3gpuE5ELNS1_3repE0EEENS1_36merge_oddeven_config_static_selectorELNS0_4arch9wavefront6targetE1EEEvSJ_.private_seg_size, 0
	.set _ZN7rocprim17ROCPRIM_400000_NS6detail17trampoline_kernelINS0_14default_configENS1_38merge_sort_block_merge_config_selectorIiiEEZZNS1_27merge_sort_block_merge_implIS3_N6thrust23THRUST_200600_302600_NS6detail15normal_iteratorINS8_10device_ptrIiEEEESD_jNS1_19radix_merge_compareILb0ELb0EiNS0_19identity_decomposerEEEEE10hipError_tT0_T1_T2_jT3_P12ihipStream_tbPNSt15iterator_traitsISI_E10value_typeEPNSO_ISJ_E10value_typeEPSK_NS1_7vsmem_tEENKUlT_SI_SJ_SK_E_clIPiSD_S10_SD_EESH_SX_SI_SJ_SK_EUlSX_E1_NS1_11comp_targetILNS1_3genE10ELNS1_11target_archE1201ELNS1_3gpuE5ELNS1_3repE0EEENS1_36merge_oddeven_config_static_selectorELNS0_4arch9wavefront6targetE1EEEvSJ_.uses_vcc, 0
	.set _ZN7rocprim17ROCPRIM_400000_NS6detail17trampoline_kernelINS0_14default_configENS1_38merge_sort_block_merge_config_selectorIiiEEZZNS1_27merge_sort_block_merge_implIS3_N6thrust23THRUST_200600_302600_NS6detail15normal_iteratorINS8_10device_ptrIiEEEESD_jNS1_19radix_merge_compareILb0ELb0EiNS0_19identity_decomposerEEEEE10hipError_tT0_T1_T2_jT3_P12ihipStream_tbPNSt15iterator_traitsISI_E10value_typeEPNSO_ISJ_E10value_typeEPSK_NS1_7vsmem_tEENKUlT_SI_SJ_SK_E_clIPiSD_S10_SD_EESH_SX_SI_SJ_SK_EUlSX_E1_NS1_11comp_targetILNS1_3genE10ELNS1_11target_archE1201ELNS1_3gpuE5ELNS1_3repE0EEENS1_36merge_oddeven_config_static_selectorELNS0_4arch9wavefront6targetE1EEEvSJ_.uses_flat_scratch, 0
	.set _ZN7rocprim17ROCPRIM_400000_NS6detail17trampoline_kernelINS0_14default_configENS1_38merge_sort_block_merge_config_selectorIiiEEZZNS1_27merge_sort_block_merge_implIS3_N6thrust23THRUST_200600_302600_NS6detail15normal_iteratorINS8_10device_ptrIiEEEESD_jNS1_19radix_merge_compareILb0ELb0EiNS0_19identity_decomposerEEEEE10hipError_tT0_T1_T2_jT3_P12ihipStream_tbPNSt15iterator_traitsISI_E10value_typeEPNSO_ISJ_E10value_typeEPSK_NS1_7vsmem_tEENKUlT_SI_SJ_SK_E_clIPiSD_S10_SD_EESH_SX_SI_SJ_SK_EUlSX_E1_NS1_11comp_targetILNS1_3genE10ELNS1_11target_archE1201ELNS1_3gpuE5ELNS1_3repE0EEENS1_36merge_oddeven_config_static_selectorELNS0_4arch9wavefront6targetE1EEEvSJ_.has_dyn_sized_stack, 0
	.set _ZN7rocprim17ROCPRIM_400000_NS6detail17trampoline_kernelINS0_14default_configENS1_38merge_sort_block_merge_config_selectorIiiEEZZNS1_27merge_sort_block_merge_implIS3_N6thrust23THRUST_200600_302600_NS6detail15normal_iteratorINS8_10device_ptrIiEEEESD_jNS1_19radix_merge_compareILb0ELb0EiNS0_19identity_decomposerEEEEE10hipError_tT0_T1_T2_jT3_P12ihipStream_tbPNSt15iterator_traitsISI_E10value_typeEPNSO_ISJ_E10value_typeEPSK_NS1_7vsmem_tEENKUlT_SI_SJ_SK_E_clIPiSD_S10_SD_EESH_SX_SI_SJ_SK_EUlSX_E1_NS1_11comp_targetILNS1_3genE10ELNS1_11target_archE1201ELNS1_3gpuE5ELNS1_3repE0EEENS1_36merge_oddeven_config_static_selectorELNS0_4arch9wavefront6targetE1EEEvSJ_.has_recursion, 0
	.set _ZN7rocprim17ROCPRIM_400000_NS6detail17trampoline_kernelINS0_14default_configENS1_38merge_sort_block_merge_config_selectorIiiEEZZNS1_27merge_sort_block_merge_implIS3_N6thrust23THRUST_200600_302600_NS6detail15normal_iteratorINS8_10device_ptrIiEEEESD_jNS1_19radix_merge_compareILb0ELb0EiNS0_19identity_decomposerEEEEE10hipError_tT0_T1_T2_jT3_P12ihipStream_tbPNSt15iterator_traitsISI_E10value_typeEPNSO_ISJ_E10value_typeEPSK_NS1_7vsmem_tEENKUlT_SI_SJ_SK_E_clIPiSD_S10_SD_EESH_SX_SI_SJ_SK_EUlSX_E1_NS1_11comp_targetILNS1_3genE10ELNS1_11target_archE1201ELNS1_3gpuE5ELNS1_3repE0EEENS1_36merge_oddeven_config_static_selectorELNS0_4arch9wavefront6targetE1EEEvSJ_.has_indirect_call, 0
	.section	.AMDGPU.csdata,"",@progbits
; Kernel info:
; codeLenInByte = 0
; TotalNumSgprs: 6
; NumVgprs: 0
; NumAgprs: 0
; TotalNumVgprs: 0
; ScratchSize: 0
; MemoryBound: 0
; FloatMode: 240
; IeeeMode: 1
; LDSByteSize: 0 bytes/workgroup (compile time only)
; SGPRBlocks: 0
; VGPRBlocks: 0
; NumSGPRsForWavesPerEU: 6
; NumVGPRsForWavesPerEU: 1
; AccumOffset: 4
; Occupancy: 8
; WaveLimiterHint : 0
; COMPUTE_PGM_RSRC2:SCRATCH_EN: 0
; COMPUTE_PGM_RSRC2:USER_SGPR: 2
; COMPUTE_PGM_RSRC2:TRAP_HANDLER: 0
; COMPUTE_PGM_RSRC2:TGID_X_EN: 1
; COMPUTE_PGM_RSRC2:TGID_Y_EN: 0
; COMPUTE_PGM_RSRC2:TGID_Z_EN: 0
; COMPUTE_PGM_RSRC2:TIDIG_COMP_CNT: 0
; COMPUTE_PGM_RSRC3_GFX90A:ACCUM_OFFSET: 0
; COMPUTE_PGM_RSRC3_GFX90A:TG_SPLIT: 0
	.section	.text._ZN7rocprim17ROCPRIM_400000_NS6detail17trampoline_kernelINS0_14default_configENS1_38merge_sort_block_merge_config_selectorIiiEEZZNS1_27merge_sort_block_merge_implIS3_N6thrust23THRUST_200600_302600_NS6detail15normal_iteratorINS8_10device_ptrIiEEEESD_jNS1_19radix_merge_compareILb0ELb0EiNS0_19identity_decomposerEEEEE10hipError_tT0_T1_T2_jT3_P12ihipStream_tbPNSt15iterator_traitsISI_E10value_typeEPNSO_ISJ_E10value_typeEPSK_NS1_7vsmem_tEENKUlT_SI_SJ_SK_E_clIPiSD_S10_SD_EESH_SX_SI_SJ_SK_EUlSX_E1_NS1_11comp_targetILNS1_3genE5ELNS1_11target_archE942ELNS1_3gpuE9ELNS1_3repE0EEENS1_36merge_oddeven_config_static_selectorELNS0_4arch9wavefront6targetE1EEEvSJ_,"axG",@progbits,_ZN7rocprim17ROCPRIM_400000_NS6detail17trampoline_kernelINS0_14default_configENS1_38merge_sort_block_merge_config_selectorIiiEEZZNS1_27merge_sort_block_merge_implIS3_N6thrust23THRUST_200600_302600_NS6detail15normal_iteratorINS8_10device_ptrIiEEEESD_jNS1_19radix_merge_compareILb0ELb0EiNS0_19identity_decomposerEEEEE10hipError_tT0_T1_T2_jT3_P12ihipStream_tbPNSt15iterator_traitsISI_E10value_typeEPNSO_ISJ_E10value_typeEPSK_NS1_7vsmem_tEENKUlT_SI_SJ_SK_E_clIPiSD_S10_SD_EESH_SX_SI_SJ_SK_EUlSX_E1_NS1_11comp_targetILNS1_3genE5ELNS1_11target_archE942ELNS1_3gpuE9ELNS1_3repE0EEENS1_36merge_oddeven_config_static_selectorELNS0_4arch9wavefront6targetE1EEEvSJ_,comdat
	.protected	_ZN7rocprim17ROCPRIM_400000_NS6detail17trampoline_kernelINS0_14default_configENS1_38merge_sort_block_merge_config_selectorIiiEEZZNS1_27merge_sort_block_merge_implIS3_N6thrust23THRUST_200600_302600_NS6detail15normal_iteratorINS8_10device_ptrIiEEEESD_jNS1_19radix_merge_compareILb0ELb0EiNS0_19identity_decomposerEEEEE10hipError_tT0_T1_T2_jT3_P12ihipStream_tbPNSt15iterator_traitsISI_E10value_typeEPNSO_ISJ_E10value_typeEPSK_NS1_7vsmem_tEENKUlT_SI_SJ_SK_E_clIPiSD_S10_SD_EESH_SX_SI_SJ_SK_EUlSX_E1_NS1_11comp_targetILNS1_3genE5ELNS1_11target_archE942ELNS1_3gpuE9ELNS1_3repE0EEENS1_36merge_oddeven_config_static_selectorELNS0_4arch9wavefront6targetE1EEEvSJ_ ; -- Begin function _ZN7rocprim17ROCPRIM_400000_NS6detail17trampoline_kernelINS0_14default_configENS1_38merge_sort_block_merge_config_selectorIiiEEZZNS1_27merge_sort_block_merge_implIS3_N6thrust23THRUST_200600_302600_NS6detail15normal_iteratorINS8_10device_ptrIiEEEESD_jNS1_19radix_merge_compareILb0ELb0EiNS0_19identity_decomposerEEEEE10hipError_tT0_T1_T2_jT3_P12ihipStream_tbPNSt15iterator_traitsISI_E10value_typeEPNSO_ISJ_E10value_typeEPSK_NS1_7vsmem_tEENKUlT_SI_SJ_SK_E_clIPiSD_S10_SD_EESH_SX_SI_SJ_SK_EUlSX_E1_NS1_11comp_targetILNS1_3genE5ELNS1_11target_archE942ELNS1_3gpuE9ELNS1_3repE0EEENS1_36merge_oddeven_config_static_selectorELNS0_4arch9wavefront6targetE1EEEvSJ_
	.globl	_ZN7rocprim17ROCPRIM_400000_NS6detail17trampoline_kernelINS0_14default_configENS1_38merge_sort_block_merge_config_selectorIiiEEZZNS1_27merge_sort_block_merge_implIS3_N6thrust23THRUST_200600_302600_NS6detail15normal_iteratorINS8_10device_ptrIiEEEESD_jNS1_19radix_merge_compareILb0ELb0EiNS0_19identity_decomposerEEEEE10hipError_tT0_T1_T2_jT3_P12ihipStream_tbPNSt15iterator_traitsISI_E10value_typeEPNSO_ISJ_E10value_typeEPSK_NS1_7vsmem_tEENKUlT_SI_SJ_SK_E_clIPiSD_S10_SD_EESH_SX_SI_SJ_SK_EUlSX_E1_NS1_11comp_targetILNS1_3genE5ELNS1_11target_archE942ELNS1_3gpuE9ELNS1_3repE0EEENS1_36merge_oddeven_config_static_selectorELNS0_4arch9wavefront6targetE1EEEvSJ_
	.p2align	8
	.type	_ZN7rocprim17ROCPRIM_400000_NS6detail17trampoline_kernelINS0_14default_configENS1_38merge_sort_block_merge_config_selectorIiiEEZZNS1_27merge_sort_block_merge_implIS3_N6thrust23THRUST_200600_302600_NS6detail15normal_iteratorINS8_10device_ptrIiEEEESD_jNS1_19radix_merge_compareILb0ELb0EiNS0_19identity_decomposerEEEEE10hipError_tT0_T1_T2_jT3_P12ihipStream_tbPNSt15iterator_traitsISI_E10value_typeEPNSO_ISJ_E10value_typeEPSK_NS1_7vsmem_tEENKUlT_SI_SJ_SK_E_clIPiSD_S10_SD_EESH_SX_SI_SJ_SK_EUlSX_E1_NS1_11comp_targetILNS1_3genE5ELNS1_11target_archE942ELNS1_3gpuE9ELNS1_3repE0EEENS1_36merge_oddeven_config_static_selectorELNS0_4arch9wavefront6targetE1EEEvSJ_,@function
_ZN7rocprim17ROCPRIM_400000_NS6detail17trampoline_kernelINS0_14default_configENS1_38merge_sort_block_merge_config_selectorIiiEEZZNS1_27merge_sort_block_merge_implIS3_N6thrust23THRUST_200600_302600_NS6detail15normal_iteratorINS8_10device_ptrIiEEEESD_jNS1_19radix_merge_compareILb0ELb0EiNS0_19identity_decomposerEEEEE10hipError_tT0_T1_T2_jT3_P12ihipStream_tbPNSt15iterator_traitsISI_E10value_typeEPNSO_ISJ_E10value_typeEPSK_NS1_7vsmem_tEENKUlT_SI_SJ_SK_E_clIPiSD_S10_SD_EESH_SX_SI_SJ_SK_EUlSX_E1_NS1_11comp_targetILNS1_3genE5ELNS1_11target_archE942ELNS1_3gpuE9ELNS1_3repE0EEENS1_36merge_oddeven_config_static_selectorELNS0_4arch9wavefront6targetE1EEEvSJ_: ; @_ZN7rocprim17ROCPRIM_400000_NS6detail17trampoline_kernelINS0_14default_configENS1_38merge_sort_block_merge_config_selectorIiiEEZZNS1_27merge_sort_block_merge_implIS3_N6thrust23THRUST_200600_302600_NS6detail15normal_iteratorINS8_10device_ptrIiEEEESD_jNS1_19radix_merge_compareILb0ELb0EiNS0_19identity_decomposerEEEEE10hipError_tT0_T1_T2_jT3_P12ihipStream_tbPNSt15iterator_traitsISI_E10value_typeEPNSO_ISJ_E10value_typeEPSK_NS1_7vsmem_tEENKUlT_SI_SJ_SK_E_clIPiSD_S10_SD_EESH_SX_SI_SJ_SK_EUlSX_E1_NS1_11comp_targetILNS1_3genE5ELNS1_11target_archE942ELNS1_3gpuE9ELNS1_3repE0EEENS1_36merge_oddeven_config_static_selectorELNS0_4arch9wavefront6targetE1EEEvSJ_
; %bb.0:
	.section	.rodata,"a",@progbits
	.p2align	6, 0x0
	.amdhsa_kernel _ZN7rocprim17ROCPRIM_400000_NS6detail17trampoline_kernelINS0_14default_configENS1_38merge_sort_block_merge_config_selectorIiiEEZZNS1_27merge_sort_block_merge_implIS3_N6thrust23THRUST_200600_302600_NS6detail15normal_iteratorINS8_10device_ptrIiEEEESD_jNS1_19radix_merge_compareILb0ELb0EiNS0_19identity_decomposerEEEEE10hipError_tT0_T1_T2_jT3_P12ihipStream_tbPNSt15iterator_traitsISI_E10value_typeEPNSO_ISJ_E10value_typeEPSK_NS1_7vsmem_tEENKUlT_SI_SJ_SK_E_clIPiSD_S10_SD_EESH_SX_SI_SJ_SK_EUlSX_E1_NS1_11comp_targetILNS1_3genE5ELNS1_11target_archE942ELNS1_3gpuE9ELNS1_3repE0EEENS1_36merge_oddeven_config_static_selectorELNS0_4arch9wavefront6targetE1EEEvSJ_
		.amdhsa_group_segment_fixed_size 0
		.amdhsa_private_segment_fixed_size 0
		.amdhsa_kernarg_size 48
		.amdhsa_user_sgpr_count 2
		.amdhsa_user_sgpr_dispatch_ptr 0
		.amdhsa_user_sgpr_queue_ptr 0
		.amdhsa_user_sgpr_kernarg_segment_ptr 1
		.amdhsa_user_sgpr_dispatch_id 0
		.amdhsa_user_sgpr_kernarg_preload_length 0
		.amdhsa_user_sgpr_kernarg_preload_offset 0
		.amdhsa_user_sgpr_private_segment_size 0
		.amdhsa_uses_dynamic_stack 0
		.amdhsa_enable_private_segment 0
		.amdhsa_system_sgpr_workgroup_id_x 1
		.amdhsa_system_sgpr_workgroup_id_y 0
		.amdhsa_system_sgpr_workgroup_id_z 0
		.amdhsa_system_sgpr_workgroup_info 0
		.amdhsa_system_vgpr_workitem_id 0
		.amdhsa_next_free_vgpr 1
		.amdhsa_next_free_sgpr 0
		.amdhsa_accum_offset 4
		.amdhsa_reserve_vcc 0
		.amdhsa_float_round_mode_32 0
		.amdhsa_float_round_mode_16_64 0
		.amdhsa_float_denorm_mode_32 3
		.amdhsa_float_denorm_mode_16_64 3
		.amdhsa_dx10_clamp 1
		.amdhsa_ieee_mode 1
		.amdhsa_fp16_overflow 0
		.amdhsa_tg_split 0
		.amdhsa_exception_fp_ieee_invalid_op 0
		.amdhsa_exception_fp_denorm_src 0
		.amdhsa_exception_fp_ieee_div_zero 0
		.amdhsa_exception_fp_ieee_overflow 0
		.amdhsa_exception_fp_ieee_underflow 0
		.amdhsa_exception_fp_ieee_inexact 0
		.amdhsa_exception_int_div_zero 0
	.end_amdhsa_kernel
	.section	.text._ZN7rocprim17ROCPRIM_400000_NS6detail17trampoline_kernelINS0_14default_configENS1_38merge_sort_block_merge_config_selectorIiiEEZZNS1_27merge_sort_block_merge_implIS3_N6thrust23THRUST_200600_302600_NS6detail15normal_iteratorINS8_10device_ptrIiEEEESD_jNS1_19radix_merge_compareILb0ELb0EiNS0_19identity_decomposerEEEEE10hipError_tT0_T1_T2_jT3_P12ihipStream_tbPNSt15iterator_traitsISI_E10value_typeEPNSO_ISJ_E10value_typeEPSK_NS1_7vsmem_tEENKUlT_SI_SJ_SK_E_clIPiSD_S10_SD_EESH_SX_SI_SJ_SK_EUlSX_E1_NS1_11comp_targetILNS1_3genE5ELNS1_11target_archE942ELNS1_3gpuE9ELNS1_3repE0EEENS1_36merge_oddeven_config_static_selectorELNS0_4arch9wavefront6targetE1EEEvSJ_,"axG",@progbits,_ZN7rocprim17ROCPRIM_400000_NS6detail17trampoline_kernelINS0_14default_configENS1_38merge_sort_block_merge_config_selectorIiiEEZZNS1_27merge_sort_block_merge_implIS3_N6thrust23THRUST_200600_302600_NS6detail15normal_iteratorINS8_10device_ptrIiEEEESD_jNS1_19radix_merge_compareILb0ELb0EiNS0_19identity_decomposerEEEEE10hipError_tT0_T1_T2_jT3_P12ihipStream_tbPNSt15iterator_traitsISI_E10value_typeEPNSO_ISJ_E10value_typeEPSK_NS1_7vsmem_tEENKUlT_SI_SJ_SK_E_clIPiSD_S10_SD_EESH_SX_SI_SJ_SK_EUlSX_E1_NS1_11comp_targetILNS1_3genE5ELNS1_11target_archE942ELNS1_3gpuE9ELNS1_3repE0EEENS1_36merge_oddeven_config_static_selectorELNS0_4arch9wavefront6targetE1EEEvSJ_,comdat
.Lfunc_end726:
	.size	_ZN7rocprim17ROCPRIM_400000_NS6detail17trampoline_kernelINS0_14default_configENS1_38merge_sort_block_merge_config_selectorIiiEEZZNS1_27merge_sort_block_merge_implIS3_N6thrust23THRUST_200600_302600_NS6detail15normal_iteratorINS8_10device_ptrIiEEEESD_jNS1_19radix_merge_compareILb0ELb0EiNS0_19identity_decomposerEEEEE10hipError_tT0_T1_T2_jT3_P12ihipStream_tbPNSt15iterator_traitsISI_E10value_typeEPNSO_ISJ_E10value_typeEPSK_NS1_7vsmem_tEENKUlT_SI_SJ_SK_E_clIPiSD_S10_SD_EESH_SX_SI_SJ_SK_EUlSX_E1_NS1_11comp_targetILNS1_3genE5ELNS1_11target_archE942ELNS1_3gpuE9ELNS1_3repE0EEENS1_36merge_oddeven_config_static_selectorELNS0_4arch9wavefront6targetE1EEEvSJ_, .Lfunc_end726-_ZN7rocprim17ROCPRIM_400000_NS6detail17trampoline_kernelINS0_14default_configENS1_38merge_sort_block_merge_config_selectorIiiEEZZNS1_27merge_sort_block_merge_implIS3_N6thrust23THRUST_200600_302600_NS6detail15normal_iteratorINS8_10device_ptrIiEEEESD_jNS1_19radix_merge_compareILb0ELb0EiNS0_19identity_decomposerEEEEE10hipError_tT0_T1_T2_jT3_P12ihipStream_tbPNSt15iterator_traitsISI_E10value_typeEPNSO_ISJ_E10value_typeEPSK_NS1_7vsmem_tEENKUlT_SI_SJ_SK_E_clIPiSD_S10_SD_EESH_SX_SI_SJ_SK_EUlSX_E1_NS1_11comp_targetILNS1_3genE5ELNS1_11target_archE942ELNS1_3gpuE9ELNS1_3repE0EEENS1_36merge_oddeven_config_static_selectorELNS0_4arch9wavefront6targetE1EEEvSJ_
                                        ; -- End function
	.set _ZN7rocprim17ROCPRIM_400000_NS6detail17trampoline_kernelINS0_14default_configENS1_38merge_sort_block_merge_config_selectorIiiEEZZNS1_27merge_sort_block_merge_implIS3_N6thrust23THRUST_200600_302600_NS6detail15normal_iteratorINS8_10device_ptrIiEEEESD_jNS1_19radix_merge_compareILb0ELb0EiNS0_19identity_decomposerEEEEE10hipError_tT0_T1_T2_jT3_P12ihipStream_tbPNSt15iterator_traitsISI_E10value_typeEPNSO_ISJ_E10value_typeEPSK_NS1_7vsmem_tEENKUlT_SI_SJ_SK_E_clIPiSD_S10_SD_EESH_SX_SI_SJ_SK_EUlSX_E1_NS1_11comp_targetILNS1_3genE5ELNS1_11target_archE942ELNS1_3gpuE9ELNS1_3repE0EEENS1_36merge_oddeven_config_static_selectorELNS0_4arch9wavefront6targetE1EEEvSJ_.num_vgpr, 0
	.set _ZN7rocprim17ROCPRIM_400000_NS6detail17trampoline_kernelINS0_14default_configENS1_38merge_sort_block_merge_config_selectorIiiEEZZNS1_27merge_sort_block_merge_implIS3_N6thrust23THRUST_200600_302600_NS6detail15normal_iteratorINS8_10device_ptrIiEEEESD_jNS1_19radix_merge_compareILb0ELb0EiNS0_19identity_decomposerEEEEE10hipError_tT0_T1_T2_jT3_P12ihipStream_tbPNSt15iterator_traitsISI_E10value_typeEPNSO_ISJ_E10value_typeEPSK_NS1_7vsmem_tEENKUlT_SI_SJ_SK_E_clIPiSD_S10_SD_EESH_SX_SI_SJ_SK_EUlSX_E1_NS1_11comp_targetILNS1_3genE5ELNS1_11target_archE942ELNS1_3gpuE9ELNS1_3repE0EEENS1_36merge_oddeven_config_static_selectorELNS0_4arch9wavefront6targetE1EEEvSJ_.num_agpr, 0
	.set _ZN7rocprim17ROCPRIM_400000_NS6detail17trampoline_kernelINS0_14default_configENS1_38merge_sort_block_merge_config_selectorIiiEEZZNS1_27merge_sort_block_merge_implIS3_N6thrust23THRUST_200600_302600_NS6detail15normal_iteratorINS8_10device_ptrIiEEEESD_jNS1_19radix_merge_compareILb0ELb0EiNS0_19identity_decomposerEEEEE10hipError_tT0_T1_T2_jT3_P12ihipStream_tbPNSt15iterator_traitsISI_E10value_typeEPNSO_ISJ_E10value_typeEPSK_NS1_7vsmem_tEENKUlT_SI_SJ_SK_E_clIPiSD_S10_SD_EESH_SX_SI_SJ_SK_EUlSX_E1_NS1_11comp_targetILNS1_3genE5ELNS1_11target_archE942ELNS1_3gpuE9ELNS1_3repE0EEENS1_36merge_oddeven_config_static_selectorELNS0_4arch9wavefront6targetE1EEEvSJ_.numbered_sgpr, 0
	.set _ZN7rocprim17ROCPRIM_400000_NS6detail17trampoline_kernelINS0_14default_configENS1_38merge_sort_block_merge_config_selectorIiiEEZZNS1_27merge_sort_block_merge_implIS3_N6thrust23THRUST_200600_302600_NS6detail15normal_iteratorINS8_10device_ptrIiEEEESD_jNS1_19radix_merge_compareILb0ELb0EiNS0_19identity_decomposerEEEEE10hipError_tT0_T1_T2_jT3_P12ihipStream_tbPNSt15iterator_traitsISI_E10value_typeEPNSO_ISJ_E10value_typeEPSK_NS1_7vsmem_tEENKUlT_SI_SJ_SK_E_clIPiSD_S10_SD_EESH_SX_SI_SJ_SK_EUlSX_E1_NS1_11comp_targetILNS1_3genE5ELNS1_11target_archE942ELNS1_3gpuE9ELNS1_3repE0EEENS1_36merge_oddeven_config_static_selectorELNS0_4arch9wavefront6targetE1EEEvSJ_.num_named_barrier, 0
	.set _ZN7rocprim17ROCPRIM_400000_NS6detail17trampoline_kernelINS0_14default_configENS1_38merge_sort_block_merge_config_selectorIiiEEZZNS1_27merge_sort_block_merge_implIS3_N6thrust23THRUST_200600_302600_NS6detail15normal_iteratorINS8_10device_ptrIiEEEESD_jNS1_19radix_merge_compareILb0ELb0EiNS0_19identity_decomposerEEEEE10hipError_tT0_T1_T2_jT3_P12ihipStream_tbPNSt15iterator_traitsISI_E10value_typeEPNSO_ISJ_E10value_typeEPSK_NS1_7vsmem_tEENKUlT_SI_SJ_SK_E_clIPiSD_S10_SD_EESH_SX_SI_SJ_SK_EUlSX_E1_NS1_11comp_targetILNS1_3genE5ELNS1_11target_archE942ELNS1_3gpuE9ELNS1_3repE0EEENS1_36merge_oddeven_config_static_selectorELNS0_4arch9wavefront6targetE1EEEvSJ_.private_seg_size, 0
	.set _ZN7rocprim17ROCPRIM_400000_NS6detail17trampoline_kernelINS0_14default_configENS1_38merge_sort_block_merge_config_selectorIiiEEZZNS1_27merge_sort_block_merge_implIS3_N6thrust23THRUST_200600_302600_NS6detail15normal_iteratorINS8_10device_ptrIiEEEESD_jNS1_19radix_merge_compareILb0ELb0EiNS0_19identity_decomposerEEEEE10hipError_tT0_T1_T2_jT3_P12ihipStream_tbPNSt15iterator_traitsISI_E10value_typeEPNSO_ISJ_E10value_typeEPSK_NS1_7vsmem_tEENKUlT_SI_SJ_SK_E_clIPiSD_S10_SD_EESH_SX_SI_SJ_SK_EUlSX_E1_NS1_11comp_targetILNS1_3genE5ELNS1_11target_archE942ELNS1_3gpuE9ELNS1_3repE0EEENS1_36merge_oddeven_config_static_selectorELNS0_4arch9wavefront6targetE1EEEvSJ_.uses_vcc, 0
	.set _ZN7rocprim17ROCPRIM_400000_NS6detail17trampoline_kernelINS0_14default_configENS1_38merge_sort_block_merge_config_selectorIiiEEZZNS1_27merge_sort_block_merge_implIS3_N6thrust23THRUST_200600_302600_NS6detail15normal_iteratorINS8_10device_ptrIiEEEESD_jNS1_19radix_merge_compareILb0ELb0EiNS0_19identity_decomposerEEEEE10hipError_tT0_T1_T2_jT3_P12ihipStream_tbPNSt15iterator_traitsISI_E10value_typeEPNSO_ISJ_E10value_typeEPSK_NS1_7vsmem_tEENKUlT_SI_SJ_SK_E_clIPiSD_S10_SD_EESH_SX_SI_SJ_SK_EUlSX_E1_NS1_11comp_targetILNS1_3genE5ELNS1_11target_archE942ELNS1_3gpuE9ELNS1_3repE0EEENS1_36merge_oddeven_config_static_selectorELNS0_4arch9wavefront6targetE1EEEvSJ_.uses_flat_scratch, 0
	.set _ZN7rocprim17ROCPRIM_400000_NS6detail17trampoline_kernelINS0_14default_configENS1_38merge_sort_block_merge_config_selectorIiiEEZZNS1_27merge_sort_block_merge_implIS3_N6thrust23THRUST_200600_302600_NS6detail15normal_iteratorINS8_10device_ptrIiEEEESD_jNS1_19radix_merge_compareILb0ELb0EiNS0_19identity_decomposerEEEEE10hipError_tT0_T1_T2_jT3_P12ihipStream_tbPNSt15iterator_traitsISI_E10value_typeEPNSO_ISJ_E10value_typeEPSK_NS1_7vsmem_tEENKUlT_SI_SJ_SK_E_clIPiSD_S10_SD_EESH_SX_SI_SJ_SK_EUlSX_E1_NS1_11comp_targetILNS1_3genE5ELNS1_11target_archE942ELNS1_3gpuE9ELNS1_3repE0EEENS1_36merge_oddeven_config_static_selectorELNS0_4arch9wavefront6targetE1EEEvSJ_.has_dyn_sized_stack, 0
	.set _ZN7rocprim17ROCPRIM_400000_NS6detail17trampoline_kernelINS0_14default_configENS1_38merge_sort_block_merge_config_selectorIiiEEZZNS1_27merge_sort_block_merge_implIS3_N6thrust23THRUST_200600_302600_NS6detail15normal_iteratorINS8_10device_ptrIiEEEESD_jNS1_19radix_merge_compareILb0ELb0EiNS0_19identity_decomposerEEEEE10hipError_tT0_T1_T2_jT3_P12ihipStream_tbPNSt15iterator_traitsISI_E10value_typeEPNSO_ISJ_E10value_typeEPSK_NS1_7vsmem_tEENKUlT_SI_SJ_SK_E_clIPiSD_S10_SD_EESH_SX_SI_SJ_SK_EUlSX_E1_NS1_11comp_targetILNS1_3genE5ELNS1_11target_archE942ELNS1_3gpuE9ELNS1_3repE0EEENS1_36merge_oddeven_config_static_selectorELNS0_4arch9wavefront6targetE1EEEvSJ_.has_recursion, 0
	.set _ZN7rocprim17ROCPRIM_400000_NS6detail17trampoline_kernelINS0_14default_configENS1_38merge_sort_block_merge_config_selectorIiiEEZZNS1_27merge_sort_block_merge_implIS3_N6thrust23THRUST_200600_302600_NS6detail15normal_iteratorINS8_10device_ptrIiEEEESD_jNS1_19radix_merge_compareILb0ELb0EiNS0_19identity_decomposerEEEEE10hipError_tT0_T1_T2_jT3_P12ihipStream_tbPNSt15iterator_traitsISI_E10value_typeEPNSO_ISJ_E10value_typeEPSK_NS1_7vsmem_tEENKUlT_SI_SJ_SK_E_clIPiSD_S10_SD_EESH_SX_SI_SJ_SK_EUlSX_E1_NS1_11comp_targetILNS1_3genE5ELNS1_11target_archE942ELNS1_3gpuE9ELNS1_3repE0EEENS1_36merge_oddeven_config_static_selectorELNS0_4arch9wavefront6targetE1EEEvSJ_.has_indirect_call, 0
	.section	.AMDGPU.csdata,"",@progbits
; Kernel info:
; codeLenInByte = 0
; TotalNumSgprs: 6
; NumVgprs: 0
; NumAgprs: 0
; TotalNumVgprs: 0
; ScratchSize: 0
; MemoryBound: 0
; FloatMode: 240
; IeeeMode: 1
; LDSByteSize: 0 bytes/workgroup (compile time only)
; SGPRBlocks: 0
; VGPRBlocks: 0
; NumSGPRsForWavesPerEU: 6
; NumVGPRsForWavesPerEU: 1
; AccumOffset: 4
; Occupancy: 8
; WaveLimiterHint : 0
; COMPUTE_PGM_RSRC2:SCRATCH_EN: 0
; COMPUTE_PGM_RSRC2:USER_SGPR: 2
; COMPUTE_PGM_RSRC2:TRAP_HANDLER: 0
; COMPUTE_PGM_RSRC2:TGID_X_EN: 1
; COMPUTE_PGM_RSRC2:TGID_Y_EN: 0
; COMPUTE_PGM_RSRC2:TGID_Z_EN: 0
; COMPUTE_PGM_RSRC2:TIDIG_COMP_CNT: 0
; COMPUTE_PGM_RSRC3_GFX90A:ACCUM_OFFSET: 0
; COMPUTE_PGM_RSRC3_GFX90A:TG_SPLIT: 0
	.section	.text._ZN7rocprim17ROCPRIM_400000_NS6detail17trampoline_kernelINS0_14default_configENS1_38merge_sort_block_merge_config_selectorIiiEEZZNS1_27merge_sort_block_merge_implIS3_N6thrust23THRUST_200600_302600_NS6detail15normal_iteratorINS8_10device_ptrIiEEEESD_jNS1_19radix_merge_compareILb0ELb0EiNS0_19identity_decomposerEEEEE10hipError_tT0_T1_T2_jT3_P12ihipStream_tbPNSt15iterator_traitsISI_E10value_typeEPNSO_ISJ_E10value_typeEPSK_NS1_7vsmem_tEENKUlT_SI_SJ_SK_E_clIPiSD_S10_SD_EESH_SX_SI_SJ_SK_EUlSX_E1_NS1_11comp_targetILNS1_3genE4ELNS1_11target_archE910ELNS1_3gpuE8ELNS1_3repE0EEENS1_36merge_oddeven_config_static_selectorELNS0_4arch9wavefront6targetE1EEEvSJ_,"axG",@progbits,_ZN7rocprim17ROCPRIM_400000_NS6detail17trampoline_kernelINS0_14default_configENS1_38merge_sort_block_merge_config_selectorIiiEEZZNS1_27merge_sort_block_merge_implIS3_N6thrust23THRUST_200600_302600_NS6detail15normal_iteratorINS8_10device_ptrIiEEEESD_jNS1_19radix_merge_compareILb0ELb0EiNS0_19identity_decomposerEEEEE10hipError_tT0_T1_T2_jT3_P12ihipStream_tbPNSt15iterator_traitsISI_E10value_typeEPNSO_ISJ_E10value_typeEPSK_NS1_7vsmem_tEENKUlT_SI_SJ_SK_E_clIPiSD_S10_SD_EESH_SX_SI_SJ_SK_EUlSX_E1_NS1_11comp_targetILNS1_3genE4ELNS1_11target_archE910ELNS1_3gpuE8ELNS1_3repE0EEENS1_36merge_oddeven_config_static_selectorELNS0_4arch9wavefront6targetE1EEEvSJ_,comdat
	.protected	_ZN7rocprim17ROCPRIM_400000_NS6detail17trampoline_kernelINS0_14default_configENS1_38merge_sort_block_merge_config_selectorIiiEEZZNS1_27merge_sort_block_merge_implIS3_N6thrust23THRUST_200600_302600_NS6detail15normal_iteratorINS8_10device_ptrIiEEEESD_jNS1_19radix_merge_compareILb0ELb0EiNS0_19identity_decomposerEEEEE10hipError_tT0_T1_T2_jT3_P12ihipStream_tbPNSt15iterator_traitsISI_E10value_typeEPNSO_ISJ_E10value_typeEPSK_NS1_7vsmem_tEENKUlT_SI_SJ_SK_E_clIPiSD_S10_SD_EESH_SX_SI_SJ_SK_EUlSX_E1_NS1_11comp_targetILNS1_3genE4ELNS1_11target_archE910ELNS1_3gpuE8ELNS1_3repE0EEENS1_36merge_oddeven_config_static_selectorELNS0_4arch9wavefront6targetE1EEEvSJ_ ; -- Begin function _ZN7rocprim17ROCPRIM_400000_NS6detail17trampoline_kernelINS0_14default_configENS1_38merge_sort_block_merge_config_selectorIiiEEZZNS1_27merge_sort_block_merge_implIS3_N6thrust23THRUST_200600_302600_NS6detail15normal_iteratorINS8_10device_ptrIiEEEESD_jNS1_19radix_merge_compareILb0ELb0EiNS0_19identity_decomposerEEEEE10hipError_tT0_T1_T2_jT3_P12ihipStream_tbPNSt15iterator_traitsISI_E10value_typeEPNSO_ISJ_E10value_typeEPSK_NS1_7vsmem_tEENKUlT_SI_SJ_SK_E_clIPiSD_S10_SD_EESH_SX_SI_SJ_SK_EUlSX_E1_NS1_11comp_targetILNS1_3genE4ELNS1_11target_archE910ELNS1_3gpuE8ELNS1_3repE0EEENS1_36merge_oddeven_config_static_selectorELNS0_4arch9wavefront6targetE1EEEvSJ_
	.globl	_ZN7rocprim17ROCPRIM_400000_NS6detail17trampoline_kernelINS0_14default_configENS1_38merge_sort_block_merge_config_selectorIiiEEZZNS1_27merge_sort_block_merge_implIS3_N6thrust23THRUST_200600_302600_NS6detail15normal_iteratorINS8_10device_ptrIiEEEESD_jNS1_19radix_merge_compareILb0ELb0EiNS0_19identity_decomposerEEEEE10hipError_tT0_T1_T2_jT3_P12ihipStream_tbPNSt15iterator_traitsISI_E10value_typeEPNSO_ISJ_E10value_typeEPSK_NS1_7vsmem_tEENKUlT_SI_SJ_SK_E_clIPiSD_S10_SD_EESH_SX_SI_SJ_SK_EUlSX_E1_NS1_11comp_targetILNS1_3genE4ELNS1_11target_archE910ELNS1_3gpuE8ELNS1_3repE0EEENS1_36merge_oddeven_config_static_selectorELNS0_4arch9wavefront6targetE1EEEvSJ_
	.p2align	8
	.type	_ZN7rocprim17ROCPRIM_400000_NS6detail17trampoline_kernelINS0_14default_configENS1_38merge_sort_block_merge_config_selectorIiiEEZZNS1_27merge_sort_block_merge_implIS3_N6thrust23THRUST_200600_302600_NS6detail15normal_iteratorINS8_10device_ptrIiEEEESD_jNS1_19radix_merge_compareILb0ELb0EiNS0_19identity_decomposerEEEEE10hipError_tT0_T1_T2_jT3_P12ihipStream_tbPNSt15iterator_traitsISI_E10value_typeEPNSO_ISJ_E10value_typeEPSK_NS1_7vsmem_tEENKUlT_SI_SJ_SK_E_clIPiSD_S10_SD_EESH_SX_SI_SJ_SK_EUlSX_E1_NS1_11comp_targetILNS1_3genE4ELNS1_11target_archE910ELNS1_3gpuE8ELNS1_3repE0EEENS1_36merge_oddeven_config_static_selectorELNS0_4arch9wavefront6targetE1EEEvSJ_,@function
_ZN7rocprim17ROCPRIM_400000_NS6detail17trampoline_kernelINS0_14default_configENS1_38merge_sort_block_merge_config_selectorIiiEEZZNS1_27merge_sort_block_merge_implIS3_N6thrust23THRUST_200600_302600_NS6detail15normal_iteratorINS8_10device_ptrIiEEEESD_jNS1_19radix_merge_compareILb0ELb0EiNS0_19identity_decomposerEEEEE10hipError_tT0_T1_T2_jT3_P12ihipStream_tbPNSt15iterator_traitsISI_E10value_typeEPNSO_ISJ_E10value_typeEPSK_NS1_7vsmem_tEENKUlT_SI_SJ_SK_E_clIPiSD_S10_SD_EESH_SX_SI_SJ_SK_EUlSX_E1_NS1_11comp_targetILNS1_3genE4ELNS1_11target_archE910ELNS1_3gpuE8ELNS1_3repE0EEENS1_36merge_oddeven_config_static_selectorELNS0_4arch9wavefront6targetE1EEEvSJ_: ; @_ZN7rocprim17ROCPRIM_400000_NS6detail17trampoline_kernelINS0_14default_configENS1_38merge_sort_block_merge_config_selectorIiiEEZZNS1_27merge_sort_block_merge_implIS3_N6thrust23THRUST_200600_302600_NS6detail15normal_iteratorINS8_10device_ptrIiEEEESD_jNS1_19radix_merge_compareILb0ELb0EiNS0_19identity_decomposerEEEEE10hipError_tT0_T1_T2_jT3_P12ihipStream_tbPNSt15iterator_traitsISI_E10value_typeEPNSO_ISJ_E10value_typeEPSK_NS1_7vsmem_tEENKUlT_SI_SJ_SK_E_clIPiSD_S10_SD_EESH_SX_SI_SJ_SK_EUlSX_E1_NS1_11comp_targetILNS1_3genE4ELNS1_11target_archE910ELNS1_3gpuE8ELNS1_3repE0EEENS1_36merge_oddeven_config_static_selectorELNS0_4arch9wavefront6targetE1EEEvSJ_
; %bb.0:
	.section	.rodata,"a",@progbits
	.p2align	6, 0x0
	.amdhsa_kernel _ZN7rocprim17ROCPRIM_400000_NS6detail17trampoline_kernelINS0_14default_configENS1_38merge_sort_block_merge_config_selectorIiiEEZZNS1_27merge_sort_block_merge_implIS3_N6thrust23THRUST_200600_302600_NS6detail15normal_iteratorINS8_10device_ptrIiEEEESD_jNS1_19radix_merge_compareILb0ELb0EiNS0_19identity_decomposerEEEEE10hipError_tT0_T1_T2_jT3_P12ihipStream_tbPNSt15iterator_traitsISI_E10value_typeEPNSO_ISJ_E10value_typeEPSK_NS1_7vsmem_tEENKUlT_SI_SJ_SK_E_clIPiSD_S10_SD_EESH_SX_SI_SJ_SK_EUlSX_E1_NS1_11comp_targetILNS1_3genE4ELNS1_11target_archE910ELNS1_3gpuE8ELNS1_3repE0EEENS1_36merge_oddeven_config_static_selectorELNS0_4arch9wavefront6targetE1EEEvSJ_
		.amdhsa_group_segment_fixed_size 0
		.amdhsa_private_segment_fixed_size 0
		.amdhsa_kernarg_size 48
		.amdhsa_user_sgpr_count 2
		.amdhsa_user_sgpr_dispatch_ptr 0
		.amdhsa_user_sgpr_queue_ptr 0
		.amdhsa_user_sgpr_kernarg_segment_ptr 1
		.amdhsa_user_sgpr_dispatch_id 0
		.amdhsa_user_sgpr_kernarg_preload_length 0
		.amdhsa_user_sgpr_kernarg_preload_offset 0
		.amdhsa_user_sgpr_private_segment_size 0
		.amdhsa_uses_dynamic_stack 0
		.amdhsa_enable_private_segment 0
		.amdhsa_system_sgpr_workgroup_id_x 1
		.amdhsa_system_sgpr_workgroup_id_y 0
		.amdhsa_system_sgpr_workgroup_id_z 0
		.amdhsa_system_sgpr_workgroup_info 0
		.amdhsa_system_vgpr_workitem_id 0
		.amdhsa_next_free_vgpr 1
		.amdhsa_next_free_sgpr 0
		.amdhsa_accum_offset 4
		.amdhsa_reserve_vcc 0
		.amdhsa_float_round_mode_32 0
		.amdhsa_float_round_mode_16_64 0
		.amdhsa_float_denorm_mode_32 3
		.amdhsa_float_denorm_mode_16_64 3
		.amdhsa_dx10_clamp 1
		.amdhsa_ieee_mode 1
		.amdhsa_fp16_overflow 0
		.amdhsa_tg_split 0
		.amdhsa_exception_fp_ieee_invalid_op 0
		.amdhsa_exception_fp_denorm_src 0
		.amdhsa_exception_fp_ieee_div_zero 0
		.amdhsa_exception_fp_ieee_overflow 0
		.amdhsa_exception_fp_ieee_underflow 0
		.amdhsa_exception_fp_ieee_inexact 0
		.amdhsa_exception_int_div_zero 0
	.end_amdhsa_kernel
	.section	.text._ZN7rocprim17ROCPRIM_400000_NS6detail17trampoline_kernelINS0_14default_configENS1_38merge_sort_block_merge_config_selectorIiiEEZZNS1_27merge_sort_block_merge_implIS3_N6thrust23THRUST_200600_302600_NS6detail15normal_iteratorINS8_10device_ptrIiEEEESD_jNS1_19radix_merge_compareILb0ELb0EiNS0_19identity_decomposerEEEEE10hipError_tT0_T1_T2_jT3_P12ihipStream_tbPNSt15iterator_traitsISI_E10value_typeEPNSO_ISJ_E10value_typeEPSK_NS1_7vsmem_tEENKUlT_SI_SJ_SK_E_clIPiSD_S10_SD_EESH_SX_SI_SJ_SK_EUlSX_E1_NS1_11comp_targetILNS1_3genE4ELNS1_11target_archE910ELNS1_3gpuE8ELNS1_3repE0EEENS1_36merge_oddeven_config_static_selectorELNS0_4arch9wavefront6targetE1EEEvSJ_,"axG",@progbits,_ZN7rocprim17ROCPRIM_400000_NS6detail17trampoline_kernelINS0_14default_configENS1_38merge_sort_block_merge_config_selectorIiiEEZZNS1_27merge_sort_block_merge_implIS3_N6thrust23THRUST_200600_302600_NS6detail15normal_iteratorINS8_10device_ptrIiEEEESD_jNS1_19radix_merge_compareILb0ELb0EiNS0_19identity_decomposerEEEEE10hipError_tT0_T1_T2_jT3_P12ihipStream_tbPNSt15iterator_traitsISI_E10value_typeEPNSO_ISJ_E10value_typeEPSK_NS1_7vsmem_tEENKUlT_SI_SJ_SK_E_clIPiSD_S10_SD_EESH_SX_SI_SJ_SK_EUlSX_E1_NS1_11comp_targetILNS1_3genE4ELNS1_11target_archE910ELNS1_3gpuE8ELNS1_3repE0EEENS1_36merge_oddeven_config_static_selectorELNS0_4arch9wavefront6targetE1EEEvSJ_,comdat
.Lfunc_end727:
	.size	_ZN7rocprim17ROCPRIM_400000_NS6detail17trampoline_kernelINS0_14default_configENS1_38merge_sort_block_merge_config_selectorIiiEEZZNS1_27merge_sort_block_merge_implIS3_N6thrust23THRUST_200600_302600_NS6detail15normal_iteratorINS8_10device_ptrIiEEEESD_jNS1_19radix_merge_compareILb0ELb0EiNS0_19identity_decomposerEEEEE10hipError_tT0_T1_T2_jT3_P12ihipStream_tbPNSt15iterator_traitsISI_E10value_typeEPNSO_ISJ_E10value_typeEPSK_NS1_7vsmem_tEENKUlT_SI_SJ_SK_E_clIPiSD_S10_SD_EESH_SX_SI_SJ_SK_EUlSX_E1_NS1_11comp_targetILNS1_3genE4ELNS1_11target_archE910ELNS1_3gpuE8ELNS1_3repE0EEENS1_36merge_oddeven_config_static_selectorELNS0_4arch9wavefront6targetE1EEEvSJ_, .Lfunc_end727-_ZN7rocprim17ROCPRIM_400000_NS6detail17trampoline_kernelINS0_14default_configENS1_38merge_sort_block_merge_config_selectorIiiEEZZNS1_27merge_sort_block_merge_implIS3_N6thrust23THRUST_200600_302600_NS6detail15normal_iteratorINS8_10device_ptrIiEEEESD_jNS1_19radix_merge_compareILb0ELb0EiNS0_19identity_decomposerEEEEE10hipError_tT0_T1_T2_jT3_P12ihipStream_tbPNSt15iterator_traitsISI_E10value_typeEPNSO_ISJ_E10value_typeEPSK_NS1_7vsmem_tEENKUlT_SI_SJ_SK_E_clIPiSD_S10_SD_EESH_SX_SI_SJ_SK_EUlSX_E1_NS1_11comp_targetILNS1_3genE4ELNS1_11target_archE910ELNS1_3gpuE8ELNS1_3repE0EEENS1_36merge_oddeven_config_static_selectorELNS0_4arch9wavefront6targetE1EEEvSJ_
                                        ; -- End function
	.set _ZN7rocprim17ROCPRIM_400000_NS6detail17trampoline_kernelINS0_14default_configENS1_38merge_sort_block_merge_config_selectorIiiEEZZNS1_27merge_sort_block_merge_implIS3_N6thrust23THRUST_200600_302600_NS6detail15normal_iteratorINS8_10device_ptrIiEEEESD_jNS1_19radix_merge_compareILb0ELb0EiNS0_19identity_decomposerEEEEE10hipError_tT0_T1_T2_jT3_P12ihipStream_tbPNSt15iterator_traitsISI_E10value_typeEPNSO_ISJ_E10value_typeEPSK_NS1_7vsmem_tEENKUlT_SI_SJ_SK_E_clIPiSD_S10_SD_EESH_SX_SI_SJ_SK_EUlSX_E1_NS1_11comp_targetILNS1_3genE4ELNS1_11target_archE910ELNS1_3gpuE8ELNS1_3repE0EEENS1_36merge_oddeven_config_static_selectorELNS0_4arch9wavefront6targetE1EEEvSJ_.num_vgpr, 0
	.set _ZN7rocprim17ROCPRIM_400000_NS6detail17trampoline_kernelINS0_14default_configENS1_38merge_sort_block_merge_config_selectorIiiEEZZNS1_27merge_sort_block_merge_implIS3_N6thrust23THRUST_200600_302600_NS6detail15normal_iteratorINS8_10device_ptrIiEEEESD_jNS1_19radix_merge_compareILb0ELb0EiNS0_19identity_decomposerEEEEE10hipError_tT0_T1_T2_jT3_P12ihipStream_tbPNSt15iterator_traitsISI_E10value_typeEPNSO_ISJ_E10value_typeEPSK_NS1_7vsmem_tEENKUlT_SI_SJ_SK_E_clIPiSD_S10_SD_EESH_SX_SI_SJ_SK_EUlSX_E1_NS1_11comp_targetILNS1_3genE4ELNS1_11target_archE910ELNS1_3gpuE8ELNS1_3repE0EEENS1_36merge_oddeven_config_static_selectorELNS0_4arch9wavefront6targetE1EEEvSJ_.num_agpr, 0
	.set _ZN7rocprim17ROCPRIM_400000_NS6detail17trampoline_kernelINS0_14default_configENS1_38merge_sort_block_merge_config_selectorIiiEEZZNS1_27merge_sort_block_merge_implIS3_N6thrust23THRUST_200600_302600_NS6detail15normal_iteratorINS8_10device_ptrIiEEEESD_jNS1_19radix_merge_compareILb0ELb0EiNS0_19identity_decomposerEEEEE10hipError_tT0_T1_T2_jT3_P12ihipStream_tbPNSt15iterator_traitsISI_E10value_typeEPNSO_ISJ_E10value_typeEPSK_NS1_7vsmem_tEENKUlT_SI_SJ_SK_E_clIPiSD_S10_SD_EESH_SX_SI_SJ_SK_EUlSX_E1_NS1_11comp_targetILNS1_3genE4ELNS1_11target_archE910ELNS1_3gpuE8ELNS1_3repE0EEENS1_36merge_oddeven_config_static_selectorELNS0_4arch9wavefront6targetE1EEEvSJ_.numbered_sgpr, 0
	.set _ZN7rocprim17ROCPRIM_400000_NS6detail17trampoline_kernelINS0_14default_configENS1_38merge_sort_block_merge_config_selectorIiiEEZZNS1_27merge_sort_block_merge_implIS3_N6thrust23THRUST_200600_302600_NS6detail15normal_iteratorINS8_10device_ptrIiEEEESD_jNS1_19radix_merge_compareILb0ELb0EiNS0_19identity_decomposerEEEEE10hipError_tT0_T1_T2_jT3_P12ihipStream_tbPNSt15iterator_traitsISI_E10value_typeEPNSO_ISJ_E10value_typeEPSK_NS1_7vsmem_tEENKUlT_SI_SJ_SK_E_clIPiSD_S10_SD_EESH_SX_SI_SJ_SK_EUlSX_E1_NS1_11comp_targetILNS1_3genE4ELNS1_11target_archE910ELNS1_3gpuE8ELNS1_3repE0EEENS1_36merge_oddeven_config_static_selectorELNS0_4arch9wavefront6targetE1EEEvSJ_.num_named_barrier, 0
	.set _ZN7rocprim17ROCPRIM_400000_NS6detail17trampoline_kernelINS0_14default_configENS1_38merge_sort_block_merge_config_selectorIiiEEZZNS1_27merge_sort_block_merge_implIS3_N6thrust23THRUST_200600_302600_NS6detail15normal_iteratorINS8_10device_ptrIiEEEESD_jNS1_19radix_merge_compareILb0ELb0EiNS0_19identity_decomposerEEEEE10hipError_tT0_T1_T2_jT3_P12ihipStream_tbPNSt15iterator_traitsISI_E10value_typeEPNSO_ISJ_E10value_typeEPSK_NS1_7vsmem_tEENKUlT_SI_SJ_SK_E_clIPiSD_S10_SD_EESH_SX_SI_SJ_SK_EUlSX_E1_NS1_11comp_targetILNS1_3genE4ELNS1_11target_archE910ELNS1_3gpuE8ELNS1_3repE0EEENS1_36merge_oddeven_config_static_selectorELNS0_4arch9wavefront6targetE1EEEvSJ_.private_seg_size, 0
	.set _ZN7rocprim17ROCPRIM_400000_NS6detail17trampoline_kernelINS0_14default_configENS1_38merge_sort_block_merge_config_selectorIiiEEZZNS1_27merge_sort_block_merge_implIS3_N6thrust23THRUST_200600_302600_NS6detail15normal_iteratorINS8_10device_ptrIiEEEESD_jNS1_19radix_merge_compareILb0ELb0EiNS0_19identity_decomposerEEEEE10hipError_tT0_T1_T2_jT3_P12ihipStream_tbPNSt15iterator_traitsISI_E10value_typeEPNSO_ISJ_E10value_typeEPSK_NS1_7vsmem_tEENKUlT_SI_SJ_SK_E_clIPiSD_S10_SD_EESH_SX_SI_SJ_SK_EUlSX_E1_NS1_11comp_targetILNS1_3genE4ELNS1_11target_archE910ELNS1_3gpuE8ELNS1_3repE0EEENS1_36merge_oddeven_config_static_selectorELNS0_4arch9wavefront6targetE1EEEvSJ_.uses_vcc, 0
	.set _ZN7rocprim17ROCPRIM_400000_NS6detail17trampoline_kernelINS0_14default_configENS1_38merge_sort_block_merge_config_selectorIiiEEZZNS1_27merge_sort_block_merge_implIS3_N6thrust23THRUST_200600_302600_NS6detail15normal_iteratorINS8_10device_ptrIiEEEESD_jNS1_19radix_merge_compareILb0ELb0EiNS0_19identity_decomposerEEEEE10hipError_tT0_T1_T2_jT3_P12ihipStream_tbPNSt15iterator_traitsISI_E10value_typeEPNSO_ISJ_E10value_typeEPSK_NS1_7vsmem_tEENKUlT_SI_SJ_SK_E_clIPiSD_S10_SD_EESH_SX_SI_SJ_SK_EUlSX_E1_NS1_11comp_targetILNS1_3genE4ELNS1_11target_archE910ELNS1_3gpuE8ELNS1_3repE0EEENS1_36merge_oddeven_config_static_selectorELNS0_4arch9wavefront6targetE1EEEvSJ_.uses_flat_scratch, 0
	.set _ZN7rocprim17ROCPRIM_400000_NS6detail17trampoline_kernelINS0_14default_configENS1_38merge_sort_block_merge_config_selectorIiiEEZZNS1_27merge_sort_block_merge_implIS3_N6thrust23THRUST_200600_302600_NS6detail15normal_iteratorINS8_10device_ptrIiEEEESD_jNS1_19radix_merge_compareILb0ELb0EiNS0_19identity_decomposerEEEEE10hipError_tT0_T1_T2_jT3_P12ihipStream_tbPNSt15iterator_traitsISI_E10value_typeEPNSO_ISJ_E10value_typeEPSK_NS1_7vsmem_tEENKUlT_SI_SJ_SK_E_clIPiSD_S10_SD_EESH_SX_SI_SJ_SK_EUlSX_E1_NS1_11comp_targetILNS1_3genE4ELNS1_11target_archE910ELNS1_3gpuE8ELNS1_3repE0EEENS1_36merge_oddeven_config_static_selectorELNS0_4arch9wavefront6targetE1EEEvSJ_.has_dyn_sized_stack, 0
	.set _ZN7rocprim17ROCPRIM_400000_NS6detail17trampoline_kernelINS0_14default_configENS1_38merge_sort_block_merge_config_selectorIiiEEZZNS1_27merge_sort_block_merge_implIS3_N6thrust23THRUST_200600_302600_NS6detail15normal_iteratorINS8_10device_ptrIiEEEESD_jNS1_19radix_merge_compareILb0ELb0EiNS0_19identity_decomposerEEEEE10hipError_tT0_T1_T2_jT3_P12ihipStream_tbPNSt15iterator_traitsISI_E10value_typeEPNSO_ISJ_E10value_typeEPSK_NS1_7vsmem_tEENKUlT_SI_SJ_SK_E_clIPiSD_S10_SD_EESH_SX_SI_SJ_SK_EUlSX_E1_NS1_11comp_targetILNS1_3genE4ELNS1_11target_archE910ELNS1_3gpuE8ELNS1_3repE0EEENS1_36merge_oddeven_config_static_selectorELNS0_4arch9wavefront6targetE1EEEvSJ_.has_recursion, 0
	.set _ZN7rocprim17ROCPRIM_400000_NS6detail17trampoline_kernelINS0_14default_configENS1_38merge_sort_block_merge_config_selectorIiiEEZZNS1_27merge_sort_block_merge_implIS3_N6thrust23THRUST_200600_302600_NS6detail15normal_iteratorINS8_10device_ptrIiEEEESD_jNS1_19radix_merge_compareILb0ELb0EiNS0_19identity_decomposerEEEEE10hipError_tT0_T1_T2_jT3_P12ihipStream_tbPNSt15iterator_traitsISI_E10value_typeEPNSO_ISJ_E10value_typeEPSK_NS1_7vsmem_tEENKUlT_SI_SJ_SK_E_clIPiSD_S10_SD_EESH_SX_SI_SJ_SK_EUlSX_E1_NS1_11comp_targetILNS1_3genE4ELNS1_11target_archE910ELNS1_3gpuE8ELNS1_3repE0EEENS1_36merge_oddeven_config_static_selectorELNS0_4arch9wavefront6targetE1EEEvSJ_.has_indirect_call, 0
	.section	.AMDGPU.csdata,"",@progbits
; Kernel info:
; codeLenInByte = 0
; TotalNumSgprs: 6
; NumVgprs: 0
; NumAgprs: 0
; TotalNumVgprs: 0
; ScratchSize: 0
; MemoryBound: 0
; FloatMode: 240
; IeeeMode: 1
; LDSByteSize: 0 bytes/workgroup (compile time only)
; SGPRBlocks: 0
; VGPRBlocks: 0
; NumSGPRsForWavesPerEU: 6
; NumVGPRsForWavesPerEU: 1
; AccumOffset: 4
; Occupancy: 8
; WaveLimiterHint : 0
; COMPUTE_PGM_RSRC2:SCRATCH_EN: 0
; COMPUTE_PGM_RSRC2:USER_SGPR: 2
; COMPUTE_PGM_RSRC2:TRAP_HANDLER: 0
; COMPUTE_PGM_RSRC2:TGID_X_EN: 1
; COMPUTE_PGM_RSRC2:TGID_Y_EN: 0
; COMPUTE_PGM_RSRC2:TGID_Z_EN: 0
; COMPUTE_PGM_RSRC2:TIDIG_COMP_CNT: 0
; COMPUTE_PGM_RSRC3_GFX90A:ACCUM_OFFSET: 0
; COMPUTE_PGM_RSRC3_GFX90A:TG_SPLIT: 0
	.section	.text._ZN7rocprim17ROCPRIM_400000_NS6detail17trampoline_kernelINS0_14default_configENS1_38merge_sort_block_merge_config_selectorIiiEEZZNS1_27merge_sort_block_merge_implIS3_N6thrust23THRUST_200600_302600_NS6detail15normal_iteratorINS8_10device_ptrIiEEEESD_jNS1_19radix_merge_compareILb0ELb0EiNS0_19identity_decomposerEEEEE10hipError_tT0_T1_T2_jT3_P12ihipStream_tbPNSt15iterator_traitsISI_E10value_typeEPNSO_ISJ_E10value_typeEPSK_NS1_7vsmem_tEENKUlT_SI_SJ_SK_E_clIPiSD_S10_SD_EESH_SX_SI_SJ_SK_EUlSX_E1_NS1_11comp_targetILNS1_3genE3ELNS1_11target_archE908ELNS1_3gpuE7ELNS1_3repE0EEENS1_36merge_oddeven_config_static_selectorELNS0_4arch9wavefront6targetE1EEEvSJ_,"axG",@progbits,_ZN7rocprim17ROCPRIM_400000_NS6detail17trampoline_kernelINS0_14default_configENS1_38merge_sort_block_merge_config_selectorIiiEEZZNS1_27merge_sort_block_merge_implIS3_N6thrust23THRUST_200600_302600_NS6detail15normal_iteratorINS8_10device_ptrIiEEEESD_jNS1_19radix_merge_compareILb0ELb0EiNS0_19identity_decomposerEEEEE10hipError_tT0_T1_T2_jT3_P12ihipStream_tbPNSt15iterator_traitsISI_E10value_typeEPNSO_ISJ_E10value_typeEPSK_NS1_7vsmem_tEENKUlT_SI_SJ_SK_E_clIPiSD_S10_SD_EESH_SX_SI_SJ_SK_EUlSX_E1_NS1_11comp_targetILNS1_3genE3ELNS1_11target_archE908ELNS1_3gpuE7ELNS1_3repE0EEENS1_36merge_oddeven_config_static_selectorELNS0_4arch9wavefront6targetE1EEEvSJ_,comdat
	.protected	_ZN7rocprim17ROCPRIM_400000_NS6detail17trampoline_kernelINS0_14default_configENS1_38merge_sort_block_merge_config_selectorIiiEEZZNS1_27merge_sort_block_merge_implIS3_N6thrust23THRUST_200600_302600_NS6detail15normal_iteratorINS8_10device_ptrIiEEEESD_jNS1_19radix_merge_compareILb0ELb0EiNS0_19identity_decomposerEEEEE10hipError_tT0_T1_T2_jT3_P12ihipStream_tbPNSt15iterator_traitsISI_E10value_typeEPNSO_ISJ_E10value_typeEPSK_NS1_7vsmem_tEENKUlT_SI_SJ_SK_E_clIPiSD_S10_SD_EESH_SX_SI_SJ_SK_EUlSX_E1_NS1_11comp_targetILNS1_3genE3ELNS1_11target_archE908ELNS1_3gpuE7ELNS1_3repE0EEENS1_36merge_oddeven_config_static_selectorELNS0_4arch9wavefront6targetE1EEEvSJ_ ; -- Begin function _ZN7rocprim17ROCPRIM_400000_NS6detail17trampoline_kernelINS0_14default_configENS1_38merge_sort_block_merge_config_selectorIiiEEZZNS1_27merge_sort_block_merge_implIS3_N6thrust23THRUST_200600_302600_NS6detail15normal_iteratorINS8_10device_ptrIiEEEESD_jNS1_19radix_merge_compareILb0ELb0EiNS0_19identity_decomposerEEEEE10hipError_tT0_T1_T2_jT3_P12ihipStream_tbPNSt15iterator_traitsISI_E10value_typeEPNSO_ISJ_E10value_typeEPSK_NS1_7vsmem_tEENKUlT_SI_SJ_SK_E_clIPiSD_S10_SD_EESH_SX_SI_SJ_SK_EUlSX_E1_NS1_11comp_targetILNS1_3genE3ELNS1_11target_archE908ELNS1_3gpuE7ELNS1_3repE0EEENS1_36merge_oddeven_config_static_selectorELNS0_4arch9wavefront6targetE1EEEvSJ_
	.globl	_ZN7rocprim17ROCPRIM_400000_NS6detail17trampoline_kernelINS0_14default_configENS1_38merge_sort_block_merge_config_selectorIiiEEZZNS1_27merge_sort_block_merge_implIS3_N6thrust23THRUST_200600_302600_NS6detail15normal_iteratorINS8_10device_ptrIiEEEESD_jNS1_19radix_merge_compareILb0ELb0EiNS0_19identity_decomposerEEEEE10hipError_tT0_T1_T2_jT3_P12ihipStream_tbPNSt15iterator_traitsISI_E10value_typeEPNSO_ISJ_E10value_typeEPSK_NS1_7vsmem_tEENKUlT_SI_SJ_SK_E_clIPiSD_S10_SD_EESH_SX_SI_SJ_SK_EUlSX_E1_NS1_11comp_targetILNS1_3genE3ELNS1_11target_archE908ELNS1_3gpuE7ELNS1_3repE0EEENS1_36merge_oddeven_config_static_selectorELNS0_4arch9wavefront6targetE1EEEvSJ_
	.p2align	8
	.type	_ZN7rocprim17ROCPRIM_400000_NS6detail17trampoline_kernelINS0_14default_configENS1_38merge_sort_block_merge_config_selectorIiiEEZZNS1_27merge_sort_block_merge_implIS3_N6thrust23THRUST_200600_302600_NS6detail15normal_iteratorINS8_10device_ptrIiEEEESD_jNS1_19radix_merge_compareILb0ELb0EiNS0_19identity_decomposerEEEEE10hipError_tT0_T1_T2_jT3_P12ihipStream_tbPNSt15iterator_traitsISI_E10value_typeEPNSO_ISJ_E10value_typeEPSK_NS1_7vsmem_tEENKUlT_SI_SJ_SK_E_clIPiSD_S10_SD_EESH_SX_SI_SJ_SK_EUlSX_E1_NS1_11comp_targetILNS1_3genE3ELNS1_11target_archE908ELNS1_3gpuE7ELNS1_3repE0EEENS1_36merge_oddeven_config_static_selectorELNS0_4arch9wavefront6targetE1EEEvSJ_,@function
_ZN7rocprim17ROCPRIM_400000_NS6detail17trampoline_kernelINS0_14default_configENS1_38merge_sort_block_merge_config_selectorIiiEEZZNS1_27merge_sort_block_merge_implIS3_N6thrust23THRUST_200600_302600_NS6detail15normal_iteratorINS8_10device_ptrIiEEEESD_jNS1_19radix_merge_compareILb0ELb0EiNS0_19identity_decomposerEEEEE10hipError_tT0_T1_T2_jT3_P12ihipStream_tbPNSt15iterator_traitsISI_E10value_typeEPNSO_ISJ_E10value_typeEPSK_NS1_7vsmem_tEENKUlT_SI_SJ_SK_E_clIPiSD_S10_SD_EESH_SX_SI_SJ_SK_EUlSX_E1_NS1_11comp_targetILNS1_3genE3ELNS1_11target_archE908ELNS1_3gpuE7ELNS1_3repE0EEENS1_36merge_oddeven_config_static_selectorELNS0_4arch9wavefront6targetE1EEEvSJ_: ; @_ZN7rocprim17ROCPRIM_400000_NS6detail17trampoline_kernelINS0_14default_configENS1_38merge_sort_block_merge_config_selectorIiiEEZZNS1_27merge_sort_block_merge_implIS3_N6thrust23THRUST_200600_302600_NS6detail15normal_iteratorINS8_10device_ptrIiEEEESD_jNS1_19radix_merge_compareILb0ELb0EiNS0_19identity_decomposerEEEEE10hipError_tT0_T1_T2_jT3_P12ihipStream_tbPNSt15iterator_traitsISI_E10value_typeEPNSO_ISJ_E10value_typeEPSK_NS1_7vsmem_tEENKUlT_SI_SJ_SK_E_clIPiSD_S10_SD_EESH_SX_SI_SJ_SK_EUlSX_E1_NS1_11comp_targetILNS1_3genE3ELNS1_11target_archE908ELNS1_3gpuE7ELNS1_3repE0EEENS1_36merge_oddeven_config_static_selectorELNS0_4arch9wavefront6targetE1EEEvSJ_
; %bb.0:
	.section	.rodata,"a",@progbits
	.p2align	6, 0x0
	.amdhsa_kernel _ZN7rocprim17ROCPRIM_400000_NS6detail17trampoline_kernelINS0_14default_configENS1_38merge_sort_block_merge_config_selectorIiiEEZZNS1_27merge_sort_block_merge_implIS3_N6thrust23THRUST_200600_302600_NS6detail15normal_iteratorINS8_10device_ptrIiEEEESD_jNS1_19radix_merge_compareILb0ELb0EiNS0_19identity_decomposerEEEEE10hipError_tT0_T1_T2_jT3_P12ihipStream_tbPNSt15iterator_traitsISI_E10value_typeEPNSO_ISJ_E10value_typeEPSK_NS1_7vsmem_tEENKUlT_SI_SJ_SK_E_clIPiSD_S10_SD_EESH_SX_SI_SJ_SK_EUlSX_E1_NS1_11comp_targetILNS1_3genE3ELNS1_11target_archE908ELNS1_3gpuE7ELNS1_3repE0EEENS1_36merge_oddeven_config_static_selectorELNS0_4arch9wavefront6targetE1EEEvSJ_
		.amdhsa_group_segment_fixed_size 0
		.amdhsa_private_segment_fixed_size 0
		.amdhsa_kernarg_size 48
		.amdhsa_user_sgpr_count 2
		.amdhsa_user_sgpr_dispatch_ptr 0
		.amdhsa_user_sgpr_queue_ptr 0
		.amdhsa_user_sgpr_kernarg_segment_ptr 1
		.amdhsa_user_sgpr_dispatch_id 0
		.amdhsa_user_sgpr_kernarg_preload_length 0
		.amdhsa_user_sgpr_kernarg_preload_offset 0
		.amdhsa_user_sgpr_private_segment_size 0
		.amdhsa_uses_dynamic_stack 0
		.amdhsa_enable_private_segment 0
		.amdhsa_system_sgpr_workgroup_id_x 1
		.amdhsa_system_sgpr_workgroup_id_y 0
		.amdhsa_system_sgpr_workgroup_id_z 0
		.amdhsa_system_sgpr_workgroup_info 0
		.amdhsa_system_vgpr_workitem_id 0
		.amdhsa_next_free_vgpr 1
		.amdhsa_next_free_sgpr 0
		.amdhsa_accum_offset 4
		.amdhsa_reserve_vcc 0
		.amdhsa_float_round_mode_32 0
		.amdhsa_float_round_mode_16_64 0
		.amdhsa_float_denorm_mode_32 3
		.amdhsa_float_denorm_mode_16_64 3
		.amdhsa_dx10_clamp 1
		.amdhsa_ieee_mode 1
		.amdhsa_fp16_overflow 0
		.amdhsa_tg_split 0
		.amdhsa_exception_fp_ieee_invalid_op 0
		.amdhsa_exception_fp_denorm_src 0
		.amdhsa_exception_fp_ieee_div_zero 0
		.amdhsa_exception_fp_ieee_overflow 0
		.amdhsa_exception_fp_ieee_underflow 0
		.amdhsa_exception_fp_ieee_inexact 0
		.amdhsa_exception_int_div_zero 0
	.end_amdhsa_kernel
	.section	.text._ZN7rocprim17ROCPRIM_400000_NS6detail17trampoline_kernelINS0_14default_configENS1_38merge_sort_block_merge_config_selectorIiiEEZZNS1_27merge_sort_block_merge_implIS3_N6thrust23THRUST_200600_302600_NS6detail15normal_iteratorINS8_10device_ptrIiEEEESD_jNS1_19radix_merge_compareILb0ELb0EiNS0_19identity_decomposerEEEEE10hipError_tT0_T1_T2_jT3_P12ihipStream_tbPNSt15iterator_traitsISI_E10value_typeEPNSO_ISJ_E10value_typeEPSK_NS1_7vsmem_tEENKUlT_SI_SJ_SK_E_clIPiSD_S10_SD_EESH_SX_SI_SJ_SK_EUlSX_E1_NS1_11comp_targetILNS1_3genE3ELNS1_11target_archE908ELNS1_3gpuE7ELNS1_3repE0EEENS1_36merge_oddeven_config_static_selectorELNS0_4arch9wavefront6targetE1EEEvSJ_,"axG",@progbits,_ZN7rocprim17ROCPRIM_400000_NS6detail17trampoline_kernelINS0_14default_configENS1_38merge_sort_block_merge_config_selectorIiiEEZZNS1_27merge_sort_block_merge_implIS3_N6thrust23THRUST_200600_302600_NS6detail15normal_iteratorINS8_10device_ptrIiEEEESD_jNS1_19radix_merge_compareILb0ELb0EiNS0_19identity_decomposerEEEEE10hipError_tT0_T1_T2_jT3_P12ihipStream_tbPNSt15iterator_traitsISI_E10value_typeEPNSO_ISJ_E10value_typeEPSK_NS1_7vsmem_tEENKUlT_SI_SJ_SK_E_clIPiSD_S10_SD_EESH_SX_SI_SJ_SK_EUlSX_E1_NS1_11comp_targetILNS1_3genE3ELNS1_11target_archE908ELNS1_3gpuE7ELNS1_3repE0EEENS1_36merge_oddeven_config_static_selectorELNS0_4arch9wavefront6targetE1EEEvSJ_,comdat
.Lfunc_end728:
	.size	_ZN7rocprim17ROCPRIM_400000_NS6detail17trampoline_kernelINS0_14default_configENS1_38merge_sort_block_merge_config_selectorIiiEEZZNS1_27merge_sort_block_merge_implIS3_N6thrust23THRUST_200600_302600_NS6detail15normal_iteratorINS8_10device_ptrIiEEEESD_jNS1_19radix_merge_compareILb0ELb0EiNS0_19identity_decomposerEEEEE10hipError_tT0_T1_T2_jT3_P12ihipStream_tbPNSt15iterator_traitsISI_E10value_typeEPNSO_ISJ_E10value_typeEPSK_NS1_7vsmem_tEENKUlT_SI_SJ_SK_E_clIPiSD_S10_SD_EESH_SX_SI_SJ_SK_EUlSX_E1_NS1_11comp_targetILNS1_3genE3ELNS1_11target_archE908ELNS1_3gpuE7ELNS1_3repE0EEENS1_36merge_oddeven_config_static_selectorELNS0_4arch9wavefront6targetE1EEEvSJ_, .Lfunc_end728-_ZN7rocprim17ROCPRIM_400000_NS6detail17trampoline_kernelINS0_14default_configENS1_38merge_sort_block_merge_config_selectorIiiEEZZNS1_27merge_sort_block_merge_implIS3_N6thrust23THRUST_200600_302600_NS6detail15normal_iteratorINS8_10device_ptrIiEEEESD_jNS1_19radix_merge_compareILb0ELb0EiNS0_19identity_decomposerEEEEE10hipError_tT0_T1_T2_jT3_P12ihipStream_tbPNSt15iterator_traitsISI_E10value_typeEPNSO_ISJ_E10value_typeEPSK_NS1_7vsmem_tEENKUlT_SI_SJ_SK_E_clIPiSD_S10_SD_EESH_SX_SI_SJ_SK_EUlSX_E1_NS1_11comp_targetILNS1_3genE3ELNS1_11target_archE908ELNS1_3gpuE7ELNS1_3repE0EEENS1_36merge_oddeven_config_static_selectorELNS0_4arch9wavefront6targetE1EEEvSJ_
                                        ; -- End function
	.set _ZN7rocprim17ROCPRIM_400000_NS6detail17trampoline_kernelINS0_14default_configENS1_38merge_sort_block_merge_config_selectorIiiEEZZNS1_27merge_sort_block_merge_implIS3_N6thrust23THRUST_200600_302600_NS6detail15normal_iteratorINS8_10device_ptrIiEEEESD_jNS1_19radix_merge_compareILb0ELb0EiNS0_19identity_decomposerEEEEE10hipError_tT0_T1_T2_jT3_P12ihipStream_tbPNSt15iterator_traitsISI_E10value_typeEPNSO_ISJ_E10value_typeEPSK_NS1_7vsmem_tEENKUlT_SI_SJ_SK_E_clIPiSD_S10_SD_EESH_SX_SI_SJ_SK_EUlSX_E1_NS1_11comp_targetILNS1_3genE3ELNS1_11target_archE908ELNS1_3gpuE7ELNS1_3repE0EEENS1_36merge_oddeven_config_static_selectorELNS0_4arch9wavefront6targetE1EEEvSJ_.num_vgpr, 0
	.set _ZN7rocprim17ROCPRIM_400000_NS6detail17trampoline_kernelINS0_14default_configENS1_38merge_sort_block_merge_config_selectorIiiEEZZNS1_27merge_sort_block_merge_implIS3_N6thrust23THRUST_200600_302600_NS6detail15normal_iteratorINS8_10device_ptrIiEEEESD_jNS1_19radix_merge_compareILb0ELb0EiNS0_19identity_decomposerEEEEE10hipError_tT0_T1_T2_jT3_P12ihipStream_tbPNSt15iterator_traitsISI_E10value_typeEPNSO_ISJ_E10value_typeEPSK_NS1_7vsmem_tEENKUlT_SI_SJ_SK_E_clIPiSD_S10_SD_EESH_SX_SI_SJ_SK_EUlSX_E1_NS1_11comp_targetILNS1_3genE3ELNS1_11target_archE908ELNS1_3gpuE7ELNS1_3repE0EEENS1_36merge_oddeven_config_static_selectorELNS0_4arch9wavefront6targetE1EEEvSJ_.num_agpr, 0
	.set _ZN7rocprim17ROCPRIM_400000_NS6detail17trampoline_kernelINS0_14default_configENS1_38merge_sort_block_merge_config_selectorIiiEEZZNS1_27merge_sort_block_merge_implIS3_N6thrust23THRUST_200600_302600_NS6detail15normal_iteratorINS8_10device_ptrIiEEEESD_jNS1_19radix_merge_compareILb0ELb0EiNS0_19identity_decomposerEEEEE10hipError_tT0_T1_T2_jT3_P12ihipStream_tbPNSt15iterator_traitsISI_E10value_typeEPNSO_ISJ_E10value_typeEPSK_NS1_7vsmem_tEENKUlT_SI_SJ_SK_E_clIPiSD_S10_SD_EESH_SX_SI_SJ_SK_EUlSX_E1_NS1_11comp_targetILNS1_3genE3ELNS1_11target_archE908ELNS1_3gpuE7ELNS1_3repE0EEENS1_36merge_oddeven_config_static_selectorELNS0_4arch9wavefront6targetE1EEEvSJ_.numbered_sgpr, 0
	.set _ZN7rocprim17ROCPRIM_400000_NS6detail17trampoline_kernelINS0_14default_configENS1_38merge_sort_block_merge_config_selectorIiiEEZZNS1_27merge_sort_block_merge_implIS3_N6thrust23THRUST_200600_302600_NS6detail15normal_iteratorINS8_10device_ptrIiEEEESD_jNS1_19radix_merge_compareILb0ELb0EiNS0_19identity_decomposerEEEEE10hipError_tT0_T1_T2_jT3_P12ihipStream_tbPNSt15iterator_traitsISI_E10value_typeEPNSO_ISJ_E10value_typeEPSK_NS1_7vsmem_tEENKUlT_SI_SJ_SK_E_clIPiSD_S10_SD_EESH_SX_SI_SJ_SK_EUlSX_E1_NS1_11comp_targetILNS1_3genE3ELNS1_11target_archE908ELNS1_3gpuE7ELNS1_3repE0EEENS1_36merge_oddeven_config_static_selectorELNS0_4arch9wavefront6targetE1EEEvSJ_.num_named_barrier, 0
	.set _ZN7rocprim17ROCPRIM_400000_NS6detail17trampoline_kernelINS0_14default_configENS1_38merge_sort_block_merge_config_selectorIiiEEZZNS1_27merge_sort_block_merge_implIS3_N6thrust23THRUST_200600_302600_NS6detail15normal_iteratorINS8_10device_ptrIiEEEESD_jNS1_19radix_merge_compareILb0ELb0EiNS0_19identity_decomposerEEEEE10hipError_tT0_T1_T2_jT3_P12ihipStream_tbPNSt15iterator_traitsISI_E10value_typeEPNSO_ISJ_E10value_typeEPSK_NS1_7vsmem_tEENKUlT_SI_SJ_SK_E_clIPiSD_S10_SD_EESH_SX_SI_SJ_SK_EUlSX_E1_NS1_11comp_targetILNS1_3genE3ELNS1_11target_archE908ELNS1_3gpuE7ELNS1_3repE0EEENS1_36merge_oddeven_config_static_selectorELNS0_4arch9wavefront6targetE1EEEvSJ_.private_seg_size, 0
	.set _ZN7rocprim17ROCPRIM_400000_NS6detail17trampoline_kernelINS0_14default_configENS1_38merge_sort_block_merge_config_selectorIiiEEZZNS1_27merge_sort_block_merge_implIS3_N6thrust23THRUST_200600_302600_NS6detail15normal_iteratorINS8_10device_ptrIiEEEESD_jNS1_19radix_merge_compareILb0ELb0EiNS0_19identity_decomposerEEEEE10hipError_tT0_T1_T2_jT3_P12ihipStream_tbPNSt15iterator_traitsISI_E10value_typeEPNSO_ISJ_E10value_typeEPSK_NS1_7vsmem_tEENKUlT_SI_SJ_SK_E_clIPiSD_S10_SD_EESH_SX_SI_SJ_SK_EUlSX_E1_NS1_11comp_targetILNS1_3genE3ELNS1_11target_archE908ELNS1_3gpuE7ELNS1_3repE0EEENS1_36merge_oddeven_config_static_selectorELNS0_4arch9wavefront6targetE1EEEvSJ_.uses_vcc, 0
	.set _ZN7rocprim17ROCPRIM_400000_NS6detail17trampoline_kernelINS0_14default_configENS1_38merge_sort_block_merge_config_selectorIiiEEZZNS1_27merge_sort_block_merge_implIS3_N6thrust23THRUST_200600_302600_NS6detail15normal_iteratorINS8_10device_ptrIiEEEESD_jNS1_19radix_merge_compareILb0ELb0EiNS0_19identity_decomposerEEEEE10hipError_tT0_T1_T2_jT3_P12ihipStream_tbPNSt15iterator_traitsISI_E10value_typeEPNSO_ISJ_E10value_typeEPSK_NS1_7vsmem_tEENKUlT_SI_SJ_SK_E_clIPiSD_S10_SD_EESH_SX_SI_SJ_SK_EUlSX_E1_NS1_11comp_targetILNS1_3genE3ELNS1_11target_archE908ELNS1_3gpuE7ELNS1_3repE0EEENS1_36merge_oddeven_config_static_selectorELNS0_4arch9wavefront6targetE1EEEvSJ_.uses_flat_scratch, 0
	.set _ZN7rocprim17ROCPRIM_400000_NS6detail17trampoline_kernelINS0_14default_configENS1_38merge_sort_block_merge_config_selectorIiiEEZZNS1_27merge_sort_block_merge_implIS3_N6thrust23THRUST_200600_302600_NS6detail15normal_iteratorINS8_10device_ptrIiEEEESD_jNS1_19radix_merge_compareILb0ELb0EiNS0_19identity_decomposerEEEEE10hipError_tT0_T1_T2_jT3_P12ihipStream_tbPNSt15iterator_traitsISI_E10value_typeEPNSO_ISJ_E10value_typeEPSK_NS1_7vsmem_tEENKUlT_SI_SJ_SK_E_clIPiSD_S10_SD_EESH_SX_SI_SJ_SK_EUlSX_E1_NS1_11comp_targetILNS1_3genE3ELNS1_11target_archE908ELNS1_3gpuE7ELNS1_3repE0EEENS1_36merge_oddeven_config_static_selectorELNS0_4arch9wavefront6targetE1EEEvSJ_.has_dyn_sized_stack, 0
	.set _ZN7rocprim17ROCPRIM_400000_NS6detail17trampoline_kernelINS0_14default_configENS1_38merge_sort_block_merge_config_selectorIiiEEZZNS1_27merge_sort_block_merge_implIS3_N6thrust23THRUST_200600_302600_NS6detail15normal_iteratorINS8_10device_ptrIiEEEESD_jNS1_19radix_merge_compareILb0ELb0EiNS0_19identity_decomposerEEEEE10hipError_tT0_T1_T2_jT3_P12ihipStream_tbPNSt15iterator_traitsISI_E10value_typeEPNSO_ISJ_E10value_typeEPSK_NS1_7vsmem_tEENKUlT_SI_SJ_SK_E_clIPiSD_S10_SD_EESH_SX_SI_SJ_SK_EUlSX_E1_NS1_11comp_targetILNS1_3genE3ELNS1_11target_archE908ELNS1_3gpuE7ELNS1_3repE0EEENS1_36merge_oddeven_config_static_selectorELNS0_4arch9wavefront6targetE1EEEvSJ_.has_recursion, 0
	.set _ZN7rocprim17ROCPRIM_400000_NS6detail17trampoline_kernelINS0_14default_configENS1_38merge_sort_block_merge_config_selectorIiiEEZZNS1_27merge_sort_block_merge_implIS3_N6thrust23THRUST_200600_302600_NS6detail15normal_iteratorINS8_10device_ptrIiEEEESD_jNS1_19radix_merge_compareILb0ELb0EiNS0_19identity_decomposerEEEEE10hipError_tT0_T1_T2_jT3_P12ihipStream_tbPNSt15iterator_traitsISI_E10value_typeEPNSO_ISJ_E10value_typeEPSK_NS1_7vsmem_tEENKUlT_SI_SJ_SK_E_clIPiSD_S10_SD_EESH_SX_SI_SJ_SK_EUlSX_E1_NS1_11comp_targetILNS1_3genE3ELNS1_11target_archE908ELNS1_3gpuE7ELNS1_3repE0EEENS1_36merge_oddeven_config_static_selectorELNS0_4arch9wavefront6targetE1EEEvSJ_.has_indirect_call, 0
	.section	.AMDGPU.csdata,"",@progbits
; Kernel info:
; codeLenInByte = 0
; TotalNumSgprs: 6
; NumVgprs: 0
; NumAgprs: 0
; TotalNumVgprs: 0
; ScratchSize: 0
; MemoryBound: 0
; FloatMode: 240
; IeeeMode: 1
; LDSByteSize: 0 bytes/workgroup (compile time only)
; SGPRBlocks: 0
; VGPRBlocks: 0
; NumSGPRsForWavesPerEU: 6
; NumVGPRsForWavesPerEU: 1
; AccumOffset: 4
; Occupancy: 8
; WaveLimiterHint : 0
; COMPUTE_PGM_RSRC2:SCRATCH_EN: 0
; COMPUTE_PGM_RSRC2:USER_SGPR: 2
; COMPUTE_PGM_RSRC2:TRAP_HANDLER: 0
; COMPUTE_PGM_RSRC2:TGID_X_EN: 1
; COMPUTE_PGM_RSRC2:TGID_Y_EN: 0
; COMPUTE_PGM_RSRC2:TGID_Z_EN: 0
; COMPUTE_PGM_RSRC2:TIDIG_COMP_CNT: 0
; COMPUTE_PGM_RSRC3_GFX90A:ACCUM_OFFSET: 0
; COMPUTE_PGM_RSRC3_GFX90A:TG_SPLIT: 0
	.section	.text._ZN7rocprim17ROCPRIM_400000_NS6detail17trampoline_kernelINS0_14default_configENS1_38merge_sort_block_merge_config_selectorIiiEEZZNS1_27merge_sort_block_merge_implIS3_N6thrust23THRUST_200600_302600_NS6detail15normal_iteratorINS8_10device_ptrIiEEEESD_jNS1_19radix_merge_compareILb0ELb0EiNS0_19identity_decomposerEEEEE10hipError_tT0_T1_T2_jT3_P12ihipStream_tbPNSt15iterator_traitsISI_E10value_typeEPNSO_ISJ_E10value_typeEPSK_NS1_7vsmem_tEENKUlT_SI_SJ_SK_E_clIPiSD_S10_SD_EESH_SX_SI_SJ_SK_EUlSX_E1_NS1_11comp_targetILNS1_3genE2ELNS1_11target_archE906ELNS1_3gpuE6ELNS1_3repE0EEENS1_36merge_oddeven_config_static_selectorELNS0_4arch9wavefront6targetE1EEEvSJ_,"axG",@progbits,_ZN7rocprim17ROCPRIM_400000_NS6detail17trampoline_kernelINS0_14default_configENS1_38merge_sort_block_merge_config_selectorIiiEEZZNS1_27merge_sort_block_merge_implIS3_N6thrust23THRUST_200600_302600_NS6detail15normal_iteratorINS8_10device_ptrIiEEEESD_jNS1_19radix_merge_compareILb0ELb0EiNS0_19identity_decomposerEEEEE10hipError_tT0_T1_T2_jT3_P12ihipStream_tbPNSt15iterator_traitsISI_E10value_typeEPNSO_ISJ_E10value_typeEPSK_NS1_7vsmem_tEENKUlT_SI_SJ_SK_E_clIPiSD_S10_SD_EESH_SX_SI_SJ_SK_EUlSX_E1_NS1_11comp_targetILNS1_3genE2ELNS1_11target_archE906ELNS1_3gpuE6ELNS1_3repE0EEENS1_36merge_oddeven_config_static_selectorELNS0_4arch9wavefront6targetE1EEEvSJ_,comdat
	.protected	_ZN7rocprim17ROCPRIM_400000_NS6detail17trampoline_kernelINS0_14default_configENS1_38merge_sort_block_merge_config_selectorIiiEEZZNS1_27merge_sort_block_merge_implIS3_N6thrust23THRUST_200600_302600_NS6detail15normal_iteratorINS8_10device_ptrIiEEEESD_jNS1_19radix_merge_compareILb0ELb0EiNS0_19identity_decomposerEEEEE10hipError_tT0_T1_T2_jT3_P12ihipStream_tbPNSt15iterator_traitsISI_E10value_typeEPNSO_ISJ_E10value_typeEPSK_NS1_7vsmem_tEENKUlT_SI_SJ_SK_E_clIPiSD_S10_SD_EESH_SX_SI_SJ_SK_EUlSX_E1_NS1_11comp_targetILNS1_3genE2ELNS1_11target_archE906ELNS1_3gpuE6ELNS1_3repE0EEENS1_36merge_oddeven_config_static_selectorELNS0_4arch9wavefront6targetE1EEEvSJ_ ; -- Begin function _ZN7rocprim17ROCPRIM_400000_NS6detail17trampoline_kernelINS0_14default_configENS1_38merge_sort_block_merge_config_selectorIiiEEZZNS1_27merge_sort_block_merge_implIS3_N6thrust23THRUST_200600_302600_NS6detail15normal_iteratorINS8_10device_ptrIiEEEESD_jNS1_19radix_merge_compareILb0ELb0EiNS0_19identity_decomposerEEEEE10hipError_tT0_T1_T2_jT3_P12ihipStream_tbPNSt15iterator_traitsISI_E10value_typeEPNSO_ISJ_E10value_typeEPSK_NS1_7vsmem_tEENKUlT_SI_SJ_SK_E_clIPiSD_S10_SD_EESH_SX_SI_SJ_SK_EUlSX_E1_NS1_11comp_targetILNS1_3genE2ELNS1_11target_archE906ELNS1_3gpuE6ELNS1_3repE0EEENS1_36merge_oddeven_config_static_selectorELNS0_4arch9wavefront6targetE1EEEvSJ_
	.globl	_ZN7rocprim17ROCPRIM_400000_NS6detail17trampoline_kernelINS0_14default_configENS1_38merge_sort_block_merge_config_selectorIiiEEZZNS1_27merge_sort_block_merge_implIS3_N6thrust23THRUST_200600_302600_NS6detail15normal_iteratorINS8_10device_ptrIiEEEESD_jNS1_19radix_merge_compareILb0ELb0EiNS0_19identity_decomposerEEEEE10hipError_tT0_T1_T2_jT3_P12ihipStream_tbPNSt15iterator_traitsISI_E10value_typeEPNSO_ISJ_E10value_typeEPSK_NS1_7vsmem_tEENKUlT_SI_SJ_SK_E_clIPiSD_S10_SD_EESH_SX_SI_SJ_SK_EUlSX_E1_NS1_11comp_targetILNS1_3genE2ELNS1_11target_archE906ELNS1_3gpuE6ELNS1_3repE0EEENS1_36merge_oddeven_config_static_selectorELNS0_4arch9wavefront6targetE1EEEvSJ_
	.p2align	8
	.type	_ZN7rocprim17ROCPRIM_400000_NS6detail17trampoline_kernelINS0_14default_configENS1_38merge_sort_block_merge_config_selectorIiiEEZZNS1_27merge_sort_block_merge_implIS3_N6thrust23THRUST_200600_302600_NS6detail15normal_iteratorINS8_10device_ptrIiEEEESD_jNS1_19radix_merge_compareILb0ELb0EiNS0_19identity_decomposerEEEEE10hipError_tT0_T1_T2_jT3_P12ihipStream_tbPNSt15iterator_traitsISI_E10value_typeEPNSO_ISJ_E10value_typeEPSK_NS1_7vsmem_tEENKUlT_SI_SJ_SK_E_clIPiSD_S10_SD_EESH_SX_SI_SJ_SK_EUlSX_E1_NS1_11comp_targetILNS1_3genE2ELNS1_11target_archE906ELNS1_3gpuE6ELNS1_3repE0EEENS1_36merge_oddeven_config_static_selectorELNS0_4arch9wavefront6targetE1EEEvSJ_,@function
_ZN7rocprim17ROCPRIM_400000_NS6detail17trampoline_kernelINS0_14default_configENS1_38merge_sort_block_merge_config_selectorIiiEEZZNS1_27merge_sort_block_merge_implIS3_N6thrust23THRUST_200600_302600_NS6detail15normal_iteratorINS8_10device_ptrIiEEEESD_jNS1_19radix_merge_compareILb0ELb0EiNS0_19identity_decomposerEEEEE10hipError_tT0_T1_T2_jT3_P12ihipStream_tbPNSt15iterator_traitsISI_E10value_typeEPNSO_ISJ_E10value_typeEPSK_NS1_7vsmem_tEENKUlT_SI_SJ_SK_E_clIPiSD_S10_SD_EESH_SX_SI_SJ_SK_EUlSX_E1_NS1_11comp_targetILNS1_3genE2ELNS1_11target_archE906ELNS1_3gpuE6ELNS1_3repE0EEENS1_36merge_oddeven_config_static_selectorELNS0_4arch9wavefront6targetE1EEEvSJ_: ; @_ZN7rocprim17ROCPRIM_400000_NS6detail17trampoline_kernelINS0_14default_configENS1_38merge_sort_block_merge_config_selectorIiiEEZZNS1_27merge_sort_block_merge_implIS3_N6thrust23THRUST_200600_302600_NS6detail15normal_iteratorINS8_10device_ptrIiEEEESD_jNS1_19radix_merge_compareILb0ELb0EiNS0_19identity_decomposerEEEEE10hipError_tT0_T1_T2_jT3_P12ihipStream_tbPNSt15iterator_traitsISI_E10value_typeEPNSO_ISJ_E10value_typeEPSK_NS1_7vsmem_tEENKUlT_SI_SJ_SK_E_clIPiSD_S10_SD_EESH_SX_SI_SJ_SK_EUlSX_E1_NS1_11comp_targetILNS1_3genE2ELNS1_11target_archE906ELNS1_3gpuE6ELNS1_3repE0EEENS1_36merge_oddeven_config_static_selectorELNS0_4arch9wavefront6targetE1EEEvSJ_
; %bb.0:
	.section	.rodata,"a",@progbits
	.p2align	6, 0x0
	.amdhsa_kernel _ZN7rocprim17ROCPRIM_400000_NS6detail17trampoline_kernelINS0_14default_configENS1_38merge_sort_block_merge_config_selectorIiiEEZZNS1_27merge_sort_block_merge_implIS3_N6thrust23THRUST_200600_302600_NS6detail15normal_iteratorINS8_10device_ptrIiEEEESD_jNS1_19radix_merge_compareILb0ELb0EiNS0_19identity_decomposerEEEEE10hipError_tT0_T1_T2_jT3_P12ihipStream_tbPNSt15iterator_traitsISI_E10value_typeEPNSO_ISJ_E10value_typeEPSK_NS1_7vsmem_tEENKUlT_SI_SJ_SK_E_clIPiSD_S10_SD_EESH_SX_SI_SJ_SK_EUlSX_E1_NS1_11comp_targetILNS1_3genE2ELNS1_11target_archE906ELNS1_3gpuE6ELNS1_3repE0EEENS1_36merge_oddeven_config_static_selectorELNS0_4arch9wavefront6targetE1EEEvSJ_
		.amdhsa_group_segment_fixed_size 0
		.amdhsa_private_segment_fixed_size 0
		.amdhsa_kernarg_size 48
		.amdhsa_user_sgpr_count 2
		.amdhsa_user_sgpr_dispatch_ptr 0
		.amdhsa_user_sgpr_queue_ptr 0
		.amdhsa_user_sgpr_kernarg_segment_ptr 1
		.amdhsa_user_sgpr_dispatch_id 0
		.amdhsa_user_sgpr_kernarg_preload_length 0
		.amdhsa_user_sgpr_kernarg_preload_offset 0
		.amdhsa_user_sgpr_private_segment_size 0
		.amdhsa_uses_dynamic_stack 0
		.amdhsa_enable_private_segment 0
		.amdhsa_system_sgpr_workgroup_id_x 1
		.amdhsa_system_sgpr_workgroup_id_y 0
		.amdhsa_system_sgpr_workgroup_id_z 0
		.amdhsa_system_sgpr_workgroup_info 0
		.amdhsa_system_vgpr_workitem_id 0
		.amdhsa_next_free_vgpr 1
		.amdhsa_next_free_sgpr 0
		.amdhsa_accum_offset 4
		.amdhsa_reserve_vcc 0
		.amdhsa_float_round_mode_32 0
		.amdhsa_float_round_mode_16_64 0
		.amdhsa_float_denorm_mode_32 3
		.amdhsa_float_denorm_mode_16_64 3
		.amdhsa_dx10_clamp 1
		.amdhsa_ieee_mode 1
		.amdhsa_fp16_overflow 0
		.amdhsa_tg_split 0
		.amdhsa_exception_fp_ieee_invalid_op 0
		.amdhsa_exception_fp_denorm_src 0
		.amdhsa_exception_fp_ieee_div_zero 0
		.amdhsa_exception_fp_ieee_overflow 0
		.amdhsa_exception_fp_ieee_underflow 0
		.amdhsa_exception_fp_ieee_inexact 0
		.amdhsa_exception_int_div_zero 0
	.end_amdhsa_kernel
	.section	.text._ZN7rocprim17ROCPRIM_400000_NS6detail17trampoline_kernelINS0_14default_configENS1_38merge_sort_block_merge_config_selectorIiiEEZZNS1_27merge_sort_block_merge_implIS3_N6thrust23THRUST_200600_302600_NS6detail15normal_iteratorINS8_10device_ptrIiEEEESD_jNS1_19radix_merge_compareILb0ELb0EiNS0_19identity_decomposerEEEEE10hipError_tT0_T1_T2_jT3_P12ihipStream_tbPNSt15iterator_traitsISI_E10value_typeEPNSO_ISJ_E10value_typeEPSK_NS1_7vsmem_tEENKUlT_SI_SJ_SK_E_clIPiSD_S10_SD_EESH_SX_SI_SJ_SK_EUlSX_E1_NS1_11comp_targetILNS1_3genE2ELNS1_11target_archE906ELNS1_3gpuE6ELNS1_3repE0EEENS1_36merge_oddeven_config_static_selectorELNS0_4arch9wavefront6targetE1EEEvSJ_,"axG",@progbits,_ZN7rocprim17ROCPRIM_400000_NS6detail17trampoline_kernelINS0_14default_configENS1_38merge_sort_block_merge_config_selectorIiiEEZZNS1_27merge_sort_block_merge_implIS3_N6thrust23THRUST_200600_302600_NS6detail15normal_iteratorINS8_10device_ptrIiEEEESD_jNS1_19radix_merge_compareILb0ELb0EiNS0_19identity_decomposerEEEEE10hipError_tT0_T1_T2_jT3_P12ihipStream_tbPNSt15iterator_traitsISI_E10value_typeEPNSO_ISJ_E10value_typeEPSK_NS1_7vsmem_tEENKUlT_SI_SJ_SK_E_clIPiSD_S10_SD_EESH_SX_SI_SJ_SK_EUlSX_E1_NS1_11comp_targetILNS1_3genE2ELNS1_11target_archE906ELNS1_3gpuE6ELNS1_3repE0EEENS1_36merge_oddeven_config_static_selectorELNS0_4arch9wavefront6targetE1EEEvSJ_,comdat
.Lfunc_end729:
	.size	_ZN7rocprim17ROCPRIM_400000_NS6detail17trampoline_kernelINS0_14default_configENS1_38merge_sort_block_merge_config_selectorIiiEEZZNS1_27merge_sort_block_merge_implIS3_N6thrust23THRUST_200600_302600_NS6detail15normal_iteratorINS8_10device_ptrIiEEEESD_jNS1_19radix_merge_compareILb0ELb0EiNS0_19identity_decomposerEEEEE10hipError_tT0_T1_T2_jT3_P12ihipStream_tbPNSt15iterator_traitsISI_E10value_typeEPNSO_ISJ_E10value_typeEPSK_NS1_7vsmem_tEENKUlT_SI_SJ_SK_E_clIPiSD_S10_SD_EESH_SX_SI_SJ_SK_EUlSX_E1_NS1_11comp_targetILNS1_3genE2ELNS1_11target_archE906ELNS1_3gpuE6ELNS1_3repE0EEENS1_36merge_oddeven_config_static_selectorELNS0_4arch9wavefront6targetE1EEEvSJ_, .Lfunc_end729-_ZN7rocprim17ROCPRIM_400000_NS6detail17trampoline_kernelINS0_14default_configENS1_38merge_sort_block_merge_config_selectorIiiEEZZNS1_27merge_sort_block_merge_implIS3_N6thrust23THRUST_200600_302600_NS6detail15normal_iteratorINS8_10device_ptrIiEEEESD_jNS1_19radix_merge_compareILb0ELb0EiNS0_19identity_decomposerEEEEE10hipError_tT0_T1_T2_jT3_P12ihipStream_tbPNSt15iterator_traitsISI_E10value_typeEPNSO_ISJ_E10value_typeEPSK_NS1_7vsmem_tEENKUlT_SI_SJ_SK_E_clIPiSD_S10_SD_EESH_SX_SI_SJ_SK_EUlSX_E1_NS1_11comp_targetILNS1_3genE2ELNS1_11target_archE906ELNS1_3gpuE6ELNS1_3repE0EEENS1_36merge_oddeven_config_static_selectorELNS0_4arch9wavefront6targetE1EEEvSJ_
                                        ; -- End function
	.set _ZN7rocprim17ROCPRIM_400000_NS6detail17trampoline_kernelINS0_14default_configENS1_38merge_sort_block_merge_config_selectorIiiEEZZNS1_27merge_sort_block_merge_implIS3_N6thrust23THRUST_200600_302600_NS6detail15normal_iteratorINS8_10device_ptrIiEEEESD_jNS1_19radix_merge_compareILb0ELb0EiNS0_19identity_decomposerEEEEE10hipError_tT0_T1_T2_jT3_P12ihipStream_tbPNSt15iterator_traitsISI_E10value_typeEPNSO_ISJ_E10value_typeEPSK_NS1_7vsmem_tEENKUlT_SI_SJ_SK_E_clIPiSD_S10_SD_EESH_SX_SI_SJ_SK_EUlSX_E1_NS1_11comp_targetILNS1_3genE2ELNS1_11target_archE906ELNS1_3gpuE6ELNS1_3repE0EEENS1_36merge_oddeven_config_static_selectorELNS0_4arch9wavefront6targetE1EEEvSJ_.num_vgpr, 0
	.set _ZN7rocprim17ROCPRIM_400000_NS6detail17trampoline_kernelINS0_14default_configENS1_38merge_sort_block_merge_config_selectorIiiEEZZNS1_27merge_sort_block_merge_implIS3_N6thrust23THRUST_200600_302600_NS6detail15normal_iteratorINS8_10device_ptrIiEEEESD_jNS1_19radix_merge_compareILb0ELb0EiNS0_19identity_decomposerEEEEE10hipError_tT0_T1_T2_jT3_P12ihipStream_tbPNSt15iterator_traitsISI_E10value_typeEPNSO_ISJ_E10value_typeEPSK_NS1_7vsmem_tEENKUlT_SI_SJ_SK_E_clIPiSD_S10_SD_EESH_SX_SI_SJ_SK_EUlSX_E1_NS1_11comp_targetILNS1_3genE2ELNS1_11target_archE906ELNS1_3gpuE6ELNS1_3repE0EEENS1_36merge_oddeven_config_static_selectorELNS0_4arch9wavefront6targetE1EEEvSJ_.num_agpr, 0
	.set _ZN7rocprim17ROCPRIM_400000_NS6detail17trampoline_kernelINS0_14default_configENS1_38merge_sort_block_merge_config_selectorIiiEEZZNS1_27merge_sort_block_merge_implIS3_N6thrust23THRUST_200600_302600_NS6detail15normal_iteratorINS8_10device_ptrIiEEEESD_jNS1_19radix_merge_compareILb0ELb0EiNS0_19identity_decomposerEEEEE10hipError_tT0_T1_T2_jT3_P12ihipStream_tbPNSt15iterator_traitsISI_E10value_typeEPNSO_ISJ_E10value_typeEPSK_NS1_7vsmem_tEENKUlT_SI_SJ_SK_E_clIPiSD_S10_SD_EESH_SX_SI_SJ_SK_EUlSX_E1_NS1_11comp_targetILNS1_3genE2ELNS1_11target_archE906ELNS1_3gpuE6ELNS1_3repE0EEENS1_36merge_oddeven_config_static_selectorELNS0_4arch9wavefront6targetE1EEEvSJ_.numbered_sgpr, 0
	.set _ZN7rocprim17ROCPRIM_400000_NS6detail17trampoline_kernelINS0_14default_configENS1_38merge_sort_block_merge_config_selectorIiiEEZZNS1_27merge_sort_block_merge_implIS3_N6thrust23THRUST_200600_302600_NS6detail15normal_iteratorINS8_10device_ptrIiEEEESD_jNS1_19radix_merge_compareILb0ELb0EiNS0_19identity_decomposerEEEEE10hipError_tT0_T1_T2_jT3_P12ihipStream_tbPNSt15iterator_traitsISI_E10value_typeEPNSO_ISJ_E10value_typeEPSK_NS1_7vsmem_tEENKUlT_SI_SJ_SK_E_clIPiSD_S10_SD_EESH_SX_SI_SJ_SK_EUlSX_E1_NS1_11comp_targetILNS1_3genE2ELNS1_11target_archE906ELNS1_3gpuE6ELNS1_3repE0EEENS1_36merge_oddeven_config_static_selectorELNS0_4arch9wavefront6targetE1EEEvSJ_.num_named_barrier, 0
	.set _ZN7rocprim17ROCPRIM_400000_NS6detail17trampoline_kernelINS0_14default_configENS1_38merge_sort_block_merge_config_selectorIiiEEZZNS1_27merge_sort_block_merge_implIS3_N6thrust23THRUST_200600_302600_NS6detail15normal_iteratorINS8_10device_ptrIiEEEESD_jNS1_19radix_merge_compareILb0ELb0EiNS0_19identity_decomposerEEEEE10hipError_tT0_T1_T2_jT3_P12ihipStream_tbPNSt15iterator_traitsISI_E10value_typeEPNSO_ISJ_E10value_typeEPSK_NS1_7vsmem_tEENKUlT_SI_SJ_SK_E_clIPiSD_S10_SD_EESH_SX_SI_SJ_SK_EUlSX_E1_NS1_11comp_targetILNS1_3genE2ELNS1_11target_archE906ELNS1_3gpuE6ELNS1_3repE0EEENS1_36merge_oddeven_config_static_selectorELNS0_4arch9wavefront6targetE1EEEvSJ_.private_seg_size, 0
	.set _ZN7rocprim17ROCPRIM_400000_NS6detail17trampoline_kernelINS0_14default_configENS1_38merge_sort_block_merge_config_selectorIiiEEZZNS1_27merge_sort_block_merge_implIS3_N6thrust23THRUST_200600_302600_NS6detail15normal_iteratorINS8_10device_ptrIiEEEESD_jNS1_19radix_merge_compareILb0ELb0EiNS0_19identity_decomposerEEEEE10hipError_tT0_T1_T2_jT3_P12ihipStream_tbPNSt15iterator_traitsISI_E10value_typeEPNSO_ISJ_E10value_typeEPSK_NS1_7vsmem_tEENKUlT_SI_SJ_SK_E_clIPiSD_S10_SD_EESH_SX_SI_SJ_SK_EUlSX_E1_NS1_11comp_targetILNS1_3genE2ELNS1_11target_archE906ELNS1_3gpuE6ELNS1_3repE0EEENS1_36merge_oddeven_config_static_selectorELNS0_4arch9wavefront6targetE1EEEvSJ_.uses_vcc, 0
	.set _ZN7rocprim17ROCPRIM_400000_NS6detail17trampoline_kernelINS0_14default_configENS1_38merge_sort_block_merge_config_selectorIiiEEZZNS1_27merge_sort_block_merge_implIS3_N6thrust23THRUST_200600_302600_NS6detail15normal_iteratorINS8_10device_ptrIiEEEESD_jNS1_19radix_merge_compareILb0ELb0EiNS0_19identity_decomposerEEEEE10hipError_tT0_T1_T2_jT3_P12ihipStream_tbPNSt15iterator_traitsISI_E10value_typeEPNSO_ISJ_E10value_typeEPSK_NS1_7vsmem_tEENKUlT_SI_SJ_SK_E_clIPiSD_S10_SD_EESH_SX_SI_SJ_SK_EUlSX_E1_NS1_11comp_targetILNS1_3genE2ELNS1_11target_archE906ELNS1_3gpuE6ELNS1_3repE0EEENS1_36merge_oddeven_config_static_selectorELNS0_4arch9wavefront6targetE1EEEvSJ_.uses_flat_scratch, 0
	.set _ZN7rocprim17ROCPRIM_400000_NS6detail17trampoline_kernelINS0_14default_configENS1_38merge_sort_block_merge_config_selectorIiiEEZZNS1_27merge_sort_block_merge_implIS3_N6thrust23THRUST_200600_302600_NS6detail15normal_iteratorINS8_10device_ptrIiEEEESD_jNS1_19radix_merge_compareILb0ELb0EiNS0_19identity_decomposerEEEEE10hipError_tT0_T1_T2_jT3_P12ihipStream_tbPNSt15iterator_traitsISI_E10value_typeEPNSO_ISJ_E10value_typeEPSK_NS1_7vsmem_tEENKUlT_SI_SJ_SK_E_clIPiSD_S10_SD_EESH_SX_SI_SJ_SK_EUlSX_E1_NS1_11comp_targetILNS1_3genE2ELNS1_11target_archE906ELNS1_3gpuE6ELNS1_3repE0EEENS1_36merge_oddeven_config_static_selectorELNS0_4arch9wavefront6targetE1EEEvSJ_.has_dyn_sized_stack, 0
	.set _ZN7rocprim17ROCPRIM_400000_NS6detail17trampoline_kernelINS0_14default_configENS1_38merge_sort_block_merge_config_selectorIiiEEZZNS1_27merge_sort_block_merge_implIS3_N6thrust23THRUST_200600_302600_NS6detail15normal_iteratorINS8_10device_ptrIiEEEESD_jNS1_19radix_merge_compareILb0ELb0EiNS0_19identity_decomposerEEEEE10hipError_tT0_T1_T2_jT3_P12ihipStream_tbPNSt15iterator_traitsISI_E10value_typeEPNSO_ISJ_E10value_typeEPSK_NS1_7vsmem_tEENKUlT_SI_SJ_SK_E_clIPiSD_S10_SD_EESH_SX_SI_SJ_SK_EUlSX_E1_NS1_11comp_targetILNS1_3genE2ELNS1_11target_archE906ELNS1_3gpuE6ELNS1_3repE0EEENS1_36merge_oddeven_config_static_selectorELNS0_4arch9wavefront6targetE1EEEvSJ_.has_recursion, 0
	.set _ZN7rocprim17ROCPRIM_400000_NS6detail17trampoline_kernelINS0_14default_configENS1_38merge_sort_block_merge_config_selectorIiiEEZZNS1_27merge_sort_block_merge_implIS3_N6thrust23THRUST_200600_302600_NS6detail15normal_iteratorINS8_10device_ptrIiEEEESD_jNS1_19radix_merge_compareILb0ELb0EiNS0_19identity_decomposerEEEEE10hipError_tT0_T1_T2_jT3_P12ihipStream_tbPNSt15iterator_traitsISI_E10value_typeEPNSO_ISJ_E10value_typeEPSK_NS1_7vsmem_tEENKUlT_SI_SJ_SK_E_clIPiSD_S10_SD_EESH_SX_SI_SJ_SK_EUlSX_E1_NS1_11comp_targetILNS1_3genE2ELNS1_11target_archE906ELNS1_3gpuE6ELNS1_3repE0EEENS1_36merge_oddeven_config_static_selectorELNS0_4arch9wavefront6targetE1EEEvSJ_.has_indirect_call, 0
	.section	.AMDGPU.csdata,"",@progbits
; Kernel info:
; codeLenInByte = 0
; TotalNumSgprs: 6
; NumVgprs: 0
; NumAgprs: 0
; TotalNumVgprs: 0
; ScratchSize: 0
; MemoryBound: 0
; FloatMode: 240
; IeeeMode: 1
; LDSByteSize: 0 bytes/workgroup (compile time only)
; SGPRBlocks: 0
; VGPRBlocks: 0
; NumSGPRsForWavesPerEU: 6
; NumVGPRsForWavesPerEU: 1
; AccumOffset: 4
; Occupancy: 8
; WaveLimiterHint : 0
; COMPUTE_PGM_RSRC2:SCRATCH_EN: 0
; COMPUTE_PGM_RSRC2:USER_SGPR: 2
; COMPUTE_PGM_RSRC2:TRAP_HANDLER: 0
; COMPUTE_PGM_RSRC2:TGID_X_EN: 1
; COMPUTE_PGM_RSRC2:TGID_Y_EN: 0
; COMPUTE_PGM_RSRC2:TGID_Z_EN: 0
; COMPUTE_PGM_RSRC2:TIDIG_COMP_CNT: 0
; COMPUTE_PGM_RSRC3_GFX90A:ACCUM_OFFSET: 0
; COMPUTE_PGM_RSRC3_GFX90A:TG_SPLIT: 0
	.section	.text._ZN7rocprim17ROCPRIM_400000_NS6detail17trampoline_kernelINS0_14default_configENS1_38merge_sort_block_merge_config_selectorIiiEEZZNS1_27merge_sort_block_merge_implIS3_N6thrust23THRUST_200600_302600_NS6detail15normal_iteratorINS8_10device_ptrIiEEEESD_jNS1_19radix_merge_compareILb0ELb0EiNS0_19identity_decomposerEEEEE10hipError_tT0_T1_T2_jT3_P12ihipStream_tbPNSt15iterator_traitsISI_E10value_typeEPNSO_ISJ_E10value_typeEPSK_NS1_7vsmem_tEENKUlT_SI_SJ_SK_E_clIPiSD_S10_SD_EESH_SX_SI_SJ_SK_EUlSX_E1_NS1_11comp_targetILNS1_3genE9ELNS1_11target_archE1100ELNS1_3gpuE3ELNS1_3repE0EEENS1_36merge_oddeven_config_static_selectorELNS0_4arch9wavefront6targetE1EEEvSJ_,"axG",@progbits,_ZN7rocprim17ROCPRIM_400000_NS6detail17trampoline_kernelINS0_14default_configENS1_38merge_sort_block_merge_config_selectorIiiEEZZNS1_27merge_sort_block_merge_implIS3_N6thrust23THRUST_200600_302600_NS6detail15normal_iteratorINS8_10device_ptrIiEEEESD_jNS1_19radix_merge_compareILb0ELb0EiNS0_19identity_decomposerEEEEE10hipError_tT0_T1_T2_jT3_P12ihipStream_tbPNSt15iterator_traitsISI_E10value_typeEPNSO_ISJ_E10value_typeEPSK_NS1_7vsmem_tEENKUlT_SI_SJ_SK_E_clIPiSD_S10_SD_EESH_SX_SI_SJ_SK_EUlSX_E1_NS1_11comp_targetILNS1_3genE9ELNS1_11target_archE1100ELNS1_3gpuE3ELNS1_3repE0EEENS1_36merge_oddeven_config_static_selectorELNS0_4arch9wavefront6targetE1EEEvSJ_,comdat
	.protected	_ZN7rocprim17ROCPRIM_400000_NS6detail17trampoline_kernelINS0_14default_configENS1_38merge_sort_block_merge_config_selectorIiiEEZZNS1_27merge_sort_block_merge_implIS3_N6thrust23THRUST_200600_302600_NS6detail15normal_iteratorINS8_10device_ptrIiEEEESD_jNS1_19radix_merge_compareILb0ELb0EiNS0_19identity_decomposerEEEEE10hipError_tT0_T1_T2_jT3_P12ihipStream_tbPNSt15iterator_traitsISI_E10value_typeEPNSO_ISJ_E10value_typeEPSK_NS1_7vsmem_tEENKUlT_SI_SJ_SK_E_clIPiSD_S10_SD_EESH_SX_SI_SJ_SK_EUlSX_E1_NS1_11comp_targetILNS1_3genE9ELNS1_11target_archE1100ELNS1_3gpuE3ELNS1_3repE0EEENS1_36merge_oddeven_config_static_selectorELNS0_4arch9wavefront6targetE1EEEvSJ_ ; -- Begin function _ZN7rocprim17ROCPRIM_400000_NS6detail17trampoline_kernelINS0_14default_configENS1_38merge_sort_block_merge_config_selectorIiiEEZZNS1_27merge_sort_block_merge_implIS3_N6thrust23THRUST_200600_302600_NS6detail15normal_iteratorINS8_10device_ptrIiEEEESD_jNS1_19radix_merge_compareILb0ELb0EiNS0_19identity_decomposerEEEEE10hipError_tT0_T1_T2_jT3_P12ihipStream_tbPNSt15iterator_traitsISI_E10value_typeEPNSO_ISJ_E10value_typeEPSK_NS1_7vsmem_tEENKUlT_SI_SJ_SK_E_clIPiSD_S10_SD_EESH_SX_SI_SJ_SK_EUlSX_E1_NS1_11comp_targetILNS1_3genE9ELNS1_11target_archE1100ELNS1_3gpuE3ELNS1_3repE0EEENS1_36merge_oddeven_config_static_selectorELNS0_4arch9wavefront6targetE1EEEvSJ_
	.globl	_ZN7rocprim17ROCPRIM_400000_NS6detail17trampoline_kernelINS0_14default_configENS1_38merge_sort_block_merge_config_selectorIiiEEZZNS1_27merge_sort_block_merge_implIS3_N6thrust23THRUST_200600_302600_NS6detail15normal_iteratorINS8_10device_ptrIiEEEESD_jNS1_19radix_merge_compareILb0ELb0EiNS0_19identity_decomposerEEEEE10hipError_tT0_T1_T2_jT3_P12ihipStream_tbPNSt15iterator_traitsISI_E10value_typeEPNSO_ISJ_E10value_typeEPSK_NS1_7vsmem_tEENKUlT_SI_SJ_SK_E_clIPiSD_S10_SD_EESH_SX_SI_SJ_SK_EUlSX_E1_NS1_11comp_targetILNS1_3genE9ELNS1_11target_archE1100ELNS1_3gpuE3ELNS1_3repE0EEENS1_36merge_oddeven_config_static_selectorELNS0_4arch9wavefront6targetE1EEEvSJ_
	.p2align	8
	.type	_ZN7rocprim17ROCPRIM_400000_NS6detail17trampoline_kernelINS0_14default_configENS1_38merge_sort_block_merge_config_selectorIiiEEZZNS1_27merge_sort_block_merge_implIS3_N6thrust23THRUST_200600_302600_NS6detail15normal_iteratorINS8_10device_ptrIiEEEESD_jNS1_19radix_merge_compareILb0ELb0EiNS0_19identity_decomposerEEEEE10hipError_tT0_T1_T2_jT3_P12ihipStream_tbPNSt15iterator_traitsISI_E10value_typeEPNSO_ISJ_E10value_typeEPSK_NS1_7vsmem_tEENKUlT_SI_SJ_SK_E_clIPiSD_S10_SD_EESH_SX_SI_SJ_SK_EUlSX_E1_NS1_11comp_targetILNS1_3genE9ELNS1_11target_archE1100ELNS1_3gpuE3ELNS1_3repE0EEENS1_36merge_oddeven_config_static_selectorELNS0_4arch9wavefront6targetE1EEEvSJ_,@function
_ZN7rocprim17ROCPRIM_400000_NS6detail17trampoline_kernelINS0_14default_configENS1_38merge_sort_block_merge_config_selectorIiiEEZZNS1_27merge_sort_block_merge_implIS3_N6thrust23THRUST_200600_302600_NS6detail15normal_iteratorINS8_10device_ptrIiEEEESD_jNS1_19radix_merge_compareILb0ELb0EiNS0_19identity_decomposerEEEEE10hipError_tT0_T1_T2_jT3_P12ihipStream_tbPNSt15iterator_traitsISI_E10value_typeEPNSO_ISJ_E10value_typeEPSK_NS1_7vsmem_tEENKUlT_SI_SJ_SK_E_clIPiSD_S10_SD_EESH_SX_SI_SJ_SK_EUlSX_E1_NS1_11comp_targetILNS1_3genE9ELNS1_11target_archE1100ELNS1_3gpuE3ELNS1_3repE0EEENS1_36merge_oddeven_config_static_selectorELNS0_4arch9wavefront6targetE1EEEvSJ_: ; @_ZN7rocprim17ROCPRIM_400000_NS6detail17trampoline_kernelINS0_14default_configENS1_38merge_sort_block_merge_config_selectorIiiEEZZNS1_27merge_sort_block_merge_implIS3_N6thrust23THRUST_200600_302600_NS6detail15normal_iteratorINS8_10device_ptrIiEEEESD_jNS1_19radix_merge_compareILb0ELb0EiNS0_19identity_decomposerEEEEE10hipError_tT0_T1_T2_jT3_P12ihipStream_tbPNSt15iterator_traitsISI_E10value_typeEPNSO_ISJ_E10value_typeEPSK_NS1_7vsmem_tEENKUlT_SI_SJ_SK_E_clIPiSD_S10_SD_EESH_SX_SI_SJ_SK_EUlSX_E1_NS1_11comp_targetILNS1_3genE9ELNS1_11target_archE1100ELNS1_3gpuE3ELNS1_3repE0EEENS1_36merge_oddeven_config_static_selectorELNS0_4arch9wavefront6targetE1EEEvSJ_
; %bb.0:
	.section	.rodata,"a",@progbits
	.p2align	6, 0x0
	.amdhsa_kernel _ZN7rocprim17ROCPRIM_400000_NS6detail17trampoline_kernelINS0_14default_configENS1_38merge_sort_block_merge_config_selectorIiiEEZZNS1_27merge_sort_block_merge_implIS3_N6thrust23THRUST_200600_302600_NS6detail15normal_iteratorINS8_10device_ptrIiEEEESD_jNS1_19radix_merge_compareILb0ELb0EiNS0_19identity_decomposerEEEEE10hipError_tT0_T1_T2_jT3_P12ihipStream_tbPNSt15iterator_traitsISI_E10value_typeEPNSO_ISJ_E10value_typeEPSK_NS1_7vsmem_tEENKUlT_SI_SJ_SK_E_clIPiSD_S10_SD_EESH_SX_SI_SJ_SK_EUlSX_E1_NS1_11comp_targetILNS1_3genE9ELNS1_11target_archE1100ELNS1_3gpuE3ELNS1_3repE0EEENS1_36merge_oddeven_config_static_selectorELNS0_4arch9wavefront6targetE1EEEvSJ_
		.amdhsa_group_segment_fixed_size 0
		.amdhsa_private_segment_fixed_size 0
		.amdhsa_kernarg_size 48
		.amdhsa_user_sgpr_count 2
		.amdhsa_user_sgpr_dispatch_ptr 0
		.amdhsa_user_sgpr_queue_ptr 0
		.amdhsa_user_sgpr_kernarg_segment_ptr 1
		.amdhsa_user_sgpr_dispatch_id 0
		.amdhsa_user_sgpr_kernarg_preload_length 0
		.amdhsa_user_sgpr_kernarg_preload_offset 0
		.amdhsa_user_sgpr_private_segment_size 0
		.amdhsa_uses_dynamic_stack 0
		.amdhsa_enable_private_segment 0
		.amdhsa_system_sgpr_workgroup_id_x 1
		.amdhsa_system_sgpr_workgroup_id_y 0
		.amdhsa_system_sgpr_workgroup_id_z 0
		.amdhsa_system_sgpr_workgroup_info 0
		.amdhsa_system_vgpr_workitem_id 0
		.amdhsa_next_free_vgpr 1
		.amdhsa_next_free_sgpr 0
		.amdhsa_accum_offset 4
		.amdhsa_reserve_vcc 0
		.amdhsa_float_round_mode_32 0
		.amdhsa_float_round_mode_16_64 0
		.amdhsa_float_denorm_mode_32 3
		.amdhsa_float_denorm_mode_16_64 3
		.amdhsa_dx10_clamp 1
		.amdhsa_ieee_mode 1
		.amdhsa_fp16_overflow 0
		.amdhsa_tg_split 0
		.amdhsa_exception_fp_ieee_invalid_op 0
		.amdhsa_exception_fp_denorm_src 0
		.amdhsa_exception_fp_ieee_div_zero 0
		.amdhsa_exception_fp_ieee_overflow 0
		.amdhsa_exception_fp_ieee_underflow 0
		.amdhsa_exception_fp_ieee_inexact 0
		.amdhsa_exception_int_div_zero 0
	.end_amdhsa_kernel
	.section	.text._ZN7rocprim17ROCPRIM_400000_NS6detail17trampoline_kernelINS0_14default_configENS1_38merge_sort_block_merge_config_selectorIiiEEZZNS1_27merge_sort_block_merge_implIS3_N6thrust23THRUST_200600_302600_NS6detail15normal_iteratorINS8_10device_ptrIiEEEESD_jNS1_19radix_merge_compareILb0ELb0EiNS0_19identity_decomposerEEEEE10hipError_tT0_T1_T2_jT3_P12ihipStream_tbPNSt15iterator_traitsISI_E10value_typeEPNSO_ISJ_E10value_typeEPSK_NS1_7vsmem_tEENKUlT_SI_SJ_SK_E_clIPiSD_S10_SD_EESH_SX_SI_SJ_SK_EUlSX_E1_NS1_11comp_targetILNS1_3genE9ELNS1_11target_archE1100ELNS1_3gpuE3ELNS1_3repE0EEENS1_36merge_oddeven_config_static_selectorELNS0_4arch9wavefront6targetE1EEEvSJ_,"axG",@progbits,_ZN7rocprim17ROCPRIM_400000_NS6detail17trampoline_kernelINS0_14default_configENS1_38merge_sort_block_merge_config_selectorIiiEEZZNS1_27merge_sort_block_merge_implIS3_N6thrust23THRUST_200600_302600_NS6detail15normal_iteratorINS8_10device_ptrIiEEEESD_jNS1_19radix_merge_compareILb0ELb0EiNS0_19identity_decomposerEEEEE10hipError_tT0_T1_T2_jT3_P12ihipStream_tbPNSt15iterator_traitsISI_E10value_typeEPNSO_ISJ_E10value_typeEPSK_NS1_7vsmem_tEENKUlT_SI_SJ_SK_E_clIPiSD_S10_SD_EESH_SX_SI_SJ_SK_EUlSX_E1_NS1_11comp_targetILNS1_3genE9ELNS1_11target_archE1100ELNS1_3gpuE3ELNS1_3repE0EEENS1_36merge_oddeven_config_static_selectorELNS0_4arch9wavefront6targetE1EEEvSJ_,comdat
.Lfunc_end730:
	.size	_ZN7rocprim17ROCPRIM_400000_NS6detail17trampoline_kernelINS0_14default_configENS1_38merge_sort_block_merge_config_selectorIiiEEZZNS1_27merge_sort_block_merge_implIS3_N6thrust23THRUST_200600_302600_NS6detail15normal_iteratorINS8_10device_ptrIiEEEESD_jNS1_19radix_merge_compareILb0ELb0EiNS0_19identity_decomposerEEEEE10hipError_tT0_T1_T2_jT3_P12ihipStream_tbPNSt15iterator_traitsISI_E10value_typeEPNSO_ISJ_E10value_typeEPSK_NS1_7vsmem_tEENKUlT_SI_SJ_SK_E_clIPiSD_S10_SD_EESH_SX_SI_SJ_SK_EUlSX_E1_NS1_11comp_targetILNS1_3genE9ELNS1_11target_archE1100ELNS1_3gpuE3ELNS1_3repE0EEENS1_36merge_oddeven_config_static_selectorELNS0_4arch9wavefront6targetE1EEEvSJ_, .Lfunc_end730-_ZN7rocprim17ROCPRIM_400000_NS6detail17trampoline_kernelINS0_14default_configENS1_38merge_sort_block_merge_config_selectorIiiEEZZNS1_27merge_sort_block_merge_implIS3_N6thrust23THRUST_200600_302600_NS6detail15normal_iteratorINS8_10device_ptrIiEEEESD_jNS1_19radix_merge_compareILb0ELb0EiNS0_19identity_decomposerEEEEE10hipError_tT0_T1_T2_jT3_P12ihipStream_tbPNSt15iterator_traitsISI_E10value_typeEPNSO_ISJ_E10value_typeEPSK_NS1_7vsmem_tEENKUlT_SI_SJ_SK_E_clIPiSD_S10_SD_EESH_SX_SI_SJ_SK_EUlSX_E1_NS1_11comp_targetILNS1_3genE9ELNS1_11target_archE1100ELNS1_3gpuE3ELNS1_3repE0EEENS1_36merge_oddeven_config_static_selectorELNS0_4arch9wavefront6targetE1EEEvSJ_
                                        ; -- End function
	.set _ZN7rocprim17ROCPRIM_400000_NS6detail17trampoline_kernelINS0_14default_configENS1_38merge_sort_block_merge_config_selectorIiiEEZZNS1_27merge_sort_block_merge_implIS3_N6thrust23THRUST_200600_302600_NS6detail15normal_iteratorINS8_10device_ptrIiEEEESD_jNS1_19radix_merge_compareILb0ELb0EiNS0_19identity_decomposerEEEEE10hipError_tT0_T1_T2_jT3_P12ihipStream_tbPNSt15iterator_traitsISI_E10value_typeEPNSO_ISJ_E10value_typeEPSK_NS1_7vsmem_tEENKUlT_SI_SJ_SK_E_clIPiSD_S10_SD_EESH_SX_SI_SJ_SK_EUlSX_E1_NS1_11comp_targetILNS1_3genE9ELNS1_11target_archE1100ELNS1_3gpuE3ELNS1_3repE0EEENS1_36merge_oddeven_config_static_selectorELNS0_4arch9wavefront6targetE1EEEvSJ_.num_vgpr, 0
	.set _ZN7rocprim17ROCPRIM_400000_NS6detail17trampoline_kernelINS0_14default_configENS1_38merge_sort_block_merge_config_selectorIiiEEZZNS1_27merge_sort_block_merge_implIS3_N6thrust23THRUST_200600_302600_NS6detail15normal_iteratorINS8_10device_ptrIiEEEESD_jNS1_19radix_merge_compareILb0ELb0EiNS0_19identity_decomposerEEEEE10hipError_tT0_T1_T2_jT3_P12ihipStream_tbPNSt15iterator_traitsISI_E10value_typeEPNSO_ISJ_E10value_typeEPSK_NS1_7vsmem_tEENKUlT_SI_SJ_SK_E_clIPiSD_S10_SD_EESH_SX_SI_SJ_SK_EUlSX_E1_NS1_11comp_targetILNS1_3genE9ELNS1_11target_archE1100ELNS1_3gpuE3ELNS1_3repE0EEENS1_36merge_oddeven_config_static_selectorELNS0_4arch9wavefront6targetE1EEEvSJ_.num_agpr, 0
	.set _ZN7rocprim17ROCPRIM_400000_NS6detail17trampoline_kernelINS0_14default_configENS1_38merge_sort_block_merge_config_selectorIiiEEZZNS1_27merge_sort_block_merge_implIS3_N6thrust23THRUST_200600_302600_NS6detail15normal_iteratorINS8_10device_ptrIiEEEESD_jNS1_19radix_merge_compareILb0ELb0EiNS0_19identity_decomposerEEEEE10hipError_tT0_T1_T2_jT3_P12ihipStream_tbPNSt15iterator_traitsISI_E10value_typeEPNSO_ISJ_E10value_typeEPSK_NS1_7vsmem_tEENKUlT_SI_SJ_SK_E_clIPiSD_S10_SD_EESH_SX_SI_SJ_SK_EUlSX_E1_NS1_11comp_targetILNS1_3genE9ELNS1_11target_archE1100ELNS1_3gpuE3ELNS1_3repE0EEENS1_36merge_oddeven_config_static_selectorELNS0_4arch9wavefront6targetE1EEEvSJ_.numbered_sgpr, 0
	.set _ZN7rocprim17ROCPRIM_400000_NS6detail17trampoline_kernelINS0_14default_configENS1_38merge_sort_block_merge_config_selectorIiiEEZZNS1_27merge_sort_block_merge_implIS3_N6thrust23THRUST_200600_302600_NS6detail15normal_iteratorINS8_10device_ptrIiEEEESD_jNS1_19radix_merge_compareILb0ELb0EiNS0_19identity_decomposerEEEEE10hipError_tT0_T1_T2_jT3_P12ihipStream_tbPNSt15iterator_traitsISI_E10value_typeEPNSO_ISJ_E10value_typeEPSK_NS1_7vsmem_tEENKUlT_SI_SJ_SK_E_clIPiSD_S10_SD_EESH_SX_SI_SJ_SK_EUlSX_E1_NS1_11comp_targetILNS1_3genE9ELNS1_11target_archE1100ELNS1_3gpuE3ELNS1_3repE0EEENS1_36merge_oddeven_config_static_selectorELNS0_4arch9wavefront6targetE1EEEvSJ_.num_named_barrier, 0
	.set _ZN7rocprim17ROCPRIM_400000_NS6detail17trampoline_kernelINS0_14default_configENS1_38merge_sort_block_merge_config_selectorIiiEEZZNS1_27merge_sort_block_merge_implIS3_N6thrust23THRUST_200600_302600_NS6detail15normal_iteratorINS8_10device_ptrIiEEEESD_jNS1_19radix_merge_compareILb0ELb0EiNS0_19identity_decomposerEEEEE10hipError_tT0_T1_T2_jT3_P12ihipStream_tbPNSt15iterator_traitsISI_E10value_typeEPNSO_ISJ_E10value_typeEPSK_NS1_7vsmem_tEENKUlT_SI_SJ_SK_E_clIPiSD_S10_SD_EESH_SX_SI_SJ_SK_EUlSX_E1_NS1_11comp_targetILNS1_3genE9ELNS1_11target_archE1100ELNS1_3gpuE3ELNS1_3repE0EEENS1_36merge_oddeven_config_static_selectorELNS0_4arch9wavefront6targetE1EEEvSJ_.private_seg_size, 0
	.set _ZN7rocprim17ROCPRIM_400000_NS6detail17trampoline_kernelINS0_14default_configENS1_38merge_sort_block_merge_config_selectorIiiEEZZNS1_27merge_sort_block_merge_implIS3_N6thrust23THRUST_200600_302600_NS6detail15normal_iteratorINS8_10device_ptrIiEEEESD_jNS1_19radix_merge_compareILb0ELb0EiNS0_19identity_decomposerEEEEE10hipError_tT0_T1_T2_jT3_P12ihipStream_tbPNSt15iterator_traitsISI_E10value_typeEPNSO_ISJ_E10value_typeEPSK_NS1_7vsmem_tEENKUlT_SI_SJ_SK_E_clIPiSD_S10_SD_EESH_SX_SI_SJ_SK_EUlSX_E1_NS1_11comp_targetILNS1_3genE9ELNS1_11target_archE1100ELNS1_3gpuE3ELNS1_3repE0EEENS1_36merge_oddeven_config_static_selectorELNS0_4arch9wavefront6targetE1EEEvSJ_.uses_vcc, 0
	.set _ZN7rocprim17ROCPRIM_400000_NS6detail17trampoline_kernelINS0_14default_configENS1_38merge_sort_block_merge_config_selectorIiiEEZZNS1_27merge_sort_block_merge_implIS3_N6thrust23THRUST_200600_302600_NS6detail15normal_iteratorINS8_10device_ptrIiEEEESD_jNS1_19radix_merge_compareILb0ELb0EiNS0_19identity_decomposerEEEEE10hipError_tT0_T1_T2_jT3_P12ihipStream_tbPNSt15iterator_traitsISI_E10value_typeEPNSO_ISJ_E10value_typeEPSK_NS1_7vsmem_tEENKUlT_SI_SJ_SK_E_clIPiSD_S10_SD_EESH_SX_SI_SJ_SK_EUlSX_E1_NS1_11comp_targetILNS1_3genE9ELNS1_11target_archE1100ELNS1_3gpuE3ELNS1_3repE0EEENS1_36merge_oddeven_config_static_selectorELNS0_4arch9wavefront6targetE1EEEvSJ_.uses_flat_scratch, 0
	.set _ZN7rocprim17ROCPRIM_400000_NS6detail17trampoline_kernelINS0_14default_configENS1_38merge_sort_block_merge_config_selectorIiiEEZZNS1_27merge_sort_block_merge_implIS3_N6thrust23THRUST_200600_302600_NS6detail15normal_iteratorINS8_10device_ptrIiEEEESD_jNS1_19radix_merge_compareILb0ELb0EiNS0_19identity_decomposerEEEEE10hipError_tT0_T1_T2_jT3_P12ihipStream_tbPNSt15iterator_traitsISI_E10value_typeEPNSO_ISJ_E10value_typeEPSK_NS1_7vsmem_tEENKUlT_SI_SJ_SK_E_clIPiSD_S10_SD_EESH_SX_SI_SJ_SK_EUlSX_E1_NS1_11comp_targetILNS1_3genE9ELNS1_11target_archE1100ELNS1_3gpuE3ELNS1_3repE0EEENS1_36merge_oddeven_config_static_selectorELNS0_4arch9wavefront6targetE1EEEvSJ_.has_dyn_sized_stack, 0
	.set _ZN7rocprim17ROCPRIM_400000_NS6detail17trampoline_kernelINS0_14default_configENS1_38merge_sort_block_merge_config_selectorIiiEEZZNS1_27merge_sort_block_merge_implIS3_N6thrust23THRUST_200600_302600_NS6detail15normal_iteratorINS8_10device_ptrIiEEEESD_jNS1_19radix_merge_compareILb0ELb0EiNS0_19identity_decomposerEEEEE10hipError_tT0_T1_T2_jT3_P12ihipStream_tbPNSt15iterator_traitsISI_E10value_typeEPNSO_ISJ_E10value_typeEPSK_NS1_7vsmem_tEENKUlT_SI_SJ_SK_E_clIPiSD_S10_SD_EESH_SX_SI_SJ_SK_EUlSX_E1_NS1_11comp_targetILNS1_3genE9ELNS1_11target_archE1100ELNS1_3gpuE3ELNS1_3repE0EEENS1_36merge_oddeven_config_static_selectorELNS0_4arch9wavefront6targetE1EEEvSJ_.has_recursion, 0
	.set _ZN7rocprim17ROCPRIM_400000_NS6detail17trampoline_kernelINS0_14default_configENS1_38merge_sort_block_merge_config_selectorIiiEEZZNS1_27merge_sort_block_merge_implIS3_N6thrust23THRUST_200600_302600_NS6detail15normal_iteratorINS8_10device_ptrIiEEEESD_jNS1_19radix_merge_compareILb0ELb0EiNS0_19identity_decomposerEEEEE10hipError_tT0_T1_T2_jT3_P12ihipStream_tbPNSt15iterator_traitsISI_E10value_typeEPNSO_ISJ_E10value_typeEPSK_NS1_7vsmem_tEENKUlT_SI_SJ_SK_E_clIPiSD_S10_SD_EESH_SX_SI_SJ_SK_EUlSX_E1_NS1_11comp_targetILNS1_3genE9ELNS1_11target_archE1100ELNS1_3gpuE3ELNS1_3repE0EEENS1_36merge_oddeven_config_static_selectorELNS0_4arch9wavefront6targetE1EEEvSJ_.has_indirect_call, 0
	.section	.AMDGPU.csdata,"",@progbits
; Kernel info:
; codeLenInByte = 0
; TotalNumSgprs: 6
; NumVgprs: 0
; NumAgprs: 0
; TotalNumVgprs: 0
; ScratchSize: 0
; MemoryBound: 0
; FloatMode: 240
; IeeeMode: 1
; LDSByteSize: 0 bytes/workgroup (compile time only)
; SGPRBlocks: 0
; VGPRBlocks: 0
; NumSGPRsForWavesPerEU: 6
; NumVGPRsForWavesPerEU: 1
; AccumOffset: 4
; Occupancy: 8
; WaveLimiterHint : 0
; COMPUTE_PGM_RSRC2:SCRATCH_EN: 0
; COMPUTE_PGM_RSRC2:USER_SGPR: 2
; COMPUTE_PGM_RSRC2:TRAP_HANDLER: 0
; COMPUTE_PGM_RSRC2:TGID_X_EN: 1
; COMPUTE_PGM_RSRC2:TGID_Y_EN: 0
; COMPUTE_PGM_RSRC2:TGID_Z_EN: 0
; COMPUTE_PGM_RSRC2:TIDIG_COMP_CNT: 0
; COMPUTE_PGM_RSRC3_GFX90A:ACCUM_OFFSET: 0
; COMPUTE_PGM_RSRC3_GFX90A:TG_SPLIT: 0
	.section	.text._ZN7rocprim17ROCPRIM_400000_NS6detail17trampoline_kernelINS0_14default_configENS1_38merge_sort_block_merge_config_selectorIiiEEZZNS1_27merge_sort_block_merge_implIS3_N6thrust23THRUST_200600_302600_NS6detail15normal_iteratorINS8_10device_ptrIiEEEESD_jNS1_19radix_merge_compareILb0ELb0EiNS0_19identity_decomposerEEEEE10hipError_tT0_T1_T2_jT3_P12ihipStream_tbPNSt15iterator_traitsISI_E10value_typeEPNSO_ISJ_E10value_typeEPSK_NS1_7vsmem_tEENKUlT_SI_SJ_SK_E_clIPiSD_S10_SD_EESH_SX_SI_SJ_SK_EUlSX_E1_NS1_11comp_targetILNS1_3genE8ELNS1_11target_archE1030ELNS1_3gpuE2ELNS1_3repE0EEENS1_36merge_oddeven_config_static_selectorELNS0_4arch9wavefront6targetE1EEEvSJ_,"axG",@progbits,_ZN7rocprim17ROCPRIM_400000_NS6detail17trampoline_kernelINS0_14default_configENS1_38merge_sort_block_merge_config_selectorIiiEEZZNS1_27merge_sort_block_merge_implIS3_N6thrust23THRUST_200600_302600_NS6detail15normal_iteratorINS8_10device_ptrIiEEEESD_jNS1_19radix_merge_compareILb0ELb0EiNS0_19identity_decomposerEEEEE10hipError_tT0_T1_T2_jT3_P12ihipStream_tbPNSt15iterator_traitsISI_E10value_typeEPNSO_ISJ_E10value_typeEPSK_NS1_7vsmem_tEENKUlT_SI_SJ_SK_E_clIPiSD_S10_SD_EESH_SX_SI_SJ_SK_EUlSX_E1_NS1_11comp_targetILNS1_3genE8ELNS1_11target_archE1030ELNS1_3gpuE2ELNS1_3repE0EEENS1_36merge_oddeven_config_static_selectorELNS0_4arch9wavefront6targetE1EEEvSJ_,comdat
	.protected	_ZN7rocprim17ROCPRIM_400000_NS6detail17trampoline_kernelINS0_14default_configENS1_38merge_sort_block_merge_config_selectorIiiEEZZNS1_27merge_sort_block_merge_implIS3_N6thrust23THRUST_200600_302600_NS6detail15normal_iteratorINS8_10device_ptrIiEEEESD_jNS1_19radix_merge_compareILb0ELb0EiNS0_19identity_decomposerEEEEE10hipError_tT0_T1_T2_jT3_P12ihipStream_tbPNSt15iterator_traitsISI_E10value_typeEPNSO_ISJ_E10value_typeEPSK_NS1_7vsmem_tEENKUlT_SI_SJ_SK_E_clIPiSD_S10_SD_EESH_SX_SI_SJ_SK_EUlSX_E1_NS1_11comp_targetILNS1_3genE8ELNS1_11target_archE1030ELNS1_3gpuE2ELNS1_3repE0EEENS1_36merge_oddeven_config_static_selectorELNS0_4arch9wavefront6targetE1EEEvSJ_ ; -- Begin function _ZN7rocprim17ROCPRIM_400000_NS6detail17trampoline_kernelINS0_14default_configENS1_38merge_sort_block_merge_config_selectorIiiEEZZNS1_27merge_sort_block_merge_implIS3_N6thrust23THRUST_200600_302600_NS6detail15normal_iteratorINS8_10device_ptrIiEEEESD_jNS1_19radix_merge_compareILb0ELb0EiNS0_19identity_decomposerEEEEE10hipError_tT0_T1_T2_jT3_P12ihipStream_tbPNSt15iterator_traitsISI_E10value_typeEPNSO_ISJ_E10value_typeEPSK_NS1_7vsmem_tEENKUlT_SI_SJ_SK_E_clIPiSD_S10_SD_EESH_SX_SI_SJ_SK_EUlSX_E1_NS1_11comp_targetILNS1_3genE8ELNS1_11target_archE1030ELNS1_3gpuE2ELNS1_3repE0EEENS1_36merge_oddeven_config_static_selectorELNS0_4arch9wavefront6targetE1EEEvSJ_
	.globl	_ZN7rocprim17ROCPRIM_400000_NS6detail17trampoline_kernelINS0_14default_configENS1_38merge_sort_block_merge_config_selectorIiiEEZZNS1_27merge_sort_block_merge_implIS3_N6thrust23THRUST_200600_302600_NS6detail15normal_iteratorINS8_10device_ptrIiEEEESD_jNS1_19radix_merge_compareILb0ELb0EiNS0_19identity_decomposerEEEEE10hipError_tT0_T1_T2_jT3_P12ihipStream_tbPNSt15iterator_traitsISI_E10value_typeEPNSO_ISJ_E10value_typeEPSK_NS1_7vsmem_tEENKUlT_SI_SJ_SK_E_clIPiSD_S10_SD_EESH_SX_SI_SJ_SK_EUlSX_E1_NS1_11comp_targetILNS1_3genE8ELNS1_11target_archE1030ELNS1_3gpuE2ELNS1_3repE0EEENS1_36merge_oddeven_config_static_selectorELNS0_4arch9wavefront6targetE1EEEvSJ_
	.p2align	8
	.type	_ZN7rocprim17ROCPRIM_400000_NS6detail17trampoline_kernelINS0_14default_configENS1_38merge_sort_block_merge_config_selectorIiiEEZZNS1_27merge_sort_block_merge_implIS3_N6thrust23THRUST_200600_302600_NS6detail15normal_iteratorINS8_10device_ptrIiEEEESD_jNS1_19radix_merge_compareILb0ELb0EiNS0_19identity_decomposerEEEEE10hipError_tT0_T1_T2_jT3_P12ihipStream_tbPNSt15iterator_traitsISI_E10value_typeEPNSO_ISJ_E10value_typeEPSK_NS1_7vsmem_tEENKUlT_SI_SJ_SK_E_clIPiSD_S10_SD_EESH_SX_SI_SJ_SK_EUlSX_E1_NS1_11comp_targetILNS1_3genE8ELNS1_11target_archE1030ELNS1_3gpuE2ELNS1_3repE0EEENS1_36merge_oddeven_config_static_selectorELNS0_4arch9wavefront6targetE1EEEvSJ_,@function
_ZN7rocprim17ROCPRIM_400000_NS6detail17trampoline_kernelINS0_14default_configENS1_38merge_sort_block_merge_config_selectorIiiEEZZNS1_27merge_sort_block_merge_implIS3_N6thrust23THRUST_200600_302600_NS6detail15normal_iteratorINS8_10device_ptrIiEEEESD_jNS1_19radix_merge_compareILb0ELb0EiNS0_19identity_decomposerEEEEE10hipError_tT0_T1_T2_jT3_P12ihipStream_tbPNSt15iterator_traitsISI_E10value_typeEPNSO_ISJ_E10value_typeEPSK_NS1_7vsmem_tEENKUlT_SI_SJ_SK_E_clIPiSD_S10_SD_EESH_SX_SI_SJ_SK_EUlSX_E1_NS1_11comp_targetILNS1_3genE8ELNS1_11target_archE1030ELNS1_3gpuE2ELNS1_3repE0EEENS1_36merge_oddeven_config_static_selectorELNS0_4arch9wavefront6targetE1EEEvSJ_: ; @_ZN7rocprim17ROCPRIM_400000_NS6detail17trampoline_kernelINS0_14default_configENS1_38merge_sort_block_merge_config_selectorIiiEEZZNS1_27merge_sort_block_merge_implIS3_N6thrust23THRUST_200600_302600_NS6detail15normal_iteratorINS8_10device_ptrIiEEEESD_jNS1_19radix_merge_compareILb0ELb0EiNS0_19identity_decomposerEEEEE10hipError_tT0_T1_T2_jT3_P12ihipStream_tbPNSt15iterator_traitsISI_E10value_typeEPNSO_ISJ_E10value_typeEPSK_NS1_7vsmem_tEENKUlT_SI_SJ_SK_E_clIPiSD_S10_SD_EESH_SX_SI_SJ_SK_EUlSX_E1_NS1_11comp_targetILNS1_3genE8ELNS1_11target_archE1030ELNS1_3gpuE2ELNS1_3repE0EEENS1_36merge_oddeven_config_static_selectorELNS0_4arch9wavefront6targetE1EEEvSJ_
; %bb.0:
	.section	.rodata,"a",@progbits
	.p2align	6, 0x0
	.amdhsa_kernel _ZN7rocprim17ROCPRIM_400000_NS6detail17trampoline_kernelINS0_14default_configENS1_38merge_sort_block_merge_config_selectorIiiEEZZNS1_27merge_sort_block_merge_implIS3_N6thrust23THRUST_200600_302600_NS6detail15normal_iteratorINS8_10device_ptrIiEEEESD_jNS1_19radix_merge_compareILb0ELb0EiNS0_19identity_decomposerEEEEE10hipError_tT0_T1_T2_jT3_P12ihipStream_tbPNSt15iterator_traitsISI_E10value_typeEPNSO_ISJ_E10value_typeEPSK_NS1_7vsmem_tEENKUlT_SI_SJ_SK_E_clIPiSD_S10_SD_EESH_SX_SI_SJ_SK_EUlSX_E1_NS1_11comp_targetILNS1_3genE8ELNS1_11target_archE1030ELNS1_3gpuE2ELNS1_3repE0EEENS1_36merge_oddeven_config_static_selectorELNS0_4arch9wavefront6targetE1EEEvSJ_
		.amdhsa_group_segment_fixed_size 0
		.amdhsa_private_segment_fixed_size 0
		.amdhsa_kernarg_size 48
		.amdhsa_user_sgpr_count 2
		.amdhsa_user_sgpr_dispatch_ptr 0
		.amdhsa_user_sgpr_queue_ptr 0
		.amdhsa_user_sgpr_kernarg_segment_ptr 1
		.amdhsa_user_sgpr_dispatch_id 0
		.amdhsa_user_sgpr_kernarg_preload_length 0
		.amdhsa_user_sgpr_kernarg_preload_offset 0
		.amdhsa_user_sgpr_private_segment_size 0
		.amdhsa_uses_dynamic_stack 0
		.amdhsa_enable_private_segment 0
		.amdhsa_system_sgpr_workgroup_id_x 1
		.amdhsa_system_sgpr_workgroup_id_y 0
		.amdhsa_system_sgpr_workgroup_id_z 0
		.amdhsa_system_sgpr_workgroup_info 0
		.amdhsa_system_vgpr_workitem_id 0
		.amdhsa_next_free_vgpr 1
		.amdhsa_next_free_sgpr 0
		.amdhsa_accum_offset 4
		.amdhsa_reserve_vcc 0
		.amdhsa_float_round_mode_32 0
		.amdhsa_float_round_mode_16_64 0
		.amdhsa_float_denorm_mode_32 3
		.amdhsa_float_denorm_mode_16_64 3
		.amdhsa_dx10_clamp 1
		.amdhsa_ieee_mode 1
		.amdhsa_fp16_overflow 0
		.amdhsa_tg_split 0
		.amdhsa_exception_fp_ieee_invalid_op 0
		.amdhsa_exception_fp_denorm_src 0
		.amdhsa_exception_fp_ieee_div_zero 0
		.amdhsa_exception_fp_ieee_overflow 0
		.amdhsa_exception_fp_ieee_underflow 0
		.amdhsa_exception_fp_ieee_inexact 0
		.amdhsa_exception_int_div_zero 0
	.end_amdhsa_kernel
	.section	.text._ZN7rocprim17ROCPRIM_400000_NS6detail17trampoline_kernelINS0_14default_configENS1_38merge_sort_block_merge_config_selectorIiiEEZZNS1_27merge_sort_block_merge_implIS3_N6thrust23THRUST_200600_302600_NS6detail15normal_iteratorINS8_10device_ptrIiEEEESD_jNS1_19radix_merge_compareILb0ELb0EiNS0_19identity_decomposerEEEEE10hipError_tT0_T1_T2_jT3_P12ihipStream_tbPNSt15iterator_traitsISI_E10value_typeEPNSO_ISJ_E10value_typeEPSK_NS1_7vsmem_tEENKUlT_SI_SJ_SK_E_clIPiSD_S10_SD_EESH_SX_SI_SJ_SK_EUlSX_E1_NS1_11comp_targetILNS1_3genE8ELNS1_11target_archE1030ELNS1_3gpuE2ELNS1_3repE0EEENS1_36merge_oddeven_config_static_selectorELNS0_4arch9wavefront6targetE1EEEvSJ_,"axG",@progbits,_ZN7rocprim17ROCPRIM_400000_NS6detail17trampoline_kernelINS0_14default_configENS1_38merge_sort_block_merge_config_selectorIiiEEZZNS1_27merge_sort_block_merge_implIS3_N6thrust23THRUST_200600_302600_NS6detail15normal_iteratorINS8_10device_ptrIiEEEESD_jNS1_19radix_merge_compareILb0ELb0EiNS0_19identity_decomposerEEEEE10hipError_tT0_T1_T2_jT3_P12ihipStream_tbPNSt15iterator_traitsISI_E10value_typeEPNSO_ISJ_E10value_typeEPSK_NS1_7vsmem_tEENKUlT_SI_SJ_SK_E_clIPiSD_S10_SD_EESH_SX_SI_SJ_SK_EUlSX_E1_NS1_11comp_targetILNS1_3genE8ELNS1_11target_archE1030ELNS1_3gpuE2ELNS1_3repE0EEENS1_36merge_oddeven_config_static_selectorELNS0_4arch9wavefront6targetE1EEEvSJ_,comdat
.Lfunc_end731:
	.size	_ZN7rocprim17ROCPRIM_400000_NS6detail17trampoline_kernelINS0_14default_configENS1_38merge_sort_block_merge_config_selectorIiiEEZZNS1_27merge_sort_block_merge_implIS3_N6thrust23THRUST_200600_302600_NS6detail15normal_iteratorINS8_10device_ptrIiEEEESD_jNS1_19radix_merge_compareILb0ELb0EiNS0_19identity_decomposerEEEEE10hipError_tT0_T1_T2_jT3_P12ihipStream_tbPNSt15iterator_traitsISI_E10value_typeEPNSO_ISJ_E10value_typeEPSK_NS1_7vsmem_tEENKUlT_SI_SJ_SK_E_clIPiSD_S10_SD_EESH_SX_SI_SJ_SK_EUlSX_E1_NS1_11comp_targetILNS1_3genE8ELNS1_11target_archE1030ELNS1_3gpuE2ELNS1_3repE0EEENS1_36merge_oddeven_config_static_selectorELNS0_4arch9wavefront6targetE1EEEvSJ_, .Lfunc_end731-_ZN7rocprim17ROCPRIM_400000_NS6detail17trampoline_kernelINS0_14default_configENS1_38merge_sort_block_merge_config_selectorIiiEEZZNS1_27merge_sort_block_merge_implIS3_N6thrust23THRUST_200600_302600_NS6detail15normal_iteratorINS8_10device_ptrIiEEEESD_jNS1_19radix_merge_compareILb0ELb0EiNS0_19identity_decomposerEEEEE10hipError_tT0_T1_T2_jT3_P12ihipStream_tbPNSt15iterator_traitsISI_E10value_typeEPNSO_ISJ_E10value_typeEPSK_NS1_7vsmem_tEENKUlT_SI_SJ_SK_E_clIPiSD_S10_SD_EESH_SX_SI_SJ_SK_EUlSX_E1_NS1_11comp_targetILNS1_3genE8ELNS1_11target_archE1030ELNS1_3gpuE2ELNS1_3repE0EEENS1_36merge_oddeven_config_static_selectorELNS0_4arch9wavefront6targetE1EEEvSJ_
                                        ; -- End function
	.set _ZN7rocprim17ROCPRIM_400000_NS6detail17trampoline_kernelINS0_14default_configENS1_38merge_sort_block_merge_config_selectorIiiEEZZNS1_27merge_sort_block_merge_implIS3_N6thrust23THRUST_200600_302600_NS6detail15normal_iteratorINS8_10device_ptrIiEEEESD_jNS1_19radix_merge_compareILb0ELb0EiNS0_19identity_decomposerEEEEE10hipError_tT0_T1_T2_jT3_P12ihipStream_tbPNSt15iterator_traitsISI_E10value_typeEPNSO_ISJ_E10value_typeEPSK_NS1_7vsmem_tEENKUlT_SI_SJ_SK_E_clIPiSD_S10_SD_EESH_SX_SI_SJ_SK_EUlSX_E1_NS1_11comp_targetILNS1_3genE8ELNS1_11target_archE1030ELNS1_3gpuE2ELNS1_3repE0EEENS1_36merge_oddeven_config_static_selectorELNS0_4arch9wavefront6targetE1EEEvSJ_.num_vgpr, 0
	.set _ZN7rocprim17ROCPRIM_400000_NS6detail17trampoline_kernelINS0_14default_configENS1_38merge_sort_block_merge_config_selectorIiiEEZZNS1_27merge_sort_block_merge_implIS3_N6thrust23THRUST_200600_302600_NS6detail15normal_iteratorINS8_10device_ptrIiEEEESD_jNS1_19radix_merge_compareILb0ELb0EiNS0_19identity_decomposerEEEEE10hipError_tT0_T1_T2_jT3_P12ihipStream_tbPNSt15iterator_traitsISI_E10value_typeEPNSO_ISJ_E10value_typeEPSK_NS1_7vsmem_tEENKUlT_SI_SJ_SK_E_clIPiSD_S10_SD_EESH_SX_SI_SJ_SK_EUlSX_E1_NS1_11comp_targetILNS1_3genE8ELNS1_11target_archE1030ELNS1_3gpuE2ELNS1_3repE0EEENS1_36merge_oddeven_config_static_selectorELNS0_4arch9wavefront6targetE1EEEvSJ_.num_agpr, 0
	.set _ZN7rocprim17ROCPRIM_400000_NS6detail17trampoline_kernelINS0_14default_configENS1_38merge_sort_block_merge_config_selectorIiiEEZZNS1_27merge_sort_block_merge_implIS3_N6thrust23THRUST_200600_302600_NS6detail15normal_iteratorINS8_10device_ptrIiEEEESD_jNS1_19radix_merge_compareILb0ELb0EiNS0_19identity_decomposerEEEEE10hipError_tT0_T1_T2_jT3_P12ihipStream_tbPNSt15iterator_traitsISI_E10value_typeEPNSO_ISJ_E10value_typeEPSK_NS1_7vsmem_tEENKUlT_SI_SJ_SK_E_clIPiSD_S10_SD_EESH_SX_SI_SJ_SK_EUlSX_E1_NS1_11comp_targetILNS1_3genE8ELNS1_11target_archE1030ELNS1_3gpuE2ELNS1_3repE0EEENS1_36merge_oddeven_config_static_selectorELNS0_4arch9wavefront6targetE1EEEvSJ_.numbered_sgpr, 0
	.set _ZN7rocprim17ROCPRIM_400000_NS6detail17trampoline_kernelINS0_14default_configENS1_38merge_sort_block_merge_config_selectorIiiEEZZNS1_27merge_sort_block_merge_implIS3_N6thrust23THRUST_200600_302600_NS6detail15normal_iteratorINS8_10device_ptrIiEEEESD_jNS1_19radix_merge_compareILb0ELb0EiNS0_19identity_decomposerEEEEE10hipError_tT0_T1_T2_jT3_P12ihipStream_tbPNSt15iterator_traitsISI_E10value_typeEPNSO_ISJ_E10value_typeEPSK_NS1_7vsmem_tEENKUlT_SI_SJ_SK_E_clIPiSD_S10_SD_EESH_SX_SI_SJ_SK_EUlSX_E1_NS1_11comp_targetILNS1_3genE8ELNS1_11target_archE1030ELNS1_3gpuE2ELNS1_3repE0EEENS1_36merge_oddeven_config_static_selectorELNS0_4arch9wavefront6targetE1EEEvSJ_.num_named_barrier, 0
	.set _ZN7rocprim17ROCPRIM_400000_NS6detail17trampoline_kernelINS0_14default_configENS1_38merge_sort_block_merge_config_selectorIiiEEZZNS1_27merge_sort_block_merge_implIS3_N6thrust23THRUST_200600_302600_NS6detail15normal_iteratorINS8_10device_ptrIiEEEESD_jNS1_19radix_merge_compareILb0ELb0EiNS0_19identity_decomposerEEEEE10hipError_tT0_T1_T2_jT3_P12ihipStream_tbPNSt15iterator_traitsISI_E10value_typeEPNSO_ISJ_E10value_typeEPSK_NS1_7vsmem_tEENKUlT_SI_SJ_SK_E_clIPiSD_S10_SD_EESH_SX_SI_SJ_SK_EUlSX_E1_NS1_11comp_targetILNS1_3genE8ELNS1_11target_archE1030ELNS1_3gpuE2ELNS1_3repE0EEENS1_36merge_oddeven_config_static_selectorELNS0_4arch9wavefront6targetE1EEEvSJ_.private_seg_size, 0
	.set _ZN7rocprim17ROCPRIM_400000_NS6detail17trampoline_kernelINS0_14default_configENS1_38merge_sort_block_merge_config_selectorIiiEEZZNS1_27merge_sort_block_merge_implIS3_N6thrust23THRUST_200600_302600_NS6detail15normal_iteratorINS8_10device_ptrIiEEEESD_jNS1_19radix_merge_compareILb0ELb0EiNS0_19identity_decomposerEEEEE10hipError_tT0_T1_T2_jT3_P12ihipStream_tbPNSt15iterator_traitsISI_E10value_typeEPNSO_ISJ_E10value_typeEPSK_NS1_7vsmem_tEENKUlT_SI_SJ_SK_E_clIPiSD_S10_SD_EESH_SX_SI_SJ_SK_EUlSX_E1_NS1_11comp_targetILNS1_3genE8ELNS1_11target_archE1030ELNS1_3gpuE2ELNS1_3repE0EEENS1_36merge_oddeven_config_static_selectorELNS0_4arch9wavefront6targetE1EEEvSJ_.uses_vcc, 0
	.set _ZN7rocprim17ROCPRIM_400000_NS6detail17trampoline_kernelINS0_14default_configENS1_38merge_sort_block_merge_config_selectorIiiEEZZNS1_27merge_sort_block_merge_implIS3_N6thrust23THRUST_200600_302600_NS6detail15normal_iteratorINS8_10device_ptrIiEEEESD_jNS1_19radix_merge_compareILb0ELb0EiNS0_19identity_decomposerEEEEE10hipError_tT0_T1_T2_jT3_P12ihipStream_tbPNSt15iterator_traitsISI_E10value_typeEPNSO_ISJ_E10value_typeEPSK_NS1_7vsmem_tEENKUlT_SI_SJ_SK_E_clIPiSD_S10_SD_EESH_SX_SI_SJ_SK_EUlSX_E1_NS1_11comp_targetILNS1_3genE8ELNS1_11target_archE1030ELNS1_3gpuE2ELNS1_3repE0EEENS1_36merge_oddeven_config_static_selectorELNS0_4arch9wavefront6targetE1EEEvSJ_.uses_flat_scratch, 0
	.set _ZN7rocprim17ROCPRIM_400000_NS6detail17trampoline_kernelINS0_14default_configENS1_38merge_sort_block_merge_config_selectorIiiEEZZNS1_27merge_sort_block_merge_implIS3_N6thrust23THRUST_200600_302600_NS6detail15normal_iteratorINS8_10device_ptrIiEEEESD_jNS1_19radix_merge_compareILb0ELb0EiNS0_19identity_decomposerEEEEE10hipError_tT0_T1_T2_jT3_P12ihipStream_tbPNSt15iterator_traitsISI_E10value_typeEPNSO_ISJ_E10value_typeEPSK_NS1_7vsmem_tEENKUlT_SI_SJ_SK_E_clIPiSD_S10_SD_EESH_SX_SI_SJ_SK_EUlSX_E1_NS1_11comp_targetILNS1_3genE8ELNS1_11target_archE1030ELNS1_3gpuE2ELNS1_3repE0EEENS1_36merge_oddeven_config_static_selectorELNS0_4arch9wavefront6targetE1EEEvSJ_.has_dyn_sized_stack, 0
	.set _ZN7rocprim17ROCPRIM_400000_NS6detail17trampoline_kernelINS0_14default_configENS1_38merge_sort_block_merge_config_selectorIiiEEZZNS1_27merge_sort_block_merge_implIS3_N6thrust23THRUST_200600_302600_NS6detail15normal_iteratorINS8_10device_ptrIiEEEESD_jNS1_19radix_merge_compareILb0ELb0EiNS0_19identity_decomposerEEEEE10hipError_tT0_T1_T2_jT3_P12ihipStream_tbPNSt15iterator_traitsISI_E10value_typeEPNSO_ISJ_E10value_typeEPSK_NS1_7vsmem_tEENKUlT_SI_SJ_SK_E_clIPiSD_S10_SD_EESH_SX_SI_SJ_SK_EUlSX_E1_NS1_11comp_targetILNS1_3genE8ELNS1_11target_archE1030ELNS1_3gpuE2ELNS1_3repE0EEENS1_36merge_oddeven_config_static_selectorELNS0_4arch9wavefront6targetE1EEEvSJ_.has_recursion, 0
	.set _ZN7rocprim17ROCPRIM_400000_NS6detail17trampoline_kernelINS0_14default_configENS1_38merge_sort_block_merge_config_selectorIiiEEZZNS1_27merge_sort_block_merge_implIS3_N6thrust23THRUST_200600_302600_NS6detail15normal_iteratorINS8_10device_ptrIiEEEESD_jNS1_19radix_merge_compareILb0ELb0EiNS0_19identity_decomposerEEEEE10hipError_tT0_T1_T2_jT3_P12ihipStream_tbPNSt15iterator_traitsISI_E10value_typeEPNSO_ISJ_E10value_typeEPSK_NS1_7vsmem_tEENKUlT_SI_SJ_SK_E_clIPiSD_S10_SD_EESH_SX_SI_SJ_SK_EUlSX_E1_NS1_11comp_targetILNS1_3genE8ELNS1_11target_archE1030ELNS1_3gpuE2ELNS1_3repE0EEENS1_36merge_oddeven_config_static_selectorELNS0_4arch9wavefront6targetE1EEEvSJ_.has_indirect_call, 0
	.section	.AMDGPU.csdata,"",@progbits
; Kernel info:
; codeLenInByte = 0
; TotalNumSgprs: 6
; NumVgprs: 0
; NumAgprs: 0
; TotalNumVgprs: 0
; ScratchSize: 0
; MemoryBound: 0
; FloatMode: 240
; IeeeMode: 1
; LDSByteSize: 0 bytes/workgroup (compile time only)
; SGPRBlocks: 0
; VGPRBlocks: 0
; NumSGPRsForWavesPerEU: 6
; NumVGPRsForWavesPerEU: 1
; AccumOffset: 4
; Occupancy: 8
; WaveLimiterHint : 0
; COMPUTE_PGM_RSRC2:SCRATCH_EN: 0
; COMPUTE_PGM_RSRC2:USER_SGPR: 2
; COMPUTE_PGM_RSRC2:TRAP_HANDLER: 0
; COMPUTE_PGM_RSRC2:TGID_X_EN: 1
; COMPUTE_PGM_RSRC2:TGID_Y_EN: 0
; COMPUTE_PGM_RSRC2:TGID_Z_EN: 0
; COMPUTE_PGM_RSRC2:TIDIG_COMP_CNT: 0
; COMPUTE_PGM_RSRC3_GFX90A:ACCUM_OFFSET: 0
; COMPUTE_PGM_RSRC3_GFX90A:TG_SPLIT: 0
	.section	.text._ZN7rocprim17ROCPRIM_400000_NS6detail17trampoline_kernelINS0_14default_configENS1_38merge_sort_block_merge_config_selectorIiiEEZZNS1_27merge_sort_block_merge_implIS3_N6thrust23THRUST_200600_302600_NS6detail15normal_iteratorINS8_10device_ptrIiEEEESD_jNS1_19radix_merge_compareILb0ELb0EiNS0_19identity_decomposerEEEEE10hipError_tT0_T1_T2_jT3_P12ihipStream_tbPNSt15iterator_traitsISI_E10value_typeEPNSO_ISJ_E10value_typeEPSK_NS1_7vsmem_tEENKUlT_SI_SJ_SK_E_clISD_PiSD_S10_EESH_SX_SI_SJ_SK_EUlSX_E_NS1_11comp_targetILNS1_3genE0ELNS1_11target_archE4294967295ELNS1_3gpuE0ELNS1_3repE0EEENS1_48merge_mergepath_partition_config_static_selectorELNS0_4arch9wavefront6targetE1EEEvSJ_,"axG",@progbits,_ZN7rocprim17ROCPRIM_400000_NS6detail17trampoline_kernelINS0_14default_configENS1_38merge_sort_block_merge_config_selectorIiiEEZZNS1_27merge_sort_block_merge_implIS3_N6thrust23THRUST_200600_302600_NS6detail15normal_iteratorINS8_10device_ptrIiEEEESD_jNS1_19radix_merge_compareILb0ELb0EiNS0_19identity_decomposerEEEEE10hipError_tT0_T1_T2_jT3_P12ihipStream_tbPNSt15iterator_traitsISI_E10value_typeEPNSO_ISJ_E10value_typeEPSK_NS1_7vsmem_tEENKUlT_SI_SJ_SK_E_clISD_PiSD_S10_EESH_SX_SI_SJ_SK_EUlSX_E_NS1_11comp_targetILNS1_3genE0ELNS1_11target_archE4294967295ELNS1_3gpuE0ELNS1_3repE0EEENS1_48merge_mergepath_partition_config_static_selectorELNS0_4arch9wavefront6targetE1EEEvSJ_,comdat
	.protected	_ZN7rocprim17ROCPRIM_400000_NS6detail17trampoline_kernelINS0_14default_configENS1_38merge_sort_block_merge_config_selectorIiiEEZZNS1_27merge_sort_block_merge_implIS3_N6thrust23THRUST_200600_302600_NS6detail15normal_iteratorINS8_10device_ptrIiEEEESD_jNS1_19radix_merge_compareILb0ELb0EiNS0_19identity_decomposerEEEEE10hipError_tT0_T1_T2_jT3_P12ihipStream_tbPNSt15iterator_traitsISI_E10value_typeEPNSO_ISJ_E10value_typeEPSK_NS1_7vsmem_tEENKUlT_SI_SJ_SK_E_clISD_PiSD_S10_EESH_SX_SI_SJ_SK_EUlSX_E_NS1_11comp_targetILNS1_3genE0ELNS1_11target_archE4294967295ELNS1_3gpuE0ELNS1_3repE0EEENS1_48merge_mergepath_partition_config_static_selectorELNS0_4arch9wavefront6targetE1EEEvSJ_ ; -- Begin function _ZN7rocprim17ROCPRIM_400000_NS6detail17trampoline_kernelINS0_14default_configENS1_38merge_sort_block_merge_config_selectorIiiEEZZNS1_27merge_sort_block_merge_implIS3_N6thrust23THRUST_200600_302600_NS6detail15normal_iteratorINS8_10device_ptrIiEEEESD_jNS1_19radix_merge_compareILb0ELb0EiNS0_19identity_decomposerEEEEE10hipError_tT0_T1_T2_jT3_P12ihipStream_tbPNSt15iterator_traitsISI_E10value_typeEPNSO_ISJ_E10value_typeEPSK_NS1_7vsmem_tEENKUlT_SI_SJ_SK_E_clISD_PiSD_S10_EESH_SX_SI_SJ_SK_EUlSX_E_NS1_11comp_targetILNS1_3genE0ELNS1_11target_archE4294967295ELNS1_3gpuE0ELNS1_3repE0EEENS1_48merge_mergepath_partition_config_static_selectorELNS0_4arch9wavefront6targetE1EEEvSJ_
	.globl	_ZN7rocprim17ROCPRIM_400000_NS6detail17trampoline_kernelINS0_14default_configENS1_38merge_sort_block_merge_config_selectorIiiEEZZNS1_27merge_sort_block_merge_implIS3_N6thrust23THRUST_200600_302600_NS6detail15normal_iteratorINS8_10device_ptrIiEEEESD_jNS1_19radix_merge_compareILb0ELb0EiNS0_19identity_decomposerEEEEE10hipError_tT0_T1_T2_jT3_P12ihipStream_tbPNSt15iterator_traitsISI_E10value_typeEPNSO_ISJ_E10value_typeEPSK_NS1_7vsmem_tEENKUlT_SI_SJ_SK_E_clISD_PiSD_S10_EESH_SX_SI_SJ_SK_EUlSX_E_NS1_11comp_targetILNS1_3genE0ELNS1_11target_archE4294967295ELNS1_3gpuE0ELNS1_3repE0EEENS1_48merge_mergepath_partition_config_static_selectorELNS0_4arch9wavefront6targetE1EEEvSJ_
	.p2align	8
	.type	_ZN7rocprim17ROCPRIM_400000_NS6detail17trampoline_kernelINS0_14default_configENS1_38merge_sort_block_merge_config_selectorIiiEEZZNS1_27merge_sort_block_merge_implIS3_N6thrust23THRUST_200600_302600_NS6detail15normal_iteratorINS8_10device_ptrIiEEEESD_jNS1_19radix_merge_compareILb0ELb0EiNS0_19identity_decomposerEEEEE10hipError_tT0_T1_T2_jT3_P12ihipStream_tbPNSt15iterator_traitsISI_E10value_typeEPNSO_ISJ_E10value_typeEPSK_NS1_7vsmem_tEENKUlT_SI_SJ_SK_E_clISD_PiSD_S10_EESH_SX_SI_SJ_SK_EUlSX_E_NS1_11comp_targetILNS1_3genE0ELNS1_11target_archE4294967295ELNS1_3gpuE0ELNS1_3repE0EEENS1_48merge_mergepath_partition_config_static_selectorELNS0_4arch9wavefront6targetE1EEEvSJ_,@function
_ZN7rocprim17ROCPRIM_400000_NS6detail17trampoline_kernelINS0_14default_configENS1_38merge_sort_block_merge_config_selectorIiiEEZZNS1_27merge_sort_block_merge_implIS3_N6thrust23THRUST_200600_302600_NS6detail15normal_iteratorINS8_10device_ptrIiEEEESD_jNS1_19radix_merge_compareILb0ELb0EiNS0_19identity_decomposerEEEEE10hipError_tT0_T1_T2_jT3_P12ihipStream_tbPNSt15iterator_traitsISI_E10value_typeEPNSO_ISJ_E10value_typeEPSK_NS1_7vsmem_tEENKUlT_SI_SJ_SK_E_clISD_PiSD_S10_EESH_SX_SI_SJ_SK_EUlSX_E_NS1_11comp_targetILNS1_3genE0ELNS1_11target_archE4294967295ELNS1_3gpuE0ELNS1_3repE0EEENS1_48merge_mergepath_partition_config_static_selectorELNS0_4arch9wavefront6targetE1EEEvSJ_: ; @_ZN7rocprim17ROCPRIM_400000_NS6detail17trampoline_kernelINS0_14default_configENS1_38merge_sort_block_merge_config_selectorIiiEEZZNS1_27merge_sort_block_merge_implIS3_N6thrust23THRUST_200600_302600_NS6detail15normal_iteratorINS8_10device_ptrIiEEEESD_jNS1_19radix_merge_compareILb0ELb0EiNS0_19identity_decomposerEEEEE10hipError_tT0_T1_T2_jT3_P12ihipStream_tbPNSt15iterator_traitsISI_E10value_typeEPNSO_ISJ_E10value_typeEPSK_NS1_7vsmem_tEENKUlT_SI_SJ_SK_E_clISD_PiSD_S10_EESH_SX_SI_SJ_SK_EUlSX_E_NS1_11comp_targetILNS1_3genE0ELNS1_11target_archE4294967295ELNS1_3gpuE0ELNS1_3repE0EEENS1_48merge_mergepath_partition_config_static_selectorELNS0_4arch9wavefront6targetE1EEEvSJ_
; %bb.0:
	s_load_dword s3, s[0:1], 0x0
	v_lshl_or_b32 v0, s2, 7, v0
	s_waitcnt lgkmcnt(0)
	v_cmp_gt_u32_e32 vcc, s3, v0
	s_and_saveexec_b64 s[2:3], vcc
	s_cbranch_execz .LBB732_6
; %bb.1:
	s_load_dwordx2 s[4:5], s[0:1], 0x4
	s_load_dwordx2 s[2:3], s[0:1], 0x20
	s_waitcnt lgkmcnt(0)
	s_lshr_b32 s6, s4, 9
	s_and_b32 s6, s6, 0x7ffffe
	s_add_i32 s7, s6, -1
	s_sub_i32 s6, 0, s6
	v_and_b32_e32 v1, s6, v0
	v_lshlrev_b32_e32 v1, 10, v1
	v_min_u32_e32 v2, s5, v1
	v_add_u32_e32 v1, s4, v1
	v_min_u32_e32 v4, s5, v1
	v_add_u32_e32 v1, s4, v4
	v_and_b32_e32 v3, s7, v0
	v_min_u32_e32 v1, s5, v1
	v_sub_u32_e32 v5, v1, v2
	v_lshlrev_b32_e32 v3, 10, v3
	v_min_u32_e32 v10, v5, v3
	v_sub_u32_e32 v3, v4, v2
	v_sub_u32_e32 v1, v1, v4
	v_sub_u32_e64 v1, v10, v1 clamp
	v_min_u32_e32 v11, v10, v3
	v_cmp_lt_u32_e32 vcc, v1, v11
	s_and_saveexec_b64 s[4:5], vcc
	s_cbranch_execz .LBB732_5
; %bb.2:
	s_load_dwordx2 s[0:1], s[0:1], 0x10
	v_mov_b32_e32 v5, 0
	v_mov_b32_e32 v3, v5
	s_waitcnt lgkmcnt(0)
	v_lshl_add_u64 v[6:7], v[2:3], 2, s[0:1]
	v_lshl_add_u64 v[8:9], v[4:5], 2, s[0:1]
	s_mov_b64 s[0:1], 0
.LBB732_3:                              ; =>This Inner Loop Header: Depth=1
	v_add_u32_e32 v3, v11, v1
	v_lshrrev_b32_e32 v4, 1, v3
	v_mov_b32_e32 v13, v5
	v_xad_u32 v12, v4, -1, v10
	v_lshl_add_u64 v[14:15], v[4:5], 2, v[6:7]
	v_lshl_add_u64 v[12:13], v[12:13], 2, v[8:9]
	flat_load_dword v3, v[14:15]
	flat_load_dword v16, v[12:13]
	v_add_u32_e32 v12, 1, v4
	s_waitcnt vmcnt(0) lgkmcnt(0)
	v_cmp_gt_i32_e32 vcc, v3, v16
	s_nop 1
	v_cndmask_b32_e32 v11, v11, v4, vcc
	v_cndmask_b32_e32 v1, v12, v1, vcc
	v_cmp_ge_u32_e32 vcc, v1, v11
	s_or_b64 s[0:1], vcc, s[0:1]
	s_andn2_b64 exec, exec, s[0:1]
	s_cbranch_execnz .LBB732_3
; %bb.4:
	s_or_b64 exec, exec, s[0:1]
.LBB732_5:
	s_or_b64 exec, exec, s[4:5]
	v_add_u32_e32 v2, v1, v2
	v_mov_b32_e32 v1, 0
	v_lshl_add_u64 v[0:1], v[0:1], 2, s[2:3]
	global_store_dword v[0:1], v2, off
.LBB732_6:
	s_endpgm
	.section	.rodata,"a",@progbits
	.p2align	6, 0x0
	.amdhsa_kernel _ZN7rocprim17ROCPRIM_400000_NS6detail17trampoline_kernelINS0_14default_configENS1_38merge_sort_block_merge_config_selectorIiiEEZZNS1_27merge_sort_block_merge_implIS3_N6thrust23THRUST_200600_302600_NS6detail15normal_iteratorINS8_10device_ptrIiEEEESD_jNS1_19radix_merge_compareILb0ELb0EiNS0_19identity_decomposerEEEEE10hipError_tT0_T1_T2_jT3_P12ihipStream_tbPNSt15iterator_traitsISI_E10value_typeEPNSO_ISJ_E10value_typeEPSK_NS1_7vsmem_tEENKUlT_SI_SJ_SK_E_clISD_PiSD_S10_EESH_SX_SI_SJ_SK_EUlSX_E_NS1_11comp_targetILNS1_3genE0ELNS1_11target_archE4294967295ELNS1_3gpuE0ELNS1_3repE0EEENS1_48merge_mergepath_partition_config_static_selectorELNS0_4arch9wavefront6targetE1EEEvSJ_
		.amdhsa_group_segment_fixed_size 0
		.amdhsa_private_segment_fixed_size 0
		.amdhsa_kernarg_size 40
		.amdhsa_user_sgpr_count 2
		.amdhsa_user_sgpr_dispatch_ptr 0
		.amdhsa_user_sgpr_queue_ptr 0
		.amdhsa_user_sgpr_kernarg_segment_ptr 1
		.amdhsa_user_sgpr_dispatch_id 0
		.amdhsa_user_sgpr_kernarg_preload_length 0
		.amdhsa_user_sgpr_kernarg_preload_offset 0
		.amdhsa_user_sgpr_private_segment_size 0
		.amdhsa_uses_dynamic_stack 0
		.amdhsa_enable_private_segment 0
		.amdhsa_system_sgpr_workgroup_id_x 1
		.amdhsa_system_sgpr_workgroup_id_y 0
		.amdhsa_system_sgpr_workgroup_id_z 0
		.amdhsa_system_sgpr_workgroup_info 0
		.amdhsa_system_vgpr_workitem_id 0
		.amdhsa_next_free_vgpr 17
		.amdhsa_next_free_sgpr 8
		.amdhsa_accum_offset 20
		.amdhsa_reserve_vcc 1
		.amdhsa_float_round_mode_32 0
		.amdhsa_float_round_mode_16_64 0
		.amdhsa_float_denorm_mode_32 3
		.amdhsa_float_denorm_mode_16_64 3
		.amdhsa_dx10_clamp 1
		.amdhsa_ieee_mode 1
		.amdhsa_fp16_overflow 0
		.amdhsa_tg_split 0
		.amdhsa_exception_fp_ieee_invalid_op 0
		.amdhsa_exception_fp_denorm_src 0
		.amdhsa_exception_fp_ieee_div_zero 0
		.amdhsa_exception_fp_ieee_overflow 0
		.amdhsa_exception_fp_ieee_underflow 0
		.amdhsa_exception_fp_ieee_inexact 0
		.amdhsa_exception_int_div_zero 0
	.end_amdhsa_kernel
	.section	.text._ZN7rocprim17ROCPRIM_400000_NS6detail17trampoline_kernelINS0_14default_configENS1_38merge_sort_block_merge_config_selectorIiiEEZZNS1_27merge_sort_block_merge_implIS3_N6thrust23THRUST_200600_302600_NS6detail15normal_iteratorINS8_10device_ptrIiEEEESD_jNS1_19radix_merge_compareILb0ELb0EiNS0_19identity_decomposerEEEEE10hipError_tT0_T1_T2_jT3_P12ihipStream_tbPNSt15iterator_traitsISI_E10value_typeEPNSO_ISJ_E10value_typeEPSK_NS1_7vsmem_tEENKUlT_SI_SJ_SK_E_clISD_PiSD_S10_EESH_SX_SI_SJ_SK_EUlSX_E_NS1_11comp_targetILNS1_3genE0ELNS1_11target_archE4294967295ELNS1_3gpuE0ELNS1_3repE0EEENS1_48merge_mergepath_partition_config_static_selectorELNS0_4arch9wavefront6targetE1EEEvSJ_,"axG",@progbits,_ZN7rocprim17ROCPRIM_400000_NS6detail17trampoline_kernelINS0_14default_configENS1_38merge_sort_block_merge_config_selectorIiiEEZZNS1_27merge_sort_block_merge_implIS3_N6thrust23THRUST_200600_302600_NS6detail15normal_iteratorINS8_10device_ptrIiEEEESD_jNS1_19radix_merge_compareILb0ELb0EiNS0_19identity_decomposerEEEEE10hipError_tT0_T1_T2_jT3_P12ihipStream_tbPNSt15iterator_traitsISI_E10value_typeEPNSO_ISJ_E10value_typeEPSK_NS1_7vsmem_tEENKUlT_SI_SJ_SK_E_clISD_PiSD_S10_EESH_SX_SI_SJ_SK_EUlSX_E_NS1_11comp_targetILNS1_3genE0ELNS1_11target_archE4294967295ELNS1_3gpuE0ELNS1_3repE0EEENS1_48merge_mergepath_partition_config_static_selectorELNS0_4arch9wavefront6targetE1EEEvSJ_,comdat
.Lfunc_end732:
	.size	_ZN7rocprim17ROCPRIM_400000_NS6detail17trampoline_kernelINS0_14default_configENS1_38merge_sort_block_merge_config_selectorIiiEEZZNS1_27merge_sort_block_merge_implIS3_N6thrust23THRUST_200600_302600_NS6detail15normal_iteratorINS8_10device_ptrIiEEEESD_jNS1_19radix_merge_compareILb0ELb0EiNS0_19identity_decomposerEEEEE10hipError_tT0_T1_T2_jT3_P12ihipStream_tbPNSt15iterator_traitsISI_E10value_typeEPNSO_ISJ_E10value_typeEPSK_NS1_7vsmem_tEENKUlT_SI_SJ_SK_E_clISD_PiSD_S10_EESH_SX_SI_SJ_SK_EUlSX_E_NS1_11comp_targetILNS1_3genE0ELNS1_11target_archE4294967295ELNS1_3gpuE0ELNS1_3repE0EEENS1_48merge_mergepath_partition_config_static_selectorELNS0_4arch9wavefront6targetE1EEEvSJ_, .Lfunc_end732-_ZN7rocprim17ROCPRIM_400000_NS6detail17trampoline_kernelINS0_14default_configENS1_38merge_sort_block_merge_config_selectorIiiEEZZNS1_27merge_sort_block_merge_implIS3_N6thrust23THRUST_200600_302600_NS6detail15normal_iteratorINS8_10device_ptrIiEEEESD_jNS1_19radix_merge_compareILb0ELb0EiNS0_19identity_decomposerEEEEE10hipError_tT0_T1_T2_jT3_P12ihipStream_tbPNSt15iterator_traitsISI_E10value_typeEPNSO_ISJ_E10value_typeEPSK_NS1_7vsmem_tEENKUlT_SI_SJ_SK_E_clISD_PiSD_S10_EESH_SX_SI_SJ_SK_EUlSX_E_NS1_11comp_targetILNS1_3genE0ELNS1_11target_archE4294967295ELNS1_3gpuE0ELNS1_3repE0EEENS1_48merge_mergepath_partition_config_static_selectorELNS0_4arch9wavefront6targetE1EEEvSJ_
                                        ; -- End function
	.set _ZN7rocprim17ROCPRIM_400000_NS6detail17trampoline_kernelINS0_14default_configENS1_38merge_sort_block_merge_config_selectorIiiEEZZNS1_27merge_sort_block_merge_implIS3_N6thrust23THRUST_200600_302600_NS6detail15normal_iteratorINS8_10device_ptrIiEEEESD_jNS1_19radix_merge_compareILb0ELb0EiNS0_19identity_decomposerEEEEE10hipError_tT0_T1_T2_jT3_P12ihipStream_tbPNSt15iterator_traitsISI_E10value_typeEPNSO_ISJ_E10value_typeEPSK_NS1_7vsmem_tEENKUlT_SI_SJ_SK_E_clISD_PiSD_S10_EESH_SX_SI_SJ_SK_EUlSX_E_NS1_11comp_targetILNS1_3genE0ELNS1_11target_archE4294967295ELNS1_3gpuE0ELNS1_3repE0EEENS1_48merge_mergepath_partition_config_static_selectorELNS0_4arch9wavefront6targetE1EEEvSJ_.num_vgpr, 17
	.set _ZN7rocprim17ROCPRIM_400000_NS6detail17trampoline_kernelINS0_14default_configENS1_38merge_sort_block_merge_config_selectorIiiEEZZNS1_27merge_sort_block_merge_implIS3_N6thrust23THRUST_200600_302600_NS6detail15normal_iteratorINS8_10device_ptrIiEEEESD_jNS1_19radix_merge_compareILb0ELb0EiNS0_19identity_decomposerEEEEE10hipError_tT0_T1_T2_jT3_P12ihipStream_tbPNSt15iterator_traitsISI_E10value_typeEPNSO_ISJ_E10value_typeEPSK_NS1_7vsmem_tEENKUlT_SI_SJ_SK_E_clISD_PiSD_S10_EESH_SX_SI_SJ_SK_EUlSX_E_NS1_11comp_targetILNS1_3genE0ELNS1_11target_archE4294967295ELNS1_3gpuE0ELNS1_3repE0EEENS1_48merge_mergepath_partition_config_static_selectorELNS0_4arch9wavefront6targetE1EEEvSJ_.num_agpr, 0
	.set _ZN7rocprim17ROCPRIM_400000_NS6detail17trampoline_kernelINS0_14default_configENS1_38merge_sort_block_merge_config_selectorIiiEEZZNS1_27merge_sort_block_merge_implIS3_N6thrust23THRUST_200600_302600_NS6detail15normal_iteratorINS8_10device_ptrIiEEEESD_jNS1_19radix_merge_compareILb0ELb0EiNS0_19identity_decomposerEEEEE10hipError_tT0_T1_T2_jT3_P12ihipStream_tbPNSt15iterator_traitsISI_E10value_typeEPNSO_ISJ_E10value_typeEPSK_NS1_7vsmem_tEENKUlT_SI_SJ_SK_E_clISD_PiSD_S10_EESH_SX_SI_SJ_SK_EUlSX_E_NS1_11comp_targetILNS1_3genE0ELNS1_11target_archE4294967295ELNS1_3gpuE0ELNS1_3repE0EEENS1_48merge_mergepath_partition_config_static_selectorELNS0_4arch9wavefront6targetE1EEEvSJ_.numbered_sgpr, 8
	.set _ZN7rocprim17ROCPRIM_400000_NS6detail17trampoline_kernelINS0_14default_configENS1_38merge_sort_block_merge_config_selectorIiiEEZZNS1_27merge_sort_block_merge_implIS3_N6thrust23THRUST_200600_302600_NS6detail15normal_iteratorINS8_10device_ptrIiEEEESD_jNS1_19radix_merge_compareILb0ELb0EiNS0_19identity_decomposerEEEEE10hipError_tT0_T1_T2_jT3_P12ihipStream_tbPNSt15iterator_traitsISI_E10value_typeEPNSO_ISJ_E10value_typeEPSK_NS1_7vsmem_tEENKUlT_SI_SJ_SK_E_clISD_PiSD_S10_EESH_SX_SI_SJ_SK_EUlSX_E_NS1_11comp_targetILNS1_3genE0ELNS1_11target_archE4294967295ELNS1_3gpuE0ELNS1_3repE0EEENS1_48merge_mergepath_partition_config_static_selectorELNS0_4arch9wavefront6targetE1EEEvSJ_.num_named_barrier, 0
	.set _ZN7rocprim17ROCPRIM_400000_NS6detail17trampoline_kernelINS0_14default_configENS1_38merge_sort_block_merge_config_selectorIiiEEZZNS1_27merge_sort_block_merge_implIS3_N6thrust23THRUST_200600_302600_NS6detail15normal_iteratorINS8_10device_ptrIiEEEESD_jNS1_19radix_merge_compareILb0ELb0EiNS0_19identity_decomposerEEEEE10hipError_tT0_T1_T2_jT3_P12ihipStream_tbPNSt15iterator_traitsISI_E10value_typeEPNSO_ISJ_E10value_typeEPSK_NS1_7vsmem_tEENKUlT_SI_SJ_SK_E_clISD_PiSD_S10_EESH_SX_SI_SJ_SK_EUlSX_E_NS1_11comp_targetILNS1_3genE0ELNS1_11target_archE4294967295ELNS1_3gpuE0ELNS1_3repE0EEENS1_48merge_mergepath_partition_config_static_selectorELNS0_4arch9wavefront6targetE1EEEvSJ_.private_seg_size, 0
	.set _ZN7rocprim17ROCPRIM_400000_NS6detail17trampoline_kernelINS0_14default_configENS1_38merge_sort_block_merge_config_selectorIiiEEZZNS1_27merge_sort_block_merge_implIS3_N6thrust23THRUST_200600_302600_NS6detail15normal_iteratorINS8_10device_ptrIiEEEESD_jNS1_19radix_merge_compareILb0ELb0EiNS0_19identity_decomposerEEEEE10hipError_tT0_T1_T2_jT3_P12ihipStream_tbPNSt15iterator_traitsISI_E10value_typeEPNSO_ISJ_E10value_typeEPSK_NS1_7vsmem_tEENKUlT_SI_SJ_SK_E_clISD_PiSD_S10_EESH_SX_SI_SJ_SK_EUlSX_E_NS1_11comp_targetILNS1_3genE0ELNS1_11target_archE4294967295ELNS1_3gpuE0ELNS1_3repE0EEENS1_48merge_mergepath_partition_config_static_selectorELNS0_4arch9wavefront6targetE1EEEvSJ_.uses_vcc, 1
	.set _ZN7rocprim17ROCPRIM_400000_NS6detail17trampoline_kernelINS0_14default_configENS1_38merge_sort_block_merge_config_selectorIiiEEZZNS1_27merge_sort_block_merge_implIS3_N6thrust23THRUST_200600_302600_NS6detail15normal_iteratorINS8_10device_ptrIiEEEESD_jNS1_19radix_merge_compareILb0ELb0EiNS0_19identity_decomposerEEEEE10hipError_tT0_T1_T2_jT3_P12ihipStream_tbPNSt15iterator_traitsISI_E10value_typeEPNSO_ISJ_E10value_typeEPSK_NS1_7vsmem_tEENKUlT_SI_SJ_SK_E_clISD_PiSD_S10_EESH_SX_SI_SJ_SK_EUlSX_E_NS1_11comp_targetILNS1_3genE0ELNS1_11target_archE4294967295ELNS1_3gpuE0ELNS1_3repE0EEENS1_48merge_mergepath_partition_config_static_selectorELNS0_4arch9wavefront6targetE1EEEvSJ_.uses_flat_scratch, 0
	.set _ZN7rocprim17ROCPRIM_400000_NS6detail17trampoline_kernelINS0_14default_configENS1_38merge_sort_block_merge_config_selectorIiiEEZZNS1_27merge_sort_block_merge_implIS3_N6thrust23THRUST_200600_302600_NS6detail15normal_iteratorINS8_10device_ptrIiEEEESD_jNS1_19radix_merge_compareILb0ELb0EiNS0_19identity_decomposerEEEEE10hipError_tT0_T1_T2_jT3_P12ihipStream_tbPNSt15iterator_traitsISI_E10value_typeEPNSO_ISJ_E10value_typeEPSK_NS1_7vsmem_tEENKUlT_SI_SJ_SK_E_clISD_PiSD_S10_EESH_SX_SI_SJ_SK_EUlSX_E_NS1_11comp_targetILNS1_3genE0ELNS1_11target_archE4294967295ELNS1_3gpuE0ELNS1_3repE0EEENS1_48merge_mergepath_partition_config_static_selectorELNS0_4arch9wavefront6targetE1EEEvSJ_.has_dyn_sized_stack, 0
	.set _ZN7rocprim17ROCPRIM_400000_NS6detail17trampoline_kernelINS0_14default_configENS1_38merge_sort_block_merge_config_selectorIiiEEZZNS1_27merge_sort_block_merge_implIS3_N6thrust23THRUST_200600_302600_NS6detail15normal_iteratorINS8_10device_ptrIiEEEESD_jNS1_19radix_merge_compareILb0ELb0EiNS0_19identity_decomposerEEEEE10hipError_tT0_T1_T2_jT3_P12ihipStream_tbPNSt15iterator_traitsISI_E10value_typeEPNSO_ISJ_E10value_typeEPSK_NS1_7vsmem_tEENKUlT_SI_SJ_SK_E_clISD_PiSD_S10_EESH_SX_SI_SJ_SK_EUlSX_E_NS1_11comp_targetILNS1_3genE0ELNS1_11target_archE4294967295ELNS1_3gpuE0ELNS1_3repE0EEENS1_48merge_mergepath_partition_config_static_selectorELNS0_4arch9wavefront6targetE1EEEvSJ_.has_recursion, 0
	.set _ZN7rocprim17ROCPRIM_400000_NS6detail17trampoline_kernelINS0_14default_configENS1_38merge_sort_block_merge_config_selectorIiiEEZZNS1_27merge_sort_block_merge_implIS3_N6thrust23THRUST_200600_302600_NS6detail15normal_iteratorINS8_10device_ptrIiEEEESD_jNS1_19radix_merge_compareILb0ELb0EiNS0_19identity_decomposerEEEEE10hipError_tT0_T1_T2_jT3_P12ihipStream_tbPNSt15iterator_traitsISI_E10value_typeEPNSO_ISJ_E10value_typeEPSK_NS1_7vsmem_tEENKUlT_SI_SJ_SK_E_clISD_PiSD_S10_EESH_SX_SI_SJ_SK_EUlSX_E_NS1_11comp_targetILNS1_3genE0ELNS1_11target_archE4294967295ELNS1_3gpuE0ELNS1_3repE0EEENS1_48merge_mergepath_partition_config_static_selectorELNS0_4arch9wavefront6targetE1EEEvSJ_.has_indirect_call, 0
	.section	.AMDGPU.csdata,"",@progbits
; Kernel info:
; codeLenInByte = 316
; TotalNumSgprs: 14
; NumVgprs: 17
; NumAgprs: 0
; TotalNumVgprs: 17
; ScratchSize: 0
; MemoryBound: 0
; FloatMode: 240
; IeeeMode: 1
; LDSByteSize: 0 bytes/workgroup (compile time only)
; SGPRBlocks: 1
; VGPRBlocks: 2
; NumSGPRsForWavesPerEU: 14
; NumVGPRsForWavesPerEU: 17
; AccumOffset: 20
; Occupancy: 8
; WaveLimiterHint : 0
; COMPUTE_PGM_RSRC2:SCRATCH_EN: 0
; COMPUTE_PGM_RSRC2:USER_SGPR: 2
; COMPUTE_PGM_RSRC2:TRAP_HANDLER: 0
; COMPUTE_PGM_RSRC2:TGID_X_EN: 1
; COMPUTE_PGM_RSRC2:TGID_Y_EN: 0
; COMPUTE_PGM_RSRC2:TGID_Z_EN: 0
; COMPUTE_PGM_RSRC2:TIDIG_COMP_CNT: 0
; COMPUTE_PGM_RSRC3_GFX90A:ACCUM_OFFSET: 4
; COMPUTE_PGM_RSRC3_GFX90A:TG_SPLIT: 0
	.section	.text._ZN7rocprim17ROCPRIM_400000_NS6detail17trampoline_kernelINS0_14default_configENS1_38merge_sort_block_merge_config_selectorIiiEEZZNS1_27merge_sort_block_merge_implIS3_N6thrust23THRUST_200600_302600_NS6detail15normal_iteratorINS8_10device_ptrIiEEEESD_jNS1_19radix_merge_compareILb0ELb0EiNS0_19identity_decomposerEEEEE10hipError_tT0_T1_T2_jT3_P12ihipStream_tbPNSt15iterator_traitsISI_E10value_typeEPNSO_ISJ_E10value_typeEPSK_NS1_7vsmem_tEENKUlT_SI_SJ_SK_E_clISD_PiSD_S10_EESH_SX_SI_SJ_SK_EUlSX_E_NS1_11comp_targetILNS1_3genE10ELNS1_11target_archE1201ELNS1_3gpuE5ELNS1_3repE0EEENS1_48merge_mergepath_partition_config_static_selectorELNS0_4arch9wavefront6targetE1EEEvSJ_,"axG",@progbits,_ZN7rocprim17ROCPRIM_400000_NS6detail17trampoline_kernelINS0_14default_configENS1_38merge_sort_block_merge_config_selectorIiiEEZZNS1_27merge_sort_block_merge_implIS3_N6thrust23THRUST_200600_302600_NS6detail15normal_iteratorINS8_10device_ptrIiEEEESD_jNS1_19radix_merge_compareILb0ELb0EiNS0_19identity_decomposerEEEEE10hipError_tT0_T1_T2_jT3_P12ihipStream_tbPNSt15iterator_traitsISI_E10value_typeEPNSO_ISJ_E10value_typeEPSK_NS1_7vsmem_tEENKUlT_SI_SJ_SK_E_clISD_PiSD_S10_EESH_SX_SI_SJ_SK_EUlSX_E_NS1_11comp_targetILNS1_3genE10ELNS1_11target_archE1201ELNS1_3gpuE5ELNS1_3repE0EEENS1_48merge_mergepath_partition_config_static_selectorELNS0_4arch9wavefront6targetE1EEEvSJ_,comdat
	.protected	_ZN7rocprim17ROCPRIM_400000_NS6detail17trampoline_kernelINS0_14default_configENS1_38merge_sort_block_merge_config_selectorIiiEEZZNS1_27merge_sort_block_merge_implIS3_N6thrust23THRUST_200600_302600_NS6detail15normal_iteratorINS8_10device_ptrIiEEEESD_jNS1_19radix_merge_compareILb0ELb0EiNS0_19identity_decomposerEEEEE10hipError_tT0_T1_T2_jT3_P12ihipStream_tbPNSt15iterator_traitsISI_E10value_typeEPNSO_ISJ_E10value_typeEPSK_NS1_7vsmem_tEENKUlT_SI_SJ_SK_E_clISD_PiSD_S10_EESH_SX_SI_SJ_SK_EUlSX_E_NS1_11comp_targetILNS1_3genE10ELNS1_11target_archE1201ELNS1_3gpuE5ELNS1_3repE0EEENS1_48merge_mergepath_partition_config_static_selectorELNS0_4arch9wavefront6targetE1EEEvSJ_ ; -- Begin function _ZN7rocprim17ROCPRIM_400000_NS6detail17trampoline_kernelINS0_14default_configENS1_38merge_sort_block_merge_config_selectorIiiEEZZNS1_27merge_sort_block_merge_implIS3_N6thrust23THRUST_200600_302600_NS6detail15normal_iteratorINS8_10device_ptrIiEEEESD_jNS1_19radix_merge_compareILb0ELb0EiNS0_19identity_decomposerEEEEE10hipError_tT0_T1_T2_jT3_P12ihipStream_tbPNSt15iterator_traitsISI_E10value_typeEPNSO_ISJ_E10value_typeEPSK_NS1_7vsmem_tEENKUlT_SI_SJ_SK_E_clISD_PiSD_S10_EESH_SX_SI_SJ_SK_EUlSX_E_NS1_11comp_targetILNS1_3genE10ELNS1_11target_archE1201ELNS1_3gpuE5ELNS1_3repE0EEENS1_48merge_mergepath_partition_config_static_selectorELNS0_4arch9wavefront6targetE1EEEvSJ_
	.globl	_ZN7rocprim17ROCPRIM_400000_NS6detail17trampoline_kernelINS0_14default_configENS1_38merge_sort_block_merge_config_selectorIiiEEZZNS1_27merge_sort_block_merge_implIS3_N6thrust23THRUST_200600_302600_NS6detail15normal_iteratorINS8_10device_ptrIiEEEESD_jNS1_19radix_merge_compareILb0ELb0EiNS0_19identity_decomposerEEEEE10hipError_tT0_T1_T2_jT3_P12ihipStream_tbPNSt15iterator_traitsISI_E10value_typeEPNSO_ISJ_E10value_typeEPSK_NS1_7vsmem_tEENKUlT_SI_SJ_SK_E_clISD_PiSD_S10_EESH_SX_SI_SJ_SK_EUlSX_E_NS1_11comp_targetILNS1_3genE10ELNS1_11target_archE1201ELNS1_3gpuE5ELNS1_3repE0EEENS1_48merge_mergepath_partition_config_static_selectorELNS0_4arch9wavefront6targetE1EEEvSJ_
	.p2align	8
	.type	_ZN7rocprim17ROCPRIM_400000_NS6detail17trampoline_kernelINS0_14default_configENS1_38merge_sort_block_merge_config_selectorIiiEEZZNS1_27merge_sort_block_merge_implIS3_N6thrust23THRUST_200600_302600_NS6detail15normal_iteratorINS8_10device_ptrIiEEEESD_jNS1_19radix_merge_compareILb0ELb0EiNS0_19identity_decomposerEEEEE10hipError_tT0_T1_T2_jT3_P12ihipStream_tbPNSt15iterator_traitsISI_E10value_typeEPNSO_ISJ_E10value_typeEPSK_NS1_7vsmem_tEENKUlT_SI_SJ_SK_E_clISD_PiSD_S10_EESH_SX_SI_SJ_SK_EUlSX_E_NS1_11comp_targetILNS1_3genE10ELNS1_11target_archE1201ELNS1_3gpuE5ELNS1_3repE0EEENS1_48merge_mergepath_partition_config_static_selectorELNS0_4arch9wavefront6targetE1EEEvSJ_,@function
_ZN7rocprim17ROCPRIM_400000_NS6detail17trampoline_kernelINS0_14default_configENS1_38merge_sort_block_merge_config_selectorIiiEEZZNS1_27merge_sort_block_merge_implIS3_N6thrust23THRUST_200600_302600_NS6detail15normal_iteratorINS8_10device_ptrIiEEEESD_jNS1_19radix_merge_compareILb0ELb0EiNS0_19identity_decomposerEEEEE10hipError_tT0_T1_T2_jT3_P12ihipStream_tbPNSt15iterator_traitsISI_E10value_typeEPNSO_ISJ_E10value_typeEPSK_NS1_7vsmem_tEENKUlT_SI_SJ_SK_E_clISD_PiSD_S10_EESH_SX_SI_SJ_SK_EUlSX_E_NS1_11comp_targetILNS1_3genE10ELNS1_11target_archE1201ELNS1_3gpuE5ELNS1_3repE0EEENS1_48merge_mergepath_partition_config_static_selectorELNS0_4arch9wavefront6targetE1EEEvSJ_: ; @_ZN7rocprim17ROCPRIM_400000_NS6detail17trampoline_kernelINS0_14default_configENS1_38merge_sort_block_merge_config_selectorIiiEEZZNS1_27merge_sort_block_merge_implIS3_N6thrust23THRUST_200600_302600_NS6detail15normal_iteratorINS8_10device_ptrIiEEEESD_jNS1_19radix_merge_compareILb0ELb0EiNS0_19identity_decomposerEEEEE10hipError_tT0_T1_T2_jT3_P12ihipStream_tbPNSt15iterator_traitsISI_E10value_typeEPNSO_ISJ_E10value_typeEPSK_NS1_7vsmem_tEENKUlT_SI_SJ_SK_E_clISD_PiSD_S10_EESH_SX_SI_SJ_SK_EUlSX_E_NS1_11comp_targetILNS1_3genE10ELNS1_11target_archE1201ELNS1_3gpuE5ELNS1_3repE0EEENS1_48merge_mergepath_partition_config_static_selectorELNS0_4arch9wavefront6targetE1EEEvSJ_
; %bb.0:
	.section	.rodata,"a",@progbits
	.p2align	6, 0x0
	.amdhsa_kernel _ZN7rocprim17ROCPRIM_400000_NS6detail17trampoline_kernelINS0_14default_configENS1_38merge_sort_block_merge_config_selectorIiiEEZZNS1_27merge_sort_block_merge_implIS3_N6thrust23THRUST_200600_302600_NS6detail15normal_iteratorINS8_10device_ptrIiEEEESD_jNS1_19radix_merge_compareILb0ELb0EiNS0_19identity_decomposerEEEEE10hipError_tT0_T1_T2_jT3_P12ihipStream_tbPNSt15iterator_traitsISI_E10value_typeEPNSO_ISJ_E10value_typeEPSK_NS1_7vsmem_tEENKUlT_SI_SJ_SK_E_clISD_PiSD_S10_EESH_SX_SI_SJ_SK_EUlSX_E_NS1_11comp_targetILNS1_3genE10ELNS1_11target_archE1201ELNS1_3gpuE5ELNS1_3repE0EEENS1_48merge_mergepath_partition_config_static_selectorELNS0_4arch9wavefront6targetE1EEEvSJ_
		.amdhsa_group_segment_fixed_size 0
		.amdhsa_private_segment_fixed_size 0
		.amdhsa_kernarg_size 40
		.amdhsa_user_sgpr_count 2
		.amdhsa_user_sgpr_dispatch_ptr 0
		.amdhsa_user_sgpr_queue_ptr 0
		.amdhsa_user_sgpr_kernarg_segment_ptr 1
		.amdhsa_user_sgpr_dispatch_id 0
		.amdhsa_user_sgpr_kernarg_preload_length 0
		.amdhsa_user_sgpr_kernarg_preload_offset 0
		.amdhsa_user_sgpr_private_segment_size 0
		.amdhsa_uses_dynamic_stack 0
		.amdhsa_enable_private_segment 0
		.amdhsa_system_sgpr_workgroup_id_x 1
		.amdhsa_system_sgpr_workgroup_id_y 0
		.amdhsa_system_sgpr_workgroup_id_z 0
		.amdhsa_system_sgpr_workgroup_info 0
		.amdhsa_system_vgpr_workitem_id 0
		.amdhsa_next_free_vgpr 1
		.amdhsa_next_free_sgpr 0
		.amdhsa_accum_offset 4
		.amdhsa_reserve_vcc 0
		.amdhsa_float_round_mode_32 0
		.amdhsa_float_round_mode_16_64 0
		.amdhsa_float_denorm_mode_32 3
		.amdhsa_float_denorm_mode_16_64 3
		.amdhsa_dx10_clamp 1
		.amdhsa_ieee_mode 1
		.amdhsa_fp16_overflow 0
		.amdhsa_tg_split 0
		.amdhsa_exception_fp_ieee_invalid_op 0
		.amdhsa_exception_fp_denorm_src 0
		.amdhsa_exception_fp_ieee_div_zero 0
		.amdhsa_exception_fp_ieee_overflow 0
		.amdhsa_exception_fp_ieee_underflow 0
		.amdhsa_exception_fp_ieee_inexact 0
		.amdhsa_exception_int_div_zero 0
	.end_amdhsa_kernel
	.section	.text._ZN7rocprim17ROCPRIM_400000_NS6detail17trampoline_kernelINS0_14default_configENS1_38merge_sort_block_merge_config_selectorIiiEEZZNS1_27merge_sort_block_merge_implIS3_N6thrust23THRUST_200600_302600_NS6detail15normal_iteratorINS8_10device_ptrIiEEEESD_jNS1_19radix_merge_compareILb0ELb0EiNS0_19identity_decomposerEEEEE10hipError_tT0_T1_T2_jT3_P12ihipStream_tbPNSt15iterator_traitsISI_E10value_typeEPNSO_ISJ_E10value_typeEPSK_NS1_7vsmem_tEENKUlT_SI_SJ_SK_E_clISD_PiSD_S10_EESH_SX_SI_SJ_SK_EUlSX_E_NS1_11comp_targetILNS1_3genE10ELNS1_11target_archE1201ELNS1_3gpuE5ELNS1_3repE0EEENS1_48merge_mergepath_partition_config_static_selectorELNS0_4arch9wavefront6targetE1EEEvSJ_,"axG",@progbits,_ZN7rocprim17ROCPRIM_400000_NS6detail17trampoline_kernelINS0_14default_configENS1_38merge_sort_block_merge_config_selectorIiiEEZZNS1_27merge_sort_block_merge_implIS3_N6thrust23THRUST_200600_302600_NS6detail15normal_iteratorINS8_10device_ptrIiEEEESD_jNS1_19radix_merge_compareILb0ELb0EiNS0_19identity_decomposerEEEEE10hipError_tT0_T1_T2_jT3_P12ihipStream_tbPNSt15iterator_traitsISI_E10value_typeEPNSO_ISJ_E10value_typeEPSK_NS1_7vsmem_tEENKUlT_SI_SJ_SK_E_clISD_PiSD_S10_EESH_SX_SI_SJ_SK_EUlSX_E_NS1_11comp_targetILNS1_3genE10ELNS1_11target_archE1201ELNS1_3gpuE5ELNS1_3repE0EEENS1_48merge_mergepath_partition_config_static_selectorELNS0_4arch9wavefront6targetE1EEEvSJ_,comdat
.Lfunc_end733:
	.size	_ZN7rocprim17ROCPRIM_400000_NS6detail17trampoline_kernelINS0_14default_configENS1_38merge_sort_block_merge_config_selectorIiiEEZZNS1_27merge_sort_block_merge_implIS3_N6thrust23THRUST_200600_302600_NS6detail15normal_iteratorINS8_10device_ptrIiEEEESD_jNS1_19radix_merge_compareILb0ELb0EiNS0_19identity_decomposerEEEEE10hipError_tT0_T1_T2_jT3_P12ihipStream_tbPNSt15iterator_traitsISI_E10value_typeEPNSO_ISJ_E10value_typeEPSK_NS1_7vsmem_tEENKUlT_SI_SJ_SK_E_clISD_PiSD_S10_EESH_SX_SI_SJ_SK_EUlSX_E_NS1_11comp_targetILNS1_3genE10ELNS1_11target_archE1201ELNS1_3gpuE5ELNS1_3repE0EEENS1_48merge_mergepath_partition_config_static_selectorELNS0_4arch9wavefront6targetE1EEEvSJ_, .Lfunc_end733-_ZN7rocprim17ROCPRIM_400000_NS6detail17trampoline_kernelINS0_14default_configENS1_38merge_sort_block_merge_config_selectorIiiEEZZNS1_27merge_sort_block_merge_implIS3_N6thrust23THRUST_200600_302600_NS6detail15normal_iteratorINS8_10device_ptrIiEEEESD_jNS1_19radix_merge_compareILb0ELb0EiNS0_19identity_decomposerEEEEE10hipError_tT0_T1_T2_jT3_P12ihipStream_tbPNSt15iterator_traitsISI_E10value_typeEPNSO_ISJ_E10value_typeEPSK_NS1_7vsmem_tEENKUlT_SI_SJ_SK_E_clISD_PiSD_S10_EESH_SX_SI_SJ_SK_EUlSX_E_NS1_11comp_targetILNS1_3genE10ELNS1_11target_archE1201ELNS1_3gpuE5ELNS1_3repE0EEENS1_48merge_mergepath_partition_config_static_selectorELNS0_4arch9wavefront6targetE1EEEvSJ_
                                        ; -- End function
	.set _ZN7rocprim17ROCPRIM_400000_NS6detail17trampoline_kernelINS0_14default_configENS1_38merge_sort_block_merge_config_selectorIiiEEZZNS1_27merge_sort_block_merge_implIS3_N6thrust23THRUST_200600_302600_NS6detail15normal_iteratorINS8_10device_ptrIiEEEESD_jNS1_19radix_merge_compareILb0ELb0EiNS0_19identity_decomposerEEEEE10hipError_tT0_T1_T2_jT3_P12ihipStream_tbPNSt15iterator_traitsISI_E10value_typeEPNSO_ISJ_E10value_typeEPSK_NS1_7vsmem_tEENKUlT_SI_SJ_SK_E_clISD_PiSD_S10_EESH_SX_SI_SJ_SK_EUlSX_E_NS1_11comp_targetILNS1_3genE10ELNS1_11target_archE1201ELNS1_3gpuE5ELNS1_3repE0EEENS1_48merge_mergepath_partition_config_static_selectorELNS0_4arch9wavefront6targetE1EEEvSJ_.num_vgpr, 0
	.set _ZN7rocprim17ROCPRIM_400000_NS6detail17trampoline_kernelINS0_14default_configENS1_38merge_sort_block_merge_config_selectorIiiEEZZNS1_27merge_sort_block_merge_implIS3_N6thrust23THRUST_200600_302600_NS6detail15normal_iteratorINS8_10device_ptrIiEEEESD_jNS1_19radix_merge_compareILb0ELb0EiNS0_19identity_decomposerEEEEE10hipError_tT0_T1_T2_jT3_P12ihipStream_tbPNSt15iterator_traitsISI_E10value_typeEPNSO_ISJ_E10value_typeEPSK_NS1_7vsmem_tEENKUlT_SI_SJ_SK_E_clISD_PiSD_S10_EESH_SX_SI_SJ_SK_EUlSX_E_NS1_11comp_targetILNS1_3genE10ELNS1_11target_archE1201ELNS1_3gpuE5ELNS1_3repE0EEENS1_48merge_mergepath_partition_config_static_selectorELNS0_4arch9wavefront6targetE1EEEvSJ_.num_agpr, 0
	.set _ZN7rocprim17ROCPRIM_400000_NS6detail17trampoline_kernelINS0_14default_configENS1_38merge_sort_block_merge_config_selectorIiiEEZZNS1_27merge_sort_block_merge_implIS3_N6thrust23THRUST_200600_302600_NS6detail15normal_iteratorINS8_10device_ptrIiEEEESD_jNS1_19radix_merge_compareILb0ELb0EiNS0_19identity_decomposerEEEEE10hipError_tT0_T1_T2_jT3_P12ihipStream_tbPNSt15iterator_traitsISI_E10value_typeEPNSO_ISJ_E10value_typeEPSK_NS1_7vsmem_tEENKUlT_SI_SJ_SK_E_clISD_PiSD_S10_EESH_SX_SI_SJ_SK_EUlSX_E_NS1_11comp_targetILNS1_3genE10ELNS1_11target_archE1201ELNS1_3gpuE5ELNS1_3repE0EEENS1_48merge_mergepath_partition_config_static_selectorELNS0_4arch9wavefront6targetE1EEEvSJ_.numbered_sgpr, 0
	.set _ZN7rocprim17ROCPRIM_400000_NS6detail17trampoline_kernelINS0_14default_configENS1_38merge_sort_block_merge_config_selectorIiiEEZZNS1_27merge_sort_block_merge_implIS3_N6thrust23THRUST_200600_302600_NS6detail15normal_iteratorINS8_10device_ptrIiEEEESD_jNS1_19radix_merge_compareILb0ELb0EiNS0_19identity_decomposerEEEEE10hipError_tT0_T1_T2_jT3_P12ihipStream_tbPNSt15iterator_traitsISI_E10value_typeEPNSO_ISJ_E10value_typeEPSK_NS1_7vsmem_tEENKUlT_SI_SJ_SK_E_clISD_PiSD_S10_EESH_SX_SI_SJ_SK_EUlSX_E_NS1_11comp_targetILNS1_3genE10ELNS1_11target_archE1201ELNS1_3gpuE5ELNS1_3repE0EEENS1_48merge_mergepath_partition_config_static_selectorELNS0_4arch9wavefront6targetE1EEEvSJ_.num_named_barrier, 0
	.set _ZN7rocprim17ROCPRIM_400000_NS6detail17trampoline_kernelINS0_14default_configENS1_38merge_sort_block_merge_config_selectorIiiEEZZNS1_27merge_sort_block_merge_implIS3_N6thrust23THRUST_200600_302600_NS6detail15normal_iteratorINS8_10device_ptrIiEEEESD_jNS1_19radix_merge_compareILb0ELb0EiNS0_19identity_decomposerEEEEE10hipError_tT0_T1_T2_jT3_P12ihipStream_tbPNSt15iterator_traitsISI_E10value_typeEPNSO_ISJ_E10value_typeEPSK_NS1_7vsmem_tEENKUlT_SI_SJ_SK_E_clISD_PiSD_S10_EESH_SX_SI_SJ_SK_EUlSX_E_NS1_11comp_targetILNS1_3genE10ELNS1_11target_archE1201ELNS1_3gpuE5ELNS1_3repE0EEENS1_48merge_mergepath_partition_config_static_selectorELNS0_4arch9wavefront6targetE1EEEvSJ_.private_seg_size, 0
	.set _ZN7rocprim17ROCPRIM_400000_NS6detail17trampoline_kernelINS0_14default_configENS1_38merge_sort_block_merge_config_selectorIiiEEZZNS1_27merge_sort_block_merge_implIS3_N6thrust23THRUST_200600_302600_NS6detail15normal_iteratorINS8_10device_ptrIiEEEESD_jNS1_19radix_merge_compareILb0ELb0EiNS0_19identity_decomposerEEEEE10hipError_tT0_T1_T2_jT3_P12ihipStream_tbPNSt15iterator_traitsISI_E10value_typeEPNSO_ISJ_E10value_typeEPSK_NS1_7vsmem_tEENKUlT_SI_SJ_SK_E_clISD_PiSD_S10_EESH_SX_SI_SJ_SK_EUlSX_E_NS1_11comp_targetILNS1_3genE10ELNS1_11target_archE1201ELNS1_3gpuE5ELNS1_3repE0EEENS1_48merge_mergepath_partition_config_static_selectorELNS0_4arch9wavefront6targetE1EEEvSJ_.uses_vcc, 0
	.set _ZN7rocprim17ROCPRIM_400000_NS6detail17trampoline_kernelINS0_14default_configENS1_38merge_sort_block_merge_config_selectorIiiEEZZNS1_27merge_sort_block_merge_implIS3_N6thrust23THRUST_200600_302600_NS6detail15normal_iteratorINS8_10device_ptrIiEEEESD_jNS1_19radix_merge_compareILb0ELb0EiNS0_19identity_decomposerEEEEE10hipError_tT0_T1_T2_jT3_P12ihipStream_tbPNSt15iterator_traitsISI_E10value_typeEPNSO_ISJ_E10value_typeEPSK_NS1_7vsmem_tEENKUlT_SI_SJ_SK_E_clISD_PiSD_S10_EESH_SX_SI_SJ_SK_EUlSX_E_NS1_11comp_targetILNS1_3genE10ELNS1_11target_archE1201ELNS1_3gpuE5ELNS1_3repE0EEENS1_48merge_mergepath_partition_config_static_selectorELNS0_4arch9wavefront6targetE1EEEvSJ_.uses_flat_scratch, 0
	.set _ZN7rocprim17ROCPRIM_400000_NS6detail17trampoline_kernelINS0_14default_configENS1_38merge_sort_block_merge_config_selectorIiiEEZZNS1_27merge_sort_block_merge_implIS3_N6thrust23THRUST_200600_302600_NS6detail15normal_iteratorINS8_10device_ptrIiEEEESD_jNS1_19radix_merge_compareILb0ELb0EiNS0_19identity_decomposerEEEEE10hipError_tT0_T1_T2_jT3_P12ihipStream_tbPNSt15iterator_traitsISI_E10value_typeEPNSO_ISJ_E10value_typeEPSK_NS1_7vsmem_tEENKUlT_SI_SJ_SK_E_clISD_PiSD_S10_EESH_SX_SI_SJ_SK_EUlSX_E_NS1_11comp_targetILNS1_3genE10ELNS1_11target_archE1201ELNS1_3gpuE5ELNS1_3repE0EEENS1_48merge_mergepath_partition_config_static_selectorELNS0_4arch9wavefront6targetE1EEEvSJ_.has_dyn_sized_stack, 0
	.set _ZN7rocprim17ROCPRIM_400000_NS6detail17trampoline_kernelINS0_14default_configENS1_38merge_sort_block_merge_config_selectorIiiEEZZNS1_27merge_sort_block_merge_implIS3_N6thrust23THRUST_200600_302600_NS6detail15normal_iteratorINS8_10device_ptrIiEEEESD_jNS1_19radix_merge_compareILb0ELb0EiNS0_19identity_decomposerEEEEE10hipError_tT0_T1_T2_jT3_P12ihipStream_tbPNSt15iterator_traitsISI_E10value_typeEPNSO_ISJ_E10value_typeEPSK_NS1_7vsmem_tEENKUlT_SI_SJ_SK_E_clISD_PiSD_S10_EESH_SX_SI_SJ_SK_EUlSX_E_NS1_11comp_targetILNS1_3genE10ELNS1_11target_archE1201ELNS1_3gpuE5ELNS1_3repE0EEENS1_48merge_mergepath_partition_config_static_selectorELNS0_4arch9wavefront6targetE1EEEvSJ_.has_recursion, 0
	.set _ZN7rocprim17ROCPRIM_400000_NS6detail17trampoline_kernelINS0_14default_configENS1_38merge_sort_block_merge_config_selectorIiiEEZZNS1_27merge_sort_block_merge_implIS3_N6thrust23THRUST_200600_302600_NS6detail15normal_iteratorINS8_10device_ptrIiEEEESD_jNS1_19radix_merge_compareILb0ELb0EiNS0_19identity_decomposerEEEEE10hipError_tT0_T1_T2_jT3_P12ihipStream_tbPNSt15iterator_traitsISI_E10value_typeEPNSO_ISJ_E10value_typeEPSK_NS1_7vsmem_tEENKUlT_SI_SJ_SK_E_clISD_PiSD_S10_EESH_SX_SI_SJ_SK_EUlSX_E_NS1_11comp_targetILNS1_3genE10ELNS1_11target_archE1201ELNS1_3gpuE5ELNS1_3repE0EEENS1_48merge_mergepath_partition_config_static_selectorELNS0_4arch9wavefront6targetE1EEEvSJ_.has_indirect_call, 0
	.section	.AMDGPU.csdata,"",@progbits
; Kernel info:
; codeLenInByte = 0
; TotalNumSgprs: 6
; NumVgprs: 0
; NumAgprs: 0
; TotalNumVgprs: 0
; ScratchSize: 0
; MemoryBound: 0
; FloatMode: 240
; IeeeMode: 1
; LDSByteSize: 0 bytes/workgroup (compile time only)
; SGPRBlocks: 0
; VGPRBlocks: 0
; NumSGPRsForWavesPerEU: 6
; NumVGPRsForWavesPerEU: 1
; AccumOffset: 4
; Occupancy: 8
; WaveLimiterHint : 0
; COMPUTE_PGM_RSRC2:SCRATCH_EN: 0
; COMPUTE_PGM_RSRC2:USER_SGPR: 2
; COMPUTE_PGM_RSRC2:TRAP_HANDLER: 0
; COMPUTE_PGM_RSRC2:TGID_X_EN: 1
; COMPUTE_PGM_RSRC2:TGID_Y_EN: 0
; COMPUTE_PGM_RSRC2:TGID_Z_EN: 0
; COMPUTE_PGM_RSRC2:TIDIG_COMP_CNT: 0
; COMPUTE_PGM_RSRC3_GFX90A:ACCUM_OFFSET: 0
; COMPUTE_PGM_RSRC3_GFX90A:TG_SPLIT: 0
	.section	.text._ZN7rocprim17ROCPRIM_400000_NS6detail17trampoline_kernelINS0_14default_configENS1_38merge_sort_block_merge_config_selectorIiiEEZZNS1_27merge_sort_block_merge_implIS3_N6thrust23THRUST_200600_302600_NS6detail15normal_iteratorINS8_10device_ptrIiEEEESD_jNS1_19radix_merge_compareILb0ELb0EiNS0_19identity_decomposerEEEEE10hipError_tT0_T1_T2_jT3_P12ihipStream_tbPNSt15iterator_traitsISI_E10value_typeEPNSO_ISJ_E10value_typeEPSK_NS1_7vsmem_tEENKUlT_SI_SJ_SK_E_clISD_PiSD_S10_EESH_SX_SI_SJ_SK_EUlSX_E_NS1_11comp_targetILNS1_3genE5ELNS1_11target_archE942ELNS1_3gpuE9ELNS1_3repE0EEENS1_48merge_mergepath_partition_config_static_selectorELNS0_4arch9wavefront6targetE1EEEvSJ_,"axG",@progbits,_ZN7rocprim17ROCPRIM_400000_NS6detail17trampoline_kernelINS0_14default_configENS1_38merge_sort_block_merge_config_selectorIiiEEZZNS1_27merge_sort_block_merge_implIS3_N6thrust23THRUST_200600_302600_NS6detail15normal_iteratorINS8_10device_ptrIiEEEESD_jNS1_19radix_merge_compareILb0ELb0EiNS0_19identity_decomposerEEEEE10hipError_tT0_T1_T2_jT3_P12ihipStream_tbPNSt15iterator_traitsISI_E10value_typeEPNSO_ISJ_E10value_typeEPSK_NS1_7vsmem_tEENKUlT_SI_SJ_SK_E_clISD_PiSD_S10_EESH_SX_SI_SJ_SK_EUlSX_E_NS1_11comp_targetILNS1_3genE5ELNS1_11target_archE942ELNS1_3gpuE9ELNS1_3repE0EEENS1_48merge_mergepath_partition_config_static_selectorELNS0_4arch9wavefront6targetE1EEEvSJ_,comdat
	.protected	_ZN7rocprim17ROCPRIM_400000_NS6detail17trampoline_kernelINS0_14default_configENS1_38merge_sort_block_merge_config_selectorIiiEEZZNS1_27merge_sort_block_merge_implIS3_N6thrust23THRUST_200600_302600_NS6detail15normal_iteratorINS8_10device_ptrIiEEEESD_jNS1_19radix_merge_compareILb0ELb0EiNS0_19identity_decomposerEEEEE10hipError_tT0_T1_T2_jT3_P12ihipStream_tbPNSt15iterator_traitsISI_E10value_typeEPNSO_ISJ_E10value_typeEPSK_NS1_7vsmem_tEENKUlT_SI_SJ_SK_E_clISD_PiSD_S10_EESH_SX_SI_SJ_SK_EUlSX_E_NS1_11comp_targetILNS1_3genE5ELNS1_11target_archE942ELNS1_3gpuE9ELNS1_3repE0EEENS1_48merge_mergepath_partition_config_static_selectorELNS0_4arch9wavefront6targetE1EEEvSJ_ ; -- Begin function _ZN7rocprim17ROCPRIM_400000_NS6detail17trampoline_kernelINS0_14default_configENS1_38merge_sort_block_merge_config_selectorIiiEEZZNS1_27merge_sort_block_merge_implIS3_N6thrust23THRUST_200600_302600_NS6detail15normal_iteratorINS8_10device_ptrIiEEEESD_jNS1_19radix_merge_compareILb0ELb0EiNS0_19identity_decomposerEEEEE10hipError_tT0_T1_T2_jT3_P12ihipStream_tbPNSt15iterator_traitsISI_E10value_typeEPNSO_ISJ_E10value_typeEPSK_NS1_7vsmem_tEENKUlT_SI_SJ_SK_E_clISD_PiSD_S10_EESH_SX_SI_SJ_SK_EUlSX_E_NS1_11comp_targetILNS1_3genE5ELNS1_11target_archE942ELNS1_3gpuE9ELNS1_3repE0EEENS1_48merge_mergepath_partition_config_static_selectorELNS0_4arch9wavefront6targetE1EEEvSJ_
	.globl	_ZN7rocprim17ROCPRIM_400000_NS6detail17trampoline_kernelINS0_14default_configENS1_38merge_sort_block_merge_config_selectorIiiEEZZNS1_27merge_sort_block_merge_implIS3_N6thrust23THRUST_200600_302600_NS6detail15normal_iteratorINS8_10device_ptrIiEEEESD_jNS1_19radix_merge_compareILb0ELb0EiNS0_19identity_decomposerEEEEE10hipError_tT0_T1_T2_jT3_P12ihipStream_tbPNSt15iterator_traitsISI_E10value_typeEPNSO_ISJ_E10value_typeEPSK_NS1_7vsmem_tEENKUlT_SI_SJ_SK_E_clISD_PiSD_S10_EESH_SX_SI_SJ_SK_EUlSX_E_NS1_11comp_targetILNS1_3genE5ELNS1_11target_archE942ELNS1_3gpuE9ELNS1_3repE0EEENS1_48merge_mergepath_partition_config_static_selectorELNS0_4arch9wavefront6targetE1EEEvSJ_
	.p2align	8
	.type	_ZN7rocprim17ROCPRIM_400000_NS6detail17trampoline_kernelINS0_14default_configENS1_38merge_sort_block_merge_config_selectorIiiEEZZNS1_27merge_sort_block_merge_implIS3_N6thrust23THRUST_200600_302600_NS6detail15normal_iteratorINS8_10device_ptrIiEEEESD_jNS1_19radix_merge_compareILb0ELb0EiNS0_19identity_decomposerEEEEE10hipError_tT0_T1_T2_jT3_P12ihipStream_tbPNSt15iterator_traitsISI_E10value_typeEPNSO_ISJ_E10value_typeEPSK_NS1_7vsmem_tEENKUlT_SI_SJ_SK_E_clISD_PiSD_S10_EESH_SX_SI_SJ_SK_EUlSX_E_NS1_11comp_targetILNS1_3genE5ELNS1_11target_archE942ELNS1_3gpuE9ELNS1_3repE0EEENS1_48merge_mergepath_partition_config_static_selectorELNS0_4arch9wavefront6targetE1EEEvSJ_,@function
_ZN7rocprim17ROCPRIM_400000_NS6detail17trampoline_kernelINS0_14default_configENS1_38merge_sort_block_merge_config_selectorIiiEEZZNS1_27merge_sort_block_merge_implIS3_N6thrust23THRUST_200600_302600_NS6detail15normal_iteratorINS8_10device_ptrIiEEEESD_jNS1_19radix_merge_compareILb0ELb0EiNS0_19identity_decomposerEEEEE10hipError_tT0_T1_T2_jT3_P12ihipStream_tbPNSt15iterator_traitsISI_E10value_typeEPNSO_ISJ_E10value_typeEPSK_NS1_7vsmem_tEENKUlT_SI_SJ_SK_E_clISD_PiSD_S10_EESH_SX_SI_SJ_SK_EUlSX_E_NS1_11comp_targetILNS1_3genE5ELNS1_11target_archE942ELNS1_3gpuE9ELNS1_3repE0EEENS1_48merge_mergepath_partition_config_static_selectorELNS0_4arch9wavefront6targetE1EEEvSJ_: ; @_ZN7rocprim17ROCPRIM_400000_NS6detail17trampoline_kernelINS0_14default_configENS1_38merge_sort_block_merge_config_selectorIiiEEZZNS1_27merge_sort_block_merge_implIS3_N6thrust23THRUST_200600_302600_NS6detail15normal_iteratorINS8_10device_ptrIiEEEESD_jNS1_19radix_merge_compareILb0ELb0EiNS0_19identity_decomposerEEEEE10hipError_tT0_T1_T2_jT3_P12ihipStream_tbPNSt15iterator_traitsISI_E10value_typeEPNSO_ISJ_E10value_typeEPSK_NS1_7vsmem_tEENKUlT_SI_SJ_SK_E_clISD_PiSD_S10_EESH_SX_SI_SJ_SK_EUlSX_E_NS1_11comp_targetILNS1_3genE5ELNS1_11target_archE942ELNS1_3gpuE9ELNS1_3repE0EEENS1_48merge_mergepath_partition_config_static_selectorELNS0_4arch9wavefront6targetE1EEEvSJ_
; %bb.0:
	.section	.rodata,"a",@progbits
	.p2align	6, 0x0
	.amdhsa_kernel _ZN7rocprim17ROCPRIM_400000_NS6detail17trampoline_kernelINS0_14default_configENS1_38merge_sort_block_merge_config_selectorIiiEEZZNS1_27merge_sort_block_merge_implIS3_N6thrust23THRUST_200600_302600_NS6detail15normal_iteratorINS8_10device_ptrIiEEEESD_jNS1_19radix_merge_compareILb0ELb0EiNS0_19identity_decomposerEEEEE10hipError_tT0_T1_T2_jT3_P12ihipStream_tbPNSt15iterator_traitsISI_E10value_typeEPNSO_ISJ_E10value_typeEPSK_NS1_7vsmem_tEENKUlT_SI_SJ_SK_E_clISD_PiSD_S10_EESH_SX_SI_SJ_SK_EUlSX_E_NS1_11comp_targetILNS1_3genE5ELNS1_11target_archE942ELNS1_3gpuE9ELNS1_3repE0EEENS1_48merge_mergepath_partition_config_static_selectorELNS0_4arch9wavefront6targetE1EEEvSJ_
		.amdhsa_group_segment_fixed_size 0
		.amdhsa_private_segment_fixed_size 0
		.amdhsa_kernarg_size 40
		.amdhsa_user_sgpr_count 2
		.amdhsa_user_sgpr_dispatch_ptr 0
		.amdhsa_user_sgpr_queue_ptr 0
		.amdhsa_user_sgpr_kernarg_segment_ptr 1
		.amdhsa_user_sgpr_dispatch_id 0
		.amdhsa_user_sgpr_kernarg_preload_length 0
		.amdhsa_user_sgpr_kernarg_preload_offset 0
		.amdhsa_user_sgpr_private_segment_size 0
		.amdhsa_uses_dynamic_stack 0
		.amdhsa_enable_private_segment 0
		.amdhsa_system_sgpr_workgroup_id_x 1
		.amdhsa_system_sgpr_workgroup_id_y 0
		.amdhsa_system_sgpr_workgroup_id_z 0
		.amdhsa_system_sgpr_workgroup_info 0
		.amdhsa_system_vgpr_workitem_id 0
		.amdhsa_next_free_vgpr 1
		.amdhsa_next_free_sgpr 0
		.amdhsa_accum_offset 4
		.amdhsa_reserve_vcc 0
		.amdhsa_float_round_mode_32 0
		.amdhsa_float_round_mode_16_64 0
		.amdhsa_float_denorm_mode_32 3
		.amdhsa_float_denorm_mode_16_64 3
		.amdhsa_dx10_clamp 1
		.amdhsa_ieee_mode 1
		.amdhsa_fp16_overflow 0
		.amdhsa_tg_split 0
		.amdhsa_exception_fp_ieee_invalid_op 0
		.amdhsa_exception_fp_denorm_src 0
		.amdhsa_exception_fp_ieee_div_zero 0
		.amdhsa_exception_fp_ieee_overflow 0
		.amdhsa_exception_fp_ieee_underflow 0
		.amdhsa_exception_fp_ieee_inexact 0
		.amdhsa_exception_int_div_zero 0
	.end_amdhsa_kernel
	.section	.text._ZN7rocprim17ROCPRIM_400000_NS6detail17trampoline_kernelINS0_14default_configENS1_38merge_sort_block_merge_config_selectorIiiEEZZNS1_27merge_sort_block_merge_implIS3_N6thrust23THRUST_200600_302600_NS6detail15normal_iteratorINS8_10device_ptrIiEEEESD_jNS1_19radix_merge_compareILb0ELb0EiNS0_19identity_decomposerEEEEE10hipError_tT0_T1_T2_jT3_P12ihipStream_tbPNSt15iterator_traitsISI_E10value_typeEPNSO_ISJ_E10value_typeEPSK_NS1_7vsmem_tEENKUlT_SI_SJ_SK_E_clISD_PiSD_S10_EESH_SX_SI_SJ_SK_EUlSX_E_NS1_11comp_targetILNS1_3genE5ELNS1_11target_archE942ELNS1_3gpuE9ELNS1_3repE0EEENS1_48merge_mergepath_partition_config_static_selectorELNS0_4arch9wavefront6targetE1EEEvSJ_,"axG",@progbits,_ZN7rocprim17ROCPRIM_400000_NS6detail17trampoline_kernelINS0_14default_configENS1_38merge_sort_block_merge_config_selectorIiiEEZZNS1_27merge_sort_block_merge_implIS3_N6thrust23THRUST_200600_302600_NS6detail15normal_iteratorINS8_10device_ptrIiEEEESD_jNS1_19radix_merge_compareILb0ELb0EiNS0_19identity_decomposerEEEEE10hipError_tT0_T1_T2_jT3_P12ihipStream_tbPNSt15iterator_traitsISI_E10value_typeEPNSO_ISJ_E10value_typeEPSK_NS1_7vsmem_tEENKUlT_SI_SJ_SK_E_clISD_PiSD_S10_EESH_SX_SI_SJ_SK_EUlSX_E_NS1_11comp_targetILNS1_3genE5ELNS1_11target_archE942ELNS1_3gpuE9ELNS1_3repE0EEENS1_48merge_mergepath_partition_config_static_selectorELNS0_4arch9wavefront6targetE1EEEvSJ_,comdat
.Lfunc_end734:
	.size	_ZN7rocprim17ROCPRIM_400000_NS6detail17trampoline_kernelINS0_14default_configENS1_38merge_sort_block_merge_config_selectorIiiEEZZNS1_27merge_sort_block_merge_implIS3_N6thrust23THRUST_200600_302600_NS6detail15normal_iteratorINS8_10device_ptrIiEEEESD_jNS1_19radix_merge_compareILb0ELb0EiNS0_19identity_decomposerEEEEE10hipError_tT0_T1_T2_jT3_P12ihipStream_tbPNSt15iterator_traitsISI_E10value_typeEPNSO_ISJ_E10value_typeEPSK_NS1_7vsmem_tEENKUlT_SI_SJ_SK_E_clISD_PiSD_S10_EESH_SX_SI_SJ_SK_EUlSX_E_NS1_11comp_targetILNS1_3genE5ELNS1_11target_archE942ELNS1_3gpuE9ELNS1_3repE0EEENS1_48merge_mergepath_partition_config_static_selectorELNS0_4arch9wavefront6targetE1EEEvSJ_, .Lfunc_end734-_ZN7rocprim17ROCPRIM_400000_NS6detail17trampoline_kernelINS0_14default_configENS1_38merge_sort_block_merge_config_selectorIiiEEZZNS1_27merge_sort_block_merge_implIS3_N6thrust23THRUST_200600_302600_NS6detail15normal_iteratorINS8_10device_ptrIiEEEESD_jNS1_19radix_merge_compareILb0ELb0EiNS0_19identity_decomposerEEEEE10hipError_tT0_T1_T2_jT3_P12ihipStream_tbPNSt15iterator_traitsISI_E10value_typeEPNSO_ISJ_E10value_typeEPSK_NS1_7vsmem_tEENKUlT_SI_SJ_SK_E_clISD_PiSD_S10_EESH_SX_SI_SJ_SK_EUlSX_E_NS1_11comp_targetILNS1_3genE5ELNS1_11target_archE942ELNS1_3gpuE9ELNS1_3repE0EEENS1_48merge_mergepath_partition_config_static_selectorELNS0_4arch9wavefront6targetE1EEEvSJ_
                                        ; -- End function
	.set _ZN7rocprim17ROCPRIM_400000_NS6detail17trampoline_kernelINS0_14default_configENS1_38merge_sort_block_merge_config_selectorIiiEEZZNS1_27merge_sort_block_merge_implIS3_N6thrust23THRUST_200600_302600_NS6detail15normal_iteratorINS8_10device_ptrIiEEEESD_jNS1_19radix_merge_compareILb0ELb0EiNS0_19identity_decomposerEEEEE10hipError_tT0_T1_T2_jT3_P12ihipStream_tbPNSt15iterator_traitsISI_E10value_typeEPNSO_ISJ_E10value_typeEPSK_NS1_7vsmem_tEENKUlT_SI_SJ_SK_E_clISD_PiSD_S10_EESH_SX_SI_SJ_SK_EUlSX_E_NS1_11comp_targetILNS1_3genE5ELNS1_11target_archE942ELNS1_3gpuE9ELNS1_3repE0EEENS1_48merge_mergepath_partition_config_static_selectorELNS0_4arch9wavefront6targetE1EEEvSJ_.num_vgpr, 0
	.set _ZN7rocprim17ROCPRIM_400000_NS6detail17trampoline_kernelINS0_14default_configENS1_38merge_sort_block_merge_config_selectorIiiEEZZNS1_27merge_sort_block_merge_implIS3_N6thrust23THRUST_200600_302600_NS6detail15normal_iteratorINS8_10device_ptrIiEEEESD_jNS1_19radix_merge_compareILb0ELb0EiNS0_19identity_decomposerEEEEE10hipError_tT0_T1_T2_jT3_P12ihipStream_tbPNSt15iterator_traitsISI_E10value_typeEPNSO_ISJ_E10value_typeEPSK_NS1_7vsmem_tEENKUlT_SI_SJ_SK_E_clISD_PiSD_S10_EESH_SX_SI_SJ_SK_EUlSX_E_NS1_11comp_targetILNS1_3genE5ELNS1_11target_archE942ELNS1_3gpuE9ELNS1_3repE0EEENS1_48merge_mergepath_partition_config_static_selectorELNS0_4arch9wavefront6targetE1EEEvSJ_.num_agpr, 0
	.set _ZN7rocprim17ROCPRIM_400000_NS6detail17trampoline_kernelINS0_14default_configENS1_38merge_sort_block_merge_config_selectorIiiEEZZNS1_27merge_sort_block_merge_implIS3_N6thrust23THRUST_200600_302600_NS6detail15normal_iteratorINS8_10device_ptrIiEEEESD_jNS1_19radix_merge_compareILb0ELb0EiNS0_19identity_decomposerEEEEE10hipError_tT0_T1_T2_jT3_P12ihipStream_tbPNSt15iterator_traitsISI_E10value_typeEPNSO_ISJ_E10value_typeEPSK_NS1_7vsmem_tEENKUlT_SI_SJ_SK_E_clISD_PiSD_S10_EESH_SX_SI_SJ_SK_EUlSX_E_NS1_11comp_targetILNS1_3genE5ELNS1_11target_archE942ELNS1_3gpuE9ELNS1_3repE0EEENS1_48merge_mergepath_partition_config_static_selectorELNS0_4arch9wavefront6targetE1EEEvSJ_.numbered_sgpr, 0
	.set _ZN7rocprim17ROCPRIM_400000_NS6detail17trampoline_kernelINS0_14default_configENS1_38merge_sort_block_merge_config_selectorIiiEEZZNS1_27merge_sort_block_merge_implIS3_N6thrust23THRUST_200600_302600_NS6detail15normal_iteratorINS8_10device_ptrIiEEEESD_jNS1_19radix_merge_compareILb0ELb0EiNS0_19identity_decomposerEEEEE10hipError_tT0_T1_T2_jT3_P12ihipStream_tbPNSt15iterator_traitsISI_E10value_typeEPNSO_ISJ_E10value_typeEPSK_NS1_7vsmem_tEENKUlT_SI_SJ_SK_E_clISD_PiSD_S10_EESH_SX_SI_SJ_SK_EUlSX_E_NS1_11comp_targetILNS1_3genE5ELNS1_11target_archE942ELNS1_3gpuE9ELNS1_3repE0EEENS1_48merge_mergepath_partition_config_static_selectorELNS0_4arch9wavefront6targetE1EEEvSJ_.num_named_barrier, 0
	.set _ZN7rocprim17ROCPRIM_400000_NS6detail17trampoline_kernelINS0_14default_configENS1_38merge_sort_block_merge_config_selectorIiiEEZZNS1_27merge_sort_block_merge_implIS3_N6thrust23THRUST_200600_302600_NS6detail15normal_iteratorINS8_10device_ptrIiEEEESD_jNS1_19radix_merge_compareILb0ELb0EiNS0_19identity_decomposerEEEEE10hipError_tT0_T1_T2_jT3_P12ihipStream_tbPNSt15iterator_traitsISI_E10value_typeEPNSO_ISJ_E10value_typeEPSK_NS1_7vsmem_tEENKUlT_SI_SJ_SK_E_clISD_PiSD_S10_EESH_SX_SI_SJ_SK_EUlSX_E_NS1_11comp_targetILNS1_3genE5ELNS1_11target_archE942ELNS1_3gpuE9ELNS1_3repE0EEENS1_48merge_mergepath_partition_config_static_selectorELNS0_4arch9wavefront6targetE1EEEvSJ_.private_seg_size, 0
	.set _ZN7rocprim17ROCPRIM_400000_NS6detail17trampoline_kernelINS0_14default_configENS1_38merge_sort_block_merge_config_selectorIiiEEZZNS1_27merge_sort_block_merge_implIS3_N6thrust23THRUST_200600_302600_NS6detail15normal_iteratorINS8_10device_ptrIiEEEESD_jNS1_19radix_merge_compareILb0ELb0EiNS0_19identity_decomposerEEEEE10hipError_tT0_T1_T2_jT3_P12ihipStream_tbPNSt15iterator_traitsISI_E10value_typeEPNSO_ISJ_E10value_typeEPSK_NS1_7vsmem_tEENKUlT_SI_SJ_SK_E_clISD_PiSD_S10_EESH_SX_SI_SJ_SK_EUlSX_E_NS1_11comp_targetILNS1_3genE5ELNS1_11target_archE942ELNS1_3gpuE9ELNS1_3repE0EEENS1_48merge_mergepath_partition_config_static_selectorELNS0_4arch9wavefront6targetE1EEEvSJ_.uses_vcc, 0
	.set _ZN7rocprim17ROCPRIM_400000_NS6detail17trampoline_kernelINS0_14default_configENS1_38merge_sort_block_merge_config_selectorIiiEEZZNS1_27merge_sort_block_merge_implIS3_N6thrust23THRUST_200600_302600_NS6detail15normal_iteratorINS8_10device_ptrIiEEEESD_jNS1_19radix_merge_compareILb0ELb0EiNS0_19identity_decomposerEEEEE10hipError_tT0_T1_T2_jT3_P12ihipStream_tbPNSt15iterator_traitsISI_E10value_typeEPNSO_ISJ_E10value_typeEPSK_NS1_7vsmem_tEENKUlT_SI_SJ_SK_E_clISD_PiSD_S10_EESH_SX_SI_SJ_SK_EUlSX_E_NS1_11comp_targetILNS1_3genE5ELNS1_11target_archE942ELNS1_3gpuE9ELNS1_3repE0EEENS1_48merge_mergepath_partition_config_static_selectorELNS0_4arch9wavefront6targetE1EEEvSJ_.uses_flat_scratch, 0
	.set _ZN7rocprim17ROCPRIM_400000_NS6detail17trampoline_kernelINS0_14default_configENS1_38merge_sort_block_merge_config_selectorIiiEEZZNS1_27merge_sort_block_merge_implIS3_N6thrust23THRUST_200600_302600_NS6detail15normal_iteratorINS8_10device_ptrIiEEEESD_jNS1_19radix_merge_compareILb0ELb0EiNS0_19identity_decomposerEEEEE10hipError_tT0_T1_T2_jT3_P12ihipStream_tbPNSt15iterator_traitsISI_E10value_typeEPNSO_ISJ_E10value_typeEPSK_NS1_7vsmem_tEENKUlT_SI_SJ_SK_E_clISD_PiSD_S10_EESH_SX_SI_SJ_SK_EUlSX_E_NS1_11comp_targetILNS1_3genE5ELNS1_11target_archE942ELNS1_3gpuE9ELNS1_3repE0EEENS1_48merge_mergepath_partition_config_static_selectorELNS0_4arch9wavefront6targetE1EEEvSJ_.has_dyn_sized_stack, 0
	.set _ZN7rocprim17ROCPRIM_400000_NS6detail17trampoline_kernelINS0_14default_configENS1_38merge_sort_block_merge_config_selectorIiiEEZZNS1_27merge_sort_block_merge_implIS3_N6thrust23THRUST_200600_302600_NS6detail15normal_iteratorINS8_10device_ptrIiEEEESD_jNS1_19radix_merge_compareILb0ELb0EiNS0_19identity_decomposerEEEEE10hipError_tT0_T1_T2_jT3_P12ihipStream_tbPNSt15iterator_traitsISI_E10value_typeEPNSO_ISJ_E10value_typeEPSK_NS1_7vsmem_tEENKUlT_SI_SJ_SK_E_clISD_PiSD_S10_EESH_SX_SI_SJ_SK_EUlSX_E_NS1_11comp_targetILNS1_3genE5ELNS1_11target_archE942ELNS1_3gpuE9ELNS1_3repE0EEENS1_48merge_mergepath_partition_config_static_selectorELNS0_4arch9wavefront6targetE1EEEvSJ_.has_recursion, 0
	.set _ZN7rocprim17ROCPRIM_400000_NS6detail17trampoline_kernelINS0_14default_configENS1_38merge_sort_block_merge_config_selectorIiiEEZZNS1_27merge_sort_block_merge_implIS3_N6thrust23THRUST_200600_302600_NS6detail15normal_iteratorINS8_10device_ptrIiEEEESD_jNS1_19radix_merge_compareILb0ELb0EiNS0_19identity_decomposerEEEEE10hipError_tT0_T1_T2_jT3_P12ihipStream_tbPNSt15iterator_traitsISI_E10value_typeEPNSO_ISJ_E10value_typeEPSK_NS1_7vsmem_tEENKUlT_SI_SJ_SK_E_clISD_PiSD_S10_EESH_SX_SI_SJ_SK_EUlSX_E_NS1_11comp_targetILNS1_3genE5ELNS1_11target_archE942ELNS1_3gpuE9ELNS1_3repE0EEENS1_48merge_mergepath_partition_config_static_selectorELNS0_4arch9wavefront6targetE1EEEvSJ_.has_indirect_call, 0
	.section	.AMDGPU.csdata,"",@progbits
; Kernel info:
; codeLenInByte = 0
; TotalNumSgprs: 6
; NumVgprs: 0
; NumAgprs: 0
; TotalNumVgprs: 0
; ScratchSize: 0
; MemoryBound: 0
; FloatMode: 240
; IeeeMode: 1
; LDSByteSize: 0 bytes/workgroup (compile time only)
; SGPRBlocks: 0
; VGPRBlocks: 0
; NumSGPRsForWavesPerEU: 6
; NumVGPRsForWavesPerEU: 1
; AccumOffset: 4
; Occupancy: 8
; WaveLimiterHint : 0
; COMPUTE_PGM_RSRC2:SCRATCH_EN: 0
; COMPUTE_PGM_RSRC2:USER_SGPR: 2
; COMPUTE_PGM_RSRC2:TRAP_HANDLER: 0
; COMPUTE_PGM_RSRC2:TGID_X_EN: 1
; COMPUTE_PGM_RSRC2:TGID_Y_EN: 0
; COMPUTE_PGM_RSRC2:TGID_Z_EN: 0
; COMPUTE_PGM_RSRC2:TIDIG_COMP_CNT: 0
; COMPUTE_PGM_RSRC3_GFX90A:ACCUM_OFFSET: 0
; COMPUTE_PGM_RSRC3_GFX90A:TG_SPLIT: 0
	.section	.text._ZN7rocprim17ROCPRIM_400000_NS6detail17trampoline_kernelINS0_14default_configENS1_38merge_sort_block_merge_config_selectorIiiEEZZNS1_27merge_sort_block_merge_implIS3_N6thrust23THRUST_200600_302600_NS6detail15normal_iteratorINS8_10device_ptrIiEEEESD_jNS1_19radix_merge_compareILb0ELb0EiNS0_19identity_decomposerEEEEE10hipError_tT0_T1_T2_jT3_P12ihipStream_tbPNSt15iterator_traitsISI_E10value_typeEPNSO_ISJ_E10value_typeEPSK_NS1_7vsmem_tEENKUlT_SI_SJ_SK_E_clISD_PiSD_S10_EESH_SX_SI_SJ_SK_EUlSX_E_NS1_11comp_targetILNS1_3genE4ELNS1_11target_archE910ELNS1_3gpuE8ELNS1_3repE0EEENS1_48merge_mergepath_partition_config_static_selectorELNS0_4arch9wavefront6targetE1EEEvSJ_,"axG",@progbits,_ZN7rocprim17ROCPRIM_400000_NS6detail17trampoline_kernelINS0_14default_configENS1_38merge_sort_block_merge_config_selectorIiiEEZZNS1_27merge_sort_block_merge_implIS3_N6thrust23THRUST_200600_302600_NS6detail15normal_iteratorINS8_10device_ptrIiEEEESD_jNS1_19radix_merge_compareILb0ELb0EiNS0_19identity_decomposerEEEEE10hipError_tT0_T1_T2_jT3_P12ihipStream_tbPNSt15iterator_traitsISI_E10value_typeEPNSO_ISJ_E10value_typeEPSK_NS1_7vsmem_tEENKUlT_SI_SJ_SK_E_clISD_PiSD_S10_EESH_SX_SI_SJ_SK_EUlSX_E_NS1_11comp_targetILNS1_3genE4ELNS1_11target_archE910ELNS1_3gpuE8ELNS1_3repE0EEENS1_48merge_mergepath_partition_config_static_selectorELNS0_4arch9wavefront6targetE1EEEvSJ_,comdat
	.protected	_ZN7rocprim17ROCPRIM_400000_NS6detail17trampoline_kernelINS0_14default_configENS1_38merge_sort_block_merge_config_selectorIiiEEZZNS1_27merge_sort_block_merge_implIS3_N6thrust23THRUST_200600_302600_NS6detail15normal_iteratorINS8_10device_ptrIiEEEESD_jNS1_19radix_merge_compareILb0ELb0EiNS0_19identity_decomposerEEEEE10hipError_tT0_T1_T2_jT3_P12ihipStream_tbPNSt15iterator_traitsISI_E10value_typeEPNSO_ISJ_E10value_typeEPSK_NS1_7vsmem_tEENKUlT_SI_SJ_SK_E_clISD_PiSD_S10_EESH_SX_SI_SJ_SK_EUlSX_E_NS1_11comp_targetILNS1_3genE4ELNS1_11target_archE910ELNS1_3gpuE8ELNS1_3repE0EEENS1_48merge_mergepath_partition_config_static_selectorELNS0_4arch9wavefront6targetE1EEEvSJ_ ; -- Begin function _ZN7rocprim17ROCPRIM_400000_NS6detail17trampoline_kernelINS0_14default_configENS1_38merge_sort_block_merge_config_selectorIiiEEZZNS1_27merge_sort_block_merge_implIS3_N6thrust23THRUST_200600_302600_NS6detail15normal_iteratorINS8_10device_ptrIiEEEESD_jNS1_19radix_merge_compareILb0ELb0EiNS0_19identity_decomposerEEEEE10hipError_tT0_T1_T2_jT3_P12ihipStream_tbPNSt15iterator_traitsISI_E10value_typeEPNSO_ISJ_E10value_typeEPSK_NS1_7vsmem_tEENKUlT_SI_SJ_SK_E_clISD_PiSD_S10_EESH_SX_SI_SJ_SK_EUlSX_E_NS1_11comp_targetILNS1_3genE4ELNS1_11target_archE910ELNS1_3gpuE8ELNS1_3repE0EEENS1_48merge_mergepath_partition_config_static_selectorELNS0_4arch9wavefront6targetE1EEEvSJ_
	.globl	_ZN7rocprim17ROCPRIM_400000_NS6detail17trampoline_kernelINS0_14default_configENS1_38merge_sort_block_merge_config_selectorIiiEEZZNS1_27merge_sort_block_merge_implIS3_N6thrust23THRUST_200600_302600_NS6detail15normal_iteratorINS8_10device_ptrIiEEEESD_jNS1_19radix_merge_compareILb0ELb0EiNS0_19identity_decomposerEEEEE10hipError_tT0_T1_T2_jT3_P12ihipStream_tbPNSt15iterator_traitsISI_E10value_typeEPNSO_ISJ_E10value_typeEPSK_NS1_7vsmem_tEENKUlT_SI_SJ_SK_E_clISD_PiSD_S10_EESH_SX_SI_SJ_SK_EUlSX_E_NS1_11comp_targetILNS1_3genE4ELNS1_11target_archE910ELNS1_3gpuE8ELNS1_3repE0EEENS1_48merge_mergepath_partition_config_static_selectorELNS0_4arch9wavefront6targetE1EEEvSJ_
	.p2align	8
	.type	_ZN7rocprim17ROCPRIM_400000_NS6detail17trampoline_kernelINS0_14default_configENS1_38merge_sort_block_merge_config_selectorIiiEEZZNS1_27merge_sort_block_merge_implIS3_N6thrust23THRUST_200600_302600_NS6detail15normal_iteratorINS8_10device_ptrIiEEEESD_jNS1_19radix_merge_compareILb0ELb0EiNS0_19identity_decomposerEEEEE10hipError_tT0_T1_T2_jT3_P12ihipStream_tbPNSt15iterator_traitsISI_E10value_typeEPNSO_ISJ_E10value_typeEPSK_NS1_7vsmem_tEENKUlT_SI_SJ_SK_E_clISD_PiSD_S10_EESH_SX_SI_SJ_SK_EUlSX_E_NS1_11comp_targetILNS1_3genE4ELNS1_11target_archE910ELNS1_3gpuE8ELNS1_3repE0EEENS1_48merge_mergepath_partition_config_static_selectorELNS0_4arch9wavefront6targetE1EEEvSJ_,@function
_ZN7rocprim17ROCPRIM_400000_NS6detail17trampoline_kernelINS0_14default_configENS1_38merge_sort_block_merge_config_selectorIiiEEZZNS1_27merge_sort_block_merge_implIS3_N6thrust23THRUST_200600_302600_NS6detail15normal_iteratorINS8_10device_ptrIiEEEESD_jNS1_19radix_merge_compareILb0ELb0EiNS0_19identity_decomposerEEEEE10hipError_tT0_T1_T2_jT3_P12ihipStream_tbPNSt15iterator_traitsISI_E10value_typeEPNSO_ISJ_E10value_typeEPSK_NS1_7vsmem_tEENKUlT_SI_SJ_SK_E_clISD_PiSD_S10_EESH_SX_SI_SJ_SK_EUlSX_E_NS1_11comp_targetILNS1_3genE4ELNS1_11target_archE910ELNS1_3gpuE8ELNS1_3repE0EEENS1_48merge_mergepath_partition_config_static_selectorELNS0_4arch9wavefront6targetE1EEEvSJ_: ; @_ZN7rocprim17ROCPRIM_400000_NS6detail17trampoline_kernelINS0_14default_configENS1_38merge_sort_block_merge_config_selectorIiiEEZZNS1_27merge_sort_block_merge_implIS3_N6thrust23THRUST_200600_302600_NS6detail15normal_iteratorINS8_10device_ptrIiEEEESD_jNS1_19radix_merge_compareILb0ELb0EiNS0_19identity_decomposerEEEEE10hipError_tT0_T1_T2_jT3_P12ihipStream_tbPNSt15iterator_traitsISI_E10value_typeEPNSO_ISJ_E10value_typeEPSK_NS1_7vsmem_tEENKUlT_SI_SJ_SK_E_clISD_PiSD_S10_EESH_SX_SI_SJ_SK_EUlSX_E_NS1_11comp_targetILNS1_3genE4ELNS1_11target_archE910ELNS1_3gpuE8ELNS1_3repE0EEENS1_48merge_mergepath_partition_config_static_selectorELNS0_4arch9wavefront6targetE1EEEvSJ_
; %bb.0:
	.section	.rodata,"a",@progbits
	.p2align	6, 0x0
	.amdhsa_kernel _ZN7rocprim17ROCPRIM_400000_NS6detail17trampoline_kernelINS0_14default_configENS1_38merge_sort_block_merge_config_selectorIiiEEZZNS1_27merge_sort_block_merge_implIS3_N6thrust23THRUST_200600_302600_NS6detail15normal_iteratorINS8_10device_ptrIiEEEESD_jNS1_19radix_merge_compareILb0ELb0EiNS0_19identity_decomposerEEEEE10hipError_tT0_T1_T2_jT3_P12ihipStream_tbPNSt15iterator_traitsISI_E10value_typeEPNSO_ISJ_E10value_typeEPSK_NS1_7vsmem_tEENKUlT_SI_SJ_SK_E_clISD_PiSD_S10_EESH_SX_SI_SJ_SK_EUlSX_E_NS1_11comp_targetILNS1_3genE4ELNS1_11target_archE910ELNS1_3gpuE8ELNS1_3repE0EEENS1_48merge_mergepath_partition_config_static_selectorELNS0_4arch9wavefront6targetE1EEEvSJ_
		.amdhsa_group_segment_fixed_size 0
		.amdhsa_private_segment_fixed_size 0
		.amdhsa_kernarg_size 40
		.amdhsa_user_sgpr_count 2
		.amdhsa_user_sgpr_dispatch_ptr 0
		.amdhsa_user_sgpr_queue_ptr 0
		.amdhsa_user_sgpr_kernarg_segment_ptr 1
		.amdhsa_user_sgpr_dispatch_id 0
		.amdhsa_user_sgpr_kernarg_preload_length 0
		.amdhsa_user_sgpr_kernarg_preload_offset 0
		.amdhsa_user_sgpr_private_segment_size 0
		.amdhsa_uses_dynamic_stack 0
		.amdhsa_enable_private_segment 0
		.amdhsa_system_sgpr_workgroup_id_x 1
		.amdhsa_system_sgpr_workgroup_id_y 0
		.amdhsa_system_sgpr_workgroup_id_z 0
		.amdhsa_system_sgpr_workgroup_info 0
		.amdhsa_system_vgpr_workitem_id 0
		.amdhsa_next_free_vgpr 1
		.amdhsa_next_free_sgpr 0
		.amdhsa_accum_offset 4
		.amdhsa_reserve_vcc 0
		.amdhsa_float_round_mode_32 0
		.amdhsa_float_round_mode_16_64 0
		.amdhsa_float_denorm_mode_32 3
		.amdhsa_float_denorm_mode_16_64 3
		.amdhsa_dx10_clamp 1
		.amdhsa_ieee_mode 1
		.amdhsa_fp16_overflow 0
		.amdhsa_tg_split 0
		.amdhsa_exception_fp_ieee_invalid_op 0
		.amdhsa_exception_fp_denorm_src 0
		.amdhsa_exception_fp_ieee_div_zero 0
		.amdhsa_exception_fp_ieee_overflow 0
		.amdhsa_exception_fp_ieee_underflow 0
		.amdhsa_exception_fp_ieee_inexact 0
		.amdhsa_exception_int_div_zero 0
	.end_amdhsa_kernel
	.section	.text._ZN7rocprim17ROCPRIM_400000_NS6detail17trampoline_kernelINS0_14default_configENS1_38merge_sort_block_merge_config_selectorIiiEEZZNS1_27merge_sort_block_merge_implIS3_N6thrust23THRUST_200600_302600_NS6detail15normal_iteratorINS8_10device_ptrIiEEEESD_jNS1_19radix_merge_compareILb0ELb0EiNS0_19identity_decomposerEEEEE10hipError_tT0_T1_T2_jT3_P12ihipStream_tbPNSt15iterator_traitsISI_E10value_typeEPNSO_ISJ_E10value_typeEPSK_NS1_7vsmem_tEENKUlT_SI_SJ_SK_E_clISD_PiSD_S10_EESH_SX_SI_SJ_SK_EUlSX_E_NS1_11comp_targetILNS1_3genE4ELNS1_11target_archE910ELNS1_3gpuE8ELNS1_3repE0EEENS1_48merge_mergepath_partition_config_static_selectorELNS0_4arch9wavefront6targetE1EEEvSJ_,"axG",@progbits,_ZN7rocprim17ROCPRIM_400000_NS6detail17trampoline_kernelINS0_14default_configENS1_38merge_sort_block_merge_config_selectorIiiEEZZNS1_27merge_sort_block_merge_implIS3_N6thrust23THRUST_200600_302600_NS6detail15normal_iteratorINS8_10device_ptrIiEEEESD_jNS1_19radix_merge_compareILb0ELb0EiNS0_19identity_decomposerEEEEE10hipError_tT0_T1_T2_jT3_P12ihipStream_tbPNSt15iterator_traitsISI_E10value_typeEPNSO_ISJ_E10value_typeEPSK_NS1_7vsmem_tEENKUlT_SI_SJ_SK_E_clISD_PiSD_S10_EESH_SX_SI_SJ_SK_EUlSX_E_NS1_11comp_targetILNS1_3genE4ELNS1_11target_archE910ELNS1_3gpuE8ELNS1_3repE0EEENS1_48merge_mergepath_partition_config_static_selectorELNS0_4arch9wavefront6targetE1EEEvSJ_,comdat
.Lfunc_end735:
	.size	_ZN7rocprim17ROCPRIM_400000_NS6detail17trampoline_kernelINS0_14default_configENS1_38merge_sort_block_merge_config_selectorIiiEEZZNS1_27merge_sort_block_merge_implIS3_N6thrust23THRUST_200600_302600_NS6detail15normal_iteratorINS8_10device_ptrIiEEEESD_jNS1_19radix_merge_compareILb0ELb0EiNS0_19identity_decomposerEEEEE10hipError_tT0_T1_T2_jT3_P12ihipStream_tbPNSt15iterator_traitsISI_E10value_typeEPNSO_ISJ_E10value_typeEPSK_NS1_7vsmem_tEENKUlT_SI_SJ_SK_E_clISD_PiSD_S10_EESH_SX_SI_SJ_SK_EUlSX_E_NS1_11comp_targetILNS1_3genE4ELNS1_11target_archE910ELNS1_3gpuE8ELNS1_3repE0EEENS1_48merge_mergepath_partition_config_static_selectorELNS0_4arch9wavefront6targetE1EEEvSJ_, .Lfunc_end735-_ZN7rocprim17ROCPRIM_400000_NS6detail17trampoline_kernelINS0_14default_configENS1_38merge_sort_block_merge_config_selectorIiiEEZZNS1_27merge_sort_block_merge_implIS3_N6thrust23THRUST_200600_302600_NS6detail15normal_iteratorINS8_10device_ptrIiEEEESD_jNS1_19radix_merge_compareILb0ELb0EiNS0_19identity_decomposerEEEEE10hipError_tT0_T1_T2_jT3_P12ihipStream_tbPNSt15iterator_traitsISI_E10value_typeEPNSO_ISJ_E10value_typeEPSK_NS1_7vsmem_tEENKUlT_SI_SJ_SK_E_clISD_PiSD_S10_EESH_SX_SI_SJ_SK_EUlSX_E_NS1_11comp_targetILNS1_3genE4ELNS1_11target_archE910ELNS1_3gpuE8ELNS1_3repE0EEENS1_48merge_mergepath_partition_config_static_selectorELNS0_4arch9wavefront6targetE1EEEvSJ_
                                        ; -- End function
	.set _ZN7rocprim17ROCPRIM_400000_NS6detail17trampoline_kernelINS0_14default_configENS1_38merge_sort_block_merge_config_selectorIiiEEZZNS1_27merge_sort_block_merge_implIS3_N6thrust23THRUST_200600_302600_NS6detail15normal_iteratorINS8_10device_ptrIiEEEESD_jNS1_19radix_merge_compareILb0ELb0EiNS0_19identity_decomposerEEEEE10hipError_tT0_T1_T2_jT3_P12ihipStream_tbPNSt15iterator_traitsISI_E10value_typeEPNSO_ISJ_E10value_typeEPSK_NS1_7vsmem_tEENKUlT_SI_SJ_SK_E_clISD_PiSD_S10_EESH_SX_SI_SJ_SK_EUlSX_E_NS1_11comp_targetILNS1_3genE4ELNS1_11target_archE910ELNS1_3gpuE8ELNS1_3repE0EEENS1_48merge_mergepath_partition_config_static_selectorELNS0_4arch9wavefront6targetE1EEEvSJ_.num_vgpr, 0
	.set _ZN7rocprim17ROCPRIM_400000_NS6detail17trampoline_kernelINS0_14default_configENS1_38merge_sort_block_merge_config_selectorIiiEEZZNS1_27merge_sort_block_merge_implIS3_N6thrust23THRUST_200600_302600_NS6detail15normal_iteratorINS8_10device_ptrIiEEEESD_jNS1_19radix_merge_compareILb0ELb0EiNS0_19identity_decomposerEEEEE10hipError_tT0_T1_T2_jT3_P12ihipStream_tbPNSt15iterator_traitsISI_E10value_typeEPNSO_ISJ_E10value_typeEPSK_NS1_7vsmem_tEENKUlT_SI_SJ_SK_E_clISD_PiSD_S10_EESH_SX_SI_SJ_SK_EUlSX_E_NS1_11comp_targetILNS1_3genE4ELNS1_11target_archE910ELNS1_3gpuE8ELNS1_3repE0EEENS1_48merge_mergepath_partition_config_static_selectorELNS0_4arch9wavefront6targetE1EEEvSJ_.num_agpr, 0
	.set _ZN7rocprim17ROCPRIM_400000_NS6detail17trampoline_kernelINS0_14default_configENS1_38merge_sort_block_merge_config_selectorIiiEEZZNS1_27merge_sort_block_merge_implIS3_N6thrust23THRUST_200600_302600_NS6detail15normal_iteratorINS8_10device_ptrIiEEEESD_jNS1_19radix_merge_compareILb0ELb0EiNS0_19identity_decomposerEEEEE10hipError_tT0_T1_T2_jT3_P12ihipStream_tbPNSt15iterator_traitsISI_E10value_typeEPNSO_ISJ_E10value_typeEPSK_NS1_7vsmem_tEENKUlT_SI_SJ_SK_E_clISD_PiSD_S10_EESH_SX_SI_SJ_SK_EUlSX_E_NS1_11comp_targetILNS1_3genE4ELNS1_11target_archE910ELNS1_3gpuE8ELNS1_3repE0EEENS1_48merge_mergepath_partition_config_static_selectorELNS0_4arch9wavefront6targetE1EEEvSJ_.numbered_sgpr, 0
	.set _ZN7rocprim17ROCPRIM_400000_NS6detail17trampoline_kernelINS0_14default_configENS1_38merge_sort_block_merge_config_selectorIiiEEZZNS1_27merge_sort_block_merge_implIS3_N6thrust23THRUST_200600_302600_NS6detail15normal_iteratorINS8_10device_ptrIiEEEESD_jNS1_19radix_merge_compareILb0ELb0EiNS0_19identity_decomposerEEEEE10hipError_tT0_T1_T2_jT3_P12ihipStream_tbPNSt15iterator_traitsISI_E10value_typeEPNSO_ISJ_E10value_typeEPSK_NS1_7vsmem_tEENKUlT_SI_SJ_SK_E_clISD_PiSD_S10_EESH_SX_SI_SJ_SK_EUlSX_E_NS1_11comp_targetILNS1_3genE4ELNS1_11target_archE910ELNS1_3gpuE8ELNS1_3repE0EEENS1_48merge_mergepath_partition_config_static_selectorELNS0_4arch9wavefront6targetE1EEEvSJ_.num_named_barrier, 0
	.set _ZN7rocprim17ROCPRIM_400000_NS6detail17trampoline_kernelINS0_14default_configENS1_38merge_sort_block_merge_config_selectorIiiEEZZNS1_27merge_sort_block_merge_implIS3_N6thrust23THRUST_200600_302600_NS6detail15normal_iteratorINS8_10device_ptrIiEEEESD_jNS1_19radix_merge_compareILb0ELb0EiNS0_19identity_decomposerEEEEE10hipError_tT0_T1_T2_jT3_P12ihipStream_tbPNSt15iterator_traitsISI_E10value_typeEPNSO_ISJ_E10value_typeEPSK_NS1_7vsmem_tEENKUlT_SI_SJ_SK_E_clISD_PiSD_S10_EESH_SX_SI_SJ_SK_EUlSX_E_NS1_11comp_targetILNS1_3genE4ELNS1_11target_archE910ELNS1_3gpuE8ELNS1_3repE0EEENS1_48merge_mergepath_partition_config_static_selectorELNS0_4arch9wavefront6targetE1EEEvSJ_.private_seg_size, 0
	.set _ZN7rocprim17ROCPRIM_400000_NS6detail17trampoline_kernelINS0_14default_configENS1_38merge_sort_block_merge_config_selectorIiiEEZZNS1_27merge_sort_block_merge_implIS3_N6thrust23THRUST_200600_302600_NS6detail15normal_iteratorINS8_10device_ptrIiEEEESD_jNS1_19radix_merge_compareILb0ELb0EiNS0_19identity_decomposerEEEEE10hipError_tT0_T1_T2_jT3_P12ihipStream_tbPNSt15iterator_traitsISI_E10value_typeEPNSO_ISJ_E10value_typeEPSK_NS1_7vsmem_tEENKUlT_SI_SJ_SK_E_clISD_PiSD_S10_EESH_SX_SI_SJ_SK_EUlSX_E_NS1_11comp_targetILNS1_3genE4ELNS1_11target_archE910ELNS1_3gpuE8ELNS1_3repE0EEENS1_48merge_mergepath_partition_config_static_selectorELNS0_4arch9wavefront6targetE1EEEvSJ_.uses_vcc, 0
	.set _ZN7rocprim17ROCPRIM_400000_NS6detail17trampoline_kernelINS0_14default_configENS1_38merge_sort_block_merge_config_selectorIiiEEZZNS1_27merge_sort_block_merge_implIS3_N6thrust23THRUST_200600_302600_NS6detail15normal_iteratorINS8_10device_ptrIiEEEESD_jNS1_19radix_merge_compareILb0ELb0EiNS0_19identity_decomposerEEEEE10hipError_tT0_T1_T2_jT3_P12ihipStream_tbPNSt15iterator_traitsISI_E10value_typeEPNSO_ISJ_E10value_typeEPSK_NS1_7vsmem_tEENKUlT_SI_SJ_SK_E_clISD_PiSD_S10_EESH_SX_SI_SJ_SK_EUlSX_E_NS1_11comp_targetILNS1_3genE4ELNS1_11target_archE910ELNS1_3gpuE8ELNS1_3repE0EEENS1_48merge_mergepath_partition_config_static_selectorELNS0_4arch9wavefront6targetE1EEEvSJ_.uses_flat_scratch, 0
	.set _ZN7rocprim17ROCPRIM_400000_NS6detail17trampoline_kernelINS0_14default_configENS1_38merge_sort_block_merge_config_selectorIiiEEZZNS1_27merge_sort_block_merge_implIS3_N6thrust23THRUST_200600_302600_NS6detail15normal_iteratorINS8_10device_ptrIiEEEESD_jNS1_19radix_merge_compareILb0ELb0EiNS0_19identity_decomposerEEEEE10hipError_tT0_T1_T2_jT3_P12ihipStream_tbPNSt15iterator_traitsISI_E10value_typeEPNSO_ISJ_E10value_typeEPSK_NS1_7vsmem_tEENKUlT_SI_SJ_SK_E_clISD_PiSD_S10_EESH_SX_SI_SJ_SK_EUlSX_E_NS1_11comp_targetILNS1_3genE4ELNS1_11target_archE910ELNS1_3gpuE8ELNS1_3repE0EEENS1_48merge_mergepath_partition_config_static_selectorELNS0_4arch9wavefront6targetE1EEEvSJ_.has_dyn_sized_stack, 0
	.set _ZN7rocprim17ROCPRIM_400000_NS6detail17trampoline_kernelINS0_14default_configENS1_38merge_sort_block_merge_config_selectorIiiEEZZNS1_27merge_sort_block_merge_implIS3_N6thrust23THRUST_200600_302600_NS6detail15normal_iteratorINS8_10device_ptrIiEEEESD_jNS1_19radix_merge_compareILb0ELb0EiNS0_19identity_decomposerEEEEE10hipError_tT0_T1_T2_jT3_P12ihipStream_tbPNSt15iterator_traitsISI_E10value_typeEPNSO_ISJ_E10value_typeEPSK_NS1_7vsmem_tEENKUlT_SI_SJ_SK_E_clISD_PiSD_S10_EESH_SX_SI_SJ_SK_EUlSX_E_NS1_11comp_targetILNS1_3genE4ELNS1_11target_archE910ELNS1_3gpuE8ELNS1_3repE0EEENS1_48merge_mergepath_partition_config_static_selectorELNS0_4arch9wavefront6targetE1EEEvSJ_.has_recursion, 0
	.set _ZN7rocprim17ROCPRIM_400000_NS6detail17trampoline_kernelINS0_14default_configENS1_38merge_sort_block_merge_config_selectorIiiEEZZNS1_27merge_sort_block_merge_implIS3_N6thrust23THRUST_200600_302600_NS6detail15normal_iteratorINS8_10device_ptrIiEEEESD_jNS1_19radix_merge_compareILb0ELb0EiNS0_19identity_decomposerEEEEE10hipError_tT0_T1_T2_jT3_P12ihipStream_tbPNSt15iterator_traitsISI_E10value_typeEPNSO_ISJ_E10value_typeEPSK_NS1_7vsmem_tEENKUlT_SI_SJ_SK_E_clISD_PiSD_S10_EESH_SX_SI_SJ_SK_EUlSX_E_NS1_11comp_targetILNS1_3genE4ELNS1_11target_archE910ELNS1_3gpuE8ELNS1_3repE0EEENS1_48merge_mergepath_partition_config_static_selectorELNS0_4arch9wavefront6targetE1EEEvSJ_.has_indirect_call, 0
	.section	.AMDGPU.csdata,"",@progbits
; Kernel info:
; codeLenInByte = 0
; TotalNumSgprs: 6
; NumVgprs: 0
; NumAgprs: 0
; TotalNumVgprs: 0
; ScratchSize: 0
; MemoryBound: 0
; FloatMode: 240
; IeeeMode: 1
; LDSByteSize: 0 bytes/workgroup (compile time only)
; SGPRBlocks: 0
; VGPRBlocks: 0
; NumSGPRsForWavesPerEU: 6
; NumVGPRsForWavesPerEU: 1
; AccumOffset: 4
; Occupancy: 8
; WaveLimiterHint : 0
; COMPUTE_PGM_RSRC2:SCRATCH_EN: 0
; COMPUTE_PGM_RSRC2:USER_SGPR: 2
; COMPUTE_PGM_RSRC2:TRAP_HANDLER: 0
; COMPUTE_PGM_RSRC2:TGID_X_EN: 1
; COMPUTE_PGM_RSRC2:TGID_Y_EN: 0
; COMPUTE_PGM_RSRC2:TGID_Z_EN: 0
; COMPUTE_PGM_RSRC2:TIDIG_COMP_CNT: 0
; COMPUTE_PGM_RSRC3_GFX90A:ACCUM_OFFSET: 0
; COMPUTE_PGM_RSRC3_GFX90A:TG_SPLIT: 0
	.section	.text._ZN7rocprim17ROCPRIM_400000_NS6detail17trampoline_kernelINS0_14default_configENS1_38merge_sort_block_merge_config_selectorIiiEEZZNS1_27merge_sort_block_merge_implIS3_N6thrust23THRUST_200600_302600_NS6detail15normal_iteratorINS8_10device_ptrIiEEEESD_jNS1_19radix_merge_compareILb0ELb0EiNS0_19identity_decomposerEEEEE10hipError_tT0_T1_T2_jT3_P12ihipStream_tbPNSt15iterator_traitsISI_E10value_typeEPNSO_ISJ_E10value_typeEPSK_NS1_7vsmem_tEENKUlT_SI_SJ_SK_E_clISD_PiSD_S10_EESH_SX_SI_SJ_SK_EUlSX_E_NS1_11comp_targetILNS1_3genE3ELNS1_11target_archE908ELNS1_3gpuE7ELNS1_3repE0EEENS1_48merge_mergepath_partition_config_static_selectorELNS0_4arch9wavefront6targetE1EEEvSJ_,"axG",@progbits,_ZN7rocprim17ROCPRIM_400000_NS6detail17trampoline_kernelINS0_14default_configENS1_38merge_sort_block_merge_config_selectorIiiEEZZNS1_27merge_sort_block_merge_implIS3_N6thrust23THRUST_200600_302600_NS6detail15normal_iteratorINS8_10device_ptrIiEEEESD_jNS1_19radix_merge_compareILb0ELb0EiNS0_19identity_decomposerEEEEE10hipError_tT0_T1_T2_jT3_P12ihipStream_tbPNSt15iterator_traitsISI_E10value_typeEPNSO_ISJ_E10value_typeEPSK_NS1_7vsmem_tEENKUlT_SI_SJ_SK_E_clISD_PiSD_S10_EESH_SX_SI_SJ_SK_EUlSX_E_NS1_11comp_targetILNS1_3genE3ELNS1_11target_archE908ELNS1_3gpuE7ELNS1_3repE0EEENS1_48merge_mergepath_partition_config_static_selectorELNS0_4arch9wavefront6targetE1EEEvSJ_,comdat
	.protected	_ZN7rocprim17ROCPRIM_400000_NS6detail17trampoline_kernelINS0_14default_configENS1_38merge_sort_block_merge_config_selectorIiiEEZZNS1_27merge_sort_block_merge_implIS3_N6thrust23THRUST_200600_302600_NS6detail15normal_iteratorINS8_10device_ptrIiEEEESD_jNS1_19radix_merge_compareILb0ELb0EiNS0_19identity_decomposerEEEEE10hipError_tT0_T1_T2_jT3_P12ihipStream_tbPNSt15iterator_traitsISI_E10value_typeEPNSO_ISJ_E10value_typeEPSK_NS1_7vsmem_tEENKUlT_SI_SJ_SK_E_clISD_PiSD_S10_EESH_SX_SI_SJ_SK_EUlSX_E_NS1_11comp_targetILNS1_3genE3ELNS1_11target_archE908ELNS1_3gpuE7ELNS1_3repE0EEENS1_48merge_mergepath_partition_config_static_selectorELNS0_4arch9wavefront6targetE1EEEvSJ_ ; -- Begin function _ZN7rocprim17ROCPRIM_400000_NS6detail17trampoline_kernelINS0_14default_configENS1_38merge_sort_block_merge_config_selectorIiiEEZZNS1_27merge_sort_block_merge_implIS3_N6thrust23THRUST_200600_302600_NS6detail15normal_iteratorINS8_10device_ptrIiEEEESD_jNS1_19radix_merge_compareILb0ELb0EiNS0_19identity_decomposerEEEEE10hipError_tT0_T1_T2_jT3_P12ihipStream_tbPNSt15iterator_traitsISI_E10value_typeEPNSO_ISJ_E10value_typeEPSK_NS1_7vsmem_tEENKUlT_SI_SJ_SK_E_clISD_PiSD_S10_EESH_SX_SI_SJ_SK_EUlSX_E_NS1_11comp_targetILNS1_3genE3ELNS1_11target_archE908ELNS1_3gpuE7ELNS1_3repE0EEENS1_48merge_mergepath_partition_config_static_selectorELNS0_4arch9wavefront6targetE1EEEvSJ_
	.globl	_ZN7rocprim17ROCPRIM_400000_NS6detail17trampoline_kernelINS0_14default_configENS1_38merge_sort_block_merge_config_selectorIiiEEZZNS1_27merge_sort_block_merge_implIS3_N6thrust23THRUST_200600_302600_NS6detail15normal_iteratorINS8_10device_ptrIiEEEESD_jNS1_19radix_merge_compareILb0ELb0EiNS0_19identity_decomposerEEEEE10hipError_tT0_T1_T2_jT3_P12ihipStream_tbPNSt15iterator_traitsISI_E10value_typeEPNSO_ISJ_E10value_typeEPSK_NS1_7vsmem_tEENKUlT_SI_SJ_SK_E_clISD_PiSD_S10_EESH_SX_SI_SJ_SK_EUlSX_E_NS1_11comp_targetILNS1_3genE3ELNS1_11target_archE908ELNS1_3gpuE7ELNS1_3repE0EEENS1_48merge_mergepath_partition_config_static_selectorELNS0_4arch9wavefront6targetE1EEEvSJ_
	.p2align	8
	.type	_ZN7rocprim17ROCPRIM_400000_NS6detail17trampoline_kernelINS0_14default_configENS1_38merge_sort_block_merge_config_selectorIiiEEZZNS1_27merge_sort_block_merge_implIS3_N6thrust23THRUST_200600_302600_NS6detail15normal_iteratorINS8_10device_ptrIiEEEESD_jNS1_19radix_merge_compareILb0ELb0EiNS0_19identity_decomposerEEEEE10hipError_tT0_T1_T2_jT3_P12ihipStream_tbPNSt15iterator_traitsISI_E10value_typeEPNSO_ISJ_E10value_typeEPSK_NS1_7vsmem_tEENKUlT_SI_SJ_SK_E_clISD_PiSD_S10_EESH_SX_SI_SJ_SK_EUlSX_E_NS1_11comp_targetILNS1_3genE3ELNS1_11target_archE908ELNS1_3gpuE7ELNS1_3repE0EEENS1_48merge_mergepath_partition_config_static_selectorELNS0_4arch9wavefront6targetE1EEEvSJ_,@function
_ZN7rocprim17ROCPRIM_400000_NS6detail17trampoline_kernelINS0_14default_configENS1_38merge_sort_block_merge_config_selectorIiiEEZZNS1_27merge_sort_block_merge_implIS3_N6thrust23THRUST_200600_302600_NS6detail15normal_iteratorINS8_10device_ptrIiEEEESD_jNS1_19radix_merge_compareILb0ELb0EiNS0_19identity_decomposerEEEEE10hipError_tT0_T1_T2_jT3_P12ihipStream_tbPNSt15iterator_traitsISI_E10value_typeEPNSO_ISJ_E10value_typeEPSK_NS1_7vsmem_tEENKUlT_SI_SJ_SK_E_clISD_PiSD_S10_EESH_SX_SI_SJ_SK_EUlSX_E_NS1_11comp_targetILNS1_3genE3ELNS1_11target_archE908ELNS1_3gpuE7ELNS1_3repE0EEENS1_48merge_mergepath_partition_config_static_selectorELNS0_4arch9wavefront6targetE1EEEvSJ_: ; @_ZN7rocprim17ROCPRIM_400000_NS6detail17trampoline_kernelINS0_14default_configENS1_38merge_sort_block_merge_config_selectorIiiEEZZNS1_27merge_sort_block_merge_implIS3_N6thrust23THRUST_200600_302600_NS6detail15normal_iteratorINS8_10device_ptrIiEEEESD_jNS1_19radix_merge_compareILb0ELb0EiNS0_19identity_decomposerEEEEE10hipError_tT0_T1_T2_jT3_P12ihipStream_tbPNSt15iterator_traitsISI_E10value_typeEPNSO_ISJ_E10value_typeEPSK_NS1_7vsmem_tEENKUlT_SI_SJ_SK_E_clISD_PiSD_S10_EESH_SX_SI_SJ_SK_EUlSX_E_NS1_11comp_targetILNS1_3genE3ELNS1_11target_archE908ELNS1_3gpuE7ELNS1_3repE0EEENS1_48merge_mergepath_partition_config_static_selectorELNS0_4arch9wavefront6targetE1EEEvSJ_
; %bb.0:
	.section	.rodata,"a",@progbits
	.p2align	6, 0x0
	.amdhsa_kernel _ZN7rocprim17ROCPRIM_400000_NS6detail17trampoline_kernelINS0_14default_configENS1_38merge_sort_block_merge_config_selectorIiiEEZZNS1_27merge_sort_block_merge_implIS3_N6thrust23THRUST_200600_302600_NS6detail15normal_iteratorINS8_10device_ptrIiEEEESD_jNS1_19radix_merge_compareILb0ELb0EiNS0_19identity_decomposerEEEEE10hipError_tT0_T1_T2_jT3_P12ihipStream_tbPNSt15iterator_traitsISI_E10value_typeEPNSO_ISJ_E10value_typeEPSK_NS1_7vsmem_tEENKUlT_SI_SJ_SK_E_clISD_PiSD_S10_EESH_SX_SI_SJ_SK_EUlSX_E_NS1_11comp_targetILNS1_3genE3ELNS1_11target_archE908ELNS1_3gpuE7ELNS1_3repE0EEENS1_48merge_mergepath_partition_config_static_selectorELNS0_4arch9wavefront6targetE1EEEvSJ_
		.amdhsa_group_segment_fixed_size 0
		.amdhsa_private_segment_fixed_size 0
		.amdhsa_kernarg_size 40
		.amdhsa_user_sgpr_count 2
		.amdhsa_user_sgpr_dispatch_ptr 0
		.amdhsa_user_sgpr_queue_ptr 0
		.amdhsa_user_sgpr_kernarg_segment_ptr 1
		.amdhsa_user_sgpr_dispatch_id 0
		.amdhsa_user_sgpr_kernarg_preload_length 0
		.amdhsa_user_sgpr_kernarg_preload_offset 0
		.amdhsa_user_sgpr_private_segment_size 0
		.amdhsa_uses_dynamic_stack 0
		.amdhsa_enable_private_segment 0
		.amdhsa_system_sgpr_workgroup_id_x 1
		.amdhsa_system_sgpr_workgroup_id_y 0
		.amdhsa_system_sgpr_workgroup_id_z 0
		.amdhsa_system_sgpr_workgroup_info 0
		.amdhsa_system_vgpr_workitem_id 0
		.amdhsa_next_free_vgpr 1
		.amdhsa_next_free_sgpr 0
		.amdhsa_accum_offset 4
		.amdhsa_reserve_vcc 0
		.amdhsa_float_round_mode_32 0
		.amdhsa_float_round_mode_16_64 0
		.amdhsa_float_denorm_mode_32 3
		.amdhsa_float_denorm_mode_16_64 3
		.amdhsa_dx10_clamp 1
		.amdhsa_ieee_mode 1
		.amdhsa_fp16_overflow 0
		.amdhsa_tg_split 0
		.amdhsa_exception_fp_ieee_invalid_op 0
		.amdhsa_exception_fp_denorm_src 0
		.amdhsa_exception_fp_ieee_div_zero 0
		.amdhsa_exception_fp_ieee_overflow 0
		.amdhsa_exception_fp_ieee_underflow 0
		.amdhsa_exception_fp_ieee_inexact 0
		.amdhsa_exception_int_div_zero 0
	.end_amdhsa_kernel
	.section	.text._ZN7rocprim17ROCPRIM_400000_NS6detail17trampoline_kernelINS0_14default_configENS1_38merge_sort_block_merge_config_selectorIiiEEZZNS1_27merge_sort_block_merge_implIS3_N6thrust23THRUST_200600_302600_NS6detail15normal_iteratorINS8_10device_ptrIiEEEESD_jNS1_19radix_merge_compareILb0ELb0EiNS0_19identity_decomposerEEEEE10hipError_tT0_T1_T2_jT3_P12ihipStream_tbPNSt15iterator_traitsISI_E10value_typeEPNSO_ISJ_E10value_typeEPSK_NS1_7vsmem_tEENKUlT_SI_SJ_SK_E_clISD_PiSD_S10_EESH_SX_SI_SJ_SK_EUlSX_E_NS1_11comp_targetILNS1_3genE3ELNS1_11target_archE908ELNS1_3gpuE7ELNS1_3repE0EEENS1_48merge_mergepath_partition_config_static_selectorELNS0_4arch9wavefront6targetE1EEEvSJ_,"axG",@progbits,_ZN7rocprim17ROCPRIM_400000_NS6detail17trampoline_kernelINS0_14default_configENS1_38merge_sort_block_merge_config_selectorIiiEEZZNS1_27merge_sort_block_merge_implIS3_N6thrust23THRUST_200600_302600_NS6detail15normal_iteratorINS8_10device_ptrIiEEEESD_jNS1_19radix_merge_compareILb0ELb0EiNS0_19identity_decomposerEEEEE10hipError_tT0_T1_T2_jT3_P12ihipStream_tbPNSt15iterator_traitsISI_E10value_typeEPNSO_ISJ_E10value_typeEPSK_NS1_7vsmem_tEENKUlT_SI_SJ_SK_E_clISD_PiSD_S10_EESH_SX_SI_SJ_SK_EUlSX_E_NS1_11comp_targetILNS1_3genE3ELNS1_11target_archE908ELNS1_3gpuE7ELNS1_3repE0EEENS1_48merge_mergepath_partition_config_static_selectorELNS0_4arch9wavefront6targetE1EEEvSJ_,comdat
.Lfunc_end736:
	.size	_ZN7rocprim17ROCPRIM_400000_NS6detail17trampoline_kernelINS0_14default_configENS1_38merge_sort_block_merge_config_selectorIiiEEZZNS1_27merge_sort_block_merge_implIS3_N6thrust23THRUST_200600_302600_NS6detail15normal_iteratorINS8_10device_ptrIiEEEESD_jNS1_19radix_merge_compareILb0ELb0EiNS0_19identity_decomposerEEEEE10hipError_tT0_T1_T2_jT3_P12ihipStream_tbPNSt15iterator_traitsISI_E10value_typeEPNSO_ISJ_E10value_typeEPSK_NS1_7vsmem_tEENKUlT_SI_SJ_SK_E_clISD_PiSD_S10_EESH_SX_SI_SJ_SK_EUlSX_E_NS1_11comp_targetILNS1_3genE3ELNS1_11target_archE908ELNS1_3gpuE7ELNS1_3repE0EEENS1_48merge_mergepath_partition_config_static_selectorELNS0_4arch9wavefront6targetE1EEEvSJ_, .Lfunc_end736-_ZN7rocprim17ROCPRIM_400000_NS6detail17trampoline_kernelINS0_14default_configENS1_38merge_sort_block_merge_config_selectorIiiEEZZNS1_27merge_sort_block_merge_implIS3_N6thrust23THRUST_200600_302600_NS6detail15normal_iteratorINS8_10device_ptrIiEEEESD_jNS1_19radix_merge_compareILb0ELb0EiNS0_19identity_decomposerEEEEE10hipError_tT0_T1_T2_jT3_P12ihipStream_tbPNSt15iterator_traitsISI_E10value_typeEPNSO_ISJ_E10value_typeEPSK_NS1_7vsmem_tEENKUlT_SI_SJ_SK_E_clISD_PiSD_S10_EESH_SX_SI_SJ_SK_EUlSX_E_NS1_11comp_targetILNS1_3genE3ELNS1_11target_archE908ELNS1_3gpuE7ELNS1_3repE0EEENS1_48merge_mergepath_partition_config_static_selectorELNS0_4arch9wavefront6targetE1EEEvSJ_
                                        ; -- End function
	.set _ZN7rocprim17ROCPRIM_400000_NS6detail17trampoline_kernelINS0_14default_configENS1_38merge_sort_block_merge_config_selectorIiiEEZZNS1_27merge_sort_block_merge_implIS3_N6thrust23THRUST_200600_302600_NS6detail15normal_iteratorINS8_10device_ptrIiEEEESD_jNS1_19radix_merge_compareILb0ELb0EiNS0_19identity_decomposerEEEEE10hipError_tT0_T1_T2_jT3_P12ihipStream_tbPNSt15iterator_traitsISI_E10value_typeEPNSO_ISJ_E10value_typeEPSK_NS1_7vsmem_tEENKUlT_SI_SJ_SK_E_clISD_PiSD_S10_EESH_SX_SI_SJ_SK_EUlSX_E_NS1_11comp_targetILNS1_3genE3ELNS1_11target_archE908ELNS1_3gpuE7ELNS1_3repE0EEENS1_48merge_mergepath_partition_config_static_selectorELNS0_4arch9wavefront6targetE1EEEvSJ_.num_vgpr, 0
	.set _ZN7rocprim17ROCPRIM_400000_NS6detail17trampoline_kernelINS0_14default_configENS1_38merge_sort_block_merge_config_selectorIiiEEZZNS1_27merge_sort_block_merge_implIS3_N6thrust23THRUST_200600_302600_NS6detail15normal_iteratorINS8_10device_ptrIiEEEESD_jNS1_19radix_merge_compareILb0ELb0EiNS0_19identity_decomposerEEEEE10hipError_tT0_T1_T2_jT3_P12ihipStream_tbPNSt15iterator_traitsISI_E10value_typeEPNSO_ISJ_E10value_typeEPSK_NS1_7vsmem_tEENKUlT_SI_SJ_SK_E_clISD_PiSD_S10_EESH_SX_SI_SJ_SK_EUlSX_E_NS1_11comp_targetILNS1_3genE3ELNS1_11target_archE908ELNS1_3gpuE7ELNS1_3repE0EEENS1_48merge_mergepath_partition_config_static_selectorELNS0_4arch9wavefront6targetE1EEEvSJ_.num_agpr, 0
	.set _ZN7rocprim17ROCPRIM_400000_NS6detail17trampoline_kernelINS0_14default_configENS1_38merge_sort_block_merge_config_selectorIiiEEZZNS1_27merge_sort_block_merge_implIS3_N6thrust23THRUST_200600_302600_NS6detail15normal_iteratorINS8_10device_ptrIiEEEESD_jNS1_19radix_merge_compareILb0ELb0EiNS0_19identity_decomposerEEEEE10hipError_tT0_T1_T2_jT3_P12ihipStream_tbPNSt15iterator_traitsISI_E10value_typeEPNSO_ISJ_E10value_typeEPSK_NS1_7vsmem_tEENKUlT_SI_SJ_SK_E_clISD_PiSD_S10_EESH_SX_SI_SJ_SK_EUlSX_E_NS1_11comp_targetILNS1_3genE3ELNS1_11target_archE908ELNS1_3gpuE7ELNS1_3repE0EEENS1_48merge_mergepath_partition_config_static_selectorELNS0_4arch9wavefront6targetE1EEEvSJ_.numbered_sgpr, 0
	.set _ZN7rocprim17ROCPRIM_400000_NS6detail17trampoline_kernelINS0_14default_configENS1_38merge_sort_block_merge_config_selectorIiiEEZZNS1_27merge_sort_block_merge_implIS3_N6thrust23THRUST_200600_302600_NS6detail15normal_iteratorINS8_10device_ptrIiEEEESD_jNS1_19radix_merge_compareILb0ELb0EiNS0_19identity_decomposerEEEEE10hipError_tT0_T1_T2_jT3_P12ihipStream_tbPNSt15iterator_traitsISI_E10value_typeEPNSO_ISJ_E10value_typeEPSK_NS1_7vsmem_tEENKUlT_SI_SJ_SK_E_clISD_PiSD_S10_EESH_SX_SI_SJ_SK_EUlSX_E_NS1_11comp_targetILNS1_3genE3ELNS1_11target_archE908ELNS1_3gpuE7ELNS1_3repE0EEENS1_48merge_mergepath_partition_config_static_selectorELNS0_4arch9wavefront6targetE1EEEvSJ_.num_named_barrier, 0
	.set _ZN7rocprim17ROCPRIM_400000_NS6detail17trampoline_kernelINS0_14default_configENS1_38merge_sort_block_merge_config_selectorIiiEEZZNS1_27merge_sort_block_merge_implIS3_N6thrust23THRUST_200600_302600_NS6detail15normal_iteratorINS8_10device_ptrIiEEEESD_jNS1_19radix_merge_compareILb0ELb0EiNS0_19identity_decomposerEEEEE10hipError_tT0_T1_T2_jT3_P12ihipStream_tbPNSt15iterator_traitsISI_E10value_typeEPNSO_ISJ_E10value_typeEPSK_NS1_7vsmem_tEENKUlT_SI_SJ_SK_E_clISD_PiSD_S10_EESH_SX_SI_SJ_SK_EUlSX_E_NS1_11comp_targetILNS1_3genE3ELNS1_11target_archE908ELNS1_3gpuE7ELNS1_3repE0EEENS1_48merge_mergepath_partition_config_static_selectorELNS0_4arch9wavefront6targetE1EEEvSJ_.private_seg_size, 0
	.set _ZN7rocprim17ROCPRIM_400000_NS6detail17trampoline_kernelINS0_14default_configENS1_38merge_sort_block_merge_config_selectorIiiEEZZNS1_27merge_sort_block_merge_implIS3_N6thrust23THRUST_200600_302600_NS6detail15normal_iteratorINS8_10device_ptrIiEEEESD_jNS1_19radix_merge_compareILb0ELb0EiNS0_19identity_decomposerEEEEE10hipError_tT0_T1_T2_jT3_P12ihipStream_tbPNSt15iterator_traitsISI_E10value_typeEPNSO_ISJ_E10value_typeEPSK_NS1_7vsmem_tEENKUlT_SI_SJ_SK_E_clISD_PiSD_S10_EESH_SX_SI_SJ_SK_EUlSX_E_NS1_11comp_targetILNS1_3genE3ELNS1_11target_archE908ELNS1_3gpuE7ELNS1_3repE0EEENS1_48merge_mergepath_partition_config_static_selectorELNS0_4arch9wavefront6targetE1EEEvSJ_.uses_vcc, 0
	.set _ZN7rocprim17ROCPRIM_400000_NS6detail17trampoline_kernelINS0_14default_configENS1_38merge_sort_block_merge_config_selectorIiiEEZZNS1_27merge_sort_block_merge_implIS3_N6thrust23THRUST_200600_302600_NS6detail15normal_iteratorINS8_10device_ptrIiEEEESD_jNS1_19radix_merge_compareILb0ELb0EiNS0_19identity_decomposerEEEEE10hipError_tT0_T1_T2_jT3_P12ihipStream_tbPNSt15iterator_traitsISI_E10value_typeEPNSO_ISJ_E10value_typeEPSK_NS1_7vsmem_tEENKUlT_SI_SJ_SK_E_clISD_PiSD_S10_EESH_SX_SI_SJ_SK_EUlSX_E_NS1_11comp_targetILNS1_3genE3ELNS1_11target_archE908ELNS1_3gpuE7ELNS1_3repE0EEENS1_48merge_mergepath_partition_config_static_selectorELNS0_4arch9wavefront6targetE1EEEvSJ_.uses_flat_scratch, 0
	.set _ZN7rocprim17ROCPRIM_400000_NS6detail17trampoline_kernelINS0_14default_configENS1_38merge_sort_block_merge_config_selectorIiiEEZZNS1_27merge_sort_block_merge_implIS3_N6thrust23THRUST_200600_302600_NS6detail15normal_iteratorINS8_10device_ptrIiEEEESD_jNS1_19radix_merge_compareILb0ELb0EiNS0_19identity_decomposerEEEEE10hipError_tT0_T1_T2_jT3_P12ihipStream_tbPNSt15iterator_traitsISI_E10value_typeEPNSO_ISJ_E10value_typeEPSK_NS1_7vsmem_tEENKUlT_SI_SJ_SK_E_clISD_PiSD_S10_EESH_SX_SI_SJ_SK_EUlSX_E_NS1_11comp_targetILNS1_3genE3ELNS1_11target_archE908ELNS1_3gpuE7ELNS1_3repE0EEENS1_48merge_mergepath_partition_config_static_selectorELNS0_4arch9wavefront6targetE1EEEvSJ_.has_dyn_sized_stack, 0
	.set _ZN7rocprim17ROCPRIM_400000_NS6detail17trampoline_kernelINS0_14default_configENS1_38merge_sort_block_merge_config_selectorIiiEEZZNS1_27merge_sort_block_merge_implIS3_N6thrust23THRUST_200600_302600_NS6detail15normal_iteratorINS8_10device_ptrIiEEEESD_jNS1_19radix_merge_compareILb0ELb0EiNS0_19identity_decomposerEEEEE10hipError_tT0_T1_T2_jT3_P12ihipStream_tbPNSt15iterator_traitsISI_E10value_typeEPNSO_ISJ_E10value_typeEPSK_NS1_7vsmem_tEENKUlT_SI_SJ_SK_E_clISD_PiSD_S10_EESH_SX_SI_SJ_SK_EUlSX_E_NS1_11comp_targetILNS1_3genE3ELNS1_11target_archE908ELNS1_3gpuE7ELNS1_3repE0EEENS1_48merge_mergepath_partition_config_static_selectorELNS0_4arch9wavefront6targetE1EEEvSJ_.has_recursion, 0
	.set _ZN7rocprim17ROCPRIM_400000_NS6detail17trampoline_kernelINS0_14default_configENS1_38merge_sort_block_merge_config_selectorIiiEEZZNS1_27merge_sort_block_merge_implIS3_N6thrust23THRUST_200600_302600_NS6detail15normal_iteratorINS8_10device_ptrIiEEEESD_jNS1_19radix_merge_compareILb0ELb0EiNS0_19identity_decomposerEEEEE10hipError_tT0_T1_T2_jT3_P12ihipStream_tbPNSt15iterator_traitsISI_E10value_typeEPNSO_ISJ_E10value_typeEPSK_NS1_7vsmem_tEENKUlT_SI_SJ_SK_E_clISD_PiSD_S10_EESH_SX_SI_SJ_SK_EUlSX_E_NS1_11comp_targetILNS1_3genE3ELNS1_11target_archE908ELNS1_3gpuE7ELNS1_3repE0EEENS1_48merge_mergepath_partition_config_static_selectorELNS0_4arch9wavefront6targetE1EEEvSJ_.has_indirect_call, 0
	.section	.AMDGPU.csdata,"",@progbits
; Kernel info:
; codeLenInByte = 0
; TotalNumSgprs: 6
; NumVgprs: 0
; NumAgprs: 0
; TotalNumVgprs: 0
; ScratchSize: 0
; MemoryBound: 0
; FloatMode: 240
; IeeeMode: 1
; LDSByteSize: 0 bytes/workgroup (compile time only)
; SGPRBlocks: 0
; VGPRBlocks: 0
; NumSGPRsForWavesPerEU: 6
; NumVGPRsForWavesPerEU: 1
; AccumOffset: 4
; Occupancy: 8
; WaveLimiterHint : 0
; COMPUTE_PGM_RSRC2:SCRATCH_EN: 0
; COMPUTE_PGM_RSRC2:USER_SGPR: 2
; COMPUTE_PGM_RSRC2:TRAP_HANDLER: 0
; COMPUTE_PGM_RSRC2:TGID_X_EN: 1
; COMPUTE_PGM_RSRC2:TGID_Y_EN: 0
; COMPUTE_PGM_RSRC2:TGID_Z_EN: 0
; COMPUTE_PGM_RSRC2:TIDIG_COMP_CNT: 0
; COMPUTE_PGM_RSRC3_GFX90A:ACCUM_OFFSET: 0
; COMPUTE_PGM_RSRC3_GFX90A:TG_SPLIT: 0
	.section	.text._ZN7rocprim17ROCPRIM_400000_NS6detail17trampoline_kernelINS0_14default_configENS1_38merge_sort_block_merge_config_selectorIiiEEZZNS1_27merge_sort_block_merge_implIS3_N6thrust23THRUST_200600_302600_NS6detail15normal_iteratorINS8_10device_ptrIiEEEESD_jNS1_19radix_merge_compareILb0ELb0EiNS0_19identity_decomposerEEEEE10hipError_tT0_T1_T2_jT3_P12ihipStream_tbPNSt15iterator_traitsISI_E10value_typeEPNSO_ISJ_E10value_typeEPSK_NS1_7vsmem_tEENKUlT_SI_SJ_SK_E_clISD_PiSD_S10_EESH_SX_SI_SJ_SK_EUlSX_E_NS1_11comp_targetILNS1_3genE2ELNS1_11target_archE906ELNS1_3gpuE6ELNS1_3repE0EEENS1_48merge_mergepath_partition_config_static_selectorELNS0_4arch9wavefront6targetE1EEEvSJ_,"axG",@progbits,_ZN7rocprim17ROCPRIM_400000_NS6detail17trampoline_kernelINS0_14default_configENS1_38merge_sort_block_merge_config_selectorIiiEEZZNS1_27merge_sort_block_merge_implIS3_N6thrust23THRUST_200600_302600_NS6detail15normal_iteratorINS8_10device_ptrIiEEEESD_jNS1_19radix_merge_compareILb0ELb0EiNS0_19identity_decomposerEEEEE10hipError_tT0_T1_T2_jT3_P12ihipStream_tbPNSt15iterator_traitsISI_E10value_typeEPNSO_ISJ_E10value_typeEPSK_NS1_7vsmem_tEENKUlT_SI_SJ_SK_E_clISD_PiSD_S10_EESH_SX_SI_SJ_SK_EUlSX_E_NS1_11comp_targetILNS1_3genE2ELNS1_11target_archE906ELNS1_3gpuE6ELNS1_3repE0EEENS1_48merge_mergepath_partition_config_static_selectorELNS0_4arch9wavefront6targetE1EEEvSJ_,comdat
	.protected	_ZN7rocprim17ROCPRIM_400000_NS6detail17trampoline_kernelINS0_14default_configENS1_38merge_sort_block_merge_config_selectorIiiEEZZNS1_27merge_sort_block_merge_implIS3_N6thrust23THRUST_200600_302600_NS6detail15normal_iteratorINS8_10device_ptrIiEEEESD_jNS1_19radix_merge_compareILb0ELb0EiNS0_19identity_decomposerEEEEE10hipError_tT0_T1_T2_jT3_P12ihipStream_tbPNSt15iterator_traitsISI_E10value_typeEPNSO_ISJ_E10value_typeEPSK_NS1_7vsmem_tEENKUlT_SI_SJ_SK_E_clISD_PiSD_S10_EESH_SX_SI_SJ_SK_EUlSX_E_NS1_11comp_targetILNS1_3genE2ELNS1_11target_archE906ELNS1_3gpuE6ELNS1_3repE0EEENS1_48merge_mergepath_partition_config_static_selectorELNS0_4arch9wavefront6targetE1EEEvSJ_ ; -- Begin function _ZN7rocprim17ROCPRIM_400000_NS6detail17trampoline_kernelINS0_14default_configENS1_38merge_sort_block_merge_config_selectorIiiEEZZNS1_27merge_sort_block_merge_implIS3_N6thrust23THRUST_200600_302600_NS6detail15normal_iteratorINS8_10device_ptrIiEEEESD_jNS1_19radix_merge_compareILb0ELb0EiNS0_19identity_decomposerEEEEE10hipError_tT0_T1_T2_jT3_P12ihipStream_tbPNSt15iterator_traitsISI_E10value_typeEPNSO_ISJ_E10value_typeEPSK_NS1_7vsmem_tEENKUlT_SI_SJ_SK_E_clISD_PiSD_S10_EESH_SX_SI_SJ_SK_EUlSX_E_NS1_11comp_targetILNS1_3genE2ELNS1_11target_archE906ELNS1_3gpuE6ELNS1_3repE0EEENS1_48merge_mergepath_partition_config_static_selectorELNS0_4arch9wavefront6targetE1EEEvSJ_
	.globl	_ZN7rocprim17ROCPRIM_400000_NS6detail17trampoline_kernelINS0_14default_configENS1_38merge_sort_block_merge_config_selectorIiiEEZZNS1_27merge_sort_block_merge_implIS3_N6thrust23THRUST_200600_302600_NS6detail15normal_iteratorINS8_10device_ptrIiEEEESD_jNS1_19radix_merge_compareILb0ELb0EiNS0_19identity_decomposerEEEEE10hipError_tT0_T1_T2_jT3_P12ihipStream_tbPNSt15iterator_traitsISI_E10value_typeEPNSO_ISJ_E10value_typeEPSK_NS1_7vsmem_tEENKUlT_SI_SJ_SK_E_clISD_PiSD_S10_EESH_SX_SI_SJ_SK_EUlSX_E_NS1_11comp_targetILNS1_3genE2ELNS1_11target_archE906ELNS1_3gpuE6ELNS1_3repE0EEENS1_48merge_mergepath_partition_config_static_selectorELNS0_4arch9wavefront6targetE1EEEvSJ_
	.p2align	8
	.type	_ZN7rocprim17ROCPRIM_400000_NS6detail17trampoline_kernelINS0_14default_configENS1_38merge_sort_block_merge_config_selectorIiiEEZZNS1_27merge_sort_block_merge_implIS3_N6thrust23THRUST_200600_302600_NS6detail15normal_iteratorINS8_10device_ptrIiEEEESD_jNS1_19radix_merge_compareILb0ELb0EiNS0_19identity_decomposerEEEEE10hipError_tT0_T1_T2_jT3_P12ihipStream_tbPNSt15iterator_traitsISI_E10value_typeEPNSO_ISJ_E10value_typeEPSK_NS1_7vsmem_tEENKUlT_SI_SJ_SK_E_clISD_PiSD_S10_EESH_SX_SI_SJ_SK_EUlSX_E_NS1_11comp_targetILNS1_3genE2ELNS1_11target_archE906ELNS1_3gpuE6ELNS1_3repE0EEENS1_48merge_mergepath_partition_config_static_selectorELNS0_4arch9wavefront6targetE1EEEvSJ_,@function
_ZN7rocprim17ROCPRIM_400000_NS6detail17trampoline_kernelINS0_14default_configENS1_38merge_sort_block_merge_config_selectorIiiEEZZNS1_27merge_sort_block_merge_implIS3_N6thrust23THRUST_200600_302600_NS6detail15normal_iteratorINS8_10device_ptrIiEEEESD_jNS1_19radix_merge_compareILb0ELb0EiNS0_19identity_decomposerEEEEE10hipError_tT0_T1_T2_jT3_P12ihipStream_tbPNSt15iterator_traitsISI_E10value_typeEPNSO_ISJ_E10value_typeEPSK_NS1_7vsmem_tEENKUlT_SI_SJ_SK_E_clISD_PiSD_S10_EESH_SX_SI_SJ_SK_EUlSX_E_NS1_11comp_targetILNS1_3genE2ELNS1_11target_archE906ELNS1_3gpuE6ELNS1_3repE0EEENS1_48merge_mergepath_partition_config_static_selectorELNS0_4arch9wavefront6targetE1EEEvSJ_: ; @_ZN7rocprim17ROCPRIM_400000_NS6detail17trampoline_kernelINS0_14default_configENS1_38merge_sort_block_merge_config_selectorIiiEEZZNS1_27merge_sort_block_merge_implIS3_N6thrust23THRUST_200600_302600_NS6detail15normal_iteratorINS8_10device_ptrIiEEEESD_jNS1_19radix_merge_compareILb0ELb0EiNS0_19identity_decomposerEEEEE10hipError_tT0_T1_T2_jT3_P12ihipStream_tbPNSt15iterator_traitsISI_E10value_typeEPNSO_ISJ_E10value_typeEPSK_NS1_7vsmem_tEENKUlT_SI_SJ_SK_E_clISD_PiSD_S10_EESH_SX_SI_SJ_SK_EUlSX_E_NS1_11comp_targetILNS1_3genE2ELNS1_11target_archE906ELNS1_3gpuE6ELNS1_3repE0EEENS1_48merge_mergepath_partition_config_static_selectorELNS0_4arch9wavefront6targetE1EEEvSJ_
; %bb.0:
	.section	.rodata,"a",@progbits
	.p2align	6, 0x0
	.amdhsa_kernel _ZN7rocprim17ROCPRIM_400000_NS6detail17trampoline_kernelINS0_14default_configENS1_38merge_sort_block_merge_config_selectorIiiEEZZNS1_27merge_sort_block_merge_implIS3_N6thrust23THRUST_200600_302600_NS6detail15normal_iteratorINS8_10device_ptrIiEEEESD_jNS1_19radix_merge_compareILb0ELb0EiNS0_19identity_decomposerEEEEE10hipError_tT0_T1_T2_jT3_P12ihipStream_tbPNSt15iterator_traitsISI_E10value_typeEPNSO_ISJ_E10value_typeEPSK_NS1_7vsmem_tEENKUlT_SI_SJ_SK_E_clISD_PiSD_S10_EESH_SX_SI_SJ_SK_EUlSX_E_NS1_11comp_targetILNS1_3genE2ELNS1_11target_archE906ELNS1_3gpuE6ELNS1_3repE0EEENS1_48merge_mergepath_partition_config_static_selectorELNS0_4arch9wavefront6targetE1EEEvSJ_
		.amdhsa_group_segment_fixed_size 0
		.amdhsa_private_segment_fixed_size 0
		.amdhsa_kernarg_size 40
		.amdhsa_user_sgpr_count 2
		.amdhsa_user_sgpr_dispatch_ptr 0
		.amdhsa_user_sgpr_queue_ptr 0
		.amdhsa_user_sgpr_kernarg_segment_ptr 1
		.amdhsa_user_sgpr_dispatch_id 0
		.amdhsa_user_sgpr_kernarg_preload_length 0
		.amdhsa_user_sgpr_kernarg_preload_offset 0
		.amdhsa_user_sgpr_private_segment_size 0
		.amdhsa_uses_dynamic_stack 0
		.amdhsa_enable_private_segment 0
		.amdhsa_system_sgpr_workgroup_id_x 1
		.amdhsa_system_sgpr_workgroup_id_y 0
		.amdhsa_system_sgpr_workgroup_id_z 0
		.amdhsa_system_sgpr_workgroup_info 0
		.amdhsa_system_vgpr_workitem_id 0
		.amdhsa_next_free_vgpr 1
		.amdhsa_next_free_sgpr 0
		.amdhsa_accum_offset 4
		.amdhsa_reserve_vcc 0
		.amdhsa_float_round_mode_32 0
		.amdhsa_float_round_mode_16_64 0
		.amdhsa_float_denorm_mode_32 3
		.amdhsa_float_denorm_mode_16_64 3
		.amdhsa_dx10_clamp 1
		.amdhsa_ieee_mode 1
		.amdhsa_fp16_overflow 0
		.amdhsa_tg_split 0
		.amdhsa_exception_fp_ieee_invalid_op 0
		.amdhsa_exception_fp_denorm_src 0
		.amdhsa_exception_fp_ieee_div_zero 0
		.amdhsa_exception_fp_ieee_overflow 0
		.amdhsa_exception_fp_ieee_underflow 0
		.amdhsa_exception_fp_ieee_inexact 0
		.amdhsa_exception_int_div_zero 0
	.end_amdhsa_kernel
	.section	.text._ZN7rocprim17ROCPRIM_400000_NS6detail17trampoline_kernelINS0_14default_configENS1_38merge_sort_block_merge_config_selectorIiiEEZZNS1_27merge_sort_block_merge_implIS3_N6thrust23THRUST_200600_302600_NS6detail15normal_iteratorINS8_10device_ptrIiEEEESD_jNS1_19radix_merge_compareILb0ELb0EiNS0_19identity_decomposerEEEEE10hipError_tT0_T1_T2_jT3_P12ihipStream_tbPNSt15iterator_traitsISI_E10value_typeEPNSO_ISJ_E10value_typeEPSK_NS1_7vsmem_tEENKUlT_SI_SJ_SK_E_clISD_PiSD_S10_EESH_SX_SI_SJ_SK_EUlSX_E_NS1_11comp_targetILNS1_3genE2ELNS1_11target_archE906ELNS1_3gpuE6ELNS1_3repE0EEENS1_48merge_mergepath_partition_config_static_selectorELNS0_4arch9wavefront6targetE1EEEvSJ_,"axG",@progbits,_ZN7rocprim17ROCPRIM_400000_NS6detail17trampoline_kernelINS0_14default_configENS1_38merge_sort_block_merge_config_selectorIiiEEZZNS1_27merge_sort_block_merge_implIS3_N6thrust23THRUST_200600_302600_NS6detail15normal_iteratorINS8_10device_ptrIiEEEESD_jNS1_19radix_merge_compareILb0ELb0EiNS0_19identity_decomposerEEEEE10hipError_tT0_T1_T2_jT3_P12ihipStream_tbPNSt15iterator_traitsISI_E10value_typeEPNSO_ISJ_E10value_typeEPSK_NS1_7vsmem_tEENKUlT_SI_SJ_SK_E_clISD_PiSD_S10_EESH_SX_SI_SJ_SK_EUlSX_E_NS1_11comp_targetILNS1_3genE2ELNS1_11target_archE906ELNS1_3gpuE6ELNS1_3repE0EEENS1_48merge_mergepath_partition_config_static_selectorELNS0_4arch9wavefront6targetE1EEEvSJ_,comdat
.Lfunc_end737:
	.size	_ZN7rocprim17ROCPRIM_400000_NS6detail17trampoline_kernelINS0_14default_configENS1_38merge_sort_block_merge_config_selectorIiiEEZZNS1_27merge_sort_block_merge_implIS3_N6thrust23THRUST_200600_302600_NS6detail15normal_iteratorINS8_10device_ptrIiEEEESD_jNS1_19radix_merge_compareILb0ELb0EiNS0_19identity_decomposerEEEEE10hipError_tT0_T1_T2_jT3_P12ihipStream_tbPNSt15iterator_traitsISI_E10value_typeEPNSO_ISJ_E10value_typeEPSK_NS1_7vsmem_tEENKUlT_SI_SJ_SK_E_clISD_PiSD_S10_EESH_SX_SI_SJ_SK_EUlSX_E_NS1_11comp_targetILNS1_3genE2ELNS1_11target_archE906ELNS1_3gpuE6ELNS1_3repE0EEENS1_48merge_mergepath_partition_config_static_selectorELNS0_4arch9wavefront6targetE1EEEvSJ_, .Lfunc_end737-_ZN7rocprim17ROCPRIM_400000_NS6detail17trampoline_kernelINS0_14default_configENS1_38merge_sort_block_merge_config_selectorIiiEEZZNS1_27merge_sort_block_merge_implIS3_N6thrust23THRUST_200600_302600_NS6detail15normal_iteratorINS8_10device_ptrIiEEEESD_jNS1_19radix_merge_compareILb0ELb0EiNS0_19identity_decomposerEEEEE10hipError_tT0_T1_T2_jT3_P12ihipStream_tbPNSt15iterator_traitsISI_E10value_typeEPNSO_ISJ_E10value_typeEPSK_NS1_7vsmem_tEENKUlT_SI_SJ_SK_E_clISD_PiSD_S10_EESH_SX_SI_SJ_SK_EUlSX_E_NS1_11comp_targetILNS1_3genE2ELNS1_11target_archE906ELNS1_3gpuE6ELNS1_3repE0EEENS1_48merge_mergepath_partition_config_static_selectorELNS0_4arch9wavefront6targetE1EEEvSJ_
                                        ; -- End function
	.set _ZN7rocprim17ROCPRIM_400000_NS6detail17trampoline_kernelINS0_14default_configENS1_38merge_sort_block_merge_config_selectorIiiEEZZNS1_27merge_sort_block_merge_implIS3_N6thrust23THRUST_200600_302600_NS6detail15normal_iteratorINS8_10device_ptrIiEEEESD_jNS1_19radix_merge_compareILb0ELb0EiNS0_19identity_decomposerEEEEE10hipError_tT0_T1_T2_jT3_P12ihipStream_tbPNSt15iterator_traitsISI_E10value_typeEPNSO_ISJ_E10value_typeEPSK_NS1_7vsmem_tEENKUlT_SI_SJ_SK_E_clISD_PiSD_S10_EESH_SX_SI_SJ_SK_EUlSX_E_NS1_11comp_targetILNS1_3genE2ELNS1_11target_archE906ELNS1_3gpuE6ELNS1_3repE0EEENS1_48merge_mergepath_partition_config_static_selectorELNS0_4arch9wavefront6targetE1EEEvSJ_.num_vgpr, 0
	.set _ZN7rocprim17ROCPRIM_400000_NS6detail17trampoline_kernelINS0_14default_configENS1_38merge_sort_block_merge_config_selectorIiiEEZZNS1_27merge_sort_block_merge_implIS3_N6thrust23THRUST_200600_302600_NS6detail15normal_iteratorINS8_10device_ptrIiEEEESD_jNS1_19radix_merge_compareILb0ELb0EiNS0_19identity_decomposerEEEEE10hipError_tT0_T1_T2_jT3_P12ihipStream_tbPNSt15iterator_traitsISI_E10value_typeEPNSO_ISJ_E10value_typeEPSK_NS1_7vsmem_tEENKUlT_SI_SJ_SK_E_clISD_PiSD_S10_EESH_SX_SI_SJ_SK_EUlSX_E_NS1_11comp_targetILNS1_3genE2ELNS1_11target_archE906ELNS1_3gpuE6ELNS1_3repE0EEENS1_48merge_mergepath_partition_config_static_selectorELNS0_4arch9wavefront6targetE1EEEvSJ_.num_agpr, 0
	.set _ZN7rocprim17ROCPRIM_400000_NS6detail17trampoline_kernelINS0_14default_configENS1_38merge_sort_block_merge_config_selectorIiiEEZZNS1_27merge_sort_block_merge_implIS3_N6thrust23THRUST_200600_302600_NS6detail15normal_iteratorINS8_10device_ptrIiEEEESD_jNS1_19radix_merge_compareILb0ELb0EiNS0_19identity_decomposerEEEEE10hipError_tT0_T1_T2_jT3_P12ihipStream_tbPNSt15iterator_traitsISI_E10value_typeEPNSO_ISJ_E10value_typeEPSK_NS1_7vsmem_tEENKUlT_SI_SJ_SK_E_clISD_PiSD_S10_EESH_SX_SI_SJ_SK_EUlSX_E_NS1_11comp_targetILNS1_3genE2ELNS1_11target_archE906ELNS1_3gpuE6ELNS1_3repE0EEENS1_48merge_mergepath_partition_config_static_selectorELNS0_4arch9wavefront6targetE1EEEvSJ_.numbered_sgpr, 0
	.set _ZN7rocprim17ROCPRIM_400000_NS6detail17trampoline_kernelINS0_14default_configENS1_38merge_sort_block_merge_config_selectorIiiEEZZNS1_27merge_sort_block_merge_implIS3_N6thrust23THRUST_200600_302600_NS6detail15normal_iteratorINS8_10device_ptrIiEEEESD_jNS1_19radix_merge_compareILb0ELb0EiNS0_19identity_decomposerEEEEE10hipError_tT0_T1_T2_jT3_P12ihipStream_tbPNSt15iterator_traitsISI_E10value_typeEPNSO_ISJ_E10value_typeEPSK_NS1_7vsmem_tEENKUlT_SI_SJ_SK_E_clISD_PiSD_S10_EESH_SX_SI_SJ_SK_EUlSX_E_NS1_11comp_targetILNS1_3genE2ELNS1_11target_archE906ELNS1_3gpuE6ELNS1_3repE0EEENS1_48merge_mergepath_partition_config_static_selectorELNS0_4arch9wavefront6targetE1EEEvSJ_.num_named_barrier, 0
	.set _ZN7rocprim17ROCPRIM_400000_NS6detail17trampoline_kernelINS0_14default_configENS1_38merge_sort_block_merge_config_selectorIiiEEZZNS1_27merge_sort_block_merge_implIS3_N6thrust23THRUST_200600_302600_NS6detail15normal_iteratorINS8_10device_ptrIiEEEESD_jNS1_19radix_merge_compareILb0ELb0EiNS0_19identity_decomposerEEEEE10hipError_tT0_T1_T2_jT3_P12ihipStream_tbPNSt15iterator_traitsISI_E10value_typeEPNSO_ISJ_E10value_typeEPSK_NS1_7vsmem_tEENKUlT_SI_SJ_SK_E_clISD_PiSD_S10_EESH_SX_SI_SJ_SK_EUlSX_E_NS1_11comp_targetILNS1_3genE2ELNS1_11target_archE906ELNS1_3gpuE6ELNS1_3repE0EEENS1_48merge_mergepath_partition_config_static_selectorELNS0_4arch9wavefront6targetE1EEEvSJ_.private_seg_size, 0
	.set _ZN7rocprim17ROCPRIM_400000_NS6detail17trampoline_kernelINS0_14default_configENS1_38merge_sort_block_merge_config_selectorIiiEEZZNS1_27merge_sort_block_merge_implIS3_N6thrust23THRUST_200600_302600_NS6detail15normal_iteratorINS8_10device_ptrIiEEEESD_jNS1_19radix_merge_compareILb0ELb0EiNS0_19identity_decomposerEEEEE10hipError_tT0_T1_T2_jT3_P12ihipStream_tbPNSt15iterator_traitsISI_E10value_typeEPNSO_ISJ_E10value_typeEPSK_NS1_7vsmem_tEENKUlT_SI_SJ_SK_E_clISD_PiSD_S10_EESH_SX_SI_SJ_SK_EUlSX_E_NS1_11comp_targetILNS1_3genE2ELNS1_11target_archE906ELNS1_3gpuE6ELNS1_3repE0EEENS1_48merge_mergepath_partition_config_static_selectorELNS0_4arch9wavefront6targetE1EEEvSJ_.uses_vcc, 0
	.set _ZN7rocprim17ROCPRIM_400000_NS6detail17trampoline_kernelINS0_14default_configENS1_38merge_sort_block_merge_config_selectorIiiEEZZNS1_27merge_sort_block_merge_implIS3_N6thrust23THRUST_200600_302600_NS6detail15normal_iteratorINS8_10device_ptrIiEEEESD_jNS1_19radix_merge_compareILb0ELb0EiNS0_19identity_decomposerEEEEE10hipError_tT0_T1_T2_jT3_P12ihipStream_tbPNSt15iterator_traitsISI_E10value_typeEPNSO_ISJ_E10value_typeEPSK_NS1_7vsmem_tEENKUlT_SI_SJ_SK_E_clISD_PiSD_S10_EESH_SX_SI_SJ_SK_EUlSX_E_NS1_11comp_targetILNS1_3genE2ELNS1_11target_archE906ELNS1_3gpuE6ELNS1_3repE0EEENS1_48merge_mergepath_partition_config_static_selectorELNS0_4arch9wavefront6targetE1EEEvSJ_.uses_flat_scratch, 0
	.set _ZN7rocprim17ROCPRIM_400000_NS6detail17trampoline_kernelINS0_14default_configENS1_38merge_sort_block_merge_config_selectorIiiEEZZNS1_27merge_sort_block_merge_implIS3_N6thrust23THRUST_200600_302600_NS6detail15normal_iteratorINS8_10device_ptrIiEEEESD_jNS1_19radix_merge_compareILb0ELb0EiNS0_19identity_decomposerEEEEE10hipError_tT0_T1_T2_jT3_P12ihipStream_tbPNSt15iterator_traitsISI_E10value_typeEPNSO_ISJ_E10value_typeEPSK_NS1_7vsmem_tEENKUlT_SI_SJ_SK_E_clISD_PiSD_S10_EESH_SX_SI_SJ_SK_EUlSX_E_NS1_11comp_targetILNS1_3genE2ELNS1_11target_archE906ELNS1_3gpuE6ELNS1_3repE0EEENS1_48merge_mergepath_partition_config_static_selectorELNS0_4arch9wavefront6targetE1EEEvSJ_.has_dyn_sized_stack, 0
	.set _ZN7rocprim17ROCPRIM_400000_NS6detail17trampoline_kernelINS0_14default_configENS1_38merge_sort_block_merge_config_selectorIiiEEZZNS1_27merge_sort_block_merge_implIS3_N6thrust23THRUST_200600_302600_NS6detail15normal_iteratorINS8_10device_ptrIiEEEESD_jNS1_19radix_merge_compareILb0ELb0EiNS0_19identity_decomposerEEEEE10hipError_tT0_T1_T2_jT3_P12ihipStream_tbPNSt15iterator_traitsISI_E10value_typeEPNSO_ISJ_E10value_typeEPSK_NS1_7vsmem_tEENKUlT_SI_SJ_SK_E_clISD_PiSD_S10_EESH_SX_SI_SJ_SK_EUlSX_E_NS1_11comp_targetILNS1_3genE2ELNS1_11target_archE906ELNS1_3gpuE6ELNS1_3repE0EEENS1_48merge_mergepath_partition_config_static_selectorELNS0_4arch9wavefront6targetE1EEEvSJ_.has_recursion, 0
	.set _ZN7rocprim17ROCPRIM_400000_NS6detail17trampoline_kernelINS0_14default_configENS1_38merge_sort_block_merge_config_selectorIiiEEZZNS1_27merge_sort_block_merge_implIS3_N6thrust23THRUST_200600_302600_NS6detail15normal_iteratorINS8_10device_ptrIiEEEESD_jNS1_19radix_merge_compareILb0ELb0EiNS0_19identity_decomposerEEEEE10hipError_tT0_T1_T2_jT3_P12ihipStream_tbPNSt15iterator_traitsISI_E10value_typeEPNSO_ISJ_E10value_typeEPSK_NS1_7vsmem_tEENKUlT_SI_SJ_SK_E_clISD_PiSD_S10_EESH_SX_SI_SJ_SK_EUlSX_E_NS1_11comp_targetILNS1_3genE2ELNS1_11target_archE906ELNS1_3gpuE6ELNS1_3repE0EEENS1_48merge_mergepath_partition_config_static_selectorELNS0_4arch9wavefront6targetE1EEEvSJ_.has_indirect_call, 0
	.section	.AMDGPU.csdata,"",@progbits
; Kernel info:
; codeLenInByte = 0
; TotalNumSgprs: 6
; NumVgprs: 0
; NumAgprs: 0
; TotalNumVgprs: 0
; ScratchSize: 0
; MemoryBound: 0
; FloatMode: 240
; IeeeMode: 1
; LDSByteSize: 0 bytes/workgroup (compile time only)
; SGPRBlocks: 0
; VGPRBlocks: 0
; NumSGPRsForWavesPerEU: 6
; NumVGPRsForWavesPerEU: 1
; AccumOffset: 4
; Occupancy: 8
; WaveLimiterHint : 0
; COMPUTE_PGM_RSRC2:SCRATCH_EN: 0
; COMPUTE_PGM_RSRC2:USER_SGPR: 2
; COMPUTE_PGM_RSRC2:TRAP_HANDLER: 0
; COMPUTE_PGM_RSRC2:TGID_X_EN: 1
; COMPUTE_PGM_RSRC2:TGID_Y_EN: 0
; COMPUTE_PGM_RSRC2:TGID_Z_EN: 0
; COMPUTE_PGM_RSRC2:TIDIG_COMP_CNT: 0
; COMPUTE_PGM_RSRC3_GFX90A:ACCUM_OFFSET: 0
; COMPUTE_PGM_RSRC3_GFX90A:TG_SPLIT: 0
	.section	.text._ZN7rocprim17ROCPRIM_400000_NS6detail17trampoline_kernelINS0_14default_configENS1_38merge_sort_block_merge_config_selectorIiiEEZZNS1_27merge_sort_block_merge_implIS3_N6thrust23THRUST_200600_302600_NS6detail15normal_iteratorINS8_10device_ptrIiEEEESD_jNS1_19radix_merge_compareILb0ELb0EiNS0_19identity_decomposerEEEEE10hipError_tT0_T1_T2_jT3_P12ihipStream_tbPNSt15iterator_traitsISI_E10value_typeEPNSO_ISJ_E10value_typeEPSK_NS1_7vsmem_tEENKUlT_SI_SJ_SK_E_clISD_PiSD_S10_EESH_SX_SI_SJ_SK_EUlSX_E_NS1_11comp_targetILNS1_3genE9ELNS1_11target_archE1100ELNS1_3gpuE3ELNS1_3repE0EEENS1_48merge_mergepath_partition_config_static_selectorELNS0_4arch9wavefront6targetE1EEEvSJ_,"axG",@progbits,_ZN7rocprim17ROCPRIM_400000_NS6detail17trampoline_kernelINS0_14default_configENS1_38merge_sort_block_merge_config_selectorIiiEEZZNS1_27merge_sort_block_merge_implIS3_N6thrust23THRUST_200600_302600_NS6detail15normal_iteratorINS8_10device_ptrIiEEEESD_jNS1_19radix_merge_compareILb0ELb0EiNS0_19identity_decomposerEEEEE10hipError_tT0_T1_T2_jT3_P12ihipStream_tbPNSt15iterator_traitsISI_E10value_typeEPNSO_ISJ_E10value_typeEPSK_NS1_7vsmem_tEENKUlT_SI_SJ_SK_E_clISD_PiSD_S10_EESH_SX_SI_SJ_SK_EUlSX_E_NS1_11comp_targetILNS1_3genE9ELNS1_11target_archE1100ELNS1_3gpuE3ELNS1_3repE0EEENS1_48merge_mergepath_partition_config_static_selectorELNS0_4arch9wavefront6targetE1EEEvSJ_,comdat
	.protected	_ZN7rocprim17ROCPRIM_400000_NS6detail17trampoline_kernelINS0_14default_configENS1_38merge_sort_block_merge_config_selectorIiiEEZZNS1_27merge_sort_block_merge_implIS3_N6thrust23THRUST_200600_302600_NS6detail15normal_iteratorINS8_10device_ptrIiEEEESD_jNS1_19radix_merge_compareILb0ELb0EiNS0_19identity_decomposerEEEEE10hipError_tT0_T1_T2_jT3_P12ihipStream_tbPNSt15iterator_traitsISI_E10value_typeEPNSO_ISJ_E10value_typeEPSK_NS1_7vsmem_tEENKUlT_SI_SJ_SK_E_clISD_PiSD_S10_EESH_SX_SI_SJ_SK_EUlSX_E_NS1_11comp_targetILNS1_3genE9ELNS1_11target_archE1100ELNS1_3gpuE3ELNS1_3repE0EEENS1_48merge_mergepath_partition_config_static_selectorELNS0_4arch9wavefront6targetE1EEEvSJ_ ; -- Begin function _ZN7rocprim17ROCPRIM_400000_NS6detail17trampoline_kernelINS0_14default_configENS1_38merge_sort_block_merge_config_selectorIiiEEZZNS1_27merge_sort_block_merge_implIS3_N6thrust23THRUST_200600_302600_NS6detail15normal_iteratorINS8_10device_ptrIiEEEESD_jNS1_19radix_merge_compareILb0ELb0EiNS0_19identity_decomposerEEEEE10hipError_tT0_T1_T2_jT3_P12ihipStream_tbPNSt15iterator_traitsISI_E10value_typeEPNSO_ISJ_E10value_typeEPSK_NS1_7vsmem_tEENKUlT_SI_SJ_SK_E_clISD_PiSD_S10_EESH_SX_SI_SJ_SK_EUlSX_E_NS1_11comp_targetILNS1_3genE9ELNS1_11target_archE1100ELNS1_3gpuE3ELNS1_3repE0EEENS1_48merge_mergepath_partition_config_static_selectorELNS0_4arch9wavefront6targetE1EEEvSJ_
	.globl	_ZN7rocprim17ROCPRIM_400000_NS6detail17trampoline_kernelINS0_14default_configENS1_38merge_sort_block_merge_config_selectorIiiEEZZNS1_27merge_sort_block_merge_implIS3_N6thrust23THRUST_200600_302600_NS6detail15normal_iteratorINS8_10device_ptrIiEEEESD_jNS1_19radix_merge_compareILb0ELb0EiNS0_19identity_decomposerEEEEE10hipError_tT0_T1_T2_jT3_P12ihipStream_tbPNSt15iterator_traitsISI_E10value_typeEPNSO_ISJ_E10value_typeEPSK_NS1_7vsmem_tEENKUlT_SI_SJ_SK_E_clISD_PiSD_S10_EESH_SX_SI_SJ_SK_EUlSX_E_NS1_11comp_targetILNS1_3genE9ELNS1_11target_archE1100ELNS1_3gpuE3ELNS1_3repE0EEENS1_48merge_mergepath_partition_config_static_selectorELNS0_4arch9wavefront6targetE1EEEvSJ_
	.p2align	8
	.type	_ZN7rocprim17ROCPRIM_400000_NS6detail17trampoline_kernelINS0_14default_configENS1_38merge_sort_block_merge_config_selectorIiiEEZZNS1_27merge_sort_block_merge_implIS3_N6thrust23THRUST_200600_302600_NS6detail15normal_iteratorINS8_10device_ptrIiEEEESD_jNS1_19radix_merge_compareILb0ELb0EiNS0_19identity_decomposerEEEEE10hipError_tT0_T1_T2_jT3_P12ihipStream_tbPNSt15iterator_traitsISI_E10value_typeEPNSO_ISJ_E10value_typeEPSK_NS1_7vsmem_tEENKUlT_SI_SJ_SK_E_clISD_PiSD_S10_EESH_SX_SI_SJ_SK_EUlSX_E_NS1_11comp_targetILNS1_3genE9ELNS1_11target_archE1100ELNS1_3gpuE3ELNS1_3repE0EEENS1_48merge_mergepath_partition_config_static_selectorELNS0_4arch9wavefront6targetE1EEEvSJ_,@function
_ZN7rocprim17ROCPRIM_400000_NS6detail17trampoline_kernelINS0_14default_configENS1_38merge_sort_block_merge_config_selectorIiiEEZZNS1_27merge_sort_block_merge_implIS3_N6thrust23THRUST_200600_302600_NS6detail15normal_iteratorINS8_10device_ptrIiEEEESD_jNS1_19radix_merge_compareILb0ELb0EiNS0_19identity_decomposerEEEEE10hipError_tT0_T1_T2_jT3_P12ihipStream_tbPNSt15iterator_traitsISI_E10value_typeEPNSO_ISJ_E10value_typeEPSK_NS1_7vsmem_tEENKUlT_SI_SJ_SK_E_clISD_PiSD_S10_EESH_SX_SI_SJ_SK_EUlSX_E_NS1_11comp_targetILNS1_3genE9ELNS1_11target_archE1100ELNS1_3gpuE3ELNS1_3repE0EEENS1_48merge_mergepath_partition_config_static_selectorELNS0_4arch9wavefront6targetE1EEEvSJ_: ; @_ZN7rocprim17ROCPRIM_400000_NS6detail17trampoline_kernelINS0_14default_configENS1_38merge_sort_block_merge_config_selectorIiiEEZZNS1_27merge_sort_block_merge_implIS3_N6thrust23THRUST_200600_302600_NS6detail15normal_iteratorINS8_10device_ptrIiEEEESD_jNS1_19radix_merge_compareILb0ELb0EiNS0_19identity_decomposerEEEEE10hipError_tT0_T1_T2_jT3_P12ihipStream_tbPNSt15iterator_traitsISI_E10value_typeEPNSO_ISJ_E10value_typeEPSK_NS1_7vsmem_tEENKUlT_SI_SJ_SK_E_clISD_PiSD_S10_EESH_SX_SI_SJ_SK_EUlSX_E_NS1_11comp_targetILNS1_3genE9ELNS1_11target_archE1100ELNS1_3gpuE3ELNS1_3repE0EEENS1_48merge_mergepath_partition_config_static_selectorELNS0_4arch9wavefront6targetE1EEEvSJ_
; %bb.0:
	.section	.rodata,"a",@progbits
	.p2align	6, 0x0
	.amdhsa_kernel _ZN7rocprim17ROCPRIM_400000_NS6detail17trampoline_kernelINS0_14default_configENS1_38merge_sort_block_merge_config_selectorIiiEEZZNS1_27merge_sort_block_merge_implIS3_N6thrust23THRUST_200600_302600_NS6detail15normal_iteratorINS8_10device_ptrIiEEEESD_jNS1_19radix_merge_compareILb0ELb0EiNS0_19identity_decomposerEEEEE10hipError_tT0_T1_T2_jT3_P12ihipStream_tbPNSt15iterator_traitsISI_E10value_typeEPNSO_ISJ_E10value_typeEPSK_NS1_7vsmem_tEENKUlT_SI_SJ_SK_E_clISD_PiSD_S10_EESH_SX_SI_SJ_SK_EUlSX_E_NS1_11comp_targetILNS1_3genE9ELNS1_11target_archE1100ELNS1_3gpuE3ELNS1_3repE0EEENS1_48merge_mergepath_partition_config_static_selectorELNS0_4arch9wavefront6targetE1EEEvSJ_
		.amdhsa_group_segment_fixed_size 0
		.amdhsa_private_segment_fixed_size 0
		.amdhsa_kernarg_size 40
		.amdhsa_user_sgpr_count 2
		.amdhsa_user_sgpr_dispatch_ptr 0
		.amdhsa_user_sgpr_queue_ptr 0
		.amdhsa_user_sgpr_kernarg_segment_ptr 1
		.amdhsa_user_sgpr_dispatch_id 0
		.amdhsa_user_sgpr_kernarg_preload_length 0
		.amdhsa_user_sgpr_kernarg_preload_offset 0
		.amdhsa_user_sgpr_private_segment_size 0
		.amdhsa_uses_dynamic_stack 0
		.amdhsa_enable_private_segment 0
		.amdhsa_system_sgpr_workgroup_id_x 1
		.amdhsa_system_sgpr_workgroup_id_y 0
		.amdhsa_system_sgpr_workgroup_id_z 0
		.amdhsa_system_sgpr_workgroup_info 0
		.amdhsa_system_vgpr_workitem_id 0
		.amdhsa_next_free_vgpr 1
		.amdhsa_next_free_sgpr 0
		.amdhsa_accum_offset 4
		.amdhsa_reserve_vcc 0
		.amdhsa_float_round_mode_32 0
		.amdhsa_float_round_mode_16_64 0
		.amdhsa_float_denorm_mode_32 3
		.amdhsa_float_denorm_mode_16_64 3
		.amdhsa_dx10_clamp 1
		.amdhsa_ieee_mode 1
		.amdhsa_fp16_overflow 0
		.amdhsa_tg_split 0
		.amdhsa_exception_fp_ieee_invalid_op 0
		.amdhsa_exception_fp_denorm_src 0
		.amdhsa_exception_fp_ieee_div_zero 0
		.amdhsa_exception_fp_ieee_overflow 0
		.amdhsa_exception_fp_ieee_underflow 0
		.amdhsa_exception_fp_ieee_inexact 0
		.amdhsa_exception_int_div_zero 0
	.end_amdhsa_kernel
	.section	.text._ZN7rocprim17ROCPRIM_400000_NS6detail17trampoline_kernelINS0_14default_configENS1_38merge_sort_block_merge_config_selectorIiiEEZZNS1_27merge_sort_block_merge_implIS3_N6thrust23THRUST_200600_302600_NS6detail15normal_iteratorINS8_10device_ptrIiEEEESD_jNS1_19radix_merge_compareILb0ELb0EiNS0_19identity_decomposerEEEEE10hipError_tT0_T1_T2_jT3_P12ihipStream_tbPNSt15iterator_traitsISI_E10value_typeEPNSO_ISJ_E10value_typeEPSK_NS1_7vsmem_tEENKUlT_SI_SJ_SK_E_clISD_PiSD_S10_EESH_SX_SI_SJ_SK_EUlSX_E_NS1_11comp_targetILNS1_3genE9ELNS1_11target_archE1100ELNS1_3gpuE3ELNS1_3repE0EEENS1_48merge_mergepath_partition_config_static_selectorELNS0_4arch9wavefront6targetE1EEEvSJ_,"axG",@progbits,_ZN7rocprim17ROCPRIM_400000_NS6detail17trampoline_kernelINS0_14default_configENS1_38merge_sort_block_merge_config_selectorIiiEEZZNS1_27merge_sort_block_merge_implIS3_N6thrust23THRUST_200600_302600_NS6detail15normal_iteratorINS8_10device_ptrIiEEEESD_jNS1_19radix_merge_compareILb0ELb0EiNS0_19identity_decomposerEEEEE10hipError_tT0_T1_T2_jT3_P12ihipStream_tbPNSt15iterator_traitsISI_E10value_typeEPNSO_ISJ_E10value_typeEPSK_NS1_7vsmem_tEENKUlT_SI_SJ_SK_E_clISD_PiSD_S10_EESH_SX_SI_SJ_SK_EUlSX_E_NS1_11comp_targetILNS1_3genE9ELNS1_11target_archE1100ELNS1_3gpuE3ELNS1_3repE0EEENS1_48merge_mergepath_partition_config_static_selectorELNS0_4arch9wavefront6targetE1EEEvSJ_,comdat
.Lfunc_end738:
	.size	_ZN7rocprim17ROCPRIM_400000_NS6detail17trampoline_kernelINS0_14default_configENS1_38merge_sort_block_merge_config_selectorIiiEEZZNS1_27merge_sort_block_merge_implIS3_N6thrust23THRUST_200600_302600_NS6detail15normal_iteratorINS8_10device_ptrIiEEEESD_jNS1_19radix_merge_compareILb0ELb0EiNS0_19identity_decomposerEEEEE10hipError_tT0_T1_T2_jT3_P12ihipStream_tbPNSt15iterator_traitsISI_E10value_typeEPNSO_ISJ_E10value_typeEPSK_NS1_7vsmem_tEENKUlT_SI_SJ_SK_E_clISD_PiSD_S10_EESH_SX_SI_SJ_SK_EUlSX_E_NS1_11comp_targetILNS1_3genE9ELNS1_11target_archE1100ELNS1_3gpuE3ELNS1_3repE0EEENS1_48merge_mergepath_partition_config_static_selectorELNS0_4arch9wavefront6targetE1EEEvSJ_, .Lfunc_end738-_ZN7rocprim17ROCPRIM_400000_NS6detail17trampoline_kernelINS0_14default_configENS1_38merge_sort_block_merge_config_selectorIiiEEZZNS1_27merge_sort_block_merge_implIS3_N6thrust23THRUST_200600_302600_NS6detail15normal_iteratorINS8_10device_ptrIiEEEESD_jNS1_19radix_merge_compareILb0ELb0EiNS0_19identity_decomposerEEEEE10hipError_tT0_T1_T2_jT3_P12ihipStream_tbPNSt15iterator_traitsISI_E10value_typeEPNSO_ISJ_E10value_typeEPSK_NS1_7vsmem_tEENKUlT_SI_SJ_SK_E_clISD_PiSD_S10_EESH_SX_SI_SJ_SK_EUlSX_E_NS1_11comp_targetILNS1_3genE9ELNS1_11target_archE1100ELNS1_3gpuE3ELNS1_3repE0EEENS1_48merge_mergepath_partition_config_static_selectorELNS0_4arch9wavefront6targetE1EEEvSJ_
                                        ; -- End function
	.set _ZN7rocprim17ROCPRIM_400000_NS6detail17trampoline_kernelINS0_14default_configENS1_38merge_sort_block_merge_config_selectorIiiEEZZNS1_27merge_sort_block_merge_implIS3_N6thrust23THRUST_200600_302600_NS6detail15normal_iteratorINS8_10device_ptrIiEEEESD_jNS1_19radix_merge_compareILb0ELb0EiNS0_19identity_decomposerEEEEE10hipError_tT0_T1_T2_jT3_P12ihipStream_tbPNSt15iterator_traitsISI_E10value_typeEPNSO_ISJ_E10value_typeEPSK_NS1_7vsmem_tEENKUlT_SI_SJ_SK_E_clISD_PiSD_S10_EESH_SX_SI_SJ_SK_EUlSX_E_NS1_11comp_targetILNS1_3genE9ELNS1_11target_archE1100ELNS1_3gpuE3ELNS1_3repE0EEENS1_48merge_mergepath_partition_config_static_selectorELNS0_4arch9wavefront6targetE1EEEvSJ_.num_vgpr, 0
	.set _ZN7rocprim17ROCPRIM_400000_NS6detail17trampoline_kernelINS0_14default_configENS1_38merge_sort_block_merge_config_selectorIiiEEZZNS1_27merge_sort_block_merge_implIS3_N6thrust23THRUST_200600_302600_NS6detail15normal_iteratorINS8_10device_ptrIiEEEESD_jNS1_19radix_merge_compareILb0ELb0EiNS0_19identity_decomposerEEEEE10hipError_tT0_T1_T2_jT3_P12ihipStream_tbPNSt15iterator_traitsISI_E10value_typeEPNSO_ISJ_E10value_typeEPSK_NS1_7vsmem_tEENKUlT_SI_SJ_SK_E_clISD_PiSD_S10_EESH_SX_SI_SJ_SK_EUlSX_E_NS1_11comp_targetILNS1_3genE9ELNS1_11target_archE1100ELNS1_3gpuE3ELNS1_3repE0EEENS1_48merge_mergepath_partition_config_static_selectorELNS0_4arch9wavefront6targetE1EEEvSJ_.num_agpr, 0
	.set _ZN7rocprim17ROCPRIM_400000_NS6detail17trampoline_kernelINS0_14default_configENS1_38merge_sort_block_merge_config_selectorIiiEEZZNS1_27merge_sort_block_merge_implIS3_N6thrust23THRUST_200600_302600_NS6detail15normal_iteratorINS8_10device_ptrIiEEEESD_jNS1_19radix_merge_compareILb0ELb0EiNS0_19identity_decomposerEEEEE10hipError_tT0_T1_T2_jT3_P12ihipStream_tbPNSt15iterator_traitsISI_E10value_typeEPNSO_ISJ_E10value_typeEPSK_NS1_7vsmem_tEENKUlT_SI_SJ_SK_E_clISD_PiSD_S10_EESH_SX_SI_SJ_SK_EUlSX_E_NS1_11comp_targetILNS1_3genE9ELNS1_11target_archE1100ELNS1_3gpuE3ELNS1_3repE0EEENS1_48merge_mergepath_partition_config_static_selectorELNS0_4arch9wavefront6targetE1EEEvSJ_.numbered_sgpr, 0
	.set _ZN7rocprim17ROCPRIM_400000_NS6detail17trampoline_kernelINS0_14default_configENS1_38merge_sort_block_merge_config_selectorIiiEEZZNS1_27merge_sort_block_merge_implIS3_N6thrust23THRUST_200600_302600_NS6detail15normal_iteratorINS8_10device_ptrIiEEEESD_jNS1_19radix_merge_compareILb0ELb0EiNS0_19identity_decomposerEEEEE10hipError_tT0_T1_T2_jT3_P12ihipStream_tbPNSt15iterator_traitsISI_E10value_typeEPNSO_ISJ_E10value_typeEPSK_NS1_7vsmem_tEENKUlT_SI_SJ_SK_E_clISD_PiSD_S10_EESH_SX_SI_SJ_SK_EUlSX_E_NS1_11comp_targetILNS1_3genE9ELNS1_11target_archE1100ELNS1_3gpuE3ELNS1_3repE0EEENS1_48merge_mergepath_partition_config_static_selectorELNS0_4arch9wavefront6targetE1EEEvSJ_.num_named_barrier, 0
	.set _ZN7rocprim17ROCPRIM_400000_NS6detail17trampoline_kernelINS0_14default_configENS1_38merge_sort_block_merge_config_selectorIiiEEZZNS1_27merge_sort_block_merge_implIS3_N6thrust23THRUST_200600_302600_NS6detail15normal_iteratorINS8_10device_ptrIiEEEESD_jNS1_19radix_merge_compareILb0ELb0EiNS0_19identity_decomposerEEEEE10hipError_tT0_T1_T2_jT3_P12ihipStream_tbPNSt15iterator_traitsISI_E10value_typeEPNSO_ISJ_E10value_typeEPSK_NS1_7vsmem_tEENKUlT_SI_SJ_SK_E_clISD_PiSD_S10_EESH_SX_SI_SJ_SK_EUlSX_E_NS1_11comp_targetILNS1_3genE9ELNS1_11target_archE1100ELNS1_3gpuE3ELNS1_3repE0EEENS1_48merge_mergepath_partition_config_static_selectorELNS0_4arch9wavefront6targetE1EEEvSJ_.private_seg_size, 0
	.set _ZN7rocprim17ROCPRIM_400000_NS6detail17trampoline_kernelINS0_14default_configENS1_38merge_sort_block_merge_config_selectorIiiEEZZNS1_27merge_sort_block_merge_implIS3_N6thrust23THRUST_200600_302600_NS6detail15normal_iteratorINS8_10device_ptrIiEEEESD_jNS1_19radix_merge_compareILb0ELb0EiNS0_19identity_decomposerEEEEE10hipError_tT0_T1_T2_jT3_P12ihipStream_tbPNSt15iterator_traitsISI_E10value_typeEPNSO_ISJ_E10value_typeEPSK_NS1_7vsmem_tEENKUlT_SI_SJ_SK_E_clISD_PiSD_S10_EESH_SX_SI_SJ_SK_EUlSX_E_NS1_11comp_targetILNS1_3genE9ELNS1_11target_archE1100ELNS1_3gpuE3ELNS1_3repE0EEENS1_48merge_mergepath_partition_config_static_selectorELNS0_4arch9wavefront6targetE1EEEvSJ_.uses_vcc, 0
	.set _ZN7rocprim17ROCPRIM_400000_NS6detail17trampoline_kernelINS0_14default_configENS1_38merge_sort_block_merge_config_selectorIiiEEZZNS1_27merge_sort_block_merge_implIS3_N6thrust23THRUST_200600_302600_NS6detail15normal_iteratorINS8_10device_ptrIiEEEESD_jNS1_19radix_merge_compareILb0ELb0EiNS0_19identity_decomposerEEEEE10hipError_tT0_T1_T2_jT3_P12ihipStream_tbPNSt15iterator_traitsISI_E10value_typeEPNSO_ISJ_E10value_typeEPSK_NS1_7vsmem_tEENKUlT_SI_SJ_SK_E_clISD_PiSD_S10_EESH_SX_SI_SJ_SK_EUlSX_E_NS1_11comp_targetILNS1_3genE9ELNS1_11target_archE1100ELNS1_3gpuE3ELNS1_3repE0EEENS1_48merge_mergepath_partition_config_static_selectorELNS0_4arch9wavefront6targetE1EEEvSJ_.uses_flat_scratch, 0
	.set _ZN7rocprim17ROCPRIM_400000_NS6detail17trampoline_kernelINS0_14default_configENS1_38merge_sort_block_merge_config_selectorIiiEEZZNS1_27merge_sort_block_merge_implIS3_N6thrust23THRUST_200600_302600_NS6detail15normal_iteratorINS8_10device_ptrIiEEEESD_jNS1_19radix_merge_compareILb0ELb0EiNS0_19identity_decomposerEEEEE10hipError_tT0_T1_T2_jT3_P12ihipStream_tbPNSt15iterator_traitsISI_E10value_typeEPNSO_ISJ_E10value_typeEPSK_NS1_7vsmem_tEENKUlT_SI_SJ_SK_E_clISD_PiSD_S10_EESH_SX_SI_SJ_SK_EUlSX_E_NS1_11comp_targetILNS1_3genE9ELNS1_11target_archE1100ELNS1_3gpuE3ELNS1_3repE0EEENS1_48merge_mergepath_partition_config_static_selectorELNS0_4arch9wavefront6targetE1EEEvSJ_.has_dyn_sized_stack, 0
	.set _ZN7rocprim17ROCPRIM_400000_NS6detail17trampoline_kernelINS0_14default_configENS1_38merge_sort_block_merge_config_selectorIiiEEZZNS1_27merge_sort_block_merge_implIS3_N6thrust23THRUST_200600_302600_NS6detail15normal_iteratorINS8_10device_ptrIiEEEESD_jNS1_19radix_merge_compareILb0ELb0EiNS0_19identity_decomposerEEEEE10hipError_tT0_T1_T2_jT3_P12ihipStream_tbPNSt15iterator_traitsISI_E10value_typeEPNSO_ISJ_E10value_typeEPSK_NS1_7vsmem_tEENKUlT_SI_SJ_SK_E_clISD_PiSD_S10_EESH_SX_SI_SJ_SK_EUlSX_E_NS1_11comp_targetILNS1_3genE9ELNS1_11target_archE1100ELNS1_3gpuE3ELNS1_3repE0EEENS1_48merge_mergepath_partition_config_static_selectorELNS0_4arch9wavefront6targetE1EEEvSJ_.has_recursion, 0
	.set _ZN7rocprim17ROCPRIM_400000_NS6detail17trampoline_kernelINS0_14default_configENS1_38merge_sort_block_merge_config_selectorIiiEEZZNS1_27merge_sort_block_merge_implIS3_N6thrust23THRUST_200600_302600_NS6detail15normal_iteratorINS8_10device_ptrIiEEEESD_jNS1_19radix_merge_compareILb0ELb0EiNS0_19identity_decomposerEEEEE10hipError_tT0_T1_T2_jT3_P12ihipStream_tbPNSt15iterator_traitsISI_E10value_typeEPNSO_ISJ_E10value_typeEPSK_NS1_7vsmem_tEENKUlT_SI_SJ_SK_E_clISD_PiSD_S10_EESH_SX_SI_SJ_SK_EUlSX_E_NS1_11comp_targetILNS1_3genE9ELNS1_11target_archE1100ELNS1_3gpuE3ELNS1_3repE0EEENS1_48merge_mergepath_partition_config_static_selectorELNS0_4arch9wavefront6targetE1EEEvSJ_.has_indirect_call, 0
	.section	.AMDGPU.csdata,"",@progbits
; Kernel info:
; codeLenInByte = 0
; TotalNumSgprs: 6
; NumVgprs: 0
; NumAgprs: 0
; TotalNumVgprs: 0
; ScratchSize: 0
; MemoryBound: 0
; FloatMode: 240
; IeeeMode: 1
; LDSByteSize: 0 bytes/workgroup (compile time only)
; SGPRBlocks: 0
; VGPRBlocks: 0
; NumSGPRsForWavesPerEU: 6
; NumVGPRsForWavesPerEU: 1
; AccumOffset: 4
; Occupancy: 8
; WaveLimiterHint : 0
; COMPUTE_PGM_RSRC2:SCRATCH_EN: 0
; COMPUTE_PGM_RSRC2:USER_SGPR: 2
; COMPUTE_PGM_RSRC2:TRAP_HANDLER: 0
; COMPUTE_PGM_RSRC2:TGID_X_EN: 1
; COMPUTE_PGM_RSRC2:TGID_Y_EN: 0
; COMPUTE_PGM_RSRC2:TGID_Z_EN: 0
; COMPUTE_PGM_RSRC2:TIDIG_COMP_CNT: 0
; COMPUTE_PGM_RSRC3_GFX90A:ACCUM_OFFSET: 0
; COMPUTE_PGM_RSRC3_GFX90A:TG_SPLIT: 0
	.section	.text._ZN7rocprim17ROCPRIM_400000_NS6detail17trampoline_kernelINS0_14default_configENS1_38merge_sort_block_merge_config_selectorIiiEEZZNS1_27merge_sort_block_merge_implIS3_N6thrust23THRUST_200600_302600_NS6detail15normal_iteratorINS8_10device_ptrIiEEEESD_jNS1_19radix_merge_compareILb0ELb0EiNS0_19identity_decomposerEEEEE10hipError_tT0_T1_T2_jT3_P12ihipStream_tbPNSt15iterator_traitsISI_E10value_typeEPNSO_ISJ_E10value_typeEPSK_NS1_7vsmem_tEENKUlT_SI_SJ_SK_E_clISD_PiSD_S10_EESH_SX_SI_SJ_SK_EUlSX_E_NS1_11comp_targetILNS1_3genE8ELNS1_11target_archE1030ELNS1_3gpuE2ELNS1_3repE0EEENS1_48merge_mergepath_partition_config_static_selectorELNS0_4arch9wavefront6targetE1EEEvSJ_,"axG",@progbits,_ZN7rocprim17ROCPRIM_400000_NS6detail17trampoline_kernelINS0_14default_configENS1_38merge_sort_block_merge_config_selectorIiiEEZZNS1_27merge_sort_block_merge_implIS3_N6thrust23THRUST_200600_302600_NS6detail15normal_iteratorINS8_10device_ptrIiEEEESD_jNS1_19radix_merge_compareILb0ELb0EiNS0_19identity_decomposerEEEEE10hipError_tT0_T1_T2_jT3_P12ihipStream_tbPNSt15iterator_traitsISI_E10value_typeEPNSO_ISJ_E10value_typeEPSK_NS1_7vsmem_tEENKUlT_SI_SJ_SK_E_clISD_PiSD_S10_EESH_SX_SI_SJ_SK_EUlSX_E_NS1_11comp_targetILNS1_3genE8ELNS1_11target_archE1030ELNS1_3gpuE2ELNS1_3repE0EEENS1_48merge_mergepath_partition_config_static_selectorELNS0_4arch9wavefront6targetE1EEEvSJ_,comdat
	.protected	_ZN7rocprim17ROCPRIM_400000_NS6detail17trampoline_kernelINS0_14default_configENS1_38merge_sort_block_merge_config_selectorIiiEEZZNS1_27merge_sort_block_merge_implIS3_N6thrust23THRUST_200600_302600_NS6detail15normal_iteratorINS8_10device_ptrIiEEEESD_jNS1_19radix_merge_compareILb0ELb0EiNS0_19identity_decomposerEEEEE10hipError_tT0_T1_T2_jT3_P12ihipStream_tbPNSt15iterator_traitsISI_E10value_typeEPNSO_ISJ_E10value_typeEPSK_NS1_7vsmem_tEENKUlT_SI_SJ_SK_E_clISD_PiSD_S10_EESH_SX_SI_SJ_SK_EUlSX_E_NS1_11comp_targetILNS1_3genE8ELNS1_11target_archE1030ELNS1_3gpuE2ELNS1_3repE0EEENS1_48merge_mergepath_partition_config_static_selectorELNS0_4arch9wavefront6targetE1EEEvSJ_ ; -- Begin function _ZN7rocprim17ROCPRIM_400000_NS6detail17trampoline_kernelINS0_14default_configENS1_38merge_sort_block_merge_config_selectorIiiEEZZNS1_27merge_sort_block_merge_implIS3_N6thrust23THRUST_200600_302600_NS6detail15normal_iteratorINS8_10device_ptrIiEEEESD_jNS1_19radix_merge_compareILb0ELb0EiNS0_19identity_decomposerEEEEE10hipError_tT0_T1_T2_jT3_P12ihipStream_tbPNSt15iterator_traitsISI_E10value_typeEPNSO_ISJ_E10value_typeEPSK_NS1_7vsmem_tEENKUlT_SI_SJ_SK_E_clISD_PiSD_S10_EESH_SX_SI_SJ_SK_EUlSX_E_NS1_11comp_targetILNS1_3genE8ELNS1_11target_archE1030ELNS1_3gpuE2ELNS1_3repE0EEENS1_48merge_mergepath_partition_config_static_selectorELNS0_4arch9wavefront6targetE1EEEvSJ_
	.globl	_ZN7rocprim17ROCPRIM_400000_NS6detail17trampoline_kernelINS0_14default_configENS1_38merge_sort_block_merge_config_selectorIiiEEZZNS1_27merge_sort_block_merge_implIS3_N6thrust23THRUST_200600_302600_NS6detail15normal_iteratorINS8_10device_ptrIiEEEESD_jNS1_19radix_merge_compareILb0ELb0EiNS0_19identity_decomposerEEEEE10hipError_tT0_T1_T2_jT3_P12ihipStream_tbPNSt15iterator_traitsISI_E10value_typeEPNSO_ISJ_E10value_typeEPSK_NS1_7vsmem_tEENKUlT_SI_SJ_SK_E_clISD_PiSD_S10_EESH_SX_SI_SJ_SK_EUlSX_E_NS1_11comp_targetILNS1_3genE8ELNS1_11target_archE1030ELNS1_3gpuE2ELNS1_3repE0EEENS1_48merge_mergepath_partition_config_static_selectorELNS0_4arch9wavefront6targetE1EEEvSJ_
	.p2align	8
	.type	_ZN7rocprim17ROCPRIM_400000_NS6detail17trampoline_kernelINS0_14default_configENS1_38merge_sort_block_merge_config_selectorIiiEEZZNS1_27merge_sort_block_merge_implIS3_N6thrust23THRUST_200600_302600_NS6detail15normal_iteratorINS8_10device_ptrIiEEEESD_jNS1_19radix_merge_compareILb0ELb0EiNS0_19identity_decomposerEEEEE10hipError_tT0_T1_T2_jT3_P12ihipStream_tbPNSt15iterator_traitsISI_E10value_typeEPNSO_ISJ_E10value_typeEPSK_NS1_7vsmem_tEENKUlT_SI_SJ_SK_E_clISD_PiSD_S10_EESH_SX_SI_SJ_SK_EUlSX_E_NS1_11comp_targetILNS1_3genE8ELNS1_11target_archE1030ELNS1_3gpuE2ELNS1_3repE0EEENS1_48merge_mergepath_partition_config_static_selectorELNS0_4arch9wavefront6targetE1EEEvSJ_,@function
_ZN7rocprim17ROCPRIM_400000_NS6detail17trampoline_kernelINS0_14default_configENS1_38merge_sort_block_merge_config_selectorIiiEEZZNS1_27merge_sort_block_merge_implIS3_N6thrust23THRUST_200600_302600_NS6detail15normal_iteratorINS8_10device_ptrIiEEEESD_jNS1_19radix_merge_compareILb0ELb0EiNS0_19identity_decomposerEEEEE10hipError_tT0_T1_T2_jT3_P12ihipStream_tbPNSt15iterator_traitsISI_E10value_typeEPNSO_ISJ_E10value_typeEPSK_NS1_7vsmem_tEENKUlT_SI_SJ_SK_E_clISD_PiSD_S10_EESH_SX_SI_SJ_SK_EUlSX_E_NS1_11comp_targetILNS1_3genE8ELNS1_11target_archE1030ELNS1_3gpuE2ELNS1_3repE0EEENS1_48merge_mergepath_partition_config_static_selectorELNS0_4arch9wavefront6targetE1EEEvSJ_: ; @_ZN7rocprim17ROCPRIM_400000_NS6detail17trampoline_kernelINS0_14default_configENS1_38merge_sort_block_merge_config_selectorIiiEEZZNS1_27merge_sort_block_merge_implIS3_N6thrust23THRUST_200600_302600_NS6detail15normal_iteratorINS8_10device_ptrIiEEEESD_jNS1_19radix_merge_compareILb0ELb0EiNS0_19identity_decomposerEEEEE10hipError_tT0_T1_T2_jT3_P12ihipStream_tbPNSt15iterator_traitsISI_E10value_typeEPNSO_ISJ_E10value_typeEPSK_NS1_7vsmem_tEENKUlT_SI_SJ_SK_E_clISD_PiSD_S10_EESH_SX_SI_SJ_SK_EUlSX_E_NS1_11comp_targetILNS1_3genE8ELNS1_11target_archE1030ELNS1_3gpuE2ELNS1_3repE0EEENS1_48merge_mergepath_partition_config_static_selectorELNS0_4arch9wavefront6targetE1EEEvSJ_
; %bb.0:
	.section	.rodata,"a",@progbits
	.p2align	6, 0x0
	.amdhsa_kernel _ZN7rocprim17ROCPRIM_400000_NS6detail17trampoline_kernelINS0_14default_configENS1_38merge_sort_block_merge_config_selectorIiiEEZZNS1_27merge_sort_block_merge_implIS3_N6thrust23THRUST_200600_302600_NS6detail15normal_iteratorINS8_10device_ptrIiEEEESD_jNS1_19radix_merge_compareILb0ELb0EiNS0_19identity_decomposerEEEEE10hipError_tT0_T1_T2_jT3_P12ihipStream_tbPNSt15iterator_traitsISI_E10value_typeEPNSO_ISJ_E10value_typeEPSK_NS1_7vsmem_tEENKUlT_SI_SJ_SK_E_clISD_PiSD_S10_EESH_SX_SI_SJ_SK_EUlSX_E_NS1_11comp_targetILNS1_3genE8ELNS1_11target_archE1030ELNS1_3gpuE2ELNS1_3repE0EEENS1_48merge_mergepath_partition_config_static_selectorELNS0_4arch9wavefront6targetE1EEEvSJ_
		.amdhsa_group_segment_fixed_size 0
		.amdhsa_private_segment_fixed_size 0
		.amdhsa_kernarg_size 40
		.amdhsa_user_sgpr_count 2
		.amdhsa_user_sgpr_dispatch_ptr 0
		.amdhsa_user_sgpr_queue_ptr 0
		.amdhsa_user_sgpr_kernarg_segment_ptr 1
		.amdhsa_user_sgpr_dispatch_id 0
		.amdhsa_user_sgpr_kernarg_preload_length 0
		.amdhsa_user_sgpr_kernarg_preload_offset 0
		.amdhsa_user_sgpr_private_segment_size 0
		.amdhsa_uses_dynamic_stack 0
		.amdhsa_enable_private_segment 0
		.amdhsa_system_sgpr_workgroup_id_x 1
		.amdhsa_system_sgpr_workgroup_id_y 0
		.amdhsa_system_sgpr_workgroup_id_z 0
		.amdhsa_system_sgpr_workgroup_info 0
		.amdhsa_system_vgpr_workitem_id 0
		.amdhsa_next_free_vgpr 1
		.amdhsa_next_free_sgpr 0
		.amdhsa_accum_offset 4
		.amdhsa_reserve_vcc 0
		.amdhsa_float_round_mode_32 0
		.amdhsa_float_round_mode_16_64 0
		.amdhsa_float_denorm_mode_32 3
		.amdhsa_float_denorm_mode_16_64 3
		.amdhsa_dx10_clamp 1
		.amdhsa_ieee_mode 1
		.amdhsa_fp16_overflow 0
		.amdhsa_tg_split 0
		.amdhsa_exception_fp_ieee_invalid_op 0
		.amdhsa_exception_fp_denorm_src 0
		.amdhsa_exception_fp_ieee_div_zero 0
		.amdhsa_exception_fp_ieee_overflow 0
		.amdhsa_exception_fp_ieee_underflow 0
		.amdhsa_exception_fp_ieee_inexact 0
		.amdhsa_exception_int_div_zero 0
	.end_amdhsa_kernel
	.section	.text._ZN7rocprim17ROCPRIM_400000_NS6detail17trampoline_kernelINS0_14default_configENS1_38merge_sort_block_merge_config_selectorIiiEEZZNS1_27merge_sort_block_merge_implIS3_N6thrust23THRUST_200600_302600_NS6detail15normal_iteratorINS8_10device_ptrIiEEEESD_jNS1_19radix_merge_compareILb0ELb0EiNS0_19identity_decomposerEEEEE10hipError_tT0_T1_T2_jT3_P12ihipStream_tbPNSt15iterator_traitsISI_E10value_typeEPNSO_ISJ_E10value_typeEPSK_NS1_7vsmem_tEENKUlT_SI_SJ_SK_E_clISD_PiSD_S10_EESH_SX_SI_SJ_SK_EUlSX_E_NS1_11comp_targetILNS1_3genE8ELNS1_11target_archE1030ELNS1_3gpuE2ELNS1_3repE0EEENS1_48merge_mergepath_partition_config_static_selectorELNS0_4arch9wavefront6targetE1EEEvSJ_,"axG",@progbits,_ZN7rocprim17ROCPRIM_400000_NS6detail17trampoline_kernelINS0_14default_configENS1_38merge_sort_block_merge_config_selectorIiiEEZZNS1_27merge_sort_block_merge_implIS3_N6thrust23THRUST_200600_302600_NS6detail15normal_iteratorINS8_10device_ptrIiEEEESD_jNS1_19radix_merge_compareILb0ELb0EiNS0_19identity_decomposerEEEEE10hipError_tT0_T1_T2_jT3_P12ihipStream_tbPNSt15iterator_traitsISI_E10value_typeEPNSO_ISJ_E10value_typeEPSK_NS1_7vsmem_tEENKUlT_SI_SJ_SK_E_clISD_PiSD_S10_EESH_SX_SI_SJ_SK_EUlSX_E_NS1_11comp_targetILNS1_3genE8ELNS1_11target_archE1030ELNS1_3gpuE2ELNS1_3repE0EEENS1_48merge_mergepath_partition_config_static_selectorELNS0_4arch9wavefront6targetE1EEEvSJ_,comdat
.Lfunc_end739:
	.size	_ZN7rocprim17ROCPRIM_400000_NS6detail17trampoline_kernelINS0_14default_configENS1_38merge_sort_block_merge_config_selectorIiiEEZZNS1_27merge_sort_block_merge_implIS3_N6thrust23THRUST_200600_302600_NS6detail15normal_iteratorINS8_10device_ptrIiEEEESD_jNS1_19radix_merge_compareILb0ELb0EiNS0_19identity_decomposerEEEEE10hipError_tT0_T1_T2_jT3_P12ihipStream_tbPNSt15iterator_traitsISI_E10value_typeEPNSO_ISJ_E10value_typeEPSK_NS1_7vsmem_tEENKUlT_SI_SJ_SK_E_clISD_PiSD_S10_EESH_SX_SI_SJ_SK_EUlSX_E_NS1_11comp_targetILNS1_3genE8ELNS1_11target_archE1030ELNS1_3gpuE2ELNS1_3repE0EEENS1_48merge_mergepath_partition_config_static_selectorELNS0_4arch9wavefront6targetE1EEEvSJ_, .Lfunc_end739-_ZN7rocprim17ROCPRIM_400000_NS6detail17trampoline_kernelINS0_14default_configENS1_38merge_sort_block_merge_config_selectorIiiEEZZNS1_27merge_sort_block_merge_implIS3_N6thrust23THRUST_200600_302600_NS6detail15normal_iteratorINS8_10device_ptrIiEEEESD_jNS1_19radix_merge_compareILb0ELb0EiNS0_19identity_decomposerEEEEE10hipError_tT0_T1_T2_jT3_P12ihipStream_tbPNSt15iterator_traitsISI_E10value_typeEPNSO_ISJ_E10value_typeEPSK_NS1_7vsmem_tEENKUlT_SI_SJ_SK_E_clISD_PiSD_S10_EESH_SX_SI_SJ_SK_EUlSX_E_NS1_11comp_targetILNS1_3genE8ELNS1_11target_archE1030ELNS1_3gpuE2ELNS1_3repE0EEENS1_48merge_mergepath_partition_config_static_selectorELNS0_4arch9wavefront6targetE1EEEvSJ_
                                        ; -- End function
	.set _ZN7rocprim17ROCPRIM_400000_NS6detail17trampoline_kernelINS0_14default_configENS1_38merge_sort_block_merge_config_selectorIiiEEZZNS1_27merge_sort_block_merge_implIS3_N6thrust23THRUST_200600_302600_NS6detail15normal_iteratorINS8_10device_ptrIiEEEESD_jNS1_19radix_merge_compareILb0ELb0EiNS0_19identity_decomposerEEEEE10hipError_tT0_T1_T2_jT3_P12ihipStream_tbPNSt15iterator_traitsISI_E10value_typeEPNSO_ISJ_E10value_typeEPSK_NS1_7vsmem_tEENKUlT_SI_SJ_SK_E_clISD_PiSD_S10_EESH_SX_SI_SJ_SK_EUlSX_E_NS1_11comp_targetILNS1_3genE8ELNS1_11target_archE1030ELNS1_3gpuE2ELNS1_3repE0EEENS1_48merge_mergepath_partition_config_static_selectorELNS0_4arch9wavefront6targetE1EEEvSJ_.num_vgpr, 0
	.set _ZN7rocprim17ROCPRIM_400000_NS6detail17trampoline_kernelINS0_14default_configENS1_38merge_sort_block_merge_config_selectorIiiEEZZNS1_27merge_sort_block_merge_implIS3_N6thrust23THRUST_200600_302600_NS6detail15normal_iteratorINS8_10device_ptrIiEEEESD_jNS1_19radix_merge_compareILb0ELb0EiNS0_19identity_decomposerEEEEE10hipError_tT0_T1_T2_jT3_P12ihipStream_tbPNSt15iterator_traitsISI_E10value_typeEPNSO_ISJ_E10value_typeEPSK_NS1_7vsmem_tEENKUlT_SI_SJ_SK_E_clISD_PiSD_S10_EESH_SX_SI_SJ_SK_EUlSX_E_NS1_11comp_targetILNS1_3genE8ELNS1_11target_archE1030ELNS1_3gpuE2ELNS1_3repE0EEENS1_48merge_mergepath_partition_config_static_selectorELNS0_4arch9wavefront6targetE1EEEvSJ_.num_agpr, 0
	.set _ZN7rocprim17ROCPRIM_400000_NS6detail17trampoline_kernelINS0_14default_configENS1_38merge_sort_block_merge_config_selectorIiiEEZZNS1_27merge_sort_block_merge_implIS3_N6thrust23THRUST_200600_302600_NS6detail15normal_iteratorINS8_10device_ptrIiEEEESD_jNS1_19radix_merge_compareILb0ELb0EiNS0_19identity_decomposerEEEEE10hipError_tT0_T1_T2_jT3_P12ihipStream_tbPNSt15iterator_traitsISI_E10value_typeEPNSO_ISJ_E10value_typeEPSK_NS1_7vsmem_tEENKUlT_SI_SJ_SK_E_clISD_PiSD_S10_EESH_SX_SI_SJ_SK_EUlSX_E_NS1_11comp_targetILNS1_3genE8ELNS1_11target_archE1030ELNS1_3gpuE2ELNS1_3repE0EEENS1_48merge_mergepath_partition_config_static_selectorELNS0_4arch9wavefront6targetE1EEEvSJ_.numbered_sgpr, 0
	.set _ZN7rocprim17ROCPRIM_400000_NS6detail17trampoline_kernelINS0_14default_configENS1_38merge_sort_block_merge_config_selectorIiiEEZZNS1_27merge_sort_block_merge_implIS3_N6thrust23THRUST_200600_302600_NS6detail15normal_iteratorINS8_10device_ptrIiEEEESD_jNS1_19radix_merge_compareILb0ELb0EiNS0_19identity_decomposerEEEEE10hipError_tT0_T1_T2_jT3_P12ihipStream_tbPNSt15iterator_traitsISI_E10value_typeEPNSO_ISJ_E10value_typeEPSK_NS1_7vsmem_tEENKUlT_SI_SJ_SK_E_clISD_PiSD_S10_EESH_SX_SI_SJ_SK_EUlSX_E_NS1_11comp_targetILNS1_3genE8ELNS1_11target_archE1030ELNS1_3gpuE2ELNS1_3repE0EEENS1_48merge_mergepath_partition_config_static_selectorELNS0_4arch9wavefront6targetE1EEEvSJ_.num_named_barrier, 0
	.set _ZN7rocprim17ROCPRIM_400000_NS6detail17trampoline_kernelINS0_14default_configENS1_38merge_sort_block_merge_config_selectorIiiEEZZNS1_27merge_sort_block_merge_implIS3_N6thrust23THRUST_200600_302600_NS6detail15normal_iteratorINS8_10device_ptrIiEEEESD_jNS1_19radix_merge_compareILb0ELb0EiNS0_19identity_decomposerEEEEE10hipError_tT0_T1_T2_jT3_P12ihipStream_tbPNSt15iterator_traitsISI_E10value_typeEPNSO_ISJ_E10value_typeEPSK_NS1_7vsmem_tEENKUlT_SI_SJ_SK_E_clISD_PiSD_S10_EESH_SX_SI_SJ_SK_EUlSX_E_NS1_11comp_targetILNS1_3genE8ELNS1_11target_archE1030ELNS1_3gpuE2ELNS1_3repE0EEENS1_48merge_mergepath_partition_config_static_selectorELNS0_4arch9wavefront6targetE1EEEvSJ_.private_seg_size, 0
	.set _ZN7rocprim17ROCPRIM_400000_NS6detail17trampoline_kernelINS0_14default_configENS1_38merge_sort_block_merge_config_selectorIiiEEZZNS1_27merge_sort_block_merge_implIS3_N6thrust23THRUST_200600_302600_NS6detail15normal_iteratorINS8_10device_ptrIiEEEESD_jNS1_19radix_merge_compareILb0ELb0EiNS0_19identity_decomposerEEEEE10hipError_tT0_T1_T2_jT3_P12ihipStream_tbPNSt15iterator_traitsISI_E10value_typeEPNSO_ISJ_E10value_typeEPSK_NS1_7vsmem_tEENKUlT_SI_SJ_SK_E_clISD_PiSD_S10_EESH_SX_SI_SJ_SK_EUlSX_E_NS1_11comp_targetILNS1_3genE8ELNS1_11target_archE1030ELNS1_3gpuE2ELNS1_3repE0EEENS1_48merge_mergepath_partition_config_static_selectorELNS0_4arch9wavefront6targetE1EEEvSJ_.uses_vcc, 0
	.set _ZN7rocprim17ROCPRIM_400000_NS6detail17trampoline_kernelINS0_14default_configENS1_38merge_sort_block_merge_config_selectorIiiEEZZNS1_27merge_sort_block_merge_implIS3_N6thrust23THRUST_200600_302600_NS6detail15normal_iteratorINS8_10device_ptrIiEEEESD_jNS1_19radix_merge_compareILb0ELb0EiNS0_19identity_decomposerEEEEE10hipError_tT0_T1_T2_jT3_P12ihipStream_tbPNSt15iterator_traitsISI_E10value_typeEPNSO_ISJ_E10value_typeEPSK_NS1_7vsmem_tEENKUlT_SI_SJ_SK_E_clISD_PiSD_S10_EESH_SX_SI_SJ_SK_EUlSX_E_NS1_11comp_targetILNS1_3genE8ELNS1_11target_archE1030ELNS1_3gpuE2ELNS1_3repE0EEENS1_48merge_mergepath_partition_config_static_selectorELNS0_4arch9wavefront6targetE1EEEvSJ_.uses_flat_scratch, 0
	.set _ZN7rocprim17ROCPRIM_400000_NS6detail17trampoline_kernelINS0_14default_configENS1_38merge_sort_block_merge_config_selectorIiiEEZZNS1_27merge_sort_block_merge_implIS3_N6thrust23THRUST_200600_302600_NS6detail15normal_iteratorINS8_10device_ptrIiEEEESD_jNS1_19radix_merge_compareILb0ELb0EiNS0_19identity_decomposerEEEEE10hipError_tT0_T1_T2_jT3_P12ihipStream_tbPNSt15iterator_traitsISI_E10value_typeEPNSO_ISJ_E10value_typeEPSK_NS1_7vsmem_tEENKUlT_SI_SJ_SK_E_clISD_PiSD_S10_EESH_SX_SI_SJ_SK_EUlSX_E_NS1_11comp_targetILNS1_3genE8ELNS1_11target_archE1030ELNS1_3gpuE2ELNS1_3repE0EEENS1_48merge_mergepath_partition_config_static_selectorELNS0_4arch9wavefront6targetE1EEEvSJ_.has_dyn_sized_stack, 0
	.set _ZN7rocprim17ROCPRIM_400000_NS6detail17trampoline_kernelINS0_14default_configENS1_38merge_sort_block_merge_config_selectorIiiEEZZNS1_27merge_sort_block_merge_implIS3_N6thrust23THRUST_200600_302600_NS6detail15normal_iteratorINS8_10device_ptrIiEEEESD_jNS1_19radix_merge_compareILb0ELb0EiNS0_19identity_decomposerEEEEE10hipError_tT0_T1_T2_jT3_P12ihipStream_tbPNSt15iterator_traitsISI_E10value_typeEPNSO_ISJ_E10value_typeEPSK_NS1_7vsmem_tEENKUlT_SI_SJ_SK_E_clISD_PiSD_S10_EESH_SX_SI_SJ_SK_EUlSX_E_NS1_11comp_targetILNS1_3genE8ELNS1_11target_archE1030ELNS1_3gpuE2ELNS1_3repE0EEENS1_48merge_mergepath_partition_config_static_selectorELNS0_4arch9wavefront6targetE1EEEvSJ_.has_recursion, 0
	.set _ZN7rocprim17ROCPRIM_400000_NS6detail17trampoline_kernelINS0_14default_configENS1_38merge_sort_block_merge_config_selectorIiiEEZZNS1_27merge_sort_block_merge_implIS3_N6thrust23THRUST_200600_302600_NS6detail15normal_iteratorINS8_10device_ptrIiEEEESD_jNS1_19radix_merge_compareILb0ELb0EiNS0_19identity_decomposerEEEEE10hipError_tT0_T1_T2_jT3_P12ihipStream_tbPNSt15iterator_traitsISI_E10value_typeEPNSO_ISJ_E10value_typeEPSK_NS1_7vsmem_tEENKUlT_SI_SJ_SK_E_clISD_PiSD_S10_EESH_SX_SI_SJ_SK_EUlSX_E_NS1_11comp_targetILNS1_3genE8ELNS1_11target_archE1030ELNS1_3gpuE2ELNS1_3repE0EEENS1_48merge_mergepath_partition_config_static_selectorELNS0_4arch9wavefront6targetE1EEEvSJ_.has_indirect_call, 0
	.section	.AMDGPU.csdata,"",@progbits
; Kernel info:
; codeLenInByte = 0
; TotalNumSgprs: 6
; NumVgprs: 0
; NumAgprs: 0
; TotalNumVgprs: 0
; ScratchSize: 0
; MemoryBound: 0
; FloatMode: 240
; IeeeMode: 1
; LDSByteSize: 0 bytes/workgroup (compile time only)
; SGPRBlocks: 0
; VGPRBlocks: 0
; NumSGPRsForWavesPerEU: 6
; NumVGPRsForWavesPerEU: 1
; AccumOffset: 4
; Occupancy: 8
; WaveLimiterHint : 0
; COMPUTE_PGM_RSRC2:SCRATCH_EN: 0
; COMPUTE_PGM_RSRC2:USER_SGPR: 2
; COMPUTE_PGM_RSRC2:TRAP_HANDLER: 0
; COMPUTE_PGM_RSRC2:TGID_X_EN: 1
; COMPUTE_PGM_RSRC2:TGID_Y_EN: 0
; COMPUTE_PGM_RSRC2:TGID_Z_EN: 0
; COMPUTE_PGM_RSRC2:TIDIG_COMP_CNT: 0
; COMPUTE_PGM_RSRC3_GFX90A:ACCUM_OFFSET: 0
; COMPUTE_PGM_RSRC3_GFX90A:TG_SPLIT: 0
	.section	.text._ZN7rocprim17ROCPRIM_400000_NS6detail17trampoline_kernelINS0_14default_configENS1_38merge_sort_block_merge_config_selectorIiiEEZZNS1_27merge_sort_block_merge_implIS3_N6thrust23THRUST_200600_302600_NS6detail15normal_iteratorINS8_10device_ptrIiEEEESD_jNS1_19radix_merge_compareILb0ELb0EiNS0_19identity_decomposerEEEEE10hipError_tT0_T1_T2_jT3_P12ihipStream_tbPNSt15iterator_traitsISI_E10value_typeEPNSO_ISJ_E10value_typeEPSK_NS1_7vsmem_tEENKUlT_SI_SJ_SK_E_clISD_PiSD_S10_EESH_SX_SI_SJ_SK_EUlSX_E0_NS1_11comp_targetILNS1_3genE0ELNS1_11target_archE4294967295ELNS1_3gpuE0ELNS1_3repE0EEENS1_38merge_mergepath_config_static_selectorELNS0_4arch9wavefront6targetE1EEEvSJ_,"axG",@progbits,_ZN7rocprim17ROCPRIM_400000_NS6detail17trampoline_kernelINS0_14default_configENS1_38merge_sort_block_merge_config_selectorIiiEEZZNS1_27merge_sort_block_merge_implIS3_N6thrust23THRUST_200600_302600_NS6detail15normal_iteratorINS8_10device_ptrIiEEEESD_jNS1_19radix_merge_compareILb0ELb0EiNS0_19identity_decomposerEEEEE10hipError_tT0_T1_T2_jT3_P12ihipStream_tbPNSt15iterator_traitsISI_E10value_typeEPNSO_ISJ_E10value_typeEPSK_NS1_7vsmem_tEENKUlT_SI_SJ_SK_E_clISD_PiSD_S10_EESH_SX_SI_SJ_SK_EUlSX_E0_NS1_11comp_targetILNS1_3genE0ELNS1_11target_archE4294967295ELNS1_3gpuE0ELNS1_3repE0EEENS1_38merge_mergepath_config_static_selectorELNS0_4arch9wavefront6targetE1EEEvSJ_,comdat
	.protected	_ZN7rocprim17ROCPRIM_400000_NS6detail17trampoline_kernelINS0_14default_configENS1_38merge_sort_block_merge_config_selectorIiiEEZZNS1_27merge_sort_block_merge_implIS3_N6thrust23THRUST_200600_302600_NS6detail15normal_iteratorINS8_10device_ptrIiEEEESD_jNS1_19radix_merge_compareILb0ELb0EiNS0_19identity_decomposerEEEEE10hipError_tT0_T1_T2_jT3_P12ihipStream_tbPNSt15iterator_traitsISI_E10value_typeEPNSO_ISJ_E10value_typeEPSK_NS1_7vsmem_tEENKUlT_SI_SJ_SK_E_clISD_PiSD_S10_EESH_SX_SI_SJ_SK_EUlSX_E0_NS1_11comp_targetILNS1_3genE0ELNS1_11target_archE4294967295ELNS1_3gpuE0ELNS1_3repE0EEENS1_38merge_mergepath_config_static_selectorELNS0_4arch9wavefront6targetE1EEEvSJ_ ; -- Begin function _ZN7rocprim17ROCPRIM_400000_NS6detail17trampoline_kernelINS0_14default_configENS1_38merge_sort_block_merge_config_selectorIiiEEZZNS1_27merge_sort_block_merge_implIS3_N6thrust23THRUST_200600_302600_NS6detail15normal_iteratorINS8_10device_ptrIiEEEESD_jNS1_19radix_merge_compareILb0ELb0EiNS0_19identity_decomposerEEEEE10hipError_tT0_T1_T2_jT3_P12ihipStream_tbPNSt15iterator_traitsISI_E10value_typeEPNSO_ISJ_E10value_typeEPSK_NS1_7vsmem_tEENKUlT_SI_SJ_SK_E_clISD_PiSD_S10_EESH_SX_SI_SJ_SK_EUlSX_E0_NS1_11comp_targetILNS1_3genE0ELNS1_11target_archE4294967295ELNS1_3gpuE0ELNS1_3repE0EEENS1_38merge_mergepath_config_static_selectorELNS0_4arch9wavefront6targetE1EEEvSJ_
	.globl	_ZN7rocprim17ROCPRIM_400000_NS6detail17trampoline_kernelINS0_14default_configENS1_38merge_sort_block_merge_config_selectorIiiEEZZNS1_27merge_sort_block_merge_implIS3_N6thrust23THRUST_200600_302600_NS6detail15normal_iteratorINS8_10device_ptrIiEEEESD_jNS1_19radix_merge_compareILb0ELb0EiNS0_19identity_decomposerEEEEE10hipError_tT0_T1_T2_jT3_P12ihipStream_tbPNSt15iterator_traitsISI_E10value_typeEPNSO_ISJ_E10value_typeEPSK_NS1_7vsmem_tEENKUlT_SI_SJ_SK_E_clISD_PiSD_S10_EESH_SX_SI_SJ_SK_EUlSX_E0_NS1_11comp_targetILNS1_3genE0ELNS1_11target_archE4294967295ELNS1_3gpuE0ELNS1_3repE0EEENS1_38merge_mergepath_config_static_selectorELNS0_4arch9wavefront6targetE1EEEvSJ_
	.p2align	8
	.type	_ZN7rocprim17ROCPRIM_400000_NS6detail17trampoline_kernelINS0_14default_configENS1_38merge_sort_block_merge_config_selectorIiiEEZZNS1_27merge_sort_block_merge_implIS3_N6thrust23THRUST_200600_302600_NS6detail15normal_iteratorINS8_10device_ptrIiEEEESD_jNS1_19radix_merge_compareILb0ELb0EiNS0_19identity_decomposerEEEEE10hipError_tT0_T1_T2_jT3_P12ihipStream_tbPNSt15iterator_traitsISI_E10value_typeEPNSO_ISJ_E10value_typeEPSK_NS1_7vsmem_tEENKUlT_SI_SJ_SK_E_clISD_PiSD_S10_EESH_SX_SI_SJ_SK_EUlSX_E0_NS1_11comp_targetILNS1_3genE0ELNS1_11target_archE4294967295ELNS1_3gpuE0ELNS1_3repE0EEENS1_38merge_mergepath_config_static_selectorELNS0_4arch9wavefront6targetE1EEEvSJ_,@function
_ZN7rocprim17ROCPRIM_400000_NS6detail17trampoline_kernelINS0_14default_configENS1_38merge_sort_block_merge_config_selectorIiiEEZZNS1_27merge_sort_block_merge_implIS3_N6thrust23THRUST_200600_302600_NS6detail15normal_iteratorINS8_10device_ptrIiEEEESD_jNS1_19radix_merge_compareILb0ELb0EiNS0_19identity_decomposerEEEEE10hipError_tT0_T1_T2_jT3_P12ihipStream_tbPNSt15iterator_traitsISI_E10value_typeEPNSO_ISJ_E10value_typeEPSK_NS1_7vsmem_tEENKUlT_SI_SJ_SK_E_clISD_PiSD_S10_EESH_SX_SI_SJ_SK_EUlSX_E0_NS1_11comp_targetILNS1_3genE0ELNS1_11target_archE4294967295ELNS1_3gpuE0ELNS1_3repE0EEENS1_38merge_mergepath_config_static_selectorELNS0_4arch9wavefront6targetE1EEEvSJ_: ; @_ZN7rocprim17ROCPRIM_400000_NS6detail17trampoline_kernelINS0_14default_configENS1_38merge_sort_block_merge_config_selectorIiiEEZZNS1_27merge_sort_block_merge_implIS3_N6thrust23THRUST_200600_302600_NS6detail15normal_iteratorINS8_10device_ptrIiEEEESD_jNS1_19radix_merge_compareILb0ELb0EiNS0_19identity_decomposerEEEEE10hipError_tT0_T1_T2_jT3_P12ihipStream_tbPNSt15iterator_traitsISI_E10value_typeEPNSO_ISJ_E10value_typeEPSK_NS1_7vsmem_tEENKUlT_SI_SJ_SK_E_clISD_PiSD_S10_EESH_SX_SI_SJ_SK_EUlSX_E0_NS1_11comp_targetILNS1_3genE0ELNS1_11target_archE4294967295ELNS1_3gpuE0ELNS1_3repE0EEENS1_38merge_mergepath_config_static_selectorELNS0_4arch9wavefront6targetE1EEEvSJ_
; %bb.0:
	s_load_dwordx2 s[28:29], s[0:1], 0x40
	s_load_dword s5, s[0:1], 0x30
	s_add_u32 s24, s0, 64
	s_addc_u32 s25, s1, 0
	s_waitcnt lgkmcnt(0)
	s_mul_i32 s4, s29, s4
	s_add_i32 s3, s4, s3
	s_mul_i32 s3, s3, s28
	s_add_i32 s26, s3, s2
	s_cmp_ge_u32 s26, s5
	s_cbranch_scc1 .LBB740_46
; %bb.1:
	s_load_dwordx8 s[8:15], s[0:1], 0x10
	s_load_dwordx2 s[20:21], s[0:1], 0x8
	s_load_dwordx2 s[4:5], s[0:1], 0x38
	s_mov_b32 s27, 0
	s_mov_b32 s23, s27
	s_waitcnt lgkmcnt(0)
	s_lshr_b32 s29, s14, 10
	s_cmp_lg_u32 s26, s29
	s_cselect_b64 s[18:19], -1, 0
	s_lshl_b64 s[0:1], s[26:27], 2
	s_add_u32 s0, s4, s0
	s_addc_u32 s1, s5, s1
	s_load_dwordx2 s[4:5], s[0:1], 0x0
	s_lshr_b32 s0, s15, 9
	s_and_b32 s0, s0, 0x7ffffe
	s_sub_i32 s0, 0, s0
	s_and_b32 s1, s26, s0
	s_lshl_b32 s3, s1, 10
	s_lshl_b32 s16, s26, 10
	;; [unrolled: 1-line block ×3, first 2 shown]
	s_sub_i32 s6, s16, s3
	s_add_i32 s1, s1, s15
	s_add_i32 s6, s1, s6
	s_waitcnt lgkmcnt(0)
	s_sub_i32 s7, s6, s4
	s_sub_i32 s6, s6, s5
	;; [unrolled: 1-line block ×3, first 2 shown]
	s_min_u32 s22, s14, s7
	s_addk_i32 s6, 0x400
	s_or_b32 s0, s26, s0
	s_min_u32 s3, s14, s1
	s_add_i32 s1, s1, s15
	s_cmp_eq_u32 s0, -1
	s_cselect_b32 s0, s1, s6
	s_cselect_b32 s1, s3, s5
	s_mov_b32 s5, s27
	s_min_u32 s17, s0, s14
	s_sub_i32 s15, s1, s4
	s_lshl_b64 s[0:1], s[4:5], 2
	s_add_u32 s6, s20, s0
	s_addc_u32 s7, s21, s1
	s_lshl_b64 s[4:5], s[22:23], 2
	s_add_u32 s20, s20, s4
	s_addc_u32 s21, s21, s5
	s_cmp_lt_u32 s2, s28
	v_mov_b32_e32 v5, 0
	s_cselect_b32 s2, 12, 18
	global_load_dword v1, v5, s[24:25] offset:14
	s_add_u32 s2, s24, s2
	s_addc_u32 s3, s25, 0
	global_load_ushort v2, v5, s[2:3]
	s_cmp_eq_u32 s26, s29
	v_lshlrev_b32_e32 v10, 2, v0
	s_waitcnt vmcnt(1)
	v_lshrrev_b32_e32 v3, 16, v1
	v_and_b32_e32 v1, 0xffff, v1
	v_mul_lo_u32 v1, v1, v3
	s_waitcnt vmcnt(0)
	v_mul_lo_u32 v1, v1, v2
	v_add_u32_e32 v14, v1, v0
	v_add_u32_e32 v12, v14, v1
	s_cbranch_scc1 .LBB740_3
; %bb.2:
	v_mov_b32_e32 v11, v5
	v_subrev_co_u32_e32 v4, vcc, s15, v0
	v_lshl_add_u64 v[2:3], s[6:7], 0, v[10:11]
	v_lshl_add_u64 v[6:7], v[4:5], 2, s[20:21]
	v_cndmask_b32_e32 v3, v7, v3, vcc
	v_cndmask_b32_e32 v2, v6, v2, vcc
	v_mov_b32_e32 v15, v5
	v_subrev_co_u32_e32 v4, vcc, s15, v14
	v_lshl_add_u64 v[6:7], v[14:15], 2, s[6:7]
	v_lshl_add_u64 v[8:9], v[4:5], 2, s[20:21]
	v_cndmask_b32_e32 v7, v9, v7, vcc
	v_cndmask_b32_e32 v6, v8, v6, vcc
	v_mov_b32_e32 v13, v5
	v_subrev_co_u32_e32 v4, vcc, s15, v12
	global_load_dword v2, v[2:3], off
	v_lshl_add_u64 v[8:9], v[4:5], 2, s[20:21]
	global_load_dword v3, v[6:7], off
	v_lshl_add_u64 v[6:7], v[12:13], 2, s[6:7]
	v_cndmask_b32_e32 v7, v9, v7, vcc
	v_cndmask_b32_e32 v6, v8, v6, vcc
	global_load_dword v4, v[6:7], off
	v_add_u32_e32 v6, v12, v1
	s_mov_b64 s[2:3], -1
	s_sub_i32 s17, s17, s22
	s_cbranch_execz .LBB740_4
	s_branch .LBB740_9
.LBB740_3:
	s_mov_b64 s[2:3], 0
                                        ; implicit-def: $vgpr6
                                        ; implicit-def: $vgpr2_vgpr3_vgpr4_vgpr5
	s_sub_i32 s17, s17, s22
.LBB740_4:
	s_add_i32 s22, s17, s15
	s_waitcnt vmcnt(2)
	v_mov_b32_e32 v2, 0
	v_cmp_gt_u32_e32 vcc, s22, v0
	s_waitcnt vmcnt(1)
	v_mov_b32_e32 v3, v2
	s_waitcnt vmcnt(0)
	v_mov_b32_e32 v4, v2
	v_mov_b32_e32 v5, v2
	s_and_saveexec_b64 s[2:3], vcc
	s_cbranch_execnz .LBB740_47
; %bb.5:
	s_or_b64 exec, exec, s[2:3]
	v_cmp_gt_u32_e32 vcc, s22, v14
	s_and_saveexec_b64 s[2:3], vcc
	s_cbranch_execnz .LBB740_48
.LBB740_6:
	s_or_b64 exec, exec, s[2:3]
	v_cmp_gt_u32_e32 vcc, s22, v12
	s_and_saveexec_b64 s[2:3], vcc
	s_cbranch_execz .LBB740_8
.LBB740_7:
	v_mov_b32_e32 v13, 0
	v_subrev_co_u32_e32 v8, vcc, s15, v12
	v_mov_b32_e32 v9, v13
	v_lshl_add_u64 v[6:7], v[12:13], 2, s[6:7]
	v_lshl_add_u64 v[8:9], v[8:9], 2, s[20:21]
	v_cndmask_b32_e32 v7, v9, v7, vcc
	v_cndmask_b32_e32 v6, v8, v6, vcc
	global_load_dword v4, v[6:7], off
.LBB740_8:
	s_or_b64 exec, exec, s[2:3]
	v_add_u32_e32 v6, v12, v1
	v_cmp_gt_u32_e64 s[2:3], s22, v6
.LBB740_9:
	s_and_saveexec_b64 s[22:23], s[2:3]
	s_cbranch_execz .LBB740_11
; %bb.10:
	v_mov_b32_e32 v9, 0
	v_mov_b32_e32 v7, v9
	v_subrev_co_u32_e32 v8, vcc, s15, v6
	v_lshl_add_u64 v[16:17], v[6:7], 2, s[6:7]
	v_lshl_add_u64 v[6:7], v[8:9], 2, s[20:21]
	v_cndmask_b32_e32 v7, v7, v17, vcc
	v_cndmask_b32_e32 v6, v6, v16, vcc
	global_load_dword v5, v[6:7], off
.LBB740_11:
	s_or_b64 exec, exec, s[22:23]
	s_add_u32 s0, s10, s0
	s_addc_u32 s1, s11, s1
	s_add_u32 s2, s10, s4
	v_mov_b32_e32 v9, 0
	s_addc_u32 s3, s11, s5
	s_andn2_b64 vcc, exec, s[18:19]
	s_waitcnt vmcnt(0)
	ds_write2st64_b32 v10, v2, v3 offset1:4
	ds_write2st64_b32 v10, v4, v5 offset0:8 offset1:12
	s_cbranch_vccnz .LBB740_13
; %bb.12:
	v_mov_b32_e32 v11, v9
	v_subrev_co_u32_e32 v8, vcc, s15, v0
	v_lshl_add_u64 v[6:7], s[0:1], 0, v[10:11]
	v_lshl_add_u64 v[16:17], v[8:9], 2, s[2:3]
	v_cndmask_b32_e32 v7, v17, v7, vcc
	v_cndmask_b32_e32 v6, v16, v6, vcc
	v_mov_b32_e32 v15, v9
	v_subrev_co_u32_e32 v8, vcc, s15, v14
	v_lshl_add_u64 v[16:17], v[14:15], 2, s[0:1]
	v_lshl_add_u64 v[18:19], v[8:9], 2, s[2:3]
	v_cndmask_b32_e32 v17, v19, v17, vcc
	v_cndmask_b32_e32 v16, v18, v16, vcc
	v_mov_b32_e32 v13, v9
	v_subrev_co_u32_e32 v8, vcc, s15, v12
	global_load_dword v6, v[6:7], off
	v_lshl_add_u64 v[18:19], v[8:9], 2, s[2:3]
	global_load_dword v7, v[16:17], off
	v_lshl_add_u64 v[16:17], v[12:13], 2, s[0:1]
	v_cndmask_b32_e32 v17, v19, v17, vcc
	v_cndmask_b32_e32 v16, v18, v16, vcc
	global_load_dword v8, v[16:17], off
	s_add_i32 s10, s17, s15
	v_add_u32_e32 v16, v12, v1
	s_mov_b64 s[4:5], -1
	v_mov_b32_e32 v11, s10
	s_cbranch_execz .LBB740_14
	s_branch .LBB740_19
.LBB740_13:
	s_mov_b64 s[4:5], 0
                                        ; implicit-def: $vgpr16
                                        ; implicit-def: $vgpr6_vgpr7_vgpr8_vgpr9
                                        ; implicit-def: $vgpr11
.LBB740_14:
	s_add_i32 s6, s17, s15
	s_waitcnt vmcnt(2)
	v_mov_b32_e32 v6, 0
	v_cmp_gt_u32_e32 vcc, s6, v0
	s_waitcnt vmcnt(1)
	v_mov_b32_e32 v7, v6
	s_waitcnt vmcnt(0)
	v_mov_b32_e32 v8, v6
	v_mov_b32_e32 v9, v6
	s_and_saveexec_b64 s[4:5], vcc
	s_cbranch_execnz .LBB740_49
; %bb.15:
	s_or_b64 exec, exec, s[4:5]
	v_cmp_gt_u32_e32 vcc, s6, v14
	s_and_saveexec_b64 s[4:5], vcc
	s_cbranch_execnz .LBB740_50
.LBB740_16:
	s_or_b64 exec, exec, s[4:5]
	v_cmp_gt_u32_e32 vcc, s6, v12
	s_and_saveexec_b64 s[4:5], vcc
	s_cbranch_execz .LBB740_18
.LBB740_17:
	v_mov_b32_e32 v13, 0
	v_subrev_co_u32_e32 v16, vcc, s15, v12
	v_mov_b32_e32 v17, v13
	v_lshl_add_u64 v[14:15], v[12:13], 2, s[0:1]
	v_lshl_add_u64 v[16:17], v[16:17], 2, s[2:3]
	v_cndmask_b32_e32 v15, v17, v15, vcc
	v_cndmask_b32_e32 v14, v16, v14, vcc
	global_load_dword v8, v[14:15], off
.LBB740_18:
	s_or_b64 exec, exec, s[4:5]
	v_add_u32_e32 v16, v12, v1
	v_cmp_gt_u32_e64 s[4:5], s6, v16
	v_mov_b32_e32 v11, s6
.LBB740_19:
	s_and_saveexec_b64 s[6:7], s[4:5]
	s_cbranch_execz .LBB740_21
; %bb.20:
	v_mov_b32_e32 v13, 0
	v_mov_b32_e32 v17, v13
	v_subrev_co_u32_e32 v12, vcc, s15, v16
	v_lshl_add_u64 v[14:15], v[16:17], 2, s[0:1]
	v_lshl_add_u64 v[12:13], v[12:13], 2, s[2:3]
	v_cndmask_b32_e32 v13, v13, v15, vcc
	v_cndmask_b32_e32 v12, v12, v14, vcc
	global_load_dword v9, v[12:13], off
.LBB740_21:
	s_or_b64 exec, exec, s[6:7]
	v_min_u32_e32 v12, v11, v10
	v_sub_u32_e64 v1, v12, s17 clamp
	v_min_u32_e32 v13, s15, v12
	v_cmp_lt_u32_e32 vcc, v1, v13
	s_waitcnt lgkmcnt(0)
	s_barrier
	s_and_saveexec_b64 s[0:1], vcc
	s_cbranch_execz .LBB740_25
; %bb.22:
	v_lshlrev_b32_e32 v14, 2, v12
	v_lshl_add_u32 v14, s15, 2, v14
	s_mov_b64 s[2:3], 0
.LBB740_23:                             ; =>This Inner Loop Header: Depth=1
	v_add_u32_e32 v15, v13, v1
	v_lshrrev_b32_e32 v15, 1, v15
	v_not_b32_e32 v16, v15
	v_lshlrev_b32_e32 v17, 2, v15
	v_lshl_add_u32 v16, v16, 2, v14
	ds_read_b32 v17, v17
	ds_read_b32 v16, v16
	v_add_u32_e32 v18, 1, v15
	s_waitcnt lgkmcnt(0)
	v_cmp_gt_i32_e32 vcc, v17, v16
	s_nop 1
	v_cndmask_b32_e32 v13, v13, v15, vcc
	v_cndmask_b32_e32 v1, v18, v1, vcc
	v_cmp_ge_u32_e32 vcc, v1, v13
	s_or_b64 s[2:3], vcc, s[2:3]
	s_andn2_b64 exec, exec, s[2:3]
	s_cbranch_execnz .LBB740_23
; %bb.24:
	s_or_b64 exec, exec, s[2:3]
.LBB740_25:
	s_or_b64 exec, exec, s[0:1]
	v_sub_u32_e32 v12, v12, v1
	v_add_u32_e32 v15, s15, v12
	v_cmp_ge_u32_e32 vcc, s15, v1
	v_cmp_le_u32_e64 s[0:1], v15, v11
	s_or_b64 s[0:1], vcc, s[0:1]
	v_mov_b32_e32 v16, 0
	v_mov_b32_e32 v14, 0
	;; [unrolled: 1-line block ×4, first 2 shown]
	s_and_saveexec_b64 s[10:11], s[0:1]
	s_cbranch_execz .LBB740_31
; %bb.26:
	v_cmp_gt_u32_e32 vcc, s15, v1
                                        ; implicit-def: $vgpr2
	s_and_saveexec_b64 s[0:1], vcc
; %bb.27:
	v_lshlrev_b32_e32 v2, 2, v1
	ds_read_b32 v2, v2
; %bb.28:
	s_or_b64 exec, exec, s[0:1]
	v_cmp_ge_u32_e64 s[0:1], v15, v11
	v_cmp_lt_u32_e64 s[2:3], v15, v11
                                        ; implicit-def: $vgpr3
	s_and_saveexec_b64 s[4:5], s[2:3]
; %bb.29:
	v_lshlrev_b32_e32 v3, 2, v15
	ds_read_b32 v3, v3
; %bb.30:
	s_or_b64 exec, exec, s[4:5]
	s_waitcnt lgkmcnt(0)
	v_cmp_le_i32_e64 s[2:3], v2, v3
	s_and_b64 s[2:3], vcc, s[2:3]
	s_or_b64 vcc, s[0:1], s[2:3]
	v_mov_b32_e32 v4, s15
	v_cndmask_b32_e32 v12, v15, v1, vcc
	v_cndmask_b32_e32 v5, v11, v4, vcc
	v_add_u32_e32 v13, 1, v12
	v_add_u32_e32 v5, -1, v5
	v_min_u32_e32 v5, v13, v5
	v_lshlrev_b32_e32 v5, 2, v5
	ds_read_b32 v5, v5
	v_cndmask_b32_e32 v1, v1, v13, vcc
	v_cndmask_b32_e32 v14, v13, v15, vcc
	v_cmp_gt_u32_e64 s[2:3], s15, v1
	v_cmp_ge_u32_e64 s[0:1], v14, v11
	s_waitcnt lgkmcnt(0)
	v_cndmask_b32_e32 v16, v5, v3, vcc
	v_cndmask_b32_e32 v5, v2, v5, vcc
	v_cmp_le_i32_e64 s[4:5], v5, v16
	s_and_b64 s[2:3], s[2:3], s[4:5]
	s_or_b64 s[0:1], s[0:1], s[2:3]
	v_cndmask_b32_e64 v13, v14, v1, s[0:1]
	v_cndmask_b32_e64 v15, v11, v4, s[0:1]
	v_add_u32_e32 v17, 1, v13
	v_add_u32_e32 v15, -1, v15
	v_min_u32_e32 v15, v17, v15
	v_lshlrev_b32_e32 v15, 2, v15
	ds_read_b32 v15, v15
	v_cndmask_b32_e64 v1, v1, v17, s[0:1]
	v_cndmask_b32_e64 v19, v17, v14, s[0:1]
	v_cmp_gt_u32_e64 s[4:5], s15, v1
	v_cmp_ge_u32_e64 s[2:3], v19, v11
	s_waitcnt lgkmcnt(0)
	v_cndmask_b32_e64 v18, v15, v16, s[0:1]
	v_cndmask_b32_e64 v15, v5, v15, s[0:1]
	v_cmp_le_i32_e64 s[6:7], v15, v18
	s_and_b64 s[4:5], s[4:5], s[6:7]
	s_or_b64 s[2:3], s[2:3], s[4:5]
	v_cndmask_b32_e64 v14, v19, v1, s[2:3]
	v_cndmask_b32_e64 v4, v11, v4, s[2:3]
	v_add_u32_e32 v17, 1, v14
	v_add_u32_e32 v4, -1, v4
	v_min_u32_e32 v4, v17, v4
	v_lshlrev_b32_e32 v4, 2, v4
	ds_read_b32 v20, v4
	v_cndmask_b32_e32 v2, v3, v2, vcc
	v_cndmask_b32_e64 v3, v16, v5, s[0:1]
	v_cndmask_b32_e64 v4, v18, v15, s[2:3]
	;; [unrolled: 1-line block ×3, first 2 shown]
	s_waitcnt lgkmcnt(0)
	v_cndmask_b32_e64 v5, v20, v18, s[2:3]
	v_cndmask_b32_e64 v15, v15, v20, s[2:3]
	;; [unrolled: 1-line block ×3, first 2 shown]
	v_cmp_gt_u32_e64 s[0:1], s15, v1
	v_cmp_le_i32_e64 s[2:3], v15, v5
	v_cmp_ge_u32_e32 vcc, v16, v11
	s_and_b64 s[0:1], s[0:1], s[2:3]
	s_or_b64 vcc, vcc, s[0:1]
	v_cndmask_b32_e32 v16, v16, v1, vcc
	v_cndmask_b32_e32 v5, v5, v15, vcc
.LBB740_31:
	s_or_b64 exec, exec, s[10:11]
	s_barrier
	s_waitcnt vmcnt(0)
	ds_write2st64_b32 v10, v6, v7 offset1:4
	ds_write2st64_b32 v10, v8, v9 offset0:8 offset1:12
	v_lshrrev_b32_e32 v11, 3, v0
	v_lshlrev_b32_e32 v9, 2, v10
	v_lshlrev_b32_e32 v1, 2, v12
	;; [unrolled: 1-line block ×5, first 2 shown]
	v_lshl_add_u32 v9, v11, 2, v9
	s_waitcnt lgkmcnt(0)
	s_barrier
	ds_read_b32 v1, v1
	ds_read_b32 v6, v6
	;; [unrolled: 1-line block ×4, first 2 shown]
	s_waitcnt lgkmcnt(0)
	s_barrier
	s_barrier
	ds_write2_b32 v9, v2, v3 offset1:1
	ds_write2_b32 v9, v4, v5 offset0:2 offset1:3
	v_and_b32_e32 v2, 28, v11
	v_or_b32_e32 v16, 0x100, v0
	v_add_u32_e32 v4, v2, v10
	v_lshrrev_b32_e32 v2, 3, v16
	v_and_b32_e32 v2, 60, v2
	v_or_b32_e32 v15, 0x200, v0
	s_mov_b32 s17, 0
	v_add_u32_e32 v5, v2, v10
	v_lshrrev_b32_e32 v2, 3, v15
	s_lshl_b64 s[4:5], s[16:17], 2
	v_and_b32_e32 v2, 0x5c, v2
	v_or_b32_e32 v14, 0x300, v0
	s_add_u32 s0, s8, s4
	v_add_u32_e32 v12, v2, v10
	v_lshrrev_b32_e32 v2, 3, v14
	s_addc_u32 s1, s9, s5
	v_and_b32_e32 v2, 0x7c, v2
	v_mov_b32_e32 v11, 0
	v_add_u32_e32 v13, v2, v10
	v_lshl_add_u64 v[2:3], s[0:1], 0, v[10:11]
	s_and_b64 vcc, exec, s[18:19]
	s_waitcnt lgkmcnt(0)
	s_cbranch_vccz .LBB740_33
; %bb.32:
	s_barrier
	ds_read_b32 v11, v4
	ds_read_b32 v17, v5 offset:1024
	ds_read_b32 v18, v12 offset:2048
	;; [unrolled: 1-line block ×3, first 2 shown]
	s_add_u32 s0, s12, s4
	s_addc_u32 s1, s13, s5
	s_waitcnt lgkmcnt(3)
	global_store_dword v[2:3], v11, off
	s_waitcnt lgkmcnt(2)
	global_store_dword v[2:3], v17, off offset:1024
	s_waitcnt lgkmcnt(1)
	global_store_dword v[2:3], v18, off offset:2048
	;; [unrolled: 2-line block ×3, first 2 shown]
	s_barrier
	ds_write2_b32 v9, v1, v6 offset1:1
	ds_write2_b32 v9, v7, v8 offset0:2 offset1:3
	s_waitcnt lgkmcnt(0)
	s_barrier
	ds_read_b32 v11, v4
	ds_read_b32 v18, v5 offset:1024
	ds_read_b32 v19, v12 offset:2048
	;; [unrolled: 1-line block ×3, first 2 shown]
	s_waitcnt lgkmcnt(3)
	global_store_dword v10, v11, s[0:1]
	s_waitcnt lgkmcnt(2)
	global_store_dword v10, v18, s[0:1] offset:1024
	s_waitcnt lgkmcnt(1)
	global_store_dword v10, v19, s[0:1] offset:2048
	s_mov_b64 s[6:7], -1
	s_cbranch_execz .LBB740_34
	s_branch .LBB740_44
.LBB740_33:
	s_mov_b64 s[6:7], 0
                                        ; implicit-def: $vgpr17
.LBB740_34:
	s_barrier
	s_waitcnt lgkmcnt(0)
	ds_read_b32 v18, v5 offset:1024
	ds_read_b32 v17, v12 offset:2048
	;; [unrolled: 1-line block ×3, first 2 shown]
	s_sub_i32 s8, s14, s16
	v_cmp_gt_u32_e32 vcc, s8, v0
	s_and_saveexec_b64 s[0:1], vcc
	s_cbranch_execnz .LBB740_51
; %bb.35:
	s_or_b64 exec, exec, s[0:1]
	v_cmp_gt_u32_e64 s[0:1], s8, v16
	s_and_saveexec_b64 s[2:3], s[0:1]
	s_cbranch_execnz .LBB740_52
.LBB740_36:
	s_or_b64 exec, exec, s[2:3]
	v_cmp_gt_u32_e64 s[2:3], s8, v15
	s_and_saveexec_b64 s[6:7], s[2:3]
	s_cbranch_execnz .LBB740_53
.LBB740_37:
	s_or_b64 exec, exec, s[6:7]
	v_cmp_gt_u32_e64 s[6:7], s8, v14
	s_and_saveexec_b64 s[8:9], s[6:7]
	s_cbranch_execz .LBB740_39
.LBB740_38:
	s_waitcnt lgkmcnt(0)
	global_store_dword v[2:3], v11, off offset:3072
.LBB740_39:
	s_or_b64 exec, exec, s[8:9]
	s_waitcnt lgkmcnt(0)
	s_barrier
	ds_write2_b32 v9, v1, v6 offset1:1
	ds_write2_b32 v9, v7, v8 offset0:2 offset1:3
	s_waitcnt lgkmcnt(0)
	s_barrier
	ds_read_b32 v3, v5 offset:1024
	ds_read_b32 v2, v12 offset:2048
	;; [unrolled: 1-line block ×3, first 2 shown]
	s_add_u32 s8, s12, s4
	s_addc_u32 s9, s13, s5
	v_mov_b32_e32 v11, 0
	v_lshl_add_u64 v[0:1], s[8:9], 0, v[10:11]
	s_and_saveexec_b64 s[8:9], vcc
	s_cbranch_execnz .LBB740_54
; %bb.40:
	s_or_b64 exec, exec, s[8:9]
	s_and_saveexec_b64 s[8:9], s[0:1]
	s_cbranch_execnz .LBB740_55
.LBB740_41:
	s_or_b64 exec, exec, s[8:9]
	s_and_saveexec_b64 s[0:1], s[2:3]
	s_cbranch_execz .LBB740_43
.LBB740_42:
	s_waitcnt lgkmcnt(1)
	global_store_dword v[0:1], v2, off offset:2048
.LBB740_43:
	s_or_b64 exec, exec, s[0:1]
.LBB740_44:
	s_and_saveexec_b64 s[0:1], s[6:7]
	s_cbranch_execz .LBB740_46
; %bb.45:
	s_add_u32 s0, s12, s4
	s_addc_u32 s1, s13, s5
	s_waitcnt lgkmcnt(0)
	global_store_dword v10, v17, s[0:1] offset:3072
.LBB740_46:
	s_endpgm
.LBB740_47:
	v_mov_b32_e32 v11, v2
	v_subrev_co_u32_e32 v6, vcc, s15, v0
	v_mov_b32_e32 v7, v2
	v_lshl_add_u64 v[4:5], s[6:7], 0, v[10:11]
	v_lshl_add_u64 v[6:7], v[6:7], 2, s[20:21]
	v_cndmask_b32_e32 v5, v7, v5, vcc
	v_cndmask_b32_e32 v4, v6, v4, vcc
	global_load_dword v4, v[4:5], off
	v_mov_b32_e32 v5, v2
	v_mov_b32_e32 v6, v2
	;; [unrolled: 1-line block ×3, first 2 shown]
	s_waitcnt vmcnt(0)
	v_mov_b64_e32 v[2:3], v[4:5]
	v_mov_b64_e32 v[4:5], v[6:7]
	s_or_b64 exec, exec, s[2:3]
	v_cmp_gt_u32_e32 vcc, s22, v14
	s_and_saveexec_b64 s[2:3], vcc
	s_cbranch_execz .LBB740_6
.LBB740_48:
	v_mov_b32_e32 v15, 0
	v_subrev_co_u32_e32 v8, vcc, s15, v14
	v_mov_b32_e32 v9, v15
	v_lshl_add_u64 v[6:7], v[14:15], 2, s[6:7]
	v_lshl_add_u64 v[8:9], v[8:9], 2, s[20:21]
	v_cndmask_b32_e32 v7, v9, v7, vcc
	v_cndmask_b32_e32 v6, v8, v6, vcc
	global_load_dword v3, v[6:7], off
	s_or_b64 exec, exec, s[2:3]
	v_cmp_gt_u32_e32 vcc, s22, v12
	s_and_saveexec_b64 s[2:3], vcc
	s_cbranch_execnz .LBB740_7
	s_branch .LBB740_8
.LBB740_49:
	v_mov_b32_e32 v11, v6
	v_subrev_co_u32_e32 v16, vcc, s15, v0
	v_mov_b32_e32 v17, v6
	v_lshl_add_u64 v[8:9], s[0:1], 0, v[10:11]
	v_lshl_add_u64 v[16:17], v[16:17], 2, s[2:3]
	v_cndmask_b32_e32 v9, v17, v9, vcc
	v_cndmask_b32_e32 v8, v16, v8, vcc
	global_load_dword v16, v[8:9], off
	v_mov_b32_e32 v17, v6
	v_mov_b32_e32 v18, v6
	;; [unrolled: 1-line block ×3, first 2 shown]
	s_waitcnt vmcnt(0)
	v_mov_b64_e32 v[6:7], v[16:17]
	v_mov_b64_e32 v[8:9], v[18:19]
	s_or_b64 exec, exec, s[4:5]
	v_cmp_gt_u32_e32 vcc, s6, v14
	s_and_saveexec_b64 s[4:5], vcc
	s_cbranch_execz .LBB740_16
.LBB740_50:
	v_mov_b32_e32 v15, 0
	v_lshl_add_u64 v[16:17], v[14:15], 2, s[0:1]
	v_subrev_co_u32_e32 v14, vcc, s15, v14
	v_lshl_add_u64 v[14:15], v[14:15], 2, s[2:3]
	s_nop 0
	v_cndmask_b32_e32 v15, v15, v17, vcc
	v_cndmask_b32_e32 v14, v14, v16, vcc
	global_load_dword v7, v[14:15], off
	s_or_b64 exec, exec, s[4:5]
	v_cmp_gt_u32_e32 vcc, s6, v12
	s_and_saveexec_b64 s[4:5], vcc
	s_cbranch_execnz .LBB740_17
	s_branch .LBB740_18
.LBB740_51:
	ds_read_b32 v0, v4
	s_waitcnt lgkmcnt(0)
	global_store_dword v[2:3], v0, off
	s_or_b64 exec, exec, s[0:1]
	v_cmp_gt_u32_e64 s[0:1], s8, v16
	s_and_saveexec_b64 s[2:3], s[0:1]
	s_cbranch_execz .LBB740_36
.LBB740_52:
	s_waitcnt lgkmcnt(2)
	global_store_dword v[2:3], v18, off offset:1024
	s_or_b64 exec, exec, s[2:3]
	v_cmp_gt_u32_e64 s[2:3], s8, v15
	s_and_saveexec_b64 s[6:7], s[2:3]
	s_cbranch_execz .LBB740_37
.LBB740_53:
	s_waitcnt lgkmcnt(1)
	global_store_dword v[2:3], v17, off offset:2048
	s_or_b64 exec, exec, s[6:7]
	v_cmp_gt_u32_e64 s[6:7], s8, v14
	s_and_saveexec_b64 s[8:9], s[6:7]
	s_cbranch_execnz .LBB740_38
	s_branch .LBB740_39
.LBB740_54:
	ds_read_b32 v4, v4
	s_waitcnt lgkmcnt(0)
	global_store_dword v[0:1], v4, off
	s_or_b64 exec, exec, s[8:9]
	s_and_saveexec_b64 s[8:9], s[0:1]
	s_cbranch_execz .LBB740_41
.LBB740_55:
	s_waitcnt lgkmcnt(2)
	global_store_dword v[0:1], v3, off offset:1024
	s_or_b64 exec, exec, s[8:9]
	s_and_saveexec_b64 s[0:1], s[2:3]
	s_cbranch_execnz .LBB740_42
	s_branch .LBB740_43
	.section	.rodata,"a",@progbits
	.p2align	6, 0x0
	.amdhsa_kernel _ZN7rocprim17ROCPRIM_400000_NS6detail17trampoline_kernelINS0_14default_configENS1_38merge_sort_block_merge_config_selectorIiiEEZZNS1_27merge_sort_block_merge_implIS3_N6thrust23THRUST_200600_302600_NS6detail15normal_iteratorINS8_10device_ptrIiEEEESD_jNS1_19radix_merge_compareILb0ELb0EiNS0_19identity_decomposerEEEEE10hipError_tT0_T1_T2_jT3_P12ihipStream_tbPNSt15iterator_traitsISI_E10value_typeEPNSO_ISJ_E10value_typeEPSK_NS1_7vsmem_tEENKUlT_SI_SJ_SK_E_clISD_PiSD_S10_EESH_SX_SI_SJ_SK_EUlSX_E0_NS1_11comp_targetILNS1_3genE0ELNS1_11target_archE4294967295ELNS1_3gpuE0ELNS1_3repE0EEENS1_38merge_mergepath_config_static_selectorELNS0_4arch9wavefront6targetE1EEEvSJ_
		.amdhsa_group_segment_fixed_size 4224
		.amdhsa_private_segment_fixed_size 0
		.amdhsa_kernarg_size 320
		.amdhsa_user_sgpr_count 2
		.amdhsa_user_sgpr_dispatch_ptr 0
		.amdhsa_user_sgpr_queue_ptr 0
		.amdhsa_user_sgpr_kernarg_segment_ptr 1
		.amdhsa_user_sgpr_dispatch_id 0
		.amdhsa_user_sgpr_kernarg_preload_length 0
		.amdhsa_user_sgpr_kernarg_preload_offset 0
		.amdhsa_user_sgpr_private_segment_size 0
		.amdhsa_uses_dynamic_stack 0
		.amdhsa_enable_private_segment 0
		.amdhsa_system_sgpr_workgroup_id_x 1
		.amdhsa_system_sgpr_workgroup_id_y 1
		.amdhsa_system_sgpr_workgroup_id_z 1
		.amdhsa_system_sgpr_workgroup_info 0
		.amdhsa_system_vgpr_workitem_id 0
		.amdhsa_next_free_vgpr 21
		.amdhsa_next_free_sgpr 30
		.amdhsa_accum_offset 24
		.amdhsa_reserve_vcc 1
		.amdhsa_float_round_mode_32 0
		.amdhsa_float_round_mode_16_64 0
		.amdhsa_float_denorm_mode_32 3
		.amdhsa_float_denorm_mode_16_64 3
		.amdhsa_dx10_clamp 1
		.amdhsa_ieee_mode 1
		.amdhsa_fp16_overflow 0
		.amdhsa_tg_split 0
		.amdhsa_exception_fp_ieee_invalid_op 0
		.amdhsa_exception_fp_denorm_src 0
		.amdhsa_exception_fp_ieee_div_zero 0
		.amdhsa_exception_fp_ieee_overflow 0
		.amdhsa_exception_fp_ieee_underflow 0
		.amdhsa_exception_fp_ieee_inexact 0
		.amdhsa_exception_int_div_zero 0
	.end_amdhsa_kernel
	.section	.text._ZN7rocprim17ROCPRIM_400000_NS6detail17trampoline_kernelINS0_14default_configENS1_38merge_sort_block_merge_config_selectorIiiEEZZNS1_27merge_sort_block_merge_implIS3_N6thrust23THRUST_200600_302600_NS6detail15normal_iteratorINS8_10device_ptrIiEEEESD_jNS1_19radix_merge_compareILb0ELb0EiNS0_19identity_decomposerEEEEE10hipError_tT0_T1_T2_jT3_P12ihipStream_tbPNSt15iterator_traitsISI_E10value_typeEPNSO_ISJ_E10value_typeEPSK_NS1_7vsmem_tEENKUlT_SI_SJ_SK_E_clISD_PiSD_S10_EESH_SX_SI_SJ_SK_EUlSX_E0_NS1_11comp_targetILNS1_3genE0ELNS1_11target_archE4294967295ELNS1_3gpuE0ELNS1_3repE0EEENS1_38merge_mergepath_config_static_selectorELNS0_4arch9wavefront6targetE1EEEvSJ_,"axG",@progbits,_ZN7rocprim17ROCPRIM_400000_NS6detail17trampoline_kernelINS0_14default_configENS1_38merge_sort_block_merge_config_selectorIiiEEZZNS1_27merge_sort_block_merge_implIS3_N6thrust23THRUST_200600_302600_NS6detail15normal_iteratorINS8_10device_ptrIiEEEESD_jNS1_19radix_merge_compareILb0ELb0EiNS0_19identity_decomposerEEEEE10hipError_tT0_T1_T2_jT3_P12ihipStream_tbPNSt15iterator_traitsISI_E10value_typeEPNSO_ISJ_E10value_typeEPSK_NS1_7vsmem_tEENKUlT_SI_SJ_SK_E_clISD_PiSD_S10_EESH_SX_SI_SJ_SK_EUlSX_E0_NS1_11comp_targetILNS1_3genE0ELNS1_11target_archE4294967295ELNS1_3gpuE0ELNS1_3repE0EEENS1_38merge_mergepath_config_static_selectorELNS0_4arch9wavefront6targetE1EEEvSJ_,comdat
.Lfunc_end740:
	.size	_ZN7rocprim17ROCPRIM_400000_NS6detail17trampoline_kernelINS0_14default_configENS1_38merge_sort_block_merge_config_selectorIiiEEZZNS1_27merge_sort_block_merge_implIS3_N6thrust23THRUST_200600_302600_NS6detail15normal_iteratorINS8_10device_ptrIiEEEESD_jNS1_19radix_merge_compareILb0ELb0EiNS0_19identity_decomposerEEEEE10hipError_tT0_T1_T2_jT3_P12ihipStream_tbPNSt15iterator_traitsISI_E10value_typeEPNSO_ISJ_E10value_typeEPSK_NS1_7vsmem_tEENKUlT_SI_SJ_SK_E_clISD_PiSD_S10_EESH_SX_SI_SJ_SK_EUlSX_E0_NS1_11comp_targetILNS1_3genE0ELNS1_11target_archE4294967295ELNS1_3gpuE0ELNS1_3repE0EEENS1_38merge_mergepath_config_static_selectorELNS0_4arch9wavefront6targetE1EEEvSJ_, .Lfunc_end740-_ZN7rocprim17ROCPRIM_400000_NS6detail17trampoline_kernelINS0_14default_configENS1_38merge_sort_block_merge_config_selectorIiiEEZZNS1_27merge_sort_block_merge_implIS3_N6thrust23THRUST_200600_302600_NS6detail15normal_iteratorINS8_10device_ptrIiEEEESD_jNS1_19radix_merge_compareILb0ELb0EiNS0_19identity_decomposerEEEEE10hipError_tT0_T1_T2_jT3_P12ihipStream_tbPNSt15iterator_traitsISI_E10value_typeEPNSO_ISJ_E10value_typeEPSK_NS1_7vsmem_tEENKUlT_SI_SJ_SK_E_clISD_PiSD_S10_EESH_SX_SI_SJ_SK_EUlSX_E0_NS1_11comp_targetILNS1_3genE0ELNS1_11target_archE4294967295ELNS1_3gpuE0ELNS1_3repE0EEENS1_38merge_mergepath_config_static_selectorELNS0_4arch9wavefront6targetE1EEEvSJ_
                                        ; -- End function
	.set _ZN7rocprim17ROCPRIM_400000_NS6detail17trampoline_kernelINS0_14default_configENS1_38merge_sort_block_merge_config_selectorIiiEEZZNS1_27merge_sort_block_merge_implIS3_N6thrust23THRUST_200600_302600_NS6detail15normal_iteratorINS8_10device_ptrIiEEEESD_jNS1_19radix_merge_compareILb0ELb0EiNS0_19identity_decomposerEEEEE10hipError_tT0_T1_T2_jT3_P12ihipStream_tbPNSt15iterator_traitsISI_E10value_typeEPNSO_ISJ_E10value_typeEPSK_NS1_7vsmem_tEENKUlT_SI_SJ_SK_E_clISD_PiSD_S10_EESH_SX_SI_SJ_SK_EUlSX_E0_NS1_11comp_targetILNS1_3genE0ELNS1_11target_archE4294967295ELNS1_3gpuE0ELNS1_3repE0EEENS1_38merge_mergepath_config_static_selectorELNS0_4arch9wavefront6targetE1EEEvSJ_.num_vgpr, 21
	.set _ZN7rocprim17ROCPRIM_400000_NS6detail17trampoline_kernelINS0_14default_configENS1_38merge_sort_block_merge_config_selectorIiiEEZZNS1_27merge_sort_block_merge_implIS3_N6thrust23THRUST_200600_302600_NS6detail15normal_iteratorINS8_10device_ptrIiEEEESD_jNS1_19radix_merge_compareILb0ELb0EiNS0_19identity_decomposerEEEEE10hipError_tT0_T1_T2_jT3_P12ihipStream_tbPNSt15iterator_traitsISI_E10value_typeEPNSO_ISJ_E10value_typeEPSK_NS1_7vsmem_tEENKUlT_SI_SJ_SK_E_clISD_PiSD_S10_EESH_SX_SI_SJ_SK_EUlSX_E0_NS1_11comp_targetILNS1_3genE0ELNS1_11target_archE4294967295ELNS1_3gpuE0ELNS1_3repE0EEENS1_38merge_mergepath_config_static_selectorELNS0_4arch9wavefront6targetE1EEEvSJ_.num_agpr, 0
	.set _ZN7rocprim17ROCPRIM_400000_NS6detail17trampoline_kernelINS0_14default_configENS1_38merge_sort_block_merge_config_selectorIiiEEZZNS1_27merge_sort_block_merge_implIS3_N6thrust23THRUST_200600_302600_NS6detail15normal_iteratorINS8_10device_ptrIiEEEESD_jNS1_19radix_merge_compareILb0ELb0EiNS0_19identity_decomposerEEEEE10hipError_tT0_T1_T2_jT3_P12ihipStream_tbPNSt15iterator_traitsISI_E10value_typeEPNSO_ISJ_E10value_typeEPSK_NS1_7vsmem_tEENKUlT_SI_SJ_SK_E_clISD_PiSD_S10_EESH_SX_SI_SJ_SK_EUlSX_E0_NS1_11comp_targetILNS1_3genE0ELNS1_11target_archE4294967295ELNS1_3gpuE0ELNS1_3repE0EEENS1_38merge_mergepath_config_static_selectorELNS0_4arch9wavefront6targetE1EEEvSJ_.numbered_sgpr, 30
	.set _ZN7rocprim17ROCPRIM_400000_NS6detail17trampoline_kernelINS0_14default_configENS1_38merge_sort_block_merge_config_selectorIiiEEZZNS1_27merge_sort_block_merge_implIS3_N6thrust23THRUST_200600_302600_NS6detail15normal_iteratorINS8_10device_ptrIiEEEESD_jNS1_19radix_merge_compareILb0ELb0EiNS0_19identity_decomposerEEEEE10hipError_tT0_T1_T2_jT3_P12ihipStream_tbPNSt15iterator_traitsISI_E10value_typeEPNSO_ISJ_E10value_typeEPSK_NS1_7vsmem_tEENKUlT_SI_SJ_SK_E_clISD_PiSD_S10_EESH_SX_SI_SJ_SK_EUlSX_E0_NS1_11comp_targetILNS1_3genE0ELNS1_11target_archE4294967295ELNS1_3gpuE0ELNS1_3repE0EEENS1_38merge_mergepath_config_static_selectorELNS0_4arch9wavefront6targetE1EEEvSJ_.num_named_barrier, 0
	.set _ZN7rocprim17ROCPRIM_400000_NS6detail17trampoline_kernelINS0_14default_configENS1_38merge_sort_block_merge_config_selectorIiiEEZZNS1_27merge_sort_block_merge_implIS3_N6thrust23THRUST_200600_302600_NS6detail15normal_iteratorINS8_10device_ptrIiEEEESD_jNS1_19radix_merge_compareILb0ELb0EiNS0_19identity_decomposerEEEEE10hipError_tT0_T1_T2_jT3_P12ihipStream_tbPNSt15iterator_traitsISI_E10value_typeEPNSO_ISJ_E10value_typeEPSK_NS1_7vsmem_tEENKUlT_SI_SJ_SK_E_clISD_PiSD_S10_EESH_SX_SI_SJ_SK_EUlSX_E0_NS1_11comp_targetILNS1_3genE0ELNS1_11target_archE4294967295ELNS1_3gpuE0ELNS1_3repE0EEENS1_38merge_mergepath_config_static_selectorELNS0_4arch9wavefront6targetE1EEEvSJ_.private_seg_size, 0
	.set _ZN7rocprim17ROCPRIM_400000_NS6detail17trampoline_kernelINS0_14default_configENS1_38merge_sort_block_merge_config_selectorIiiEEZZNS1_27merge_sort_block_merge_implIS3_N6thrust23THRUST_200600_302600_NS6detail15normal_iteratorINS8_10device_ptrIiEEEESD_jNS1_19radix_merge_compareILb0ELb0EiNS0_19identity_decomposerEEEEE10hipError_tT0_T1_T2_jT3_P12ihipStream_tbPNSt15iterator_traitsISI_E10value_typeEPNSO_ISJ_E10value_typeEPSK_NS1_7vsmem_tEENKUlT_SI_SJ_SK_E_clISD_PiSD_S10_EESH_SX_SI_SJ_SK_EUlSX_E0_NS1_11comp_targetILNS1_3genE0ELNS1_11target_archE4294967295ELNS1_3gpuE0ELNS1_3repE0EEENS1_38merge_mergepath_config_static_selectorELNS0_4arch9wavefront6targetE1EEEvSJ_.uses_vcc, 1
	.set _ZN7rocprim17ROCPRIM_400000_NS6detail17trampoline_kernelINS0_14default_configENS1_38merge_sort_block_merge_config_selectorIiiEEZZNS1_27merge_sort_block_merge_implIS3_N6thrust23THRUST_200600_302600_NS6detail15normal_iteratorINS8_10device_ptrIiEEEESD_jNS1_19radix_merge_compareILb0ELb0EiNS0_19identity_decomposerEEEEE10hipError_tT0_T1_T2_jT3_P12ihipStream_tbPNSt15iterator_traitsISI_E10value_typeEPNSO_ISJ_E10value_typeEPSK_NS1_7vsmem_tEENKUlT_SI_SJ_SK_E_clISD_PiSD_S10_EESH_SX_SI_SJ_SK_EUlSX_E0_NS1_11comp_targetILNS1_3genE0ELNS1_11target_archE4294967295ELNS1_3gpuE0ELNS1_3repE0EEENS1_38merge_mergepath_config_static_selectorELNS0_4arch9wavefront6targetE1EEEvSJ_.uses_flat_scratch, 0
	.set _ZN7rocprim17ROCPRIM_400000_NS6detail17trampoline_kernelINS0_14default_configENS1_38merge_sort_block_merge_config_selectorIiiEEZZNS1_27merge_sort_block_merge_implIS3_N6thrust23THRUST_200600_302600_NS6detail15normal_iteratorINS8_10device_ptrIiEEEESD_jNS1_19radix_merge_compareILb0ELb0EiNS0_19identity_decomposerEEEEE10hipError_tT0_T1_T2_jT3_P12ihipStream_tbPNSt15iterator_traitsISI_E10value_typeEPNSO_ISJ_E10value_typeEPSK_NS1_7vsmem_tEENKUlT_SI_SJ_SK_E_clISD_PiSD_S10_EESH_SX_SI_SJ_SK_EUlSX_E0_NS1_11comp_targetILNS1_3genE0ELNS1_11target_archE4294967295ELNS1_3gpuE0ELNS1_3repE0EEENS1_38merge_mergepath_config_static_selectorELNS0_4arch9wavefront6targetE1EEEvSJ_.has_dyn_sized_stack, 0
	.set _ZN7rocprim17ROCPRIM_400000_NS6detail17trampoline_kernelINS0_14default_configENS1_38merge_sort_block_merge_config_selectorIiiEEZZNS1_27merge_sort_block_merge_implIS3_N6thrust23THRUST_200600_302600_NS6detail15normal_iteratorINS8_10device_ptrIiEEEESD_jNS1_19radix_merge_compareILb0ELb0EiNS0_19identity_decomposerEEEEE10hipError_tT0_T1_T2_jT3_P12ihipStream_tbPNSt15iterator_traitsISI_E10value_typeEPNSO_ISJ_E10value_typeEPSK_NS1_7vsmem_tEENKUlT_SI_SJ_SK_E_clISD_PiSD_S10_EESH_SX_SI_SJ_SK_EUlSX_E0_NS1_11comp_targetILNS1_3genE0ELNS1_11target_archE4294967295ELNS1_3gpuE0ELNS1_3repE0EEENS1_38merge_mergepath_config_static_selectorELNS0_4arch9wavefront6targetE1EEEvSJ_.has_recursion, 0
	.set _ZN7rocprim17ROCPRIM_400000_NS6detail17trampoline_kernelINS0_14default_configENS1_38merge_sort_block_merge_config_selectorIiiEEZZNS1_27merge_sort_block_merge_implIS3_N6thrust23THRUST_200600_302600_NS6detail15normal_iteratorINS8_10device_ptrIiEEEESD_jNS1_19radix_merge_compareILb0ELb0EiNS0_19identity_decomposerEEEEE10hipError_tT0_T1_T2_jT3_P12ihipStream_tbPNSt15iterator_traitsISI_E10value_typeEPNSO_ISJ_E10value_typeEPSK_NS1_7vsmem_tEENKUlT_SI_SJ_SK_E_clISD_PiSD_S10_EESH_SX_SI_SJ_SK_EUlSX_E0_NS1_11comp_targetILNS1_3genE0ELNS1_11target_archE4294967295ELNS1_3gpuE0ELNS1_3repE0EEENS1_38merge_mergepath_config_static_selectorELNS0_4arch9wavefront6targetE1EEEvSJ_.has_indirect_call, 0
	.section	.AMDGPU.csdata,"",@progbits
; Kernel info:
; codeLenInByte = 2860
; TotalNumSgprs: 36
; NumVgprs: 21
; NumAgprs: 0
; TotalNumVgprs: 21
; ScratchSize: 0
; MemoryBound: 0
; FloatMode: 240
; IeeeMode: 1
; LDSByteSize: 4224 bytes/workgroup (compile time only)
; SGPRBlocks: 4
; VGPRBlocks: 2
; NumSGPRsForWavesPerEU: 36
; NumVGPRsForWavesPerEU: 21
; AccumOffset: 24
; Occupancy: 8
; WaveLimiterHint : 1
; COMPUTE_PGM_RSRC2:SCRATCH_EN: 0
; COMPUTE_PGM_RSRC2:USER_SGPR: 2
; COMPUTE_PGM_RSRC2:TRAP_HANDLER: 0
; COMPUTE_PGM_RSRC2:TGID_X_EN: 1
; COMPUTE_PGM_RSRC2:TGID_Y_EN: 1
; COMPUTE_PGM_RSRC2:TGID_Z_EN: 1
; COMPUTE_PGM_RSRC2:TIDIG_COMP_CNT: 0
; COMPUTE_PGM_RSRC3_GFX90A:ACCUM_OFFSET: 5
; COMPUTE_PGM_RSRC3_GFX90A:TG_SPLIT: 0
	.section	.text._ZN7rocprim17ROCPRIM_400000_NS6detail17trampoline_kernelINS0_14default_configENS1_38merge_sort_block_merge_config_selectorIiiEEZZNS1_27merge_sort_block_merge_implIS3_N6thrust23THRUST_200600_302600_NS6detail15normal_iteratorINS8_10device_ptrIiEEEESD_jNS1_19radix_merge_compareILb0ELb0EiNS0_19identity_decomposerEEEEE10hipError_tT0_T1_T2_jT3_P12ihipStream_tbPNSt15iterator_traitsISI_E10value_typeEPNSO_ISJ_E10value_typeEPSK_NS1_7vsmem_tEENKUlT_SI_SJ_SK_E_clISD_PiSD_S10_EESH_SX_SI_SJ_SK_EUlSX_E0_NS1_11comp_targetILNS1_3genE10ELNS1_11target_archE1201ELNS1_3gpuE5ELNS1_3repE0EEENS1_38merge_mergepath_config_static_selectorELNS0_4arch9wavefront6targetE1EEEvSJ_,"axG",@progbits,_ZN7rocprim17ROCPRIM_400000_NS6detail17trampoline_kernelINS0_14default_configENS1_38merge_sort_block_merge_config_selectorIiiEEZZNS1_27merge_sort_block_merge_implIS3_N6thrust23THRUST_200600_302600_NS6detail15normal_iteratorINS8_10device_ptrIiEEEESD_jNS1_19radix_merge_compareILb0ELb0EiNS0_19identity_decomposerEEEEE10hipError_tT0_T1_T2_jT3_P12ihipStream_tbPNSt15iterator_traitsISI_E10value_typeEPNSO_ISJ_E10value_typeEPSK_NS1_7vsmem_tEENKUlT_SI_SJ_SK_E_clISD_PiSD_S10_EESH_SX_SI_SJ_SK_EUlSX_E0_NS1_11comp_targetILNS1_3genE10ELNS1_11target_archE1201ELNS1_3gpuE5ELNS1_3repE0EEENS1_38merge_mergepath_config_static_selectorELNS0_4arch9wavefront6targetE1EEEvSJ_,comdat
	.protected	_ZN7rocprim17ROCPRIM_400000_NS6detail17trampoline_kernelINS0_14default_configENS1_38merge_sort_block_merge_config_selectorIiiEEZZNS1_27merge_sort_block_merge_implIS3_N6thrust23THRUST_200600_302600_NS6detail15normal_iteratorINS8_10device_ptrIiEEEESD_jNS1_19radix_merge_compareILb0ELb0EiNS0_19identity_decomposerEEEEE10hipError_tT0_T1_T2_jT3_P12ihipStream_tbPNSt15iterator_traitsISI_E10value_typeEPNSO_ISJ_E10value_typeEPSK_NS1_7vsmem_tEENKUlT_SI_SJ_SK_E_clISD_PiSD_S10_EESH_SX_SI_SJ_SK_EUlSX_E0_NS1_11comp_targetILNS1_3genE10ELNS1_11target_archE1201ELNS1_3gpuE5ELNS1_3repE0EEENS1_38merge_mergepath_config_static_selectorELNS0_4arch9wavefront6targetE1EEEvSJ_ ; -- Begin function _ZN7rocprim17ROCPRIM_400000_NS6detail17trampoline_kernelINS0_14default_configENS1_38merge_sort_block_merge_config_selectorIiiEEZZNS1_27merge_sort_block_merge_implIS3_N6thrust23THRUST_200600_302600_NS6detail15normal_iteratorINS8_10device_ptrIiEEEESD_jNS1_19radix_merge_compareILb0ELb0EiNS0_19identity_decomposerEEEEE10hipError_tT0_T1_T2_jT3_P12ihipStream_tbPNSt15iterator_traitsISI_E10value_typeEPNSO_ISJ_E10value_typeEPSK_NS1_7vsmem_tEENKUlT_SI_SJ_SK_E_clISD_PiSD_S10_EESH_SX_SI_SJ_SK_EUlSX_E0_NS1_11comp_targetILNS1_3genE10ELNS1_11target_archE1201ELNS1_3gpuE5ELNS1_3repE0EEENS1_38merge_mergepath_config_static_selectorELNS0_4arch9wavefront6targetE1EEEvSJ_
	.globl	_ZN7rocprim17ROCPRIM_400000_NS6detail17trampoline_kernelINS0_14default_configENS1_38merge_sort_block_merge_config_selectorIiiEEZZNS1_27merge_sort_block_merge_implIS3_N6thrust23THRUST_200600_302600_NS6detail15normal_iteratorINS8_10device_ptrIiEEEESD_jNS1_19radix_merge_compareILb0ELb0EiNS0_19identity_decomposerEEEEE10hipError_tT0_T1_T2_jT3_P12ihipStream_tbPNSt15iterator_traitsISI_E10value_typeEPNSO_ISJ_E10value_typeEPSK_NS1_7vsmem_tEENKUlT_SI_SJ_SK_E_clISD_PiSD_S10_EESH_SX_SI_SJ_SK_EUlSX_E0_NS1_11comp_targetILNS1_3genE10ELNS1_11target_archE1201ELNS1_3gpuE5ELNS1_3repE0EEENS1_38merge_mergepath_config_static_selectorELNS0_4arch9wavefront6targetE1EEEvSJ_
	.p2align	8
	.type	_ZN7rocprim17ROCPRIM_400000_NS6detail17trampoline_kernelINS0_14default_configENS1_38merge_sort_block_merge_config_selectorIiiEEZZNS1_27merge_sort_block_merge_implIS3_N6thrust23THRUST_200600_302600_NS6detail15normal_iteratorINS8_10device_ptrIiEEEESD_jNS1_19radix_merge_compareILb0ELb0EiNS0_19identity_decomposerEEEEE10hipError_tT0_T1_T2_jT3_P12ihipStream_tbPNSt15iterator_traitsISI_E10value_typeEPNSO_ISJ_E10value_typeEPSK_NS1_7vsmem_tEENKUlT_SI_SJ_SK_E_clISD_PiSD_S10_EESH_SX_SI_SJ_SK_EUlSX_E0_NS1_11comp_targetILNS1_3genE10ELNS1_11target_archE1201ELNS1_3gpuE5ELNS1_3repE0EEENS1_38merge_mergepath_config_static_selectorELNS0_4arch9wavefront6targetE1EEEvSJ_,@function
_ZN7rocprim17ROCPRIM_400000_NS6detail17trampoline_kernelINS0_14default_configENS1_38merge_sort_block_merge_config_selectorIiiEEZZNS1_27merge_sort_block_merge_implIS3_N6thrust23THRUST_200600_302600_NS6detail15normal_iteratorINS8_10device_ptrIiEEEESD_jNS1_19radix_merge_compareILb0ELb0EiNS0_19identity_decomposerEEEEE10hipError_tT0_T1_T2_jT3_P12ihipStream_tbPNSt15iterator_traitsISI_E10value_typeEPNSO_ISJ_E10value_typeEPSK_NS1_7vsmem_tEENKUlT_SI_SJ_SK_E_clISD_PiSD_S10_EESH_SX_SI_SJ_SK_EUlSX_E0_NS1_11comp_targetILNS1_3genE10ELNS1_11target_archE1201ELNS1_3gpuE5ELNS1_3repE0EEENS1_38merge_mergepath_config_static_selectorELNS0_4arch9wavefront6targetE1EEEvSJ_: ; @_ZN7rocprim17ROCPRIM_400000_NS6detail17trampoline_kernelINS0_14default_configENS1_38merge_sort_block_merge_config_selectorIiiEEZZNS1_27merge_sort_block_merge_implIS3_N6thrust23THRUST_200600_302600_NS6detail15normal_iteratorINS8_10device_ptrIiEEEESD_jNS1_19radix_merge_compareILb0ELb0EiNS0_19identity_decomposerEEEEE10hipError_tT0_T1_T2_jT3_P12ihipStream_tbPNSt15iterator_traitsISI_E10value_typeEPNSO_ISJ_E10value_typeEPSK_NS1_7vsmem_tEENKUlT_SI_SJ_SK_E_clISD_PiSD_S10_EESH_SX_SI_SJ_SK_EUlSX_E0_NS1_11comp_targetILNS1_3genE10ELNS1_11target_archE1201ELNS1_3gpuE5ELNS1_3repE0EEENS1_38merge_mergepath_config_static_selectorELNS0_4arch9wavefront6targetE1EEEvSJ_
; %bb.0:
	.section	.rodata,"a",@progbits
	.p2align	6, 0x0
	.amdhsa_kernel _ZN7rocprim17ROCPRIM_400000_NS6detail17trampoline_kernelINS0_14default_configENS1_38merge_sort_block_merge_config_selectorIiiEEZZNS1_27merge_sort_block_merge_implIS3_N6thrust23THRUST_200600_302600_NS6detail15normal_iteratorINS8_10device_ptrIiEEEESD_jNS1_19radix_merge_compareILb0ELb0EiNS0_19identity_decomposerEEEEE10hipError_tT0_T1_T2_jT3_P12ihipStream_tbPNSt15iterator_traitsISI_E10value_typeEPNSO_ISJ_E10value_typeEPSK_NS1_7vsmem_tEENKUlT_SI_SJ_SK_E_clISD_PiSD_S10_EESH_SX_SI_SJ_SK_EUlSX_E0_NS1_11comp_targetILNS1_3genE10ELNS1_11target_archE1201ELNS1_3gpuE5ELNS1_3repE0EEENS1_38merge_mergepath_config_static_selectorELNS0_4arch9wavefront6targetE1EEEvSJ_
		.amdhsa_group_segment_fixed_size 0
		.amdhsa_private_segment_fixed_size 0
		.amdhsa_kernarg_size 64
		.amdhsa_user_sgpr_count 2
		.amdhsa_user_sgpr_dispatch_ptr 0
		.amdhsa_user_sgpr_queue_ptr 0
		.amdhsa_user_sgpr_kernarg_segment_ptr 1
		.amdhsa_user_sgpr_dispatch_id 0
		.amdhsa_user_sgpr_kernarg_preload_length 0
		.amdhsa_user_sgpr_kernarg_preload_offset 0
		.amdhsa_user_sgpr_private_segment_size 0
		.amdhsa_uses_dynamic_stack 0
		.amdhsa_enable_private_segment 0
		.amdhsa_system_sgpr_workgroup_id_x 1
		.amdhsa_system_sgpr_workgroup_id_y 0
		.amdhsa_system_sgpr_workgroup_id_z 0
		.amdhsa_system_sgpr_workgroup_info 0
		.amdhsa_system_vgpr_workitem_id 0
		.amdhsa_next_free_vgpr 1
		.amdhsa_next_free_sgpr 0
		.amdhsa_accum_offset 4
		.amdhsa_reserve_vcc 0
		.amdhsa_float_round_mode_32 0
		.amdhsa_float_round_mode_16_64 0
		.amdhsa_float_denorm_mode_32 3
		.amdhsa_float_denorm_mode_16_64 3
		.amdhsa_dx10_clamp 1
		.amdhsa_ieee_mode 1
		.amdhsa_fp16_overflow 0
		.amdhsa_tg_split 0
		.amdhsa_exception_fp_ieee_invalid_op 0
		.amdhsa_exception_fp_denorm_src 0
		.amdhsa_exception_fp_ieee_div_zero 0
		.amdhsa_exception_fp_ieee_overflow 0
		.amdhsa_exception_fp_ieee_underflow 0
		.amdhsa_exception_fp_ieee_inexact 0
		.amdhsa_exception_int_div_zero 0
	.end_amdhsa_kernel
	.section	.text._ZN7rocprim17ROCPRIM_400000_NS6detail17trampoline_kernelINS0_14default_configENS1_38merge_sort_block_merge_config_selectorIiiEEZZNS1_27merge_sort_block_merge_implIS3_N6thrust23THRUST_200600_302600_NS6detail15normal_iteratorINS8_10device_ptrIiEEEESD_jNS1_19radix_merge_compareILb0ELb0EiNS0_19identity_decomposerEEEEE10hipError_tT0_T1_T2_jT3_P12ihipStream_tbPNSt15iterator_traitsISI_E10value_typeEPNSO_ISJ_E10value_typeEPSK_NS1_7vsmem_tEENKUlT_SI_SJ_SK_E_clISD_PiSD_S10_EESH_SX_SI_SJ_SK_EUlSX_E0_NS1_11comp_targetILNS1_3genE10ELNS1_11target_archE1201ELNS1_3gpuE5ELNS1_3repE0EEENS1_38merge_mergepath_config_static_selectorELNS0_4arch9wavefront6targetE1EEEvSJ_,"axG",@progbits,_ZN7rocprim17ROCPRIM_400000_NS6detail17trampoline_kernelINS0_14default_configENS1_38merge_sort_block_merge_config_selectorIiiEEZZNS1_27merge_sort_block_merge_implIS3_N6thrust23THRUST_200600_302600_NS6detail15normal_iteratorINS8_10device_ptrIiEEEESD_jNS1_19radix_merge_compareILb0ELb0EiNS0_19identity_decomposerEEEEE10hipError_tT0_T1_T2_jT3_P12ihipStream_tbPNSt15iterator_traitsISI_E10value_typeEPNSO_ISJ_E10value_typeEPSK_NS1_7vsmem_tEENKUlT_SI_SJ_SK_E_clISD_PiSD_S10_EESH_SX_SI_SJ_SK_EUlSX_E0_NS1_11comp_targetILNS1_3genE10ELNS1_11target_archE1201ELNS1_3gpuE5ELNS1_3repE0EEENS1_38merge_mergepath_config_static_selectorELNS0_4arch9wavefront6targetE1EEEvSJ_,comdat
.Lfunc_end741:
	.size	_ZN7rocprim17ROCPRIM_400000_NS6detail17trampoline_kernelINS0_14default_configENS1_38merge_sort_block_merge_config_selectorIiiEEZZNS1_27merge_sort_block_merge_implIS3_N6thrust23THRUST_200600_302600_NS6detail15normal_iteratorINS8_10device_ptrIiEEEESD_jNS1_19radix_merge_compareILb0ELb0EiNS0_19identity_decomposerEEEEE10hipError_tT0_T1_T2_jT3_P12ihipStream_tbPNSt15iterator_traitsISI_E10value_typeEPNSO_ISJ_E10value_typeEPSK_NS1_7vsmem_tEENKUlT_SI_SJ_SK_E_clISD_PiSD_S10_EESH_SX_SI_SJ_SK_EUlSX_E0_NS1_11comp_targetILNS1_3genE10ELNS1_11target_archE1201ELNS1_3gpuE5ELNS1_3repE0EEENS1_38merge_mergepath_config_static_selectorELNS0_4arch9wavefront6targetE1EEEvSJ_, .Lfunc_end741-_ZN7rocprim17ROCPRIM_400000_NS6detail17trampoline_kernelINS0_14default_configENS1_38merge_sort_block_merge_config_selectorIiiEEZZNS1_27merge_sort_block_merge_implIS3_N6thrust23THRUST_200600_302600_NS6detail15normal_iteratorINS8_10device_ptrIiEEEESD_jNS1_19radix_merge_compareILb0ELb0EiNS0_19identity_decomposerEEEEE10hipError_tT0_T1_T2_jT3_P12ihipStream_tbPNSt15iterator_traitsISI_E10value_typeEPNSO_ISJ_E10value_typeEPSK_NS1_7vsmem_tEENKUlT_SI_SJ_SK_E_clISD_PiSD_S10_EESH_SX_SI_SJ_SK_EUlSX_E0_NS1_11comp_targetILNS1_3genE10ELNS1_11target_archE1201ELNS1_3gpuE5ELNS1_3repE0EEENS1_38merge_mergepath_config_static_selectorELNS0_4arch9wavefront6targetE1EEEvSJ_
                                        ; -- End function
	.set _ZN7rocprim17ROCPRIM_400000_NS6detail17trampoline_kernelINS0_14default_configENS1_38merge_sort_block_merge_config_selectorIiiEEZZNS1_27merge_sort_block_merge_implIS3_N6thrust23THRUST_200600_302600_NS6detail15normal_iteratorINS8_10device_ptrIiEEEESD_jNS1_19radix_merge_compareILb0ELb0EiNS0_19identity_decomposerEEEEE10hipError_tT0_T1_T2_jT3_P12ihipStream_tbPNSt15iterator_traitsISI_E10value_typeEPNSO_ISJ_E10value_typeEPSK_NS1_7vsmem_tEENKUlT_SI_SJ_SK_E_clISD_PiSD_S10_EESH_SX_SI_SJ_SK_EUlSX_E0_NS1_11comp_targetILNS1_3genE10ELNS1_11target_archE1201ELNS1_3gpuE5ELNS1_3repE0EEENS1_38merge_mergepath_config_static_selectorELNS0_4arch9wavefront6targetE1EEEvSJ_.num_vgpr, 0
	.set _ZN7rocprim17ROCPRIM_400000_NS6detail17trampoline_kernelINS0_14default_configENS1_38merge_sort_block_merge_config_selectorIiiEEZZNS1_27merge_sort_block_merge_implIS3_N6thrust23THRUST_200600_302600_NS6detail15normal_iteratorINS8_10device_ptrIiEEEESD_jNS1_19radix_merge_compareILb0ELb0EiNS0_19identity_decomposerEEEEE10hipError_tT0_T1_T2_jT3_P12ihipStream_tbPNSt15iterator_traitsISI_E10value_typeEPNSO_ISJ_E10value_typeEPSK_NS1_7vsmem_tEENKUlT_SI_SJ_SK_E_clISD_PiSD_S10_EESH_SX_SI_SJ_SK_EUlSX_E0_NS1_11comp_targetILNS1_3genE10ELNS1_11target_archE1201ELNS1_3gpuE5ELNS1_3repE0EEENS1_38merge_mergepath_config_static_selectorELNS0_4arch9wavefront6targetE1EEEvSJ_.num_agpr, 0
	.set _ZN7rocprim17ROCPRIM_400000_NS6detail17trampoline_kernelINS0_14default_configENS1_38merge_sort_block_merge_config_selectorIiiEEZZNS1_27merge_sort_block_merge_implIS3_N6thrust23THRUST_200600_302600_NS6detail15normal_iteratorINS8_10device_ptrIiEEEESD_jNS1_19radix_merge_compareILb0ELb0EiNS0_19identity_decomposerEEEEE10hipError_tT0_T1_T2_jT3_P12ihipStream_tbPNSt15iterator_traitsISI_E10value_typeEPNSO_ISJ_E10value_typeEPSK_NS1_7vsmem_tEENKUlT_SI_SJ_SK_E_clISD_PiSD_S10_EESH_SX_SI_SJ_SK_EUlSX_E0_NS1_11comp_targetILNS1_3genE10ELNS1_11target_archE1201ELNS1_3gpuE5ELNS1_3repE0EEENS1_38merge_mergepath_config_static_selectorELNS0_4arch9wavefront6targetE1EEEvSJ_.numbered_sgpr, 0
	.set _ZN7rocprim17ROCPRIM_400000_NS6detail17trampoline_kernelINS0_14default_configENS1_38merge_sort_block_merge_config_selectorIiiEEZZNS1_27merge_sort_block_merge_implIS3_N6thrust23THRUST_200600_302600_NS6detail15normal_iteratorINS8_10device_ptrIiEEEESD_jNS1_19radix_merge_compareILb0ELb0EiNS0_19identity_decomposerEEEEE10hipError_tT0_T1_T2_jT3_P12ihipStream_tbPNSt15iterator_traitsISI_E10value_typeEPNSO_ISJ_E10value_typeEPSK_NS1_7vsmem_tEENKUlT_SI_SJ_SK_E_clISD_PiSD_S10_EESH_SX_SI_SJ_SK_EUlSX_E0_NS1_11comp_targetILNS1_3genE10ELNS1_11target_archE1201ELNS1_3gpuE5ELNS1_3repE0EEENS1_38merge_mergepath_config_static_selectorELNS0_4arch9wavefront6targetE1EEEvSJ_.num_named_barrier, 0
	.set _ZN7rocprim17ROCPRIM_400000_NS6detail17trampoline_kernelINS0_14default_configENS1_38merge_sort_block_merge_config_selectorIiiEEZZNS1_27merge_sort_block_merge_implIS3_N6thrust23THRUST_200600_302600_NS6detail15normal_iteratorINS8_10device_ptrIiEEEESD_jNS1_19radix_merge_compareILb0ELb0EiNS0_19identity_decomposerEEEEE10hipError_tT0_T1_T2_jT3_P12ihipStream_tbPNSt15iterator_traitsISI_E10value_typeEPNSO_ISJ_E10value_typeEPSK_NS1_7vsmem_tEENKUlT_SI_SJ_SK_E_clISD_PiSD_S10_EESH_SX_SI_SJ_SK_EUlSX_E0_NS1_11comp_targetILNS1_3genE10ELNS1_11target_archE1201ELNS1_3gpuE5ELNS1_3repE0EEENS1_38merge_mergepath_config_static_selectorELNS0_4arch9wavefront6targetE1EEEvSJ_.private_seg_size, 0
	.set _ZN7rocprim17ROCPRIM_400000_NS6detail17trampoline_kernelINS0_14default_configENS1_38merge_sort_block_merge_config_selectorIiiEEZZNS1_27merge_sort_block_merge_implIS3_N6thrust23THRUST_200600_302600_NS6detail15normal_iteratorINS8_10device_ptrIiEEEESD_jNS1_19radix_merge_compareILb0ELb0EiNS0_19identity_decomposerEEEEE10hipError_tT0_T1_T2_jT3_P12ihipStream_tbPNSt15iterator_traitsISI_E10value_typeEPNSO_ISJ_E10value_typeEPSK_NS1_7vsmem_tEENKUlT_SI_SJ_SK_E_clISD_PiSD_S10_EESH_SX_SI_SJ_SK_EUlSX_E0_NS1_11comp_targetILNS1_3genE10ELNS1_11target_archE1201ELNS1_3gpuE5ELNS1_3repE0EEENS1_38merge_mergepath_config_static_selectorELNS0_4arch9wavefront6targetE1EEEvSJ_.uses_vcc, 0
	.set _ZN7rocprim17ROCPRIM_400000_NS6detail17trampoline_kernelINS0_14default_configENS1_38merge_sort_block_merge_config_selectorIiiEEZZNS1_27merge_sort_block_merge_implIS3_N6thrust23THRUST_200600_302600_NS6detail15normal_iteratorINS8_10device_ptrIiEEEESD_jNS1_19radix_merge_compareILb0ELb0EiNS0_19identity_decomposerEEEEE10hipError_tT0_T1_T2_jT3_P12ihipStream_tbPNSt15iterator_traitsISI_E10value_typeEPNSO_ISJ_E10value_typeEPSK_NS1_7vsmem_tEENKUlT_SI_SJ_SK_E_clISD_PiSD_S10_EESH_SX_SI_SJ_SK_EUlSX_E0_NS1_11comp_targetILNS1_3genE10ELNS1_11target_archE1201ELNS1_3gpuE5ELNS1_3repE0EEENS1_38merge_mergepath_config_static_selectorELNS0_4arch9wavefront6targetE1EEEvSJ_.uses_flat_scratch, 0
	.set _ZN7rocprim17ROCPRIM_400000_NS6detail17trampoline_kernelINS0_14default_configENS1_38merge_sort_block_merge_config_selectorIiiEEZZNS1_27merge_sort_block_merge_implIS3_N6thrust23THRUST_200600_302600_NS6detail15normal_iteratorINS8_10device_ptrIiEEEESD_jNS1_19radix_merge_compareILb0ELb0EiNS0_19identity_decomposerEEEEE10hipError_tT0_T1_T2_jT3_P12ihipStream_tbPNSt15iterator_traitsISI_E10value_typeEPNSO_ISJ_E10value_typeEPSK_NS1_7vsmem_tEENKUlT_SI_SJ_SK_E_clISD_PiSD_S10_EESH_SX_SI_SJ_SK_EUlSX_E0_NS1_11comp_targetILNS1_3genE10ELNS1_11target_archE1201ELNS1_3gpuE5ELNS1_3repE0EEENS1_38merge_mergepath_config_static_selectorELNS0_4arch9wavefront6targetE1EEEvSJ_.has_dyn_sized_stack, 0
	.set _ZN7rocprim17ROCPRIM_400000_NS6detail17trampoline_kernelINS0_14default_configENS1_38merge_sort_block_merge_config_selectorIiiEEZZNS1_27merge_sort_block_merge_implIS3_N6thrust23THRUST_200600_302600_NS6detail15normal_iteratorINS8_10device_ptrIiEEEESD_jNS1_19radix_merge_compareILb0ELb0EiNS0_19identity_decomposerEEEEE10hipError_tT0_T1_T2_jT3_P12ihipStream_tbPNSt15iterator_traitsISI_E10value_typeEPNSO_ISJ_E10value_typeEPSK_NS1_7vsmem_tEENKUlT_SI_SJ_SK_E_clISD_PiSD_S10_EESH_SX_SI_SJ_SK_EUlSX_E0_NS1_11comp_targetILNS1_3genE10ELNS1_11target_archE1201ELNS1_3gpuE5ELNS1_3repE0EEENS1_38merge_mergepath_config_static_selectorELNS0_4arch9wavefront6targetE1EEEvSJ_.has_recursion, 0
	.set _ZN7rocprim17ROCPRIM_400000_NS6detail17trampoline_kernelINS0_14default_configENS1_38merge_sort_block_merge_config_selectorIiiEEZZNS1_27merge_sort_block_merge_implIS3_N6thrust23THRUST_200600_302600_NS6detail15normal_iteratorINS8_10device_ptrIiEEEESD_jNS1_19radix_merge_compareILb0ELb0EiNS0_19identity_decomposerEEEEE10hipError_tT0_T1_T2_jT3_P12ihipStream_tbPNSt15iterator_traitsISI_E10value_typeEPNSO_ISJ_E10value_typeEPSK_NS1_7vsmem_tEENKUlT_SI_SJ_SK_E_clISD_PiSD_S10_EESH_SX_SI_SJ_SK_EUlSX_E0_NS1_11comp_targetILNS1_3genE10ELNS1_11target_archE1201ELNS1_3gpuE5ELNS1_3repE0EEENS1_38merge_mergepath_config_static_selectorELNS0_4arch9wavefront6targetE1EEEvSJ_.has_indirect_call, 0
	.section	.AMDGPU.csdata,"",@progbits
; Kernel info:
; codeLenInByte = 0
; TotalNumSgprs: 6
; NumVgprs: 0
; NumAgprs: 0
; TotalNumVgprs: 0
; ScratchSize: 0
; MemoryBound: 0
; FloatMode: 240
; IeeeMode: 1
; LDSByteSize: 0 bytes/workgroup (compile time only)
; SGPRBlocks: 0
; VGPRBlocks: 0
; NumSGPRsForWavesPerEU: 6
; NumVGPRsForWavesPerEU: 1
; AccumOffset: 4
; Occupancy: 8
; WaveLimiterHint : 0
; COMPUTE_PGM_RSRC2:SCRATCH_EN: 0
; COMPUTE_PGM_RSRC2:USER_SGPR: 2
; COMPUTE_PGM_RSRC2:TRAP_HANDLER: 0
; COMPUTE_PGM_RSRC2:TGID_X_EN: 1
; COMPUTE_PGM_RSRC2:TGID_Y_EN: 0
; COMPUTE_PGM_RSRC2:TGID_Z_EN: 0
; COMPUTE_PGM_RSRC2:TIDIG_COMP_CNT: 0
; COMPUTE_PGM_RSRC3_GFX90A:ACCUM_OFFSET: 0
; COMPUTE_PGM_RSRC3_GFX90A:TG_SPLIT: 0
	.section	.text._ZN7rocprim17ROCPRIM_400000_NS6detail17trampoline_kernelINS0_14default_configENS1_38merge_sort_block_merge_config_selectorIiiEEZZNS1_27merge_sort_block_merge_implIS3_N6thrust23THRUST_200600_302600_NS6detail15normal_iteratorINS8_10device_ptrIiEEEESD_jNS1_19radix_merge_compareILb0ELb0EiNS0_19identity_decomposerEEEEE10hipError_tT0_T1_T2_jT3_P12ihipStream_tbPNSt15iterator_traitsISI_E10value_typeEPNSO_ISJ_E10value_typeEPSK_NS1_7vsmem_tEENKUlT_SI_SJ_SK_E_clISD_PiSD_S10_EESH_SX_SI_SJ_SK_EUlSX_E0_NS1_11comp_targetILNS1_3genE5ELNS1_11target_archE942ELNS1_3gpuE9ELNS1_3repE0EEENS1_38merge_mergepath_config_static_selectorELNS0_4arch9wavefront6targetE1EEEvSJ_,"axG",@progbits,_ZN7rocprim17ROCPRIM_400000_NS6detail17trampoline_kernelINS0_14default_configENS1_38merge_sort_block_merge_config_selectorIiiEEZZNS1_27merge_sort_block_merge_implIS3_N6thrust23THRUST_200600_302600_NS6detail15normal_iteratorINS8_10device_ptrIiEEEESD_jNS1_19radix_merge_compareILb0ELb0EiNS0_19identity_decomposerEEEEE10hipError_tT0_T1_T2_jT3_P12ihipStream_tbPNSt15iterator_traitsISI_E10value_typeEPNSO_ISJ_E10value_typeEPSK_NS1_7vsmem_tEENKUlT_SI_SJ_SK_E_clISD_PiSD_S10_EESH_SX_SI_SJ_SK_EUlSX_E0_NS1_11comp_targetILNS1_3genE5ELNS1_11target_archE942ELNS1_3gpuE9ELNS1_3repE0EEENS1_38merge_mergepath_config_static_selectorELNS0_4arch9wavefront6targetE1EEEvSJ_,comdat
	.protected	_ZN7rocprim17ROCPRIM_400000_NS6detail17trampoline_kernelINS0_14default_configENS1_38merge_sort_block_merge_config_selectorIiiEEZZNS1_27merge_sort_block_merge_implIS3_N6thrust23THRUST_200600_302600_NS6detail15normal_iteratorINS8_10device_ptrIiEEEESD_jNS1_19radix_merge_compareILb0ELb0EiNS0_19identity_decomposerEEEEE10hipError_tT0_T1_T2_jT3_P12ihipStream_tbPNSt15iterator_traitsISI_E10value_typeEPNSO_ISJ_E10value_typeEPSK_NS1_7vsmem_tEENKUlT_SI_SJ_SK_E_clISD_PiSD_S10_EESH_SX_SI_SJ_SK_EUlSX_E0_NS1_11comp_targetILNS1_3genE5ELNS1_11target_archE942ELNS1_3gpuE9ELNS1_3repE0EEENS1_38merge_mergepath_config_static_selectorELNS0_4arch9wavefront6targetE1EEEvSJ_ ; -- Begin function _ZN7rocprim17ROCPRIM_400000_NS6detail17trampoline_kernelINS0_14default_configENS1_38merge_sort_block_merge_config_selectorIiiEEZZNS1_27merge_sort_block_merge_implIS3_N6thrust23THRUST_200600_302600_NS6detail15normal_iteratorINS8_10device_ptrIiEEEESD_jNS1_19radix_merge_compareILb0ELb0EiNS0_19identity_decomposerEEEEE10hipError_tT0_T1_T2_jT3_P12ihipStream_tbPNSt15iterator_traitsISI_E10value_typeEPNSO_ISJ_E10value_typeEPSK_NS1_7vsmem_tEENKUlT_SI_SJ_SK_E_clISD_PiSD_S10_EESH_SX_SI_SJ_SK_EUlSX_E0_NS1_11comp_targetILNS1_3genE5ELNS1_11target_archE942ELNS1_3gpuE9ELNS1_3repE0EEENS1_38merge_mergepath_config_static_selectorELNS0_4arch9wavefront6targetE1EEEvSJ_
	.globl	_ZN7rocprim17ROCPRIM_400000_NS6detail17trampoline_kernelINS0_14default_configENS1_38merge_sort_block_merge_config_selectorIiiEEZZNS1_27merge_sort_block_merge_implIS3_N6thrust23THRUST_200600_302600_NS6detail15normal_iteratorINS8_10device_ptrIiEEEESD_jNS1_19radix_merge_compareILb0ELb0EiNS0_19identity_decomposerEEEEE10hipError_tT0_T1_T2_jT3_P12ihipStream_tbPNSt15iterator_traitsISI_E10value_typeEPNSO_ISJ_E10value_typeEPSK_NS1_7vsmem_tEENKUlT_SI_SJ_SK_E_clISD_PiSD_S10_EESH_SX_SI_SJ_SK_EUlSX_E0_NS1_11comp_targetILNS1_3genE5ELNS1_11target_archE942ELNS1_3gpuE9ELNS1_3repE0EEENS1_38merge_mergepath_config_static_selectorELNS0_4arch9wavefront6targetE1EEEvSJ_
	.p2align	8
	.type	_ZN7rocprim17ROCPRIM_400000_NS6detail17trampoline_kernelINS0_14default_configENS1_38merge_sort_block_merge_config_selectorIiiEEZZNS1_27merge_sort_block_merge_implIS3_N6thrust23THRUST_200600_302600_NS6detail15normal_iteratorINS8_10device_ptrIiEEEESD_jNS1_19radix_merge_compareILb0ELb0EiNS0_19identity_decomposerEEEEE10hipError_tT0_T1_T2_jT3_P12ihipStream_tbPNSt15iterator_traitsISI_E10value_typeEPNSO_ISJ_E10value_typeEPSK_NS1_7vsmem_tEENKUlT_SI_SJ_SK_E_clISD_PiSD_S10_EESH_SX_SI_SJ_SK_EUlSX_E0_NS1_11comp_targetILNS1_3genE5ELNS1_11target_archE942ELNS1_3gpuE9ELNS1_3repE0EEENS1_38merge_mergepath_config_static_selectorELNS0_4arch9wavefront6targetE1EEEvSJ_,@function
_ZN7rocprim17ROCPRIM_400000_NS6detail17trampoline_kernelINS0_14default_configENS1_38merge_sort_block_merge_config_selectorIiiEEZZNS1_27merge_sort_block_merge_implIS3_N6thrust23THRUST_200600_302600_NS6detail15normal_iteratorINS8_10device_ptrIiEEEESD_jNS1_19radix_merge_compareILb0ELb0EiNS0_19identity_decomposerEEEEE10hipError_tT0_T1_T2_jT3_P12ihipStream_tbPNSt15iterator_traitsISI_E10value_typeEPNSO_ISJ_E10value_typeEPSK_NS1_7vsmem_tEENKUlT_SI_SJ_SK_E_clISD_PiSD_S10_EESH_SX_SI_SJ_SK_EUlSX_E0_NS1_11comp_targetILNS1_3genE5ELNS1_11target_archE942ELNS1_3gpuE9ELNS1_3repE0EEENS1_38merge_mergepath_config_static_selectorELNS0_4arch9wavefront6targetE1EEEvSJ_: ; @_ZN7rocprim17ROCPRIM_400000_NS6detail17trampoline_kernelINS0_14default_configENS1_38merge_sort_block_merge_config_selectorIiiEEZZNS1_27merge_sort_block_merge_implIS3_N6thrust23THRUST_200600_302600_NS6detail15normal_iteratorINS8_10device_ptrIiEEEESD_jNS1_19radix_merge_compareILb0ELb0EiNS0_19identity_decomposerEEEEE10hipError_tT0_T1_T2_jT3_P12ihipStream_tbPNSt15iterator_traitsISI_E10value_typeEPNSO_ISJ_E10value_typeEPSK_NS1_7vsmem_tEENKUlT_SI_SJ_SK_E_clISD_PiSD_S10_EESH_SX_SI_SJ_SK_EUlSX_E0_NS1_11comp_targetILNS1_3genE5ELNS1_11target_archE942ELNS1_3gpuE9ELNS1_3repE0EEENS1_38merge_mergepath_config_static_selectorELNS0_4arch9wavefront6targetE1EEEvSJ_
; %bb.0:
	.section	.rodata,"a",@progbits
	.p2align	6, 0x0
	.amdhsa_kernel _ZN7rocprim17ROCPRIM_400000_NS6detail17trampoline_kernelINS0_14default_configENS1_38merge_sort_block_merge_config_selectorIiiEEZZNS1_27merge_sort_block_merge_implIS3_N6thrust23THRUST_200600_302600_NS6detail15normal_iteratorINS8_10device_ptrIiEEEESD_jNS1_19radix_merge_compareILb0ELb0EiNS0_19identity_decomposerEEEEE10hipError_tT0_T1_T2_jT3_P12ihipStream_tbPNSt15iterator_traitsISI_E10value_typeEPNSO_ISJ_E10value_typeEPSK_NS1_7vsmem_tEENKUlT_SI_SJ_SK_E_clISD_PiSD_S10_EESH_SX_SI_SJ_SK_EUlSX_E0_NS1_11comp_targetILNS1_3genE5ELNS1_11target_archE942ELNS1_3gpuE9ELNS1_3repE0EEENS1_38merge_mergepath_config_static_selectorELNS0_4arch9wavefront6targetE1EEEvSJ_
		.amdhsa_group_segment_fixed_size 0
		.amdhsa_private_segment_fixed_size 0
		.amdhsa_kernarg_size 64
		.amdhsa_user_sgpr_count 2
		.amdhsa_user_sgpr_dispatch_ptr 0
		.amdhsa_user_sgpr_queue_ptr 0
		.amdhsa_user_sgpr_kernarg_segment_ptr 1
		.amdhsa_user_sgpr_dispatch_id 0
		.amdhsa_user_sgpr_kernarg_preload_length 0
		.amdhsa_user_sgpr_kernarg_preload_offset 0
		.amdhsa_user_sgpr_private_segment_size 0
		.amdhsa_uses_dynamic_stack 0
		.amdhsa_enable_private_segment 0
		.amdhsa_system_sgpr_workgroup_id_x 1
		.amdhsa_system_sgpr_workgroup_id_y 0
		.amdhsa_system_sgpr_workgroup_id_z 0
		.amdhsa_system_sgpr_workgroup_info 0
		.amdhsa_system_vgpr_workitem_id 0
		.amdhsa_next_free_vgpr 1
		.amdhsa_next_free_sgpr 0
		.amdhsa_accum_offset 4
		.amdhsa_reserve_vcc 0
		.amdhsa_float_round_mode_32 0
		.amdhsa_float_round_mode_16_64 0
		.amdhsa_float_denorm_mode_32 3
		.amdhsa_float_denorm_mode_16_64 3
		.amdhsa_dx10_clamp 1
		.amdhsa_ieee_mode 1
		.amdhsa_fp16_overflow 0
		.amdhsa_tg_split 0
		.amdhsa_exception_fp_ieee_invalid_op 0
		.amdhsa_exception_fp_denorm_src 0
		.amdhsa_exception_fp_ieee_div_zero 0
		.amdhsa_exception_fp_ieee_overflow 0
		.amdhsa_exception_fp_ieee_underflow 0
		.amdhsa_exception_fp_ieee_inexact 0
		.amdhsa_exception_int_div_zero 0
	.end_amdhsa_kernel
	.section	.text._ZN7rocprim17ROCPRIM_400000_NS6detail17trampoline_kernelINS0_14default_configENS1_38merge_sort_block_merge_config_selectorIiiEEZZNS1_27merge_sort_block_merge_implIS3_N6thrust23THRUST_200600_302600_NS6detail15normal_iteratorINS8_10device_ptrIiEEEESD_jNS1_19radix_merge_compareILb0ELb0EiNS0_19identity_decomposerEEEEE10hipError_tT0_T1_T2_jT3_P12ihipStream_tbPNSt15iterator_traitsISI_E10value_typeEPNSO_ISJ_E10value_typeEPSK_NS1_7vsmem_tEENKUlT_SI_SJ_SK_E_clISD_PiSD_S10_EESH_SX_SI_SJ_SK_EUlSX_E0_NS1_11comp_targetILNS1_3genE5ELNS1_11target_archE942ELNS1_3gpuE9ELNS1_3repE0EEENS1_38merge_mergepath_config_static_selectorELNS0_4arch9wavefront6targetE1EEEvSJ_,"axG",@progbits,_ZN7rocprim17ROCPRIM_400000_NS6detail17trampoline_kernelINS0_14default_configENS1_38merge_sort_block_merge_config_selectorIiiEEZZNS1_27merge_sort_block_merge_implIS3_N6thrust23THRUST_200600_302600_NS6detail15normal_iteratorINS8_10device_ptrIiEEEESD_jNS1_19radix_merge_compareILb0ELb0EiNS0_19identity_decomposerEEEEE10hipError_tT0_T1_T2_jT3_P12ihipStream_tbPNSt15iterator_traitsISI_E10value_typeEPNSO_ISJ_E10value_typeEPSK_NS1_7vsmem_tEENKUlT_SI_SJ_SK_E_clISD_PiSD_S10_EESH_SX_SI_SJ_SK_EUlSX_E0_NS1_11comp_targetILNS1_3genE5ELNS1_11target_archE942ELNS1_3gpuE9ELNS1_3repE0EEENS1_38merge_mergepath_config_static_selectorELNS0_4arch9wavefront6targetE1EEEvSJ_,comdat
.Lfunc_end742:
	.size	_ZN7rocprim17ROCPRIM_400000_NS6detail17trampoline_kernelINS0_14default_configENS1_38merge_sort_block_merge_config_selectorIiiEEZZNS1_27merge_sort_block_merge_implIS3_N6thrust23THRUST_200600_302600_NS6detail15normal_iteratorINS8_10device_ptrIiEEEESD_jNS1_19radix_merge_compareILb0ELb0EiNS0_19identity_decomposerEEEEE10hipError_tT0_T1_T2_jT3_P12ihipStream_tbPNSt15iterator_traitsISI_E10value_typeEPNSO_ISJ_E10value_typeEPSK_NS1_7vsmem_tEENKUlT_SI_SJ_SK_E_clISD_PiSD_S10_EESH_SX_SI_SJ_SK_EUlSX_E0_NS1_11comp_targetILNS1_3genE5ELNS1_11target_archE942ELNS1_3gpuE9ELNS1_3repE0EEENS1_38merge_mergepath_config_static_selectorELNS0_4arch9wavefront6targetE1EEEvSJ_, .Lfunc_end742-_ZN7rocprim17ROCPRIM_400000_NS6detail17trampoline_kernelINS0_14default_configENS1_38merge_sort_block_merge_config_selectorIiiEEZZNS1_27merge_sort_block_merge_implIS3_N6thrust23THRUST_200600_302600_NS6detail15normal_iteratorINS8_10device_ptrIiEEEESD_jNS1_19radix_merge_compareILb0ELb0EiNS0_19identity_decomposerEEEEE10hipError_tT0_T1_T2_jT3_P12ihipStream_tbPNSt15iterator_traitsISI_E10value_typeEPNSO_ISJ_E10value_typeEPSK_NS1_7vsmem_tEENKUlT_SI_SJ_SK_E_clISD_PiSD_S10_EESH_SX_SI_SJ_SK_EUlSX_E0_NS1_11comp_targetILNS1_3genE5ELNS1_11target_archE942ELNS1_3gpuE9ELNS1_3repE0EEENS1_38merge_mergepath_config_static_selectorELNS0_4arch9wavefront6targetE1EEEvSJ_
                                        ; -- End function
	.set _ZN7rocprim17ROCPRIM_400000_NS6detail17trampoline_kernelINS0_14default_configENS1_38merge_sort_block_merge_config_selectorIiiEEZZNS1_27merge_sort_block_merge_implIS3_N6thrust23THRUST_200600_302600_NS6detail15normal_iteratorINS8_10device_ptrIiEEEESD_jNS1_19radix_merge_compareILb0ELb0EiNS0_19identity_decomposerEEEEE10hipError_tT0_T1_T2_jT3_P12ihipStream_tbPNSt15iterator_traitsISI_E10value_typeEPNSO_ISJ_E10value_typeEPSK_NS1_7vsmem_tEENKUlT_SI_SJ_SK_E_clISD_PiSD_S10_EESH_SX_SI_SJ_SK_EUlSX_E0_NS1_11comp_targetILNS1_3genE5ELNS1_11target_archE942ELNS1_3gpuE9ELNS1_3repE0EEENS1_38merge_mergepath_config_static_selectorELNS0_4arch9wavefront6targetE1EEEvSJ_.num_vgpr, 0
	.set _ZN7rocprim17ROCPRIM_400000_NS6detail17trampoline_kernelINS0_14default_configENS1_38merge_sort_block_merge_config_selectorIiiEEZZNS1_27merge_sort_block_merge_implIS3_N6thrust23THRUST_200600_302600_NS6detail15normal_iteratorINS8_10device_ptrIiEEEESD_jNS1_19radix_merge_compareILb0ELb0EiNS0_19identity_decomposerEEEEE10hipError_tT0_T1_T2_jT3_P12ihipStream_tbPNSt15iterator_traitsISI_E10value_typeEPNSO_ISJ_E10value_typeEPSK_NS1_7vsmem_tEENKUlT_SI_SJ_SK_E_clISD_PiSD_S10_EESH_SX_SI_SJ_SK_EUlSX_E0_NS1_11comp_targetILNS1_3genE5ELNS1_11target_archE942ELNS1_3gpuE9ELNS1_3repE0EEENS1_38merge_mergepath_config_static_selectorELNS0_4arch9wavefront6targetE1EEEvSJ_.num_agpr, 0
	.set _ZN7rocprim17ROCPRIM_400000_NS6detail17trampoline_kernelINS0_14default_configENS1_38merge_sort_block_merge_config_selectorIiiEEZZNS1_27merge_sort_block_merge_implIS3_N6thrust23THRUST_200600_302600_NS6detail15normal_iteratorINS8_10device_ptrIiEEEESD_jNS1_19radix_merge_compareILb0ELb0EiNS0_19identity_decomposerEEEEE10hipError_tT0_T1_T2_jT3_P12ihipStream_tbPNSt15iterator_traitsISI_E10value_typeEPNSO_ISJ_E10value_typeEPSK_NS1_7vsmem_tEENKUlT_SI_SJ_SK_E_clISD_PiSD_S10_EESH_SX_SI_SJ_SK_EUlSX_E0_NS1_11comp_targetILNS1_3genE5ELNS1_11target_archE942ELNS1_3gpuE9ELNS1_3repE0EEENS1_38merge_mergepath_config_static_selectorELNS0_4arch9wavefront6targetE1EEEvSJ_.numbered_sgpr, 0
	.set _ZN7rocprim17ROCPRIM_400000_NS6detail17trampoline_kernelINS0_14default_configENS1_38merge_sort_block_merge_config_selectorIiiEEZZNS1_27merge_sort_block_merge_implIS3_N6thrust23THRUST_200600_302600_NS6detail15normal_iteratorINS8_10device_ptrIiEEEESD_jNS1_19radix_merge_compareILb0ELb0EiNS0_19identity_decomposerEEEEE10hipError_tT0_T1_T2_jT3_P12ihipStream_tbPNSt15iterator_traitsISI_E10value_typeEPNSO_ISJ_E10value_typeEPSK_NS1_7vsmem_tEENKUlT_SI_SJ_SK_E_clISD_PiSD_S10_EESH_SX_SI_SJ_SK_EUlSX_E0_NS1_11comp_targetILNS1_3genE5ELNS1_11target_archE942ELNS1_3gpuE9ELNS1_3repE0EEENS1_38merge_mergepath_config_static_selectorELNS0_4arch9wavefront6targetE1EEEvSJ_.num_named_barrier, 0
	.set _ZN7rocprim17ROCPRIM_400000_NS6detail17trampoline_kernelINS0_14default_configENS1_38merge_sort_block_merge_config_selectorIiiEEZZNS1_27merge_sort_block_merge_implIS3_N6thrust23THRUST_200600_302600_NS6detail15normal_iteratorINS8_10device_ptrIiEEEESD_jNS1_19radix_merge_compareILb0ELb0EiNS0_19identity_decomposerEEEEE10hipError_tT0_T1_T2_jT3_P12ihipStream_tbPNSt15iterator_traitsISI_E10value_typeEPNSO_ISJ_E10value_typeEPSK_NS1_7vsmem_tEENKUlT_SI_SJ_SK_E_clISD_PiSD_S10_EESH_SX_SI_SJ_SK_EUlSX_E0_NS1_11comp_targetILNS1_3genE5ELNS1_11target_archE942ELNS1_3gpuE9ELNS1_3repE0EEENS1_38merge_mergepath_config_static_selectorELNS0_4arch9wavefront6targetE1EEEvSJ_.private_seg_size, 0
	.set _ZN7rocprim17ROCPRIM_400000_NS6detail17trampoline_kernelINS0_14default_configENS1_38merge_sort_block_merge_config_selectorIiiEEZZNS1_27merge_sort_block_merge_implIS3_N6thrust23THRUST_200600_302600_NS6detail15normal_iteratorINS8_10device_ptrIiEEEESD_jNS1_19radix_merge_compareILb0ELb0EiNS0_19identity_decomposerEEEEE10hipError_tT0_T1_T2_jT3_P12ihipStream_tbPNSt15iterator_traitsISI_E10value_typeEPNSO_ISJ_E10value_typeEPSK_NS1_7vsmem_tEENKUlT_SI_SJ_SK_E_clISD_PiSD_S10_EESH_SX_SI_SJ_SK_EUlSX_E0_NS1_11comp_targetILNS1_3genE5ELNS1_11target_archE942ELNS1_3gpuE9ELNS1_3repE0EEENS1_38merge_mergepath_config_static_selectorELNS0_4arch9wavefront6targetE1EEEvSJ_.uses_vcc, 0
	.set _ZN7rocprim17ROCPRIM_400000_NS6detail17trampoline_kernelINS0_14default_configENS1_38merge_sort_block_merge_config_selectorIiiEEZZNS1_27merge_sort_block_merge_implIS3_N6thrust23THRUST_200600_302600_NS6detail15normal_iteratorINS8_10device_ptrIiEEEESD_jNS1_19radix_merge_compareILb0ELb0EiNS0_19identity_decomposerEEEEE10hipError_tT0_T1_T2_jT3_P12ihipStream_tbPNSt15iterator_traitsISI_E10value_typeEPNSO_ISJ_E10value_typeEPSK_NS1_7vsmem_tEENKUlT_SI_SJ_SK_E_clISD_PiSD_S10_EESH_SX_SI_SJ_SK_EUlSX_E0_NS1_11comp_targetILNS1_3genE5ELNS1_11target_archE942ELNS1_3gpuE9ELNS1_3repE0EEENS1_38merge_mergepath_config_static_selectorELNS0_4arch9wavefront6targetE1EEEvSJ_.uses_flat_scratch, 0
	.set _ZN7rocprim17ROCPRIM_400000_NS6detail17trampoline_kernelINS0_14default_configENS1_38merge_sort_block_merge_config_selectorIiiEEZZNS1_27merge_sort_block_merge_implIS3_N6thrust23THRUST_200600_302600_NS6detail15normal_iteratorINS8_10device_ptrIiEEEESD_jNS1_19radix_merge_compareILb0ELb0EiNS0_19identity_decomposerEEEEE10hipError_tT0_T1_T2_jT3_P12ihipStream_tbPNSt15iterator_traitsISI_E10value_typeEPNSO_ISJ_E10value_typeEPSK_NS1_7vsmem_tEENKUlT_SI_SJ_SK_E_clISD_PiSD_S10_EESH_SX_SI_SJ_SK_EUlSX_E0_NS1_11comp_targetILNS1_3genE5ELNS1_11target_archE942ELNS1_3gpuE9ELNS1_3repE0EEENS1_38merge_mergepath_config_static_selectorELNS0_4arch9wavefront6targetE1EEEvSJ_.has_dyn_sized_stack, 0
	.set _ZN7rocprim17ROCPRIM_400000_NS6detail17trampoline_kernelINS0_14default_configENS1_38merge_sort_block_merge_config_selectorIiiEEZZNS1_27merge_sort_block_merge_implIS3_N6thrust23THRUST_200600_302600_NS6detail15normal_iteratorINS8_10device_ptrIiEEEESD_jNS1_19radix_merge_compareILb0ELb0EiNS0_19identity_decomposerEEEEE10hipError_tT0_T1_T2_jT3_P12ihipStream_tbPNSt15iterator_traitsISI_E10value_typeEPNSO_ISJ_E10value_typeEPSK_NS1_7vsmem_tEENKUlT_SI_SJ_SK_E_clISD_PiSD_S10_EESH_SX_SI_SJ_SK_EUlSX_E0_NS1_11comp_targetILNS1_3genE5ELNS1_11target_archE942ELNS1_3gpuE9ELNS1_3repE0EEENS1_38merge_mergepath_config_static_selectorELNS0_4arch9wavefront6targetE1EEEvSJ_.has_recursion, 0
	.set _ZN7rocprim17ROCPRIM_400000_NS6detail17trampoline_kernelINS0_14default_configENS1_38merge_sort_block_merge_config_selectorIiiEEZZNS1_27merge_sort_block_merge_implIS3_N6thrust23THRUST_200600_302600_NS6detail15normal_iteratorINS8_10device_ptrIiEEEESD_jNS1_19radix_merge_compareILb0ELb0EiNS0_19identity_decomposerEEEEE10hipError_tT0_T1_T2_jT3_P12ihipStream_tbPNSt15iterator_traitsISI_E10value_typeEPNSO_ISJ_E10value_typeEPSK_NS1_7vsmem_tEENKUlT_SI_SJ_SK_E_clISD_PiSD_S10_EESH_SX_SI_SJ_SK_EUlSX_E0_NS1_11comp_targetILNS1_3genE5ELNS1_11target_archE942ELNS1_3gpuE9ELNS1_3repE0EEENS1_38merge_mergepath_config_static_selectorELNS0_4arch9wavefront6targetE1EEEvSJ_.has_indirect_call, 0
	.section	.AMDGPU.csdata,"",@progbits
; Kernel info:
; codeLenInByte = 0
; TotalNumSgprs: 6
; NumVgprs: 0
; NumAgprs: 0
; TotalNumVgprs: 0
; ScratchSize: 0
; MemoryBound: 0
; FloatMode: 240
; IeeeMode: 1
; LDSByteSize: 0 bytes/workgroup (compile time only)
; SGPRBlocks: 0
; VGPRBlocks: 0
; NumSGPRsForWavesPerEU: 6
; NumVGPRsForWavesPerEU: 1
; AccumOffset: 4
; Occupancy: 8
; WaveLimiterHint : 0
; COMPUTE_PGM_RSRC2:SCRATCH_EN: 0
; COMPUTE_PGM_RSRC2:USER_SGPR: 2
; COMPUTE_PGM_RSRC2:TRAP_HANDLER: 0
; COMPUTE_PGM_RSRC2:TGID_X_EN: 1
; COMPUTE_PGM_RSRC2:TGID_Y_EN: 0
; COMPUTE_PGM_RSRC2:TGID_Z_EN: 0
; COMPUTE_PGM_RSRC2:TIDIG_COMP_CNT: 0
; COMPUTE_PGM_RSRC3_GFX90A:ACCUM_OFFSET: 0
; COMPUTE_PGM_RSRC3_GFX90A:TG_SPLIT: 0
	.section	.text._ZN7rocprim17ROCPRIM_400000_NS6detail17trampoline_kernelINS0_14default_configENS1_38merge_sort_block_merge_config_selectorIiiEEZZNS1_27merge_sort_block_merge_implIS3_N6thrust23THRUST_200600_302600_NS6detail15normal_iteratorINS8_10device_ptrIiEEEESD_jNS1_19radix_merge_compareILb0ELb0EiNS0_19identity_decomposerEEEEE10hipError_tT0_T1_T2_jT3_P12ihipStream_tbPNSt15iterator_traitsISI_E10value_typeEPNSO_ISJ_E10value_typeEPSK_NS1_7vsmem_tEENKUlT_SI_SJ_SK_E_clISD_PiSD_S10_EESH_SX_SI_SJ_SK_EUlSX_E0_NS1_11comp_targetILNS1_3genE4ELNS1_11target_archE910ELNS1_3gpuE8ELNS1_3repE0EEENS1_38merge_mergepath_config_static_selectorELNS0_4arch9wavefront6targetE1EEEvSJ_,"axG",@progbits,_ZN7rocprim17ROCPRIM_400000_NS6detail17trampoline_kernelINS0_14default_configENS1_38merge_sort_block_merge_config_selectorIiiEEZZNS1_27merge_sort_block_merge_implIS3_N6thrust23THRUST_200600_302600_NS6detail15normal_iteratorINS8_10device_ptrIiEEEESD_jNS1_19radix_merge_compareILb0ELb0EiNS0_19identity_decomposerEEEEE10hipError_tT0_T1_T2_jT3_P12ihipStream_tbPNSt15iterator_traitsISI_E10value_typeEPNSO_ISJ_E10value_typeEPSK_NS1_7vsmem_tEENKUlT_SI_SJ_SK_E_clISD_PiSD_S10_EESH_SX_SI_SJ_SK_EUlSX_E0_NS1_11comp_targetILNS1_3genE4ELNS1_11target_archE910ELNS1_3gpuE8ELNS1_3repE0EEENS1_38merge_mergepath_config_static_selectorELNS0_4arch9wavefront6targetE1EEEvSJ_,comdat
	.protected	_ZN7rocprim17ROCPRIM_400000_NS6detail17trampoline_kernelINS0_14default_configENS1_38merge_sort_block_merge_config_selectorIiiEEZZNS1_27merge_sort_block_merge_implIS3_N6thrust23THRUST_200600_302600_NS6detail15normal_iteratorINS8_10device_ptrIiEEEESD_jNS1_19radix_merge_compareILb0ELb0EiNS0_19identity_decomposerEEEEE10hipError_tT0_T1_T2_jT3_P12ihipStream_tbPNSt15iterator_traitsISI_E10value_typeEPNSO_ISJ_E10value_typeEPSK_NS1_7vsmem_tEENKUlT_SI_SJ_SK_E_clISD_PiSD_S10_EESH_SX_SI_SJ_SK_EUlSX_E0_NS1_11comp_targetILNS1_3genE4ELNS1_11target_archE910ELNS1_3gpuE8ELNS1_3repE0EEENS1_38merge_mergepath_config_static_selectorELNS0_4arch9wavefront6targetE1EEEvSJ_ ; -- Begin function _ZN7rocprim17ROCPRIM_400000_NS6detail17trampoline_kernelINS0_14default_configENS1_38merge_sort_block_merge_config_selectorIiiEEZZNS1_27merge_sort_block_merge_implIS3_N6thrust23THRUST_200600_302600_NS6detail15normal_iteratorINS8_10device_ptrIiEEEESD_jNS1_19radix_merge_compareILb0ELb0EiNS0_19identity_decomposerEEEEE10hipError_tT0_T1_T2_jT3_P12ihipStream_tbPNSt15iterator_traitsISI_E10value_typeEPNSO_ISJ_E10value_typeEPSK_NS1_7vsmem_tEENKUlT_SI_SJ_SK_E_clISD_PiSD_S10_EESH_SX_SI_SJ_SK_EUlSX_E0_NS1_11comp_targetILNS1_3genE4ELNS1_11target_archE910ELNS1_3gpuE8ELNS1_3repE0EEENS1_38merge_mergepath_config_static_selectorELNS0_4arch9wavefront6targetE1EEEvSJ_
	.globl	_ZN7rocprim17ROCPRIM_400000_NS6detail17trampoline_kernelINS0_14default_configENS1_38merge_sort_block_merge_config_selectorIiiEEZZNS1_27merge_sort_block_merge_implIS3_N6thrust23THRUST_200600_302600_NS6detail15normal_iteratorINS8_10device_ptrIiEEEESD_jNS1_19radix_merge_compareILb0ELb0EiNS0_19identity_decomposerEEEEE10hipError_tT0_T1_T2_jT3_P12ihipStream_tbPNSt15iterator_traitsISI_E10value_typeEPNSO_ISJ_E10value_typeEPSK_NS1_7vsmem_tEENKUlT_SI_SJ_SK_E_clISD_PiSD_S10_EESH_SX_SI_SJ_SK_EUlSX_E0_NS1_11comp_targetILNS1_3genE4ELNS1_11target_archE910ELNS1_3gpuE8ELNS1_3repE0EEENS1_38merge_mergepath_config_static_selectorELNS0_4arch9wavefront6targetE1EEEvSJ_
	.p2align	8
	.type	_ZN7rocprim17ROCPRIM_400000_NS6detail17trampoline_kernelINS0_14default_configENS1_38merge_sort_block_merge_config_selectorIiiEEZZNS1_27merge_sort_block_merge_implIS3_N6thrust23THRUST_200600_302600_NS6detail15normal_iteratorINS8_10device_ptrIiEEEESD_jNS1_19radix_merge_compareILb0ELb0EiNS0_19identity_decomposerEEEEE10hipError_tT0_T1_T2_jT3_P12ihipStream_tbPNSt15iterator_traitsISI_E10value_typeEPNSO_ISJ_E10value_typeEPSK_NS1_7vsmem_tEENKUlT_SI_SJ_SK_E_clISD_PiSD_S10_EESH_SX_SI_SJ_SK_EUlSX_E0_NS1_11comp_targetILNS1_3genE4ELNS1_11target_archE910ELNS1_3gpuE8ELNS1_3repE0EEENS1_38merge_mergepath_config_static_selectorELNS0_4arch9wavefront6targetE1EEEvSJ_,@function
_ZN7rocprim17ROCPRIM_400000_NS6detail17trampoline_kernelINS0_14default_configENS1_38merge_sort_block_merge_config_selectorIiiEEZZNS1_27merge_sort_block_merge_implIS3_N6thrust23THRUST_200600_302600_NS6detail15normal_iteratorINS8_10device_ptrIiEEEESD_jNS1_19radix_merge_compareILb0ELb0EiNS0_19identity_decomposerEEEEE10hipError_tT0_T1_T2_jT3_P12ihipStream_tbPNSt15iterator_traitsISI_E10value_typeEPNSO_ISJ_E10value_typeEPSK_NS1_7vsmem_tEENKUlT_SI_SJ_SK_E_clISD_PiSD_S10_EESH_SX_SI_SJ_SK_EUlSX_E0_NS1_11comp_targetILNS1_3genE4ELNS1_11target_archE910ELNS1_3gpuE8ELNS1_3repE0EEENS1_38merge_mergepath_config_static_selectorELNS0_4arch9wavefront6targetE1EEEvSJ_: ; @_ZN7rocprim17ROCPRIM_400000_NS6detail17trampoline_kernelINS0_14default_configENS1_38merge_sort_block_merge_config_selectorIiiEEZZNS1_27merge_sort_block_merge_implIS3_N6thrust23THRUST_200600_302600_NS6detail15normal_iteratorINS8_10device_ptrIiEEEESD_jNS1_19radix_merge_compareILb0ELb0EiNS0_19identity_decomposerEEEEE10hipError_tT0_T1_T2_jT3_P12ihipStream_tbPNSt15iterator_traitsISI_E10value_typeEPNSO_ISJ_E10value_typeEPSK_NS1_7vsmem_tEENKUlT_SI_SJ_SK_E_clISD_PiSD_S10_EESH_SX_SI_SJ_SK_EUlSX_E0_NS1_11comp_targetILNS1_3genE4ELNS1_11target_archE910ELNS1_3gpuE8ELNS1_3repE0EEENS1_38merge_mergepath_config_static_selectorELNS0_4arch9wavefront6targetE1EEEvSJ_
; %bb.0:
	.section	.rodata,"a",@progbits
	.p2align	6, 0x0
	.amdhsa_kernel _ZN7rocprim17ROCPRIM_400000_NS6detail17trampoline_kernelINS0_14default_configENS1_38merge_sort_block_merge_config_selectorIiiEEZZNS1_27merge_sort_block_merge_implIS3_N6thrust23THRUST_200600_302600_NS6detail15normal_iteratorINS8_10device_ptrIiEEEESD_jNS1_19radix_merge_compareILb0ELb0EiNS0_19identity_decomposerEEEEE10hipError_tT0_T1_T2_jT3_P12ihipStream_tbPNSt15iterator_traitsISI_E10value_typeEPNSO_ISJ_E10value_typeEPSK_NS1_7vsmem_tEENKUlT_SI_SJ_SK_E_clISD_PiSD_S10_EESH_SX_SI_SJ_SK_EUlSX_E0_NS1_11comp_targetILNS1_3genE4ELNS1_11target_archE910ELNS1_3gpuE8ELNS1_3repE0EEENS1_38merge_mergepath_config_static_selectorELNS0_4arch9wavefront6targetE1EEEvSJ_
		.amdhsa_group_segment_fixed_size 0
		.amdhsa_private_segment_fixed_size 0
		.amdhsa_kernarg_size 64
		.amdhsa_user_sgpr_count 2
		.amdhsa_user_sgpr_dispatch_ptr 0
		.amdhsa_user_sgpr_queue_ptr 0
		.amdhsa_user_sgpr_kernarg_segment_ptr 1
		.amdhsa_user_sgpr_dispatch_id 0
		.amdhsa_user_sgpr_kernarg_preload_length 0
		.amdhsa_user_sgpr_kernarg_preload_offset 0
		.amdhsa_user_sgpr_private_segment_size 0
		.amdhsa_uses_dynamic_stack 0
		.amdhsa_enable_private_segment 0
		.amdhsa_system_sgpr_workgroup_id_x 1
		.amdhsa_system_sgpr_workgroup_id_y 0
		.amdhsa_system_sgpr_workgroup_id_z 0
		.amdhsa_system_sgpr_workgroup_info 0
		.amdhsa_system_vgpr_workitem_id 0
		.amdhsa_next_free_vgpr 1
		.amdhsa_next_free_sgpr 0
		.amdhsa_accum_offset 4
		.amdhsa_reserve_vcc 0
		.amdhsa_float_round_mode_32 0
		.amdhsa_float_round_mode_16_64 0
		.amdhsa_float_denorm_mode_32 3
		.amdhsa_float_denorm_mode_16_64 3
		.amdhsa_dx10_clamp 1
		.amdhsa_ieee_mode 1
		.amdhsa_fp16_overflow 0
		.amdhsa_tg_split 0
		.amdhsa_exception_fp_ieee_invalid_op 0
		.amdhsa_exception_fp_denorm_src 0
		.amdhsa_exception_fp_ieee_div_zero 0
		.amdhsa_exception_fp_ieee_overflow 0
		.amdhsa_exception_fp_ieee_underflow 0
		.amdhsa_exception_fp_ieee_inexact 0
		.amdhsa_exception_int_div_zero 0
	.end_amdhsa_kernel
	.section	.text._ZN7rocprim17ROCPRIM_400000_NS6detail17trampoline_kernelINS0_14default_configENS1_38merge_sort_block_merge_config_selectorIiiEEZZNS1_27merge_sort_block_merge_implIS3_N6thrust23THRUST_200600_302600_NS6detail15normal_iteratorINS8_10device_ptrIiEEEESD_jNS1_19radix_merge_compareILb0ELb0EiNS0_19identity_decomposerEEEEE10hipError_tT0_T1_T2_jT3_P12ihipStream_tbPNSt15iterator_traitsISI_E10value_typeEPNSO_ISJ_E10value_typeEPSK_NS1_7vsmem_tEENKUlT_SI_SJ_SK_E_clISD_PiSD_S10_EESH_SX_SI_SJ_SK_EUlSX_E0_NS1_11comp_targetILNS1_3genE4ELNS1_11target_archE910ELNS1_3gpuE8ELNS1_3repE0EEENS1_38merge_mergepath_config_static_selectorELNS0_4arch9wavefront6targetE1EEEvSJ_,"axG",@progbits,_ZN7rocprim17ROCPRIM_400000_NS6detail17trampoline_kernelINS0_14default_configENS1_38merge_sort_block_merge_config_selectorIiiEEZZNS1_27merge_sort_block_merge_implIS3_N6thrust23THRUST_200600_302600_NS6detail15normal_iteratorINS8_10device_ptrIiEEEESD_jNS1_19radix_merge_compareILb0ELb0EiNS0_19identity_decomposerEEEEE10hipError_tT0_T1_T2_jT3_P12ihipStream_tbPNSt15iterator_traitsISI_E10value_typeEPNSO_ISJ_E10value_typeEPSK_NS1_7vsmem_tEENKUlT_SI_SJ_SK_E_clISD_PiSD_S10_EESH_SX_SI_SJ_SK_EUlSX_E0_NS1_11comp_targetILNS1_3genE4ELNS1_11target_archE910ELNS1_3gpuE8ELNS1_3repE0EEENS1_38merge_mergepath_config_static_selectorELNS0_4arch9wavefront6targetE1EEEvSJ_,comdat
.Lfunc_end743:
	.size	_ZN7rocprim17ROCPRIM_400000_NS6detail17trampoline_kernelINS0_14default_configENS1_38merge_sort_block_merge_config_selectorIiiEEZZNS1_27merge_sort_block_merge_implIS3_N6thrust23THRUST_200600_302600_NS6detail15normal_iteratorINS8_10device_ptrIiEEEESD_jNS1_19radix_merge_compareILb0ELb0EiNS0_19identity_decomposerEEEEE10hipError_tT0_T1_T2_jT3_P12ihipStream_tbPNSt15iterator_traitsISI_E10value_typeEPNSO_ISJ_E10value_typeEPSK_NS1_7vsmem_tEENKUlT_SI_SJ_SK_E_clISD_PiSD_S10_EESH_SX_SI_SJ_SK_EUlSX_E0_NS1_11comp_targetILNS1_3genE4ELNS1_11target_archE910ELNS1_3gpuE8ELNS1_3repE0EEENS1_38merge_mergepath_config_static_selectorELNS0_4arch9wavefront6targetE1EEEvSJ_, .Lfunc_end743-_ZN7rocprim17ROCPRIM_400000_NS6detail17trampoline_kernelINS0_14default_configENS1_38merge_sort_block_merge_config_selectorIiiEEZZNS1_27merge_sort_block_merge_implIS3_N6thrust23THRUST_200600_302600_NS6detail15normal_iteratorINS8_10device_ptrIiEEEESD_jNS1_19radix_merge_compareILb0ELb0EiNS0_19identity_decomposerEEEEE10hipError_tT0_T1_T2_jT3_P12ihipStream_tbPNSt15iterator_traitsISI_E10value_typeEPNSO_ISJ_E10value_typeEPSK_NS1_7vsmem_tEENKUlT_SI_SJ_SK_E_clISD_PiSD_S10_EESH_SX_SI_SJ_SK_EUlSX_E0_NS1_11comp_targetILNS1_3genE4ELNS1_11target_archE910ELNS1_3gpuE8ELNS1_3repE0EEENS1_38merge_mergepath_config_static_selectorELNS0_4arch9wavefront6targetE1EEEvSJ_
                                        ; -- End function
	.set _ZN7rocprim17ROCPRIM_400000_NS6detail17trampoline_kernelINS0_14default_configENS1_38merge_sort_block_merge_config_selectorIiiEEZZNS1_27merge_sort_block_merge_implIS3_N6thrust23THRUST_200600_302600_NS6detail15normal_iteratorINS8_10device_ptrIiEEEESD_jNS1_19radix_merge_compareILb0ELb0EiNS0_19identity_decomposerEEEEE10hipError_tT0_T1_T2_jT3_P12ihipStream_tbPNSt15iterator_traitsISI_E10value_typeEPNSO_ISJ_E10value_typeEPSK_NS1_7vsmem_tEENKUlT_SI_SJ_SK_E_clISD_PiSD_S10_EESH_SX_SI_SJ_SK_EUlSX_E0_NS1_11comp_targetILNS1_3genE4ELNS1_11target_archE910ELNS1_3gpuE8ELNS1_3repE0EEENS1_38merge_mergepath_config_static_selectorELNS0_4arch9wavefront6targetE1EEEvSJ_.num_vgpr, 0
	.set _ZN7rocprim17ROCPRIM_400000_NS6detail17trampoline_kernelINS0_14default_configENS1_38merge_sort_block_merge_config_selectorIiiEEZZNS1_27merge_sort_block_merge_implIS3_N6thrust23THRUST_200600_302600_NS6detail15normal_iteratorINS8_10device_ptrIiEEEESD_jNS1_19radix_merge_compareILb0ELb0EiNS0_19identity_decomposerEEEEE10hipError_tT0_T1_T2_jT3_P12ihipStream_tbPNSt15iterator_traitsISI_E10value_typeEPNSO_ISJ_E10value_typeEPSK_NS1_7vsmem_tEENKUlT_SI_SJ_SK_E_clISD_PiSD_S10_EESH_SX_SI_SJ_SK_EUlSX_E0_NS1_11comp_targetILNS1_3genE4ELNS1_11target_archE910ELNS1_3gpuE8ELNS1_3repE0EEENS1_38merge_mergepath_config_static_selectorELNS0_4arch9wavefront6targetE1EEEvSJ_.num_agpr, 0
	.set _ZN7rocprim17ROCPRIM_400000_NS6detail17trampoline_kernelINS0_14default_configENS1_38merge_sort_block_merge_config_selectorIiiEEZZNS1_27merge_sort_block_merge_implIS3_N6thrust23THRUST_200600_302600_NS6detail15normal_iteratorINS8_10device_ptrIiEEEESD_jNS1_19radix_merge_compareILb0ELb0EiNS0_19identity_decomposerEEEEE10hipError_tT0_T1_T2_jT3_P12ihipStream_tbPNSt15iterator_traitsISI_E10value_typeEPNSO_ISJ_E10value_typeEPSK_NS1_7vsmem_tEENKUlT_SI_SJ_SK_E_clISD_PiSD_S10_EESH_SX_SI_SJ_SK_EUlSX_E0_NS1_11comp_targetILNS1_3genE4ELNS1_11target_archE910ELNS1_3gpuE8ELNS1_3repE0EEENS1_38merge_mergepath_config_static_selectorELNS0_4arch9wavefront6targetE1EEEvSJ_.numbered_sgpr, 0
	.set _ZN7rocprim17ROCPRIM_400000_NS6detail17trampoline_kernelINS0_14default_configENS1_38merge_sort_block_merge_config_selectorIiiEEZZNS1_27merge_sort_block_merge_implIS3_N6thrust23THRUST_200600_302600_NS6detail15normal_iteratorINS8_10device_ptrIiEEEESD_jNS1_19radix_merge_compareILb0ELb0EiNS0_19identity_decomposerEEEEE10hipError_tT0_T1_T2_jT3_P12ihipStream_tbPNSt15iterator_traitsISI_E10value_typeEPNSO_ISJ_E10value_typeEPSK_NS1_7vsmem_tEENKUlT_SI_SJ_SK_E_clISD_PiSD_S10_EESH_SX_SI_SJ_SK_EUlSX_E0_NS1_11comp_targetILNS1_3genE4ELNS1_11target_archE910ELNS1_3gpuE8ELNS1_3repE0EEENS1_38merge_mergepath_config_static_selectorELNS0_4arch9wavefront6targetE1EEEvSJ_.num_named_barrier, 0
	.set _ZN7rocprim17ROCPRIM_400000_NS6detail17trampoline_kernelINS0_14default_configENS1_38merge_sort_block_merge_config_selectorIiiEEZZNS1_27merge_sort_block_merge_implIS3_N6thrust23THRUST_200600_302600_NS6detail15normal_iteratorINS8_10device_ptrIiEEEESD_jNS1_19radix_merge_compareILb0ELb0EiNS0_19identity_decomposerEEEEE10hipError_tT0_T1_T2_jT3_P12ihipStream_tbPNSt15iterator_traitsISI_E10value_typeEPNSO_ISJ_E10value_typeEPSK_NS1_7vsmem_tEENKUlT_SI_SJ_SK_E_clISD_PiSD_S10_EESH_SX_SI_SJ_SK_EUlSX_E0_NS1_11comp_targetILNS1_3genE4ELNS1_11target_archE910ELNS1_3gpuE8ELNS1_3repE0EEENS1_38merge_mergepath_config_static_selectorELNS0_4arch9wavefront6targetE1EEEvSJ_.private_seg_size, 0
	.set _ZN7rocprim17ROCPRIM_400000_NS6detail17trampoline_kernelINS0_14default_configENS1_38merge_sort_block_merge_config_selectorIiiEEZZNS1_27merge_sort_block_merge_implIS3_N6thrust23THRUST_200600_302600_NS6detail15normal_iteratorINS8_10device_ptrIiEEEESD_jNS1_19radix_merge_compareILb0ELb0EiNS0_19identity_decomposerEEEEE10hipError_tT0_T1_T2_jT3_P12ihipStream_tbPNSt15iterator_traitsISI_E10value_typeEPNSO_ISJ_E10value_typeEPSK_NS1_7vsmem_tEENKUlT_SI_SJ_SK_E_clISD_PiSD_S10_EESH_SX_SI_SJ_SK_EUlSX_E0_NS1_11comp_targetILNS1_3genE4ELNS1_11target_archE910ELNS1_3gpuE8ELNS1_3repE0EEENS1_38merge_mergepath_config_static_selectorELNS0_4arch9wavefront6targetE1EEEvSJ_.uses_vcc, 0
	.set _ZN7rocprim17ROCPRIM_400000_NS6detail17trampoline_kernelINS0_14default_configENS1_38merge_sort_block_merge_config_selectorIiiEEZZNS1_27merge_sort_block_merge_implIS3_N6thrust23THRUST_200600_302600_NS6detail15normal_iteratorINS8_10device_ptrIiEEEESD_jNS1_19radix_merge_compareILb0ELb0EiNS0_19identity_decomposerEEEEE10hipError_tT0_T1_T2_jT3_P12ihipStream_tbPNSt15iterator_traitsISI_E10value_typeEPNSO_ISJ_E10value_typeEPSK_NS1_7vsmem_tEENKUlT_SI_SJ_SK_E_clISD_PiSD_S10_EESH_SX_SI_SJ_SK_EUlSX_E0_NS1_11comp_targetILNS1_3genE4ELNS1_11target_archE910ELNS1_3gpuE8ELNS1_3repE0EEENS1_38merge_mergepath_config_static_selectorELNS0_4arch9wavefront6targetE1EEEvSJ_.uses_flat_scratch, 0
	.set _ZN7rocprim17ROCPRIM_400000_NS6detail17trampoline_kernelINS0_14default_configENS1_38merge_sort_block_merge_config_selectorIiiEEZZNS1_27merge_sort_block_merge_implIS3_N6thrust23THRUST_200600_302600_NS6detail15normal_iteratorINS8_10device_ptrIiEEEESD_jNS1_19radix_merge_compareILb0ELb0EiNS0_19identity_decomposerEEEEE10hipError_tT0_T1_T2_jT3_P12ihipStream_tbPNSt15iterator_traitsISI_E10value_typeEPNSO_ISJ_E10value_typeEPSK_NS1_7vsmem_tEENKUlT_SI_SJ_SK_E_clISD_PiSD_S10_EESH_SX_SI_SJ_SK_EUlSX_E0_NS1_11comp_targetILNS1_3genE4ELNS1_11target_archE910ELNS1_3gpuE8ELNS1_3repE0EEENS1_38merge_mergepath_config_static_selectorELNS0_4arch9wavefront6targetE1EEEvSJ_.has_dyn_sized_stack, 0
	.set _ZN7rocprim17ROCPRIM_400000_NS6detail17trampoline_kernelINS0_14default_configENS1_38merge_sort_block_merge_config_selectorIiiEEZZNS1_27merge_sort_block_merge_implIS3_N6thrust23THRUST_200600_302600_NS6detail15normal_iteratorINS8_10device_ptrIiEEEESD_jNS1_19radix_merge_compareILb0ELb0EiNS0_19identity_decomposerEEEEE10hipError_tT0_T1_T2_jT3_P12ihipStream_tbPNSt15iterator_traitsISI_E10value_typeEPNSO_ISJ_E10value_typeEPSK_NS1_7vsmem_tEENKUlT_SI_SJ_SK_E_clISD_PiSD_S10_EESH_SX_SI_SJ_SK_EUlSX_E0_NS1_11comp_targetILNS1_3genE4ELNS1_11target_archE910ELNS1_3gpuE8ELNS1_3repE0EEENS1_38merge_mergepath_config_static_selectorELNS0_4arch9wavefront6targetE1EEEvSJ_.has_recursion, 0
	.set _ZN7rocprim17ROCPRIM_400000_NS6detail17trampoline_kernelINS0_14default_configENS1_38merge_sort_block_merge_config_selectorIiiEEZZNS1_27merge_sort_block_merge_implIS3_N6thrust23THRUST_200600_302600_NS6detail15normal_iteratorINS8_10device_ptrIiEEEESD_jNS1_19radix_merge_compareILb0ELb0EiNS0_19identity_decomposerEEEEE10hipError_tT0_T1_T2_jT3_P12ihipStream_tbPNSt15iterator_traitsISI_E10value_typeEPNSO_ISJ_E10value_typeEPSK_NS1_7vsmem_tEENKUlT_SI_SJ_SK_E_clISD_PiSD_S10_EESH_SX_SI_SJ_SK_EUlSX_E0_NS1_11comp_targetILNS1_3genE4ELNS1_11target_archE910ELNS1_3gpuE8ELNS1_3repE0EEENS1_38merge_mergepath_config_static_selectorELNS0_4arch9wavefront6targetE1EEEvSJ_.has_indirect_call, 0
	.section	.AMDGPU.csdata,"",@progbits
; Kernel info:
; codeLenInByte = 0
; TotalNumSgprs: 6
; NumVgprs: 0
; NumAgprs: 0
; TotalNumVgprs: 0
; ScratchSize: 0
; MemoryBound: 0
; FloatMode: 240
; IeeeMode: 1
; LDSByteSize: 0 bytes/workgroup (compile time only)
; SGPRBlocks: 0
; VGPRBlocks: 0
; NumSGPRsForWavesPerEU: 6
; NumVGPRsForWavesPerEU: 1
; AccumOffset: 4
; Occupancy: 8
; WaveLimiterHint : 0
; COMPUTE_PGM_RSRC2:SCRATCH_EN: 0
; COMPUTE_PGM_RSRC2:USER_SGPR: 2
; COMPUTE_PGM_RSRC2:TRAP_HANDLER: 0
; COMPUTE_PGM_RSRC2:TGID_X_EN: 1
; COMPUTE_PGM_RSRC2:TGID_Y_EN: 0
; COMPUTE_PGM_RSRC2:TGID_Z_EN: 0
; COMPUTE_PGM_RSRC2:TIDIG_COMP_CNT: 0
; COMPUTE_PGM_RSRC3_GFX90A:ACCUM_OFFSET: 0
; COMPUTE_PGM_RSRC3_GFX90A:TG_SPLIT: 0
	.section	.text._ZN7rocprim17ROCPRIM_400000_NS6detail17trampoline_kernelINS0_14default_configENS1_38merge_sort_block_merge_config_selectorIiiEEZZNS1_27merge_sort_block_merge_implIS3_N6thrust23THRUST_200600_302600_NS6detail15normal_iteratorINS8_10device_ptrIiEEEESD_jNS1_19radix_merge_compareILb0ELb0EiNS0_19identity_decomposerEEEEE10hipError_tT0_T1_T2_jT3_P12ihipStream_tbPNSt15iterator_traitsISI_E10value_typeEPNSO_ISJ_E10value_typeEPSK_NS1_7vsmem_tEENKUlT_SI_SJ_SK_E_clISD_PiSD_S10_EESH_SX_SI_SJ_SK_EUlSX_E0_NS1_11comp_targetILNS1_3genE3ELNS1_11target_archE908ELNS1_3gpuE7ELNS1_3repE0EEENS1_38merge_mergepath_config_static_selectorELNS0_4arch9wavefront6targetE1EEEvSJ_,"axG",@progbits,_ZN7rocprim17ROCPRIM_400000_NS6detail17trampoline_kernelINS0_14default_configENS1_38merge_sort_block_merge_config_selectorIiiEEZZNS1_27merge_sort_block_merge_implIS3_N6thrust23THRUST_200600_302600_NS6detail15normal_iteratorINS8_10device_ptrIiEEEESD_jNS1_19radix_merge_compareILb0ELb0EiNS0_19identity_decomposerEEEEE10hipError_tT0_T1_T2_jT3_P12ihipStream_tbPNSt15iterator_traitsISI_E10value_typeEPNSO_ISJ_E10value_typeEPSK_NS1_7vsmem_tEENKUlT_SI_SJ_SK_E_clISD_PiSD_S10_EESH_SX_SI_SJ_SK_EUlSX_E0_NS1_11comp_targetILNS1_3genE3ELNS1_11target_archE908ELNS1_3gpuE7ELNS1_3repE0EEENS1_38merge_mergepath_config_static_selectorELNS0_4arch9wavefront6targetE1EEEvSJ_,comdat
	.protected	_ZN7rocprim17ROCPRIM_400000_NS6detail17trampoline_kernelINS0_14default_configENS1_38merge_sort_block_merge_config_selectorIiiEEZZNS1_27merge_sort_block_merge_implIS3_N6thrust23THRUST_200600_302600_NS6detail15normal_iteratorINS8_10device_ptrIiEEEESD_jNS1_19radix_merge_compareILb0ELb0EiNS0_19identity_decomposerEEEEE10hipError_tT0_T1_T2_jT3_P12ihipStream_tbPNSt15iterator_traitsISI_E10value_typeEPNSO_ISJ_E10value_typeEPSK_NS1_7vsmem_tEENKUlT_SI_SJ_SK_E_clISD_PiSD_S10_EESH_SX_SI_SJ_SK_EUlSX_E0_NS1_11comp_targetILNS1_3genE3ELNS1_11target_archE908ELNS1_3gpuE7ELNS1_3repE0EEENS1_38merge_mergepath_config_static_selectorELNS0_4arch9wavefront6targetE1EEEvSJ_ ; -- Begin function _ZN7rocprim17ROCPRIM_400000_NS6detail17trampoline_kernelINS0_14default_configENS1_38merge_sort_block_merge_config_selectorIiiEEZZNS1_27merge_sort_block_merge_implIS3_N6thrust23THRUST_200600_302600_NS6detail15normal_iteratorINS8_10device_ptrIiEEEESD_jNS1_19radix_merge_compareILb0ELb0EiNS0_19identity_decomposerEEEEE10hipError_tT0_T1_T2_jT3_P12ihipStream_tbPNSt15iterator_traitsISI_E10value_typeEPNSO_ISJ_E10value_typeEPSK_NS1_7vsmem_tEENKUlT_SI_SJ_SK_E_clISD_PiSD_S10_EESH_SX_SI_SJ_SK_EUlSX_E0_NS1_11comp_targetILNS1_3genE3ELNS1_11target_archE908ELNS1_3gpuE7ELNS1_3repE0EEENS1_38merge_mergepath_config_static_selectorELNS0_4arch9wavefront6targetE1EEEvSJ_
	.globl	_ZN7rocprim17ROCPRIM_400000_NS6detail17trampoline_kernelINS0_14default_configENS1_38merge_sort_block_merge_config_selectorIiiEEZZNS1_27merge_sort_block_merge_implIS3_N6thrust23THRUST_200600_302600_NS6detail15normal_iteratorINS8_10device_ptrIiEEEESD_jNS1_19radix_merge_compareILb0ELb0EiNS0_19identity_decomposerEEEEE10hipError_tT0_T1_T2_jT3_P12ihipStream_tbPNSt15iterator_traitsISI_E10value_typeEPNSO_ISJ_E10value_typeEPSK_NS1_7vsmem_tEENKUlT_SI_SJ_SK_E_clISD_PiSD_S10_EESH_SX_SI_SJ_SK_EUlSX_E0_NS1_11comp_targetILNS1_3genE3ELNS1_11target_archE908ELNS1_3gpuE7ELNS1_3repE0EEENS1_38merge_mergepath_config_static_selectorELNS0_4arch9wavefront6targetE1EEEvSJ_
	.p2align	8
	.type	_ZN7rocprim17ROCPRIM_400000_NS6detail17trampoline_kernelINS0_14default_configENS1_38merge_sort_block_merge_config_selectorIiiEEZZNS1_27merge_sort_block_merge_implIS3_N6thrust23THRUST_200600_302600_NS6detail15normal_iteratorINS8_10device_ptrIiEEEESD_jNS1_19radix_merge_compareILb0ELb0EiNS0_19identity_decomposerEEEEE10hipError_tT0_T1_T2_jT3_P12ihipStream_tbPNSt15iterator_traitsISI_E10value_typeEPNSO_ISJ_E10value_typeEPSK_NS1_7vsmem_tEENKUlT_SI_SJ_SK_E_clISD_PiSD_S10_EESH_SX_SI_SJ_SK_EUlSX_E0_NS1_11comp_targetILNS1_3genE3ELNS1_11target_archE908ELNS1_3gpuE7ELNS1_3repE0EEENS1_38merge_mergepath_config_static_selectorELNS0_4arch9wavefront6targetE1EEEvSJ_,@function
_ZN7rocprim17ROCPRIM_400000_NS6detail17trampoline_kernelINS0_14default_configENS1_38merge_sort_block_merge_config_selectorIiiEEZZNS1_27merge_sort_block_merge_implIS3_N6thrust23THRUST_200600_302600_NS6detail15normal_iteratorINS8_10device_ptrIiEEEESD_jNS1_19radix_merge_compareILb0ELb0EiNS0_19identity_decomposerEEEEE10hipError_tT0_T1_T2_jT3_P12ihipStream_tbPNSt15iterator_traitsISI_E10value_typeEPNSO_ISJ_E10value_typeEPSK_NS1_7vsmem_tEENKUlT_SI_SJ_SK_E_clISD_PiSD_S10_EESH_SX_SI_SJ_SK_EUlSX_E0_NS1_11comp_targetILNS1_3genE3ELNS1_11target_archE908ELNS1_3gpuE7ELNS1_3repE0EEENS1_38merge_mergepath_config_static_selectorELNS0_4arch9wavefront6targetE1EEEvSJ_: ; @_ZN7rocprim17ROCPRIM_400000_NS6detail17trampoline_kernelINS0_14default_configENS1_38merge_sort_block_merge_config_selectorIiiEEZZNS1_27merge_sort_block_merge_implIS3_N6thrust23THRUST_200600_302600_NS6detail15normal_iteratorINS8_10device_ptrIiEEEESD_jNS1_19radix_merge_compareILb0ELb0EiNS0_19identity_decomposerEEEEE10hipError_tT0_T1_T2_jT3_P12ihipStream_tbPNSt15iterator_traitsISI_E10value_typeEPNSO_ISJ_E10value_typeEPSK_NS1_7vsmem_tEENKUlT_SI_SJ_SK_E_clISD_PiSD_S10_EESH_SX_SI_SJ_SK_EUlSX_E0_NS1_11comp_targetILNS1_3genE3ELNS1_11target_archE908ELNS1_3gpuE7ELNS1_3repE0EEENS1_38merge_mergepath_config_static_selectorELNS0_4arch9wavefront6targetE1EEEvSJ_
; %bb.0:
	.section	.rodata,"a",@progbits
	.p2align	6, 0x0
	.amdhsa_kernel _ZN7rocprim17ROCPRIM_400000_NS6detail17trampoline_kernelINS0_14default_configENS1_38merge_sort_block_merge_config_selectorIiiEEZZNS1_27merge_sort_block_merge_implIS3_N6thrust23THRUST_200600_302600_NS6detail15normal_iteratorINS8_10device_ptrIiEEEESD_jNS1_19radix_merge_compareILb0ELb0EiNS0_19identity_decomposerEEEEE10hipError_tT0_T1_T2_jT3_P12ihipStream_tbPNSt15iterator_traitsISI_E10value_typeEPNSO_ISJ_E10value_typeEPSK_NS1_7vsmem_tEENKUlT_SI_SJ_SK_E_clISD_PiSD_S10_EESH_SX_SI_SJ_SK_EUlSX_E0_NS1_11comp_targetILNS1_3genE3ELNS1_11target_archE908ELNS1_3gpuE7ELNS1_3repE0EEENS1_38merge_mergepath_config_static_selectorELNS0_4arch9wavefront6targetE1EEEvSJ_
		.amdhsa_group_segment_fixed_size 0
		.amdhsa_private_segment_fixed_size 0
		.amdhsa_kernarg_size 64
		.amdhsa_user_sgpr_count 2
		.amdhsa_user_sgpr_dispatch_ptr 0
		.amdhsa_user_sgpr_queue_ptr 0
		.amdhsa_user_sgpr_kernarg_segment_ptr 1
		.amdhsa_user_sgpr_dispatch_id 0
		.amdhsa_user_sgpr_kernarg_preload_length 0
		.amdhsa_user_sgpr_kernarg_preload_offset 0
		.amdhsa_user_sgpr_private_segment_size 0
		.amdhsa_uses_dynamic_stack 0
		.amdhsa_enable_private_segment 0
		.amdhsa_system_sgpr_workgroup_id_x 1
		.amdhsa_system_sgpr_workgroup_id_y 0
		.amdhsa_system_sgpr_workgroup_id_z 0
		.amdhsa_system_sgpr_workgroup_info 0
		.amdhsa_system_vgpr_workitem_id 0
		.amdhsa_next_free_vgpr 1
		.amdhsa_next_free_sgpr 0
		.amdhsa_accum_offset 4
		.amdhsa_reserve_vcc 0
		.amdhsa_float_round_mode_32 0
		.amdhsa_float_round_mode_16_64 0
		.amdhsa_float_denorm_mode_32 3
		.amdhsa_float_denorm_mode_16_64 3
		.amdhsa_dx10_clamp 1
		.amdhsa_ieee_mode 1
		.amdhsa_fp16_overflow 0
		.amdhsa_tg_split 0
		.amdhsa_exception_fp_ieee_invalid_op 0
		.amdhsa_exception_fp_denorm_src 0
		.amdhsa_exception_fp_ieee_div_zero 0
		.amdhsa_exception_fp_ieee_overflow 0
		.amdhsa_exception_fp_ieee_underflow 0
		.amdhsa_exception_fp_ieee_inexact 0
		.amdhsa_exception_int_div_zero 0
	.end_amdhsa_kernel
	.section	.text._ZN7rocprim17ROCPRIM_400000_NS6detail17trampoline_kernelINS0_14default_configENS1_38merge_sort_block_merge_config_selectorIiiEEZZNS1_27merge_sort_block_merge_implIS3_N6thrust23THRUST_200600_302600_NS6detail15normal_iteratorINS8_10device_ptrIiEEEESD_jNS1_19radix_merge_compareILb0ELb0EiNS0_19identity_decomposerEEEEE10hipError_tT0_T1_T2_jT3_P12ihipStream_tbPNSt15iterator_traitsISI_E10value_typeEPNSO_ISJ_E10value_typeEPSK_NS1_7vsmem_tEENKUlT_SI_SJ_SK_E_clISD_PiSD_S10_EESH_SX_SI_SJ_SK_EUlSX_E0_NS1_11comp_targetILNS1_3genE3ELNS1_11target_archE908ELNS1_3gpuE7ELNS1_3repE0EEENS1_38merge_mergepath_config_static_selectorELNS0_4arch9wavefront6targetE1EEEvSJ_,"axG",@progbits,_ZN7rocprim17ROCPRIM_400000_NS6detail17trampoline_kernelINS0_14default_configENS1_38merge_sort_block_merge_config_selectorIiiEEZZNS1_27merge_sort_block_merge_implIS3_N6thrust23THRUST_200600_302600_NS6detail15normal_iteratorINS8_10device_ptrIiEEEESD_jNS1_19radix_merge_compareILb0ELb0EiNS0_19identity_decomposerEEEEE10hipError_tT0_T1_T2_jT3_P12ihipStream_tbPNSt15iterator_traitsISI_E10value_typeEPNSO_ISJ_E10value_typeEPSK_NS1_7vsmem_tEENKUlT_SI_SJ_SK_E_clISD_PiSD_S10_EESH_SX_SI_SJ_SK_EUlSX_E0_NS1_11comp_targetILNS1_3genE3ELNS1_11target_archE908ELNS1_3gpuE7ELNS1_3repE0EEENS1_38merge_mergepath_config_static_selectorELNS0_4arch9wavefront6targetE1EEEvSJ_,comdat
.Lfunc_end744:
	.size	_ZN7rocprim17ROCPRIM_400000_NS6detail17trampoline_kernelINS0_14default_configENS1_38merge_sort_block_merge_config_selectorIiiEEZZNS1_27merge_sort_block_merge_implIS3_N6thrust23THRUST_200600_302600_NS6detail15normal_iteratorINS8_10device_ptrIiEEEESD_jNS1_19radix_merge_compareILb0ELb0EiNS0_19identity_decomposerEEEEE10hipError_tT0_T1_T2_jT3_P12ihipStream_tbPNSt15iterator_traitsISI_E10value_typeEPNSO_ISJ_E10value_typeEPSK_NS1_7vsmem_tEENKUlT_SI_SJ_SK_E_clISD_PiSD_S10_EESH_SX_SI_SJ_SK_EUlSX_E0_NS1_11comp_targetILNS1_3genE3ELNS1_11target_archE908ELNS1_3gpuE7ELNS1_3repE0EEENS1_38merge_mergepath_config_static_selectorELNS0_4arch9wavefront6targetE1EEEvSJ_, .Lfunc_end744-_ZN7rocprim17ROCPRIM_400000_NS6detail17trampoline_kernelINS0_14default_configENS1_38merge_sort_block_merge_config_selectorIiiEEZZNS1_27merge_sort_block_merge_implIS3_N6thrust23THRUST_200600_302600_NS6detail15normal_iteratorINS8_10device_ptrIiEEEESD_jNS1_19radix_merge_compareILb0ELb0EiNS0_19identity_decomposerEEEEE10hipError_tT0_T1_T2_jT3_P12ihipStream_tbPNSt15iterator_traitsISI_E10value_typeEPNSO_ISJ_E10value_typeEPSK_NS1_7vsmem_tEENKUlT_SI_SJ_SK_E_clISD_PiSD_S10_EESH_SX_SI_SJ_SK_EUlSX_E0_NS1_11comp_targetILNS1_3genE3ELNS1_11target_archE908ELNS1_3gpuE7ELNS1_3repE0EEENS1_38merge_mergepath_config_static_selectorELNS0_4arch9wavefront6targetE1EEEvSJ_
                                        ; -- End function
	.set _ZN7rocprim17ROCPRIM_400000_NS6detail17trampoline_kernelINS0_14default_configENS1_38merge_sort_block_merge_config_selectorIiiEEZZNS1_27merge_sort_block_merge_implIS3_N6thrust23THRUST_200600_302600_NS6detail15normal_iteratorINS8_10device_ptrIiEEEESD_jNS1_19radix_merge_compareILb0ELb0EiNS0_19identity_decomposerEEEEE10hipError_tT0_T1_T2_jT3_P12ihipStream_tbPNSt15iterator_traitsISI_E10value_typeEPNSO_ISJ_E10value_typeEPSK_NS1_7vsmem_tEENKUlT_SI_SJ_SK_E_clISD_PiSD_S10_EESH_SX_SI_SJ_SK_EUlSX_E0_NS1_11comp_targetILNS1_3genE3ELNS1_11target_archE908ELNS1_3gpuE7ELNS1_3repE0EEENS1_38merge_mergepath_config_static_selectorELNS0_4arch9wavefront6targetE1EEEvSJ_.num_vgpr, 0
	.set _ZN7rocprim17ROCPRIM_400000_NS6detail17trampoline_kernelINS0_14default_configENS1_38merge_sort_block_merge_config_selectorIiiEEZZNS1_27merge_sort_block_merge_implIS3_N6thrust23THRUST_200600_302600_NS6detail15normal_iteratorINS8_10device_ptrIiEEEESD_jNS1_19radix_merge_compareILb0ELb0EiNS0_19identity_decomposerEEEEE10hipError_tT0_T1_T2_jT3_P12ihipStream_tbPNSt15iterator_traitsISI_E10value_typeEPNSO_ISJ_E10value_typeEPSK_NS1_7vsmem_tEENKUlT_SI_SJ_SK_E_clISD_PiSD_S10_EESH_SX_SI_SJ_SK_EUlSX_E0_NS1_11comp_targetILNS1_3genE3ELNS1_11target_archE908ELNS1_3gpuE7ELNS1_3repE0EEENS1_38merge_mergepath_config_static_selectorELNS0_4arch9wavefront6targetE1EEEvSJ_.num_agpr, 0
	.set _ZN7rocprim17ROCPRIM_400000_NS6detail17trampoline_kernelINS0_14default_configENS1_38merge_sort_block_merge_config_selectorIiiEEZZNS1_27merge_sort_block_merge_implIS3_N6thrust23THRUST_200600_302600_NS6detail15normal_iteratorINS8_10device_ptrIiEEEESD_jNS1_19radix_merge_compareILb0ELb0EiNS0_19identity_decomposerEEEEE10hipError_tT0_T1_T2_jT3_P12ihipStream_tbPNSt15iterator_traitsISI_E10value_typeEPNSO_ISJ_E10value_typeEPSK_NS1_7vsmem_tEENKUlT_SI_SJ_SK_E_clISD_PiSD_S10_EESH_SX_SI_SJ_SK_EUlSX_E0_NS1_11comp_targetILNS1_3genE3ELNS1_11target_archE908ELNS1_3gpuE7ELNS1_3repE0EEENS1_38merge_mergepath_config_static_selectorELNS0_4arch9wavefront6targetE1EEEvSJ_.numbered_sgpr, 0
	.set _ZN7rocprim17ROCPRIM_400000_NS6detail17trampoline_kernelINS0_14default_configENS1_38merge_sort_block_merge_config_selectorIiiEEZZNS1_27merge_sort_block_merge_implIS3_N6thrust23THRUST_200600_302600_NS6detail15normal_iteratorINS8_10device_ptrIiEEEESD_jNS1_19radix_merge_compareILb0ELb0EiNS0_19identity_decomposerEEEEE10hipError_tT0_T1_T2_jT3_P12ihipStream_tbPNSt15iterator_traitsISI_E10value_typeEPNSO_ISJ_E10value_typeEPSK_NS1_7vsmem_tEENKUlT_SI_SJ_SK_E_clISD_PiSD_S10_EESH_SX_SI_SJ_SK_EUlSX_E0_NS1_11comp_targetILNS1_3genE3ELNS1_11target_archE908ELNS1_3gpuE7ELNS1_3repE0EEENS1_38merge_mergepath_config_static_selectorELNS0_4arch9wavefront6targetE1EEEvSJ_.num_named_barrier, 0
	.set _ZN7rocprim17ROCPRIM_400000_NS6detail17trampoline_kernelINS0_14default_configENS1_38merge_sort_block_merge_config_selectorIiiEEZZNS1_27merge_sort_block_merge_implIS3_N6thrust23THRUST_200600_302600_NS6detail15normal_iteratorINS8_10device_ptrIiEEEESD_jNS1_19radix_merge_compareILb0ELb0EiNS0_19identity_decomposerEEEEE10hipError_tT0_T1_T2_jT3_P12ihipStream_tbPNSt15iterator_traitsISI_E10value_typeEPNSO_ISJ_E10value_typeEPSK_NS1_7vsmem_tEENKUlT_SI_SJ_SK_E_clISD_PiSD_S10_EESH_SX_SI_SJ_SK_EUlSX_E0_NS1_11comp_targetILNS1_3genE3ELNS1_11target_archE908ELNS1_3gpuE7ELNS1_3repE0EEENS1_38merge_mergepath_config_static_selectorELNS0_4arch9wavefront6targetE1EEEvSJ_.private_seg_size, 0
	.set _ZN7rocprim17ROCPRIM_400000_NS6detail17trampoline_kernelINS0_14default_configENS1_38merge_sort_block_merge_config_selectorIiiEEZZNS1_27merge_sort_block_merge_implIS3_N6thrust23THRUST_200600_302600_NS6detail15normal_iteratorINS8_10device_ptrIiEEEESD_jNS1_19radix_merge_compareILb0ELb0EiNS0_19identity_decomposerEEEEE10hipError_tT0_T1_T2_jT3_P12ihipStream_tbPNSt15iterator_traitsISI_E10value_typeEPNSO_ISJ_E10value_typeEPSK_NS1_7vsmem_tEENKUlT_SI_SJ_SK_E_clISD_PiSD_S10_EESH_SX_SI_SJ_SK_EUlSX_E0_NS1_11comp_targetILNS1_3genE3ELNS1_11target_archE908ELNS1_3gpuE7ELNS1_3repE0EEENS1_38merge_mergepath_config_static_selectorELNS0_4arch9wavefront6targetE1EEEvSJ_.uses_vcc, 0
	.set _ZN7rocprim17ROCPRIM_400000_NS6detail17trampoline_kernelINS0_14default_configENS1_38merge_sort_block_merge_config_selectorIiiEEZZNS1_27merge_sort_block_merge_implIS3_N6thrust23THRUST_200600_302600_NS6detail15normal_iteratorINS8_10device_ptrIiEEEESD_jNS1_19radix_merge_compareILb0ELb0EiNS0_19identity_decomposerEEEEE10hipError_tT0_T1_T2_jT3_P12ihipStream_tbPNSt15iterator_traitsISI_E10value_typeEPNSO_ISJ_E10value_typeEPSK_NS1_7vsmem_tEENKUlT_SI_SJ_SK_E_clISD_PiSD_S10_EESH_SX_SI_SJ_SK_EUlSX_E0_NS1_11comp_targetILNS1_3genE3ELNS1_11target_archE908ELNS1_3gpuE7ELNS1_3repE0EEENS1_38merge_mergepath_config_static_selectorELNS0_4arch9wavefront6targetE1EEEvSJ_.uses_flat_scratch, 0
	.set _ZN7rocprim17ROCPRIM_400000_NS6detail17trampoline_kernelINS0_14default_configENS1_38merge_sort_block_merge_config_selectorIiiEEZZNS1_27merge_sort_block_merge_implIS3_N6thrust23THRUST_200600_302600_NS6detail15normal_iteratorINS8_10device_ptrIiEEEESD_jNS1_19radix_merge_compareILb0ELb0EiNS0_19identity_decomposerEEEEE10hipError_tT0_T1_T2_jT3_P12ihipStream_tbPNSt15iterator_traitsISI_E10value_typeEPNSO_ISJ_E10value_typeEPSK_NS1_7vsmem_tEENKUlT_SI_SJ_SK_E_clISD_PiSD_S10_EESH_SX_SI_SJ_SK_EUlSX_E0_NS1_11comp_targetILNS1_3genE3ELNS1_11target_archE908ELNS1_3gpuE7ELNS1_3repE0EEENS1_38merge_mergepath_config_static_selectorELNS0_4arch9wavefront6targetE1EEEvSJ_.has_dyn_sized_stack, 0
	.set _ZN7rocprim17ROCPRIM_400000_NS6detail17trampoline_kernelINS0_14default_configENS1_38merge_sort_block_merge_config_selectorIiiEEZZNS1_27merge_sort_block_merge_implIS3_N6thrust23THRUST_200600_302600_NS6detail15normal_iteratorINS8_10device_ptrIiEEEESD_jNS1_19radix_merge_compareILb0ELb0EiNS0_19identity_decomposerEEEEE10hipError_tT0_T1_T2_jT3_P12ihipStream_tbPNSt15iterator_traitsISI_E10value_typeEPNSO_ISJ_E10value_typeEPSK_NS1_7vsmem_tEENKUlT_SI_SJ_SK_E_clISD_PiSD_S10_EESH_SX_SI_SJ_SK_EUlSX_E0_NS1_11comp_targetILNS1_3genE3ELNS1_11target_archE908ELNS1_3gpuE7ELNS1_3repE0EEENS1_38merge_mergepath_config_static_selectorELNS0_4arch9wavefront6targetE1EEEvSJ_.has_recursion, 0
	.set _ZN7rocprim17ROCPRIM_400000_NS6detail17trampoline_kernelINS0_14default_configENS1_38merge_sort_block_merge_config_selectorIiiEEZZNS1_27merge_sort_block_merge_implIS3_N6thrust23THRUST_200600_302600_NS6detail15normal_iteratorINS8_10device_ptrIiEEEESD_jNS1_19radix_merge_compareILb0ELb0EiNS0_19identity_decomposerEEEEE10hipError_tT0_T1_T2_jT3_P12ihipStream_tbPNSt15iterator_traitsISI_E10value_typeEPNSO_ISJ_E10value_typeEPSK_NS1_7vsmem_tEENKUlT_SI_SJ_SK_E_clISD_PiSD_S10_EESH_SX_SI_SJ_SK_EUlSX_E0_NS1_11comp_targetILNS1_3genE3ELNS1_11target_archE908ELNS1_3gpuE7ELNS1_3repE0EEENS1_38merge_mergepath_config_static_selectorELNS0_4arch9wavefront6targetE1EEEvSJ_.has_indirect_call, 0
	.section	.AMDGPU.csdata,"",@progbits
; Kernel info:
; codeLenInByte = 0
; TotalNumSgprs: 6
; NumVgprs: 0
; NumAgprs: 0
; TotalNumVgprs: 0
; ScratchSize: 0
; MemoryBound: 0
; FloatMode: 240
; IeeeMode: 1
; LDSByteSize: 0 bytes/workgroup (compile time only)
; SGPRBlocks: 0
; VGPRBlocks: 0
; NumSGPRsForWavesPerEU: 6
; NumVGPRsForWavesPerEU: 1
; AccumOffset: 4
; Occupancy: 8
; WaveLimiterHint : 0
; COMPUTE_PGM_RSRC2:SCRATCH_EN: 0
; COMPUTE_PGM_RSRC2:USER_SGPR: 2
; COMPUTE_PGM_RSRC2:TRAP_HANDLER: 0
; COMPUTE_PGM_RSRC2:TGID_X_EN: 1
; COMPUTE_PGM_RSRC2:TGID_Y_EN: 0
; COMPUTE_PGM_RSRC2:TGID_Z_EN: 0
; COMPUTE_PGM_RSRC2:TIDIG_COMP_CNT: 0
; COMPUTE_PGM_RSRC3_GFX90A:ACCUM_OFFSET: 0
; COMPUTE_PGM_RSRC3_GFX90A:TG_SPLIT: 0
	.section	.text._ZN7rocprim17ROCPRIM_400000_NS6detail17trampoline_kernelINS0_14default_configENS1_38merge_sort_block_merge_config_selectorIiiEEZZNS1_27merge_sort_block_merge_implIS3_N6thrust23THRUST_200600_302600_NS6detail15normal_iteratorINS8_10device_ptrIiEEEESD_jNS1_19radix_merge_compareILb0ELb0EiNS0_19identity_decomposerEEEEE10hipError_tT0_T1_T2_jT3_P12ihipStream_tbPNSt15iterator_traitsISI_E10value_typeEPNSO_ISJ_E10value_typeEPSK_NS1_7vsmem_tEENKUlT_SI_SJ_SK_E_clISD_PiSD_S10_EESH_SX_SI_SJ_SK_EUlSX_E0_NS1_11comp_targetILNS1_3genE2ELNS1_11target_archE906ELNS1_3gpuE6ELNS1_3repE0EEENS1_38merge_mergepath_config_static_selectorELNS0_4arch9wavefront6targetE1EEEvSJ_,"axG",@progbits,_ZN7rocprim17ROCPRIM_400000_NS6detail17trampoline_kernelINS0_14default_configENS1_38merge_sort_block_merge_config_selectorIiiEEZZNS1_27merge_sort_block_merge_implIS3_N6thrust23THRUST_200600_302600_NS6detail15normal_iteratorINS8_10device_ptrIiEEEESD_jNS1_19radix_merge_compareILb0ELb0EiNS0_19identity_decomposerEEEEE10hipError_tT0_T1_T2_jT3_P12ihipStream_tbPNSt15iterator_traitsISI_E10value_typeEPNSO_ISJ_E10value_typeEPSK_NS1_7vsmem_tEENKUlT_SI_SJ_SK_E_clISD_PiSD_S10_EESH_SX_SI_SJ_SK_EUlSX_E0_NS1_11comp_targetILNS1_3genE2ELNS1_11target_archE906ELNS1_3gpuE6ELNS1_3repE0EEENS1_38merge_mergepath_config_static_selectorELNS0_4arch9wavefront6targetE1EEEvSJ_,comdat
	.protected	_ZN7rocprim17ROCPRIM_400000_NS6detail17trampoline_kernelINS0_14default_configENS1_38merge_sort_block_merge_config_selectorIiiEEZZNS1_27merge_sort_block_merge_implIS3_N6thrust23THRUST_200600_302600_NS6detail15normal_iteratorINS8_10device_ptrIiEEEESD_jNS1_19radix_merge_compareILb0ELb0EiNS0_19identity_decomposerEEEEE10hipError_tT0_T1_T2_jT3_P12ihipStream_tbPNSt15iterator_traitsISI_E10value_typeEPNSO_ISJ_E10value_typeEPSK_NS1_7vsmem_tEENKUlT_SI_SJ_SK_E_clISD_PiSD_S10_EESH_SX_SI_SJ_SK_EUlSX_E0_NS1_11comp_targetILNS1_3genE2ELNS1_11target_archE906ELNS1_3gpuE6ELNS1_3repE0EEENS1_38merge_mergepath_config_static_selectorELNS0_4arch9wavefront6targetE1EEEvSJ_ ; -- Begin function _ZN7rocprim17ROCPRIM_400000_NS6detail17trampoline_kernelINS0_14default_configENS1_38merge_sort_block_merge_config_selectorIiiEEZZNS1_27merge_sort_block_merge_implIS3_N6thrust23THRUST_200600_302600_NS6detail15normal_iteratorINS8_10device_ptrIiEEEESD_jNS1_19radix_merge_compareILb0ELb0EiNS0_19identity_decomposerEEEEE10hipError_tT0_T1_T2_jT3_P12ihipStream_tbPNSt15iterator_traitsISI_E10value_typeEPNSO_ISJ_E10value_typeEPSK_NS1_7vsmem_tEENKUlT_SI_SJ_SK_E_clISD_PiSD_S10_EESH_SX_SI_SJ_SK_EUlSX_E0_NS1_11comp_targetILNS1_3genE2ELNS1_11target_archE906ELNS1_3gpuE6ELNS1_3repE0EEENS1_38merge_mergepath_config_static_selectorELNS0_4arch9wavefront6targetE1EEEvSJ_
	.globl	_ZN7rocprim17ROCPRIM_400000_NS6detail17trampoline_kernelINS0_14default_configENS1_38merge_sort_block_merge_config_selectorIiiEEZZNS1_27merge_sort_block_merge_implIS3_N6thrust23THRUST_200600_302600_NS6detail15normal_iteratorINS8_10device_ptrIiEEEESD_jNS1_19radix_merge_compareILb0ELb0EiNS0_19identity_decomposerEEEEE10hipError_tT0_T1_T2_jT3_P12ihipStream_tbPNSt15iterator_traitsISI_E10value_typeEPNSO_ISJ_E10value_typeEPSK_NS1_7vsmem_tEENKUlT_SI_SJ_SK_E_clISD_PiSD_S10_EESH_SX_SI_SJ_SK_EUlSX_E0_NS1_11comp_targetILNS1_3genE2ELNS1_11target_archE906ELNS1_3gpuE6ELNS1_3repE0EEENS1_38merge_mergepath_config_static_selectorELNS0_4arch9wavefront6targetE1EEEvSJ_
	.p2align	8
	.type	_ZN7rocprim17ROCPRIM_400000_NS6detail17trampoline_kernelINS0_14default_configENS1_38merge_sort_block_merge_config_selectorIiiEEZZNS1_27merge_sort_block_merge_implIS3_N6thrust23THRUST_200600_302600_NS6detail15normal_iteratorINS8_10device_ptrIiEEEESD_jNS1_19radix_merge_compareILb0ELb0EiNS0_19identity_decomposerEEEEE10hipError_tT0_T1_T2_jT3_P12ihipStream_tbPNSt15iterator_traitsISI_E10value_typeEPNSO_ISJ_E10value_typeEPSK_NS1_7vsmem_tEENKUlT_SI_SJ_SK_E_clISD_PiSD_S10_EESH_SX_SI_SJ_SK_EUlSX_E0_NS1_11comp_targetILNS1_3genE2ELNS1_11target_archE906ELNS1_3gpuE6ELNS1_3repE0EEENS1_38merge_mergepath_config_static_selectorELNS0_4arch9wavefront6targetE1EEEvSJ_,@function
_ZN7rocprim17ROCPRIM_400000_NS6detail17trampoline_kernelINS0_14default_configENS1_38merge_sort_block_merge_config_selectorIiiEEZZNS1_27merge_sort_block_merge_implIS3_N6thrust23THRUST_200600_302600_NS6detail15normal_iteratorINS8_10device_ptrIiEEEESD_jNS1_19radix_merge_compareILb0ELb0EiNS0_19identity_decomposerEEEEE10hipError_tT0_T1_T2_jT3_P12ihipStream_tbPNSt15iterator_traitsISI_E10value_typeEPNSO_ISJ_E10value_typeEPSK_NS1_7vsmem_tEENKUlT_SI_SJ_SK_E_clISD_PiSD_S10_EESH_SX_SI_SJ_SK_EUlSX_E0_NS1_11comp_targetILNS1_3genE2ELNS1_11target_archE906ELNS1_3gpuE6ELNS1_3repE0EEENS1_38merge_mergepath_config_static_selectorELNS0_4arch9wavefront6targetE1EEEvSJ_: ; @_ZN7rocprim17ROCPRIM_400000_NS6detail17trampoline_kernelINS0_14default_configENS1_38merge_sort_block_merge_config_selectorIiiEEZZNS1_27merge_sort_block_merge_implIS3_N6thrust23THRUST_200600_302600_NS6detail15normal_iteratorINS8_10device_ptrIiEEEESD_jNS1_19radix_merge_compareILb0ELb0EiNS0_19identity_decomposerEEEEE10hipError_tT0_T1_T2_jT3_P12ihipStream_tbPNSt15iterator_traitsISI_E10value_typeEPNSO_ISJ_E10value_typeEPSK_NS1_7vsmem_tEENKUlT_SI_SJ_SK_E_clISD_PiSD_S10_EESH_SX_SI_SJ_SK_EUlSX_E0_NS1_11comp_targetILNS1_3genE2ELNS1_11target_archE906ELNS1_3gpuE6ELNS1_3repE0EEENS1_38merge_mergepath_config_static_selectorELNS0_4arch9wavefront6targetE1EEEvSJ_
; %bb.0:
	.section	.rodata,"a",@progbits
	.p2align	6, 0x0
	.amdhsa_kernel _ZN7rocprim17ROCPRIM_400000_NS6detail17trampoline_kernelINS0_14default_configENS1_38merge_sort_block_merge_config_selectorIiiEEZZNS1_27merge_sort_block_merge_implIS3_N6thrust23THRUST_200600_302600_NS6detail15normal_iteratorINS8_10device_ptrIiEEEESD_jNS1_19radix_merge_compareILb0ELb0EiNS0_19identity_decomposerEEEEE10hipError_tT0_T1_T2_jT3_P12ihipStream_tbPNSt15iterator_traitsISI_E10value_typeEPNSO_ISJ_E10value_typeEPSK_NS1_7vsmem_tEENKUlT_SI_SJ_SK_E_clISD_PiSD_S10_EESH_SX_SI_SJ_SK_EUlSX_E0_NS1_11comp_targetILNS1_3genE2ELNS1_11target_archE906ELNS1_3gpuE6ELNS1_3repE0EEENS1_38merge_mergepath_config_static_selectorELNS0_4arch9wavefront6targetE1EEEvSJ_
		.amdhsa_group_segment_fixed_size 0
		.amdhsa_private_segment_fixed_size 0
		.amdhsa_kernarg_size 64
		.amdhsa_user_sgpr_count 2
		.amdhsa_user_sgpr_dispatch_ptr 0
		.amdhsa_user_sgpr_queue_ptr 0
		.amdhsa_user_sgpr_kernarg_segment_ptr 1
		.amdhsa_user_sgpr_dispatch_id 0
		.amdhsa_user_sgpr_kernarg_preload_length 0
		.amdhsa_user_sgpr_kernarg_preload_offset 0
		.amdhsa_user_sgpr_private_segment_size 0
		.amdhsa_uses_dynamic_stack 0
		.amdhsa_enable_private_segment 0
		.amdhsa_system_sgpr_workgroup_id_x 1
		.amdhsa_system_sgpr_workgroup_id_y 0
		.amdhsa_system_sgpr_workgroup_id_z 0
		.amdhsa_system_sgpr_workgroup_info 0
		.amdhsa_system_vgpr_workitem_id 0
		.amdhsa_next_free_vgpr 1
		.amdhsa_next_free_sgpr 0
		.amdhsa_accum_offset 4
		.amdhsa_reserve_vcc 0
		.amdhsa_float_round_mode_32 0
		.amdhsa_float_round_mode_16_64 0
		.amdhsa_float_denorm_mode_32 3
		.amdhsa_float_denorm_mode_16_64 3
		.amdhsa_dx10_clamp 1
		.amdhsa_ieee_mode 1
		.amdhsa_fp16_overflow 0
		.amdhsa_tg_split 0
		.amdhsa_exception_fp_ieee_invalid_op 0
		.amdhsa_exception_fp_denorm_src 0
		.amdhsa_exception_fp_ieee_div_zero 0
		.amdhsa_exception_fp_ieee_overflow 0
		.amdhsa_exception_fp_ieee_underflow 0
		.amdhsa_exception_fp_ieee_inexact 0
		.amdhsa_exception_int_div_zero 0
	.end_amdhsa_kernel
	.section	.text._ZN7rocprim17ROCPRIM_400000_NS6detail17trampoline_kernelINS0_14default_configENS1_38merge_sort_block_merge_config_selectorIiiEEZZNS1_27merge_sort_block_merge_implIS3_N6thrust23THRUST_200600_302600_NS6detail15normal_iteratorINS8_10device_ptrIiEEEESD_jNS1_19radix_merge_compareILb0ELb0EiNS0_19identity_decomposerEEEEE10hipError_tT0_T1_T2_jT3_P12ihipStream_tbPNSt15iterator_traitsISI_E10value_typeEPNSO_ISJ_E10value_typeEPSK_NS1_7vsmem_tEENKUlT_SI_SJ_SK_E_clISD_PiSD_S10_EESH_SX_SI_SJ_SK_EUlSX_E0_NS1_11comp_targetILNS1_3genE2ELNS1_11target_archE906ELNS1_3gpuE6ELNS1_3repE0EEENS1_38merge_mergepath_config_static_selectorELNS0_4arch9wavefront6targetE1EEEvSJ_,"axG",@progbits,_ZN7rocprim17ROCPRIM_400000_NS6detail17trampoline_kernelINS0_14default_configENS1_38merge_sort_block_merge_config_selectorIiiEEZZNS1_27merge_sort_block_merge_implIS3_N6thrust23THRUST_200600_302600_NS6detail15normal_iteratorINS8_10device_ptrIiEEEESD_jNS1_19radix_merge_compareILb0ELb0EiNS0_19identity_decomposerEEEEE10hipError_tT0_T1_T2_jT3_P12ihipStream_tbPNSt15iterator_traitsISI_E10value_typeEPNSO_ISJ_E10value_typeEPSK_NS1_7vsmem_tEENKUlT_SI_SJ_SK_E_clISD_PiSD_S10_EESH_SX_SI_SJ_SK_EUlSX_E0_NS1_11comp_targetILNS1_3genE2ELNS1_11target_archE906ELNS1_3gpuE6ELNS1_3repE0EEENS1_38merge_mergepath_config_static_selectorELNS0_4arch9wavefront6targetE1EEEvSJ_,comdat
.Lfunc_end745:
	.size	_ZN7rocprim17ROCPRIM_400000_NS6detail17trampoline_kernelINS0_14default_configENS1_38merge_sort_block_merge_config_selectorIiiEEZZNS1_27merge_sort_block_merge_implIS3_N6thrust23THRUST_200600_302600_NS6detail15normal_iteratorINS8_10device_ptrIiEEEESD_jNS1_19radix_merge_compareILb0ELb0EiNS0_19identity_decomposerEEEEE10hipError_tT0_T1_T2_jT3_P12ihipStream_tbPNSt15iterator_traitsISI_E10value_typeEPNSO_ISJ_E10value_typeEPSK_NS1_7vsmem_tEENKUlT_SI_SJ_SK_E_clISD_PiSD_S10_EESH_SX_SI_SJ_SK_EUlSX_E0_NS1_11comp_targetILNS1_3genE2ELNS1_11target_archE906ELNS1_3gpuE6ELNS1_3repE0EEENS1_38merge_mergepath_config_static_selectorELNS0_4arch9wavefront6targetE1EEEvSJ_, .Lfunc_end745-_ZN7rocprim17ROCPRIM_400000_NS6detail17trampoline_kernelINS0_14default_configENS1_38merge_sort_block_merge_config_selectorIiiEEZZNS1_27merge_sort_block_merge_implIS3_N6thrust23THRUST_200600_302600_NS6detail15normal_iteratorINS8_10device_ptrIiEEEESD_jNS1_19radix_merge_compareILb0ELb0EiNS0_19identity_decomposerEEEEE10hipError_tT0_T1_T2_jT3_P12ihipStream_tbPNSt15iterator_traitsISI_E10value_typeEPNSO_ISJ_E10value_typeEPSK_NS1_7vsmem_tEENKUlT_SI_SJ_SK_E_clISD_PiSD_S10_EESH_SX_SI_SJ_SK_EUlSX_E0_NS1_11comp_targetILNS1_3genE2ELNS1_11target_archE906ELNS1_3gpuE6ELNS1_3repE0EEENS1_38merge_mergepath_config_static_selectorELNS0_4arch9wavefront6targetE1EEEvSJ_
                                        ; -- End function
	.set _ZN7rocprim17ROCPRIM_400000_NS6detail17trampoline_kernelINS0_14default_configENS1_38merge_sort_block_merge_config_selectorIiiEEZZNS1_27merge_sort_block_merge_implIS3_N6thrust23THRUST_200600_302600_NS6detail15normal_iteratorINS8_10device_ptrIiEEEESD_jNS1_19radix_merge_compareILb0ELb0EiNS0_19identity_decomposerEEEEE10hipError_tT0_T1_T2_jT3_P12ihipStream_tbPNSt15iterator_traitsISI_E10value_typeEPNSO_ISJ_E10value_typeEPSK_NS1_7vsmem_tEENKUlT_SI_SJ_SK_E_clISD_PiSD_S10_EESH_SX_SI_SJ_SK_EUlSX_E0_NS1_11comp_targetILNS1_3genE2ELNS1_11target_archE906ELNS1_3gpuE6ELNS1_3repE0EEENS1_38merge_mergepath_config_static_selectorELNS0_4arch9wavefront6targetE1EEEvSJ_.num_vgpr, 0
	.set _ZN7rocprim17ROCPRIM_400000_NS6detail17trampoline_kernelINS0_14default_configENS1_38merge_sort_block_merge_config_selectorIiiEEZZNS1_27merge_sort_block_merge_implIS3_N6thrust23THRUST_200600_302600_NS6detail15normal_iteratorINS8_10device_ptrIiEEEESD_jNS1_19radix_merge_compareILb0ELb0EiNS0_19identity_decomposerEEEEE10hipError_tT0_T1_T2_jT3_P12ihipStream_tbPNSt15iterator_traitsISI_E10value_typeEPNSO_ISJ_E10value_typeEPSK_NS1_7vsmem_tEENKUlT_SI_SJ_SK_E_clISD_PiSD_S10_EESH_SX_SI_SJ_SK_EUlSX_E0_NS1_11comp_targetILNS1_3genE2ELNS1_11target_archE906ELNS1_3gpuE6ELNS1_3repE0EEENS1_38merge_mergepath_config_static_selectorELNS0_4arch9wavefront6targetE1EEEvSJ_.num_agpr, 0
	.set _ZN7rocprim17ROCPRIM_400000_NS6detail17trampoline_kernelINS0_14default_configENS1_38merge_sort_block_merge_config_selectorIiiEEZZNS1_27merge_sort_block_merge_implIS3_N6thrust23THRUST_200600_302600_NS6detail15normal_iteratorINS8_10device_ptrIiEEEESD_jNS1_19radix_merge_compareILb0ELb0EiNS0_19identity_decomposerEEEEE10hipError_tT0_T1_T2_jT3_P12ihipStream_tbPNSt15iterator_traitsISI_E10value_typeEPNSO_ISJ_E10value_typeEPSK_NS1_7vsmem_tEENKUlT_SI_SJ_SK_E_clISD_PiSD_S10_EESH_SX_SI_SJ_SK_EUlSX_E0_NS1_11comp_targetILNS1_3genE2ELNS1_11target_archE906ELNS1_3gpuE6ELNS1_3repE0EEENS1_38merge_mergepath_config_static_selectorELNS0_4arch9wavefront6targetE1EEEvSJ_.numbered_sgpr, 0
	.set _ZN7rocprim17ROCPRIM_400000_NS6detail17trampoline_kernelINS0_14default_configENS1_38merge_sort_block_merge_config_selectorIiiEEZZNS1_27merge_sort_block_merge_implIS3_N6thrust23THRUST_200600_302600_NS6detail15normal_iteratorINS8_10device_ptrIiEEEESD_jNS1_19radix_merge_compareILb0ELb0EiNS0_19identity_decomposerEEEEE10hipError_tT0_T1_T2_jT3_P12ihipStream_tbPNSt15iterator_traitsISI_E10value_typeEPNSO_ISJ_E10value_typeEPSK_NS1_7vsmem_tEENKUlT_SI_SJ_SK_E_clISD_PiSD_S10_EESH_SX_SI_SJ_SK_EUlSX_E0_NS1_11comp_targetILNS1_3genE2ELNS1_11target_archE906ELNS1_3gpuE6ELNS1_3repE0EEENS1_38merge_mergepath_config_static_selectorELNS0_4arch9wavefront6targetE1EEEvSJ_.num_named_barrier, 0
	.set _ZN7rocprim17ROCPRIM_400000_NS6detail17trampoline_kernelINS0_14default_configENS1_38merge_sort_block_merge_config_selectorIiiEEZZNS1_27merge_sort_block_merge_implIS3_N6thrust23THRUST_200600_302600_NS6detail15normal_iteratorINS8_10device_ptrIiEEEESD_jNS1_19radix_merge_compareILb0ELb0EiNS0_19identity_decomposerEEEEE10hipError_tT0_T1_T2_jT3_P12ihipStream_tbPNSt15iterator_traitsISI_E10value_typeEPNSO_ISJ_E10value_typeEPSK_NS1_7vsmem_tEENKUlT_SI_SJ_SK_E_clISD_PiSD_S10_EESH_SX_SI_SJ_SK_EUlSX_E0_NS1_11comp_targetILNS1_3genE2ELNS1_11target_archE906ELNS1_3gpuE6ELNS1_3repE0EEENS1_38merge_mergepath_config_static_selectorELNS0_4arch9wavefront6targetE1EEEvSJ_.private_seg_size, 0
	.set _ZN7rocprim17ROCPRIM_400000_NS6detail17trampoline_kernelINS0_14default_configENS1_38merge_sort_block_merge_config_selectorIiiEEZZNS1_27merge_sort_block_merge_implIS3_N6thrust23THRUST_200600_302600_NS6detail15normal_iteratorINS8_10device_ptrIiEEEESD_jNS1_19radix_merge_compareILb0ELb0EiNS0_19identity_decomposerEEEEE10hipError_tT0_T1_T2_jT3_P12ihipStream_tbPNSt15iterator_traitsISI_E10value_typeEPNSO_ISJ_E10value_typeEPSK_NS1_7vsmem_tEENKUlT_SI_SJ_SK_E_clISD_PiSD_S10_EESH_SX_SI_SJ_SK_EUlSX_E0_NS1_11comp_targetILNS1_3genE2ELNS1_11target_archE906ELNS1_3gpuE6ELNS1_3repE0EEENS1_38merge_mergepath_config_static_selectorELNS0_4arch9wavefront6targetE1EEEvSJ_.uses_vcc, 0
	.set _ZN7rocprim17ROCPRIM_400000_NS6detail17trampoline_kernelINS0_14default_configENS1_38merge_sort_block_merge_config_selectorIiiEEZZNS1_27merge_sort_block_merge_implIS3_N6thrust23THRUST_200600_302600_NS6detail15normal_iteratorINS8_10device_ptrIiEEEESD_jNS1_19radix_merge_compareILb0ELb0EiNS0_19identity_decomposerEEEEE10hipError_tT0_T1_T2_jT3_P12ihipStream_tbPNSt15iterator_traitsISI_E10value_typeEPNSO_ISJ_E10value_typeEPSK_NS1_7vsmem_tEENKUlT_SI_SJ_SK_E_clISD_PiSD_S10_EESH_SX_SI_SJ_SK_EUlSX_E0_NS1_11comp_targetILNS1_3genE2ELNS1_11target_archE906ELNS1_3gpuE6ELNS1_3repE0EEENS1_38merge_mergepath_config_static_selectorELNS0_4arch9wavefront6targetE1EEEvSJ_.uses_flat_scratch, 0
	.set _ZN7rocprim17ROCPRIM_400000_NS6detail17trampoline_kernelINS0_14default_configENS1_38merge_sort_block_merge_config_selectorIiiEEZZNS1_27merge_sort_block_merge_implIS3_N6thrust23THRUST_200600_302600_NS6detail15normal_iteratorINS8_10device_ptrIiEEEESD_jNS1_19radix_merge_compareILb0ELb0EiNS0_19identity_decomposerEEEEE10hipError_tT0_T1_T2_jT3_P12ihipStream_tbPNSt15iterator_traitsISI_E10value_typeEPNSO_ISJ_E10value_typeEPSK_NS1_7vsmem_tEENKUlT_SI_SJ_SK_E_clISD_PiSD_S10_EESH_SX_SI_SJ_SK_EUlSX_E0_NS1_11comp_targetILNS1_3genE2ELNS1_11target_archE906ELNS1_3gpuE6ELNS1_3repE0EEENS1_38merge_mergepath_config_static_selectorELNS0_4arch9wavefront6targetE1EEEvSJ_.has_dyn_sized_stack, 0
	.set _ZN7rocprim17ROCPRIM_400000_NS6detail17trampoline_kernelINS0_14default_configENS1_38merge_sort_block_merge_config_selectorIiiEEZZNS1_27merge_sort_block_merge_implIS3_N6thrust23THRUST_200600_302600_NS6detail15normal_iteratorINS8_10device_ptrIiEEEESD_jNS1_19radix_merge_compareILb0ELb0EiNS0_19identity_decomposerEEEEE10hipError_tT0_T1_T2_jT3_P12ihipStream_tbPNSt15iterator_traitsISI_E10value_typeEPNSO_ISJ_E10value_typeEPSK_NS1_7vsmem_tEENKUlT_SI_SJ_SK_E_clISD_PiSD_S10_EESH_SX_SI_SJ_SK_EUlSX_E0_NS1_11comp_targetILNS1_3genE2ELNS1_11target_archE906ELNS1_3gpuE6ELNS1_3repE0EEENS1_38merge_mergepath_config_static_selectorELNS0_4arch9wavefront6targetE1EEEvSJ_.has_recursion, 0
	.set _ZN7rocprim17ROCPRIM_400000_NS6detail17trampoline_kernelINS0_14default_configENS1_38merge_sort_block_merge_config_selectorIiiEEZZNS1_27merge_sort_block_merge_implIS3_N6thrust23THRUST_200600_302600_NS6detail15normal_iteratorINS8_10device_ptrIiEEEESD_jNS1_19radix_merge_compareILb0ELb0EiNS0_19identity_decomposerEEEEE10hipError_tT0_T1_T2_jT3_P12ihipStream_tbPNSt15iterator_traitsISI_E10value_typeEPNSO_ISJ_E10value_typeEPSK_NS1_7vsmem_tEENKUlT_SI_SJ_SK_E_clISD_PiSD_S10_EESH_SX_SI_SJ_SK_EUlSX_E0_NS1_11comp_targetILNS1_3genE2ELNS1_11target_archE906ELNS1_3gpuE6ELNS1_3repE0EEENS1_38merge_mergepath_config_static_selectorELNS0_4arch9wavefront6targetE1EEEvSJ_.has_indirect_call, 0
	.section	.AMDGPU.csdata,"",@progbits
; Kernel info:
; codeLenInByte = 0
; TotalNumSgprs: 6
; NumVgprs: 0
; NumAgprs: 0
; TotalNumVgprs: 0
; ScratchSize: 0
; MemoryBound: 0
; FloatMode: 240
; IeeeMode: 1
; LDSByteSize: 0 bytes/workgroup (compile time only)
; SGPRBlocks: 0
; VGPRBlocks: 0
; NumSGPRsForWavesPerEU: 6
; NumVGPRsForWavesPerEU: 1
; AccumOffset: 4
; Occupancy: 8
; WaveLimiterHint : 0
; COMPUTE_PGM_RSRC2:SCRATCH_EN: 0
; COMPUTE_PGM_RSRC2:USER_SGPR: 2
; COMPUTE_PGM_RSRC2:TRAP_HANDLER: 0
; COMPUTE_PGM_RSRC2:TGID_X_EN: 1
; COMPUTE_PGM_RSRC2:TGID_Y_EN: 0
; COMPUTE_PGM_RSRC2:TGID_Z_EN: 0
; COMPUTE_PGM_RSRC2:TIDIG_COMP_CNT: 0
; COMPUTE_PGM_RSRC3_GFX90A:ACCUM_OFFSET: 0
; COMPUTE_PGM_RSRC3_GFX90A:TG_SPLIT: 0
	.section	.text._ZN7rocprim17ROCPRIM_400000_NS6detail17trampoline_kernelINS0_14default_configENS1_38merge_sort_block_merge_config_selectorIiiEEZZNS1_27merge_sort_block_merge_implIS3_N6thrust23THRUST_200600_302600_NS6detail15normal_iteratorINS8_10device_ptrIiEEEESD_jNS1_19radix_merge_compareILb0ELb0EiNS0_19identity_decomposerEEEEE10hipError_tT0_T1_T2_jT3_P12ihipStream_tbPNSt15iterator_traitsISI_E10value_typeEPNSO_ISJ_E10value_typeEPSK_NS1_7vsmem_tEENKUlT_SI_SJ_SK_E_clISD_PiSD_S10_EESH_SX_SI_SJ_SK_EUlSX_E0_NS1_11comp_targetILNS1_3genE9ELNS1_11target_archE1100ELNS1_3gpuE3ELNS1_3repE0EEENS1_38merge_mergepath_config_static_selectorELNS0_4arch9wavefront6targetE1EEEvSJ_,"axG",@progbits,_ZN7rocprim17ROCPRIM_400000_NS6detail17trampoline_kernelINS0_14default_configENS1_38merge_sort_block_merge_config_selectorIiiEEZZNS1_27merge_sort_block_merge_implIS3_N6thrust23THRUST_200600_302600_NS6detail15normal_iteratorINS8_10device_ptrIiEEEESD_jNS1_19radix_merge_compareILb0ELb0EiNS0_19identity_decomposerEEEEE10hipError_tT0_T1_T2_jT3_P12ihipStream_tbPNSt15iterator_traitsISI_E10value_typeEPNSO_ISJ_E10value_typeEPSK_NS1_7vsmem_tEENKUlT_SI_SJ_SK_E_clISD_PiSD_S10_EESH_SX_SI_SJ_SK_EUlSX_E0_NS1_11comp_targetILNS1_3genE9ELNS1_11target_archE1100ELNS1_3gpuE3ELNS1_3repE0EEENS1_38merge_mergepath_config_static_selectorELNS0_4arch9wavefront6targetE1EEEvSJ_,comdat
	.protected	_ZN7rocprim17ROCPRIM_400000_NS6detail17trampoline_kernelINS0_14default_configENS1_38merge_sort_block_merge_config_selectorIiiEEZZNS1_27merge_sort_block_merge_implIS3_N6thrust23THRUST_200600_302600_NS6detail15normal_iteratorINS8_10device_ptrIiEEEESD_jNS1_19radix_merge_compareILb0ELb0EiNS0_19identity_decomposerEEEEE10hipError_tT0_T1_T2_jT3_P12ihipStream_tbPNSt15iterator_traitsISI_E10value_typeEPNSO_ISJ_E10value_typeEPSK_NS1_7vsmem_tEENKUlT_SI_SJ_SK_E_clISD_PiSD_S10_EESH_SX_SI_SJ_SK_EUlSX_E0_NS1_11comp_targetILNS1_3genE9ELNS1_11target_archE1100ELNS1_3gpuE3ELNS1_3repE0EEENS1_38merge_mergepath_config_static_selectorELNS0_4arch9wavefront6targetE1EEEvSJ_ ; -- Begin function _ZN7rocprim17ROCPRIM_400000_NS6detail17trampoline_kernelINS0_14default_configENS1_38merge_sort_block_merge_config_selectorIiiEEZZNS1_27merge_sort_block_merge_implIS3_N6thrust23THRUST_200600_302600_NS6detail15normal_iteratorINS8_10device_ptrIiEEEESD_jNS1_19radix_merge_compareILb0ELb0EiNS0_19identity_decomposerEEEEE10hipError_tT0_T1_T2_jT3_P12ihipStream_tbPNSt15iterator_traitsISI_E10value_typeEPNSO_ISJ_E10value_typeEPSK_NS1_7vsmem_tEENKUlT_SI_SJ_SK_E_clISD_PiSD_S10_EESH_SX_SI_SJ_SK_EUlSX_E0_NS1_11comp_targetILNS1_3genE9ELNS1_11target_archE1100ELNS1_3gpuE3ELNS1_3repE0EEENS1_38merge_mergepath_config_static_selectorELNS0_4arch9wavefront6targetE1EEEvSJ_
	.globl	_ZN7rocprim17ROCPRIM_400000_NS6detail17trampoline_kernelINS0_14default_configENS1_38merge_sort_block_merge_config_selectorIiiEEZZNS1_27merge_sort_block_merge_implIS3_N6thrust23THRUST_200600_302600_NS6detail15normal_iteratorINS8_10device_ptrIiEEEESD_jNS1_19radix_merge_compareILb0ELb0EiNS0_19identity_decomposerEEEEE10hipError_tT0_T1_T2_jT3_P12ihipStream_tbPNSt15iterator_traitsISI_E10value_typeEPNSO_ISJ_E10value_typeEPSK_NS1_7vsmem_tEENKUlT_SI_SJ_SK_E_clISD_PiSD_S10_EESH_SX_SI_SJ_SK_EUlSX_E0_NS1_11comp_targetILNS1_3genE9ELNS1_11target_archE1100ELNS1_3gpuE3ELNS1_3repE0EEENS1_38merge_mergepath_config_static_selectorELNS0_4arch9wavefront6targetE1EEEvSJ_
	.p2align	8
	.type	_ZN7rocprim17ROCPRIM_400000_NS6detail17trampoline_kernelINS0_14default_configENS1_38merge_sort_block_merge_config_selectorIiiEEZZNS1_27merge_sort_block_merge_implIS3_N6thrust23THRUST_200600_302600_NS6detail15normal_iteratorINS8_10device_ptrIiEEEESD_jNS1_19radix_merge_compareILb0ELb0EiNS0_19identity_decomposerEEEEE10hipError_tT0_T1_T2_jT3_P12ihipStream_tbPNSt15iterator_traitsISI_E10value_typeEPNSO_ISJ_E10value_typeEPSK_NS1_7vsmem_tEENKUlT_SI_SJ_SK_E_clISD_PiSD_S10_EESH_SX_SI_SJ_SK_EUlSX_E0_NS1_11comp_targetILNS1_3genE9ELNS1_11target_archE1100ELNS1_3gpuE3ELNS1_3repE0EEENS1_38merge_mergepath_config_static_selectorELNS0_4arch9wavefront6targetE1EEEvSJ_,@function
_ZN7rocprim17ROCPRIM_400000_NS6detail17trampoline_kernelINS0_14default_configENS1_38merge_sort_block_merge_config_selectorIiiEEZZNS1_27merge_sort_block_merge_implIS3_N6thrust23THRUST_200600_302600_NS6detail15normal_iteratorINS8_10device_ptrIiEEEESD_jNS1_19radix_merge_compareILb0ELb0EiNS0_19identity_decomposerEEEEE10hipError_tT0_T1_T2_jT3_P12ihipStream_tbPNSt15iterator_traitsISI_E10value_typeEPNSO_ISJ_E10value_typeEPSK_NS1_7vsmem_tEENKUlT_SI_SJ_SK_E_clISD_PiSD_S10_EESH_SX_SI_SJ_SK_EUlSX_E0_NS1_11comp_targetILNS1_3genE9ELNS1_11target_archE1100ELNS1_3gpuE3ELNS1_3repE0EEENS1_38merge_mergepath_config_static_selectorELNS0_4arch9wavefront6targetE1EEEvSJ_: ; @_ZN7rocprim17ROCPRIM_400000_NS6detail17trampoline_kernelINS0_14default_configENS1_38merge_sort_block_merge_config_selectorIiiEEZZNS1_27merge_sort_block_merge_implIS3_N6thrust23THRUST_200600_302600_NS6detail15normal_iteratorINS8_10device_ptrIiEEEESD_jNS1_19radix_merge_compareILb0ELb0EiNS0_19identity_decomposerEEEEE10hipError_tT0_T1_T2_jT3_P12ihipStream_tbPNSt15iterator_traitsISI_E10value_typeEPNSO_ISJ_E10value_typeEPSK_NS1_7vsmem_tEENKUlT_SI_SJ_SK_E_clISD_PiSD_S10_EESH_SX_SI_SJ_SK_EUlSX_E0_NS1_11comp_targetILNS1_3genE9ELNS1_11target_archE1100ELNS1_3gpuE3ELNS1_3repE0EEENS1_38merge_mergepath_config_static_selectorELNS0_4arch9wavefront6targetE1EEEvSJ_
; %bb.0:
	.section	.rodata,"a",@progbits
	.p2align	6, 0x0
	.amdhsa_kernel _ZN7rocprim17ROCPRIM_400000_NS6detail17trampoline_kernelINS0_14default_configENS1_38merge_sort_block_merge_config_selectorIiiEEZZNS1_27merge_sort_block_merge_implIS3_N6thrust23THRUST_200600_302600_NS6detail15normal_iteratorINS8_10device_ptrIiEEEESD_jNS1_19radix_merge_compareILb0ELb0EiNS0_19identity_decomposerEEEEE10hipError_tT0_T1_T2_jT3_P12ihipStream_tbPNSt15iterator_traitsISI_E10value_typeEPNSO_ISJ_E10value_typeEPSK_NS1_7vsmem_tEENKUlT_SI_SJ_SK_E_clISD_PiSD_S10_EESH_SX_SI_SJ_SK_EUlSX_E0_NS1_11comp_targetILNS1_3genE9ELNS1_11target_archE1100ELNS1_3gpuE3ELNS1_3repE0EEENS1_38merge_mergepath_config_static_selectorELNS0_4arch9wavefront6targetE1EEEvSJ_
		.amdhsa_group_segment_fixed_size 0
		.amdhsa_private_segment_fixed_size 0
		.amdhsa_kernarg_size 64
		.amdhsa_user_sgpr_count 2
		.amdhsa_user_sgpr_dispatch_ptr 0
		.amdhsa_user_sgpr_queue_ptr 0
		.amdhsa_user_sgpr_kernarg_segment_ptr 1
		.amdhsa_user_sgpr_dispatch_id 0
		.amdhsa_user_sgpr_kernarg_preload_length 0
		.amdhsa_user_sgpr_kernarg_preload_offset 0
		.amdhsa_user_sgpr_private_segment_size 0
		.amdhsa_uses_dynamic_stack 0
		.amdhsa_enable_private_segment 0
		.amdhsa_system_sgpr_workgroup_id_x 1
		.amdhsa_system_sgpr_workgroup_id_y 0
		.amdhsa_system_sgpr_workgroup_id_z 0
		.amdhsa_system_sgpr_workgroup_info 0
		.amdhsa_system_vgpr_workitem_id 0
		.amdhsa_next_free_vgpr 1
		.amdhsa_next_free_sgpr 0
		.amdhsa_accum_offset 4
		.amdhsa_reserve_vcc 0
		.amdhsa_float_round_mode_32 0
		.amdhsa_float_round_mode_16_64 0
		.amdhsa_float_denorm_mode_32 3
		.amdhsa_float_denorm_mode_16_64 3
		.amdhsa_dx10_clamp 1
		.amdhsa_ieee_mode 1
		.amdhsa_fp16_overflow 0
		.amdhsa_tg_split 0
		.amdhsa_exception_fp_ieee_invalid_op 0
		.amdhsa_exception_fp_denorm_src 0
		.amdhsa_exception_fp_ieee_div_zero 0
		.amdhsa_exception_fp_ieee_overflow 0
		.amdhsa_exception_fp_ieee_underflow 0
		.amdhsa_exception_fp_ieee_inexact 0
		.amdhsa_exception_int_div_zero 0
	.end_amdhsa_kernel
	.section	.text._ZN7rocprim17ROCPRIM_400000_NS6detail17trampoline_kernelINS0_14default_configENS1_38merge_sort_block_merge_config_selectorIiiEEZZNS1_27merge_sort_block_merge_implIS3_N6thrust23THRUST_200600_302600_NS6detail15normal_iteratorINS8_10device_ptrIiEEEESD_jNS1_19radix_merge_compareILb0ELb0EiNS0_19identity_decomposerEEEEE10hipError_tT0_T1_T2_jT3_P12ihipStream_tbPNSt15iterator_traitsISI_E10value_typeEPNSO_ISJ_E10value_typeEPSK_NS1_7vsmem_tEENKUlT_SI_SJ_SK_E_clISD_PiSD_S10_EESH_SX_SI_SJ_SK_EUlSX_E0_NS1_11comp_targetILNS1_3genE9ELNS1_11target_archE1100ELNS1_3gpuE3ELNS1_3repE0EEENS1_38merge_mergepath_config_static_selectorELNS0_4arch9wavefront6targetE1EEEvSJ_,"axG",@progbits,_ZN7rocprim17ROCPRIM_400000_NS6detail17trampoline_kernelINS0_14default_configENS1_38merge_sort_block_merge_config_selectorIiiEEZZNS1_27merge_sort_block_merge_implIS3_N6thrust23THRUST_200600_302600_NS6detail15normal_iteratorINS8_10device_ptrIiEEEESD_jNS1_19radix_merge_compareILb0ELb0EiNS0_19identity_decomposerEEEEE10hipError_tT0_T1_T2_jT3_P12ihipStream_tbPNSt15iterator_traitsISI_E10value_typeEPNSO_ISJ_E10value_typeEPSK_NS1_7vsmem_tEENKUlT_SI_SJ_SK_E_clISD_PiSD_S10_EESH_SX_SI_SJ_SK_EUlSX_E0_NS1_11comp_targetILNS1_3genE9ELNS1_11target_archE1100ELNS1_3gpuE3ELNS1_3repE0EEENS1_38merge_mergepath_config_static_selectorELNS0_4arch9wavefront6targetE1EEEvSJ_,comdat
.Lfunc_end746:
	.size	_ZN7rocprim17ROCPRIM_400000_NS6detail17trampoline_kernelINS0_14default_configENS1_38merge_sort_block_merge_config_selectorIiiEEZZNS1_27merge_sort_block_merge_implIS3_N6thrust23THRUST_200600_302600_NS6detail15normal_iteratorINS8_10device_ptrIiEEEESD_jNS1_19radix_merge_compareILb0ELb0EiNS0_19identity_decomposerEEEEE10hipError_tT0_T1_T2_jT3_P12ihipStream_tbPNSt15iterator_traitsISI_E10value_typeEPNSO_ISJ_E10value_typeEPSK_NS1_7vsmem_tEENKUlT_SI_SJ_SK_E_clISD_PiSD_S10_EESH_SX_SI_SJ_SK_EUlSX_E0_NS1_11comp_targetILNS1_3genE9ELNS1_11target_archE1100ELNS1_3gpuE3ELNS1_3repE0EEENS1_38merge_mergepath_config_static_selectorELNS0_4arch9wavefront6targetE1EEEvSJ_, .Lfunc_end746-_ZN7rocprim17ROCPRIM_400000_NS6detail17trampoline_kernelINS0_14default_configENS1_38merge_sort_block_merge_config_selectorIiiEEZZNS1_27merge_sort_block_merge_implIS3_N6thrust23THRUST_200600_302600_NS6detail15normal_iteratorINS8_10device_ptrIiEEEESD_jNS1_19radix_merge_compareILb0ELb0EiNS0_19identity_decomposerEEEEE10hipError_tT0_T1_T2_jT3_P12ihipStream_tbPNSt15iterator_traitsISI_E10value_typeEPNSO_ISJ_E10value_typeEPSK_NS1_7vsmem_tEENKUlT_SI_SJ_SK_E_clISD_PiSD_S10_EESH_SX_SI_SJ_SK_EUlSX_E0_NS1_11comp_targetILNS1_3genE9ELNS1_11target_archE1100ELNS1_3gpuE3ELNS1_3repE0EEENS1_38merge_mergepath_config_static_selectorELNS0_4arch9wavefront6targetE1EEEvSJ_
                                        ; -- End function
	.set _ZN7rocprim17ROCPRIM_400000_NS6detail17trampoline_kernelINS0_14default_configENS1_38merge_sort_block_merge_config_selectorIiiEEZZNS1_27merge_sort_block_merge_implIS3_N6thrust23THRUST_200600_302600_NS6detail15normal_iteratorINS8_10device_ptrIiEEEESD_jNS1_19radix_merge_compareILb0ELb0EiNS0_19identity_decomposerEEEEE10hipError_tT0_T1_T2_jT3_P12ihipStream_tbPNSt15iterator_traitsISI_E10value_typeEPNSO_ISJ_E10value_typeEPSK_NS1_7vsmem_tEENKUlT_SI_SJ_SK_E_clISD_PiSD_S10_EESH_SX_SI_SJ_SK_EUlSX_E0_NS1_11comp_targetILNS1_3genE9ELNS1_11target_archE1100ELNS1_3gpuE3ELNS1_3repE0EEENS1_38merge_mergepath_config_static_selectorELNS0_4arch9wavefront6targetE1EEEvSJ_.num_vgpr, 0
	.set _ZN7rocprim17ROCPRIM_400000_NS6detail17trampoline_kernelINS0_14default_configENS1_38merge_sort_block_merge_config_selectorIiiEEZZNS1_27merge_sort_block_merge_implIS3_N6thrust23THRUST_200600_302600_NS6detail15normal_iteratorINS8_10device_ptrIiEEEESD_jNS1_19radix_merge_compareILb0ELb0EiNS0_19identity_decomposerEEEEE10hipError_tT0_T1_T2_jT3_P12ihipStream_tbPNSt15iterator_traitsISI_E10value_typeEPNSO_ISJ_E10value_typeEPSK_NS1_7vsmem_tEENKUlT_SI_SJ_SK_E_clISD_PiSD_S10_EESH_SX_SI_SJ_SK_EUlSX_E0_NS1_11comp_targetILNS1_3genE9ELNS1_11target_archE1100ELNS1_3gpuE3ELNS1_3repE0EEENS1_38merge_mergepath_config_static_selectorELNS0_4arch9wavefront6targetE1EEEvSJ_.num_agpr, 0
	.set _ZN7rocprim17ROCPRIM_400000_NS6detail17trampoline_kernelINS0_14default_configENS1_38merge_sort_block_merge_config_selectorIiiEEZZNS1_27merge_sort_block_merge_implIS3_N6thrust23THRUST_200600_302600_NS6detail15normal_iteratorINS8_10device_ptrIiEEEESD_jNS1_19radix_merge_compareILb0ELb0EiNS0_19identity_decomposerEEEEE10hipError_tT0_T1_T2_jT3_P12ihipStream_tbPNSt15iterator_traitsISI_E10value_typeEPNSO_ISJ_E10value_typeEPSK_NS1_7vsmem_tEENKUlT_SI_SJ_SK_E_clISD_PiSD_S10_EESH_SX_SI_SJ_SK_EUlSX_E0_NS1_11comp_targetILNS1_3genE9ELNS1_11target_archE1100ELNS1_3gpuE3ELNS1_3repE0EEENS1_38merge_mergepath_config_static_selectorELNS0_4arch9wavefront6targetE1EEEvSJ_.numbered_sgpr, 0
	.set _ZN7rocprim17ROCPRIM_400000_NS6detail17trampoline_kernelINS0_14default_configENS1_38merge_sort_block_merge_config_selectorIiiEEZZNS1_27merge_sort_block_merge_implIS3_N6thrust23THRUST_200600_302600_NS6detail15normal_iteratorINS8_10device_ptrIiEEEESD_jNS1_19radix_merge_compareILb0ELb0EiNS0_19identity_decomposerEEEEE10hipError_tT0_T1_T2_jT3_P12ihipStream_tbPNSt15iterator_traitsISI_E10value_typeEPNSO_ISJ_E10value_typeEPSK_NS1_7vsmem_tEENKUlT_SI_SJ_SK_E_clISD_PiSD_S10_EESH_SX_SI_SJ_SK_EUlSX_E0_NS1_11comp_targetILNS1_3genE9ELNS1_11target_archE1100ELNS1_3gpuE3ELNS1_3repE0EEENS1_38merge_mergepath_config_static_selectorELNS0_4arch9wavefront6targetE1EEEvSJ_.num_named_barrier, 0
	.set _ZN7rocprim17ROCPRIM_400000_NS6detail17trampoline_kernelINS0_14default_configENS1_38merge_sort_block_merge_config_selectorIiiEEZZNS1_27merge_sort_block_merge_implIS3_N6thrust23THRUST_200600_302600_NS6detail15normal_iteratorINS8_10device_ptrIiEEEESD_jNS1_19radix_merge_compareILb0ELb0EiNS0_19identity_decomposerEEEEE10hipError_tT0_T1_T2_jT3_P12ihipStream_tbPNSt15iterator_traitsISI_E10value_typeEPNSO_ISJ_E10value_typeEPSK_NS1_7vsmem_tEENKUlT_SI_SJ_SK_E_clISD_PiSD_S10_EESH_SX_SI_SJ_SK_EUlSX_E0_NS1_11comp_targetILNS1_3genE9ELNS1_11target_archE1100ELNS1_3gpuE3ELNS1_3repE0EEENS1_38merge_mergepath_config_static_selectorELNS0_4arch9wavefront6targetE1EEEvSJ_.private_seg_size, 0
	.set _ZN7rocprim17ROCPRIM_400000_NS6detail17trampoline_kernelINS0_14default_configENS1_38merge_sort_block_merge_config_selectorIiiEEZZNS1_27merge_sort_block_merge_implIS3_N6thrust23THRUST_200600_302600_NS6detail15normal_iteratorINS8_10device_ptrIiEEEESD_jNS1_19radix_merge_compareILb0ELb0EiNS0_19identity_decomposerEEEEE10hipError_tT0_T1_T2_jT3_P12ihipStream_tbPNSt15iterator_traitsISI_E10value_typeEPNSO_ISJ_E10value_typeEPSK_NS1_7vsmem_tEENKUlT_SI_SJ_SK_E_clISD_PiSD_S10_EESH_SX_SI_SJ_SK_EUlSX_E0_NS1_11comp_targetILNS1_3genE9ELNS1_11target_archE1100ELNS1_3gpuE3ELNS1_3repE0EEENS1_38merge_mergepath_config_static_selectorELNS0_4arch9wavefront6targetE1EEEvSJ_.uses_vcc, 0
	.set _ZN7rocprim17ROCPRIM_400000_NS6detail17trampoline_kernelINS0_14default_configENS1_38merge_sort_block_merge_config_selectorIiiEEZZNS1_27merge_sort_block_merge_implIS3_N6thrust23THRUST_200600_302600_NS6detail15normal_iteratorINS8_10device_ptrIiEEEESD_jNS1_19radix_merge_compareILb0ELb0EiNS0_19identity_decomposerEEEEE10hipError_tT0_T1_T2_jT3_P12ihipStream_tbPNSt15iterator_traitsISI_E10value_typeEPNSO_ISJ_E10value_typeEPSK_NS1_7vsmem_tEENKUlT_SI_SJ_SK_E_clISD_PiSD_S10_EESH_SX_SI_SJ_SK_EUlSX_E0_NS1_11comp_targetILNS1_3genE9ELNS1_11target_archE1100ELNS1_3gpuE3ELNS1_3repE0EEENS1_38merge_mergepath_config_static_selectorELNS0_4arch9wavefront6targetE1EEEvSJ_.uses_flat_scratch, 0
	.set _ZN7rocprim17ROCPRIM_400000_NS6detail17trampoline_kernelINS0_14default_configENS1_38merge_sort_block_merge_config_selectorIiiEEZZNS1_27merge_sort_block_merge_implIS3_N6thrust23THRUST_200600_302600_NS6detail15normal_iteratorINS8_10device_ptrIiEEEESD_jNS1_19radix_merge_compareILb0ELb0EiNS0_19identity_decomposerEEEEE10hipError_tT0_T1_T2_jT3_P12ihipStream_tbPNSt15iterator_traitsISI_E10value_typeEPNSO_ISJ_E10value_typeEPSK_NS1_7vsmem_tEENKUlT_SI_SJ_SK_E_clISD_PiSD_S10_EESH_SX_SI_SJ_SK_EUlSX_E0_NS1_11comp_targetILNS1_3genE9ELNS1_11target_archE1100ELNS1_3gpuE3ELNS1_3repE0EEENS1_38merge_mergepath_config_static_selectorELNS0_4arch9wavefront6targetE1EEEvSJ_.has_dyn_sized_stack, 0
	.set _ZN7rocprim17ROCPRIM_400000_NS6detail17trampoline_kernelINS0_14default_configENS1_38merge_sort_block_merge_config_selectorIiiEEZZNS1_27merge_sort_block_merge_implIS3_N6thrust23THRUST_200600_302600_NS6detail15normal_iteratorINS8_10device_ptrIiEEEESD_jNS1_19radix_merge_compareILb0ELb0EiNS0_19identity_decomposerEEEEE10hipError_tT0_T1_T2_jT3_P12ihipStream_tbPNSt15iterator_traitsISI_E10value_typeEPNSO_ISJ_E10value_typeEPSK_NS1_7vsmem_tEENKUlT_SI_SJ_SK_E_clISD_PiSD_S10_EESH_SX_SI_SJ_SK_EUlSX_E0_NS1_11comp_targetILNS1_3genE9ELNS1_11target_archE1100ELNS1_3gpuE3ELNS1_3repE0EEENS1_38merge_mergepath_config_static_selectorELNS0_4arch9wavefront6targetE1EEEvSJ_.has_recursion, 0
	.set _ZN7rocprim17ROCPRIM_400000_NS6detail17trampoline_kernelINS0_14default_configENS1_38merge_sort_block_merge_config_selectorIiiEEZZNS1_27merge_sort_block_merge_implIS3_N6thrust23THRUST_200600_302600_NS6detail15normal_iteratorINS8_10device_ptrIiEEEESD_jNS1_19radix_merge_compareILb0ELb0EiNS0_19identity_decomposerEEEEE10hipError_tT0_T1_T2_jT3_P12ihipStream_tbPNSt15iterator_traitsISI_E10value_typeEPNSO_ISJ_E10value_typeEPSK_NS1_7vsmem_tEENKUlT_SI_SJ_SK_E_clISD_PiSD_S10_EESH_SX_SI_SJ_SK_EUlSX_E0_NS1_11comp_targetILNS1_3genE9ELNS1_11target_archE1100ELNS1_3gpuE3ELNS1_3repE0EEENS1_38merge_mergepath_config_static_selectorELNS0_4arch9wavefront6targetE1EEEvSJ_.has_indirect_call, 0
	.section	.AMDGPU.csdata,"",@progbits
; Kernel info:
; codeLenInByte = 0
; TotalNumSgprs: 6
; NumVgprs: 0
; NumAgprs: 0
; TotalNumVgprs: 0
; ScratchSize: 0
; MemoryBound: 0
; FloatMode: 240
; IeeeMode: 1
; LDSByteSize: 0 bytes/workgroup (compile time only)
; SGPRBlocks: 0
; VGPRBlocks: 0
; NumSGPRsForWavesPerEU: 6
; NumVGPRsForWavesPerEU: 1
; AccumOffset: 4
; Occupancy: 8
; WaveLimiterHint : 0
; COMPUTE_PGM_RSRC2:SCRATCH_EN: 0
; COMPUTE_PGM_RSRC2:USER_SGPR: 2
; COMPUTE_PGM_RSRC2:TRAP_HANDLER: 0
; COMPUTE_PGM_RSRC2:TGID_X_EN: 1
; COMPUTE_PGM_RSRC2:TGID_Y_EN: 0
; COMPUTE_PGM_RSRC2:TGID_Z_EN: 0
; COMPUTE_PGM_RSRC2:TIDIG_COMP_CNT: 0
; COMPUTE_PGM_RSRC3_GFX90A:ACCUM_OFFSET: 0
; COMPUTE_PGM_RSRC3_GFX90A:TG_SPLIT: 0
	.section	.text._ZN7rocprim17ROCPRIM_400000_NS6detail17trampoline_kernelINS0_14default_configENS1_38merge_sort_block_merge_config_selectorIiiEEZZNS1_27merge_sort_block_merge_implIS3_N6thrust23THRUST_200600_302600_NS6detail15normal_iteratorINS8_10device_ptrIiEEEESD_jNS1_19radix_merge_compareILb0ELb0EiNS0_19identity_decomposerEEEEE10hipError_tT0_T1_T2_jT3_P12ihipStream_tbPNSt15iterator_traitsISI_E10value_typeEPNSO_ISJ_E10value_typeEPSK_NS1_7vsmem_tEENKUlT_SI_SJ_SK_E_clISD_PiSD_S10_EESH_SX_SI_SJ_SK_EUlSX_E0_NS1_11comp_targetILNS1_3genE8ELNS1_11target_archE1030ELNS1_3gpuE2ELNS1_3repE0EEENS1_38merge_mergepath_config_static_selectorELNS0_4arch9wavefront6targetE1EEEvSJ_,"axG",@progbits,_ZN7rocprim17ROCPRIM_400000_NS6detail17trampoline_kernelINS0_14default_configENS1_38merge_sort_block_merge_config_selectorIiiEEZZNS1_27merge_sort_block_merge_implIS3_N6thrust23THRUST_200600_302600_NS6detail15normal_iteratorINS8_10device_ptrIiEEEESD_jNS1_19radix_merge_compareILb0ELb0EiNS0_19identity_decomposerEEEEE10hipError_tT0_T1_T2_jT3_P12ihipStream_tbPNSt15iterator_traitsISI_E10value_typeEPNSO_ISJ_E10value_typeEPSK_NS1_7vsmem_tEENKUlT_SI_SJ_SK_E_clISD_PiSD_S10_EESH_SX_SI_SJ_SK_EUlSX_E0_NS1_11comp_targetILNS1_3genE8ELNS1_11target_archE1030ELNS1_3gpuE2ELNS1_3repE0EEENS1_38merge_mergepath_config_static_selectorELNS0_4arch9wavefront6targetE1EEEvSJ_,comdat
	.protected	_ZN7rocprim17ROCPRIM_400000_NS6detail17trampoline_kernelINS0_14default_configENS1_38merge_sort_block_merge_config_selectorIiiEEZZNS1_27merge_sort_block_merge_implIS3_N6thrust23THRUST_200600_302600_NS6detail15normal_iteratorINS8_10device_ptrIiEEEESD_jNS1_19radix_merge_compareILb0ELb0EiNS0_19identity_decomposerEEEEE10hipError_tT0_T1_T2_jT3_P12ihipStream_tbPNSt15iterator_traitsISI_E10value_typeEPNSO_ISJ_E10value_typeEPSK_NS1_7vsmem_tEENKUlT_SI_SJ_SK_E_clISD_PiSD_S10_EESH_SX_SI_SJ_SK_EUlSX_E0_NS1_11comp_targetILNS1_3genE8ELNS1_11target_archE1030ELNS1_3gpuE2ELNS1_3repE0EEENS1_38merge_mergepath_config_static_selectorELNS0_4arch9wavefront6targetE1EEEvSJ_ ; -- Begin function _ZN7rocprim17ROCPRIM_400000_NS6detail17trampoline_kernelINS0_14default_configENS1_38merge_sort_block_merge_config_selectorIiiEEZZNS1_27merge_sort_block_merge_implIS3_N6thrust23THRUST_200600_302600_NS6detail15normal_iteratorINS8_10device_ptrIiEEEESD_jNS1_19radix_merge_compareILb0ELb0EiNS0_19identity_decomposerEEEEE10hipError_tT0_T1_T2_jT3_P12ihipStream_tbPNSt15iterator_traitsISI_E10value_typeEPNSO_ISJ_E10value_typeEPSK_NS1_7vsmem_tEENKUlT_SI_SJ_SK_E_clISD_PiSD_S10_EESH_SX_SI_SJ_SK_EUlSX_E0_NS1_11comp_targetILNS1_3genE8ELNS1_11target_archE1030ELNS1_3gpuE2ELNS1_3repE0EEENS1_38merge_mergepath_config_static_selectorELNS0_4arch9wavefront6targetE1EEEvSJ_
	.globl	_ZN7rocprim17ROCPRIM_400000_NS6detail17trampoline_kernelINS0_14default_configENS1_38merge_sort_block_merge_config_selectorIiiEEZZNS1_27merge_sort_block_merge_implIS3_N6thrust23THRUST_200600_302600_NS6detail15normal_iteratorINS8_10device_ptrIiEEEESD_jNS1_19radix_merge_compareILb0ELb0EiNS0_19identity_decomposerEEEEE10hipError_tT0_T1_T2_jT3_P12ihipStream_tbPNSt15iterator_traitsISI_E10value_typeEPNSO_ISJ_E10value_typeEPSK_NS1_7vsmem_tEENKUlT_SI_SJ_SK_E_clISD_PiSD_S10_EESH_SX_SI_SJ_SK_EUlSX_E0_NS1_11comp_targetILNS1_3genE8ELNS1_11target_archE1030ELNS1_3gpuE2ELNS1_3repE0EEENS1_38merge_mergepath_config_static_selectorELNS0_4arch9wavefront6targetE1EEEvSJ_
	.p2align	8
	.type	_ZN7rocprim17ROCPRIM_400000_NS6detail17trampoline_kernelINS0_14default_configENS1_38merge_sort_block_merge_config_selectorIiiEEZZNS1_27merge_sort_block_merge_implIS3_N6thrust23THRUST_200600_302600_NS6detail15normal_iteratorINS8_10device_ptrIiEEEESD_jNS1_19radix_merge_compareILb0ELb0EiNS0_19identity_decomposerEEEEE10hipError_tT0_T1_T2_jT3_P12ihipStream_tbPNSt15iterator_traitsISI_E10value_typeEPNSO_ISJ_E10value_typeEPSK_NS1_7vsmem_tEENKUlT_SI_SJ_SK_E_clISD_PiSD_S10_EESH_SX_SI_SJ_SK_EUlSX_E0_NS1_11comp_targetILNS1_3genE8ELNS1_11target_archE1030ELNS1_3gpuE2ELNS1_3repE0EEENS1_38merge_mergepath_config_static_selectorELNS0_4arch9wavefront6targetE1EEEvSJ_,@function
_ZN7rocprim17ROCPRIM_400000_NS6detail17trampoline_kernelINS0_14default_configENS1_38merge_sort_block_merge_config_selectorIiiEEZZNS1_27merge_sort_block_merge_implIS3_N6thrust23THRUST_200600_302600_NS6detail15normal_iteratorINS8_10device_ptrIiEEEESD_jNS1_19radix_merge_compareILb0ELb0EiNS0_19identity_decomposerEEEEE10hipError_tT0_T1_T2_jT3_P12ihipStream_tbPNSt15iterator_traitsISI_E10value_typeEPNSO_ISJ_E10value_typeEPSK_NS1_7vsmem_tEENKUlT_SI_SJ_SK_E_clISD_PiSD_S10_EESH_SX_SI_SJ_SK_EUlSX_E0_NS1_11comp_targetILNS1_3genE8ELNS1_11target_archE1030ELNS1_3gpuE2ELNS1_3repE0EEENS1_38merge_mergepath_config_static_selectorELNS0_4arch9wavefront6targetE1EEEvSJ_: ; @_ZN7rocprim17ROCPRIM_400000_NS6detail17trampoline_kernelINS0_14default_configENS1_38merge_sort_block_merge_config_selectorIiiEEZZNS1_27merge_sort_block_merge_implIS3_N6thrust23THRUST_200600_302600_NS6detail15normal_iteratorINS8_10device_ptrIiEEEESD_jNS1_19radix_merge_compareILb0ELb0EiNS0_19identity_decomposerEEEEE10hipError_tT0_T1_T2_jT3_P12ihipStream_tbPNSt15iterator_traitsISI_E10value_typeEPNSO_ISJ_E10value_typeEPSK_NS1_7vsmem_tEENKUlT_SI_SJ_SK_E_clISD_PiSD_S10_EESH_SX_SI_SJ_SK_EUlSX_E0_NS1_11comp_targetILNS1_3genE8ELNS1_11target_archE1030ELNS1_3gpuE2ELNS1_3repE0EEENS1_38merge_mergepath_config_static_selectorELNS0_4arch9wavefront6targetE1EEEvSJ_
; %bb.0:
	.section	.rodata,"a",@progbits
	.p2align	6, 0x0
	.amdhsa_kernel _ZN7rocprim17ROCPRIM_400000_NS6detail17trampoline_kernelINS0_14default_configENS1_38merge_sort_block_merge_config_selectorIiiEEZZNS1_27merge_sort_block_merge_implIS3_N6thrust23THRUST_200600_302600_NS6detail15normal_iteratorINS8_10device_ptrIiEEEESD_jNS1_19radix_merge_compareILb0ELb0EiNS0_19identity_decomposerEEEEE10hipError_tT0_T1_T2_jT3_P12ihipStream_tbPNSt15iterator_traitsISI_E10value_typeEPNSO_ISJ_E10value_typeEPSK_NS1_7vsmem_tEENKUlT_SI_SJ_SK_E_clISD_PiSD_S10_EESH_SX_SI_SJ_SK_EUlSX_E0_NS1_11comp_targetILNS1_3genE8ELNS1_11target_archE1030ELNS1_3gpuE2ELNS1_3repE0EEENS1_38merge_mergepath_config_static_selectorELNS0_4arch9wavefront6targetE1EEEvSJ_
		.amdhsa_group_segment_fixed_size 0
		.amdhsa_private_segment_fixed_size 0
		.amdhsa_kernarg_size 64
		.amdhsa_user_sgpr_count 2
		.amdhsa_user_sgpr_dispatch_ptr 0
		.amdhsa_user_sgpr_queue_ptr 0
		.amdhsa_user_sgpr_kernarg_segment_ptr 1
		.amdhsa_user_sgpr_dispatch_id 0
		.amdhsa_user_sgpr_kernarg_preload_length 0
		.amdhsa_user_sgpr_kernarg_preload_offset 0
		.amdhsa_user_sgpr_private_segment_size 0
		.amdhsa_uses_dynamic_stack 0
		.amdhsa_enable_private_segment 0
		.amdhsa_system_sgpr_workgroup_id_x 1
		.amdhsa_system_sgpr_workgroup_id_y 0
		.amdhsa_system_sgpr_workgroup_id_z 0
		.amdhsa_system_sgpr_workgroup_info 0
		.amdhsa_system_vgpr_workitem_id 0
		.amdhsa_next_free_vgpr 1
		.amdhsa_next_free_sgpr 0
		.amdhsa_accum_offset 4
		.amdhsa_reserve_vcc 0
		.amdhsa_float_round_mode_32 0
		.amdhsa_float_round_mode_16_64 0
		.amdhsa_float_denorm_mode_32 3
		.amdhsa_float_denorm_mode_16_64 3
		.amdhsa_dx10_clamp 1
		.amdhsa_ieee_mode 1
		.amdhsa_fp16_overflow 0
		.amdhsa_tg_split 0
		.amdhsa_exception_fp_ieee_invalid_op 0
		.amdhsa_exception_fp_denorm_src 0
		.amdhsa_exception_fp_ieee_div_zero 0
		.amdhsa_exception_fp_ieee_overflow 0
		.amdhsa_exception_fp_ieee_underflow 0
		.amdhsa_exception_fp_ieee_inexact 0
		.amdhsa_exception_int_div_zero 0
	.end_amdhsa_kernel
	.section	.text._ZN7rocprim17ROCPRIM_400000_NS6detail17trampoline_kernelINS0_14default_configENS1_38merge_sort_block_merge_config_selectorIiiEEZZNS1_27merge_sort_block_merge_implIS3_N6thrust23THRUST_200600_302600_NS6detail15normal_iteratorINS8_10device_ptrIiEEEESD_jNS1_19radix_merge_compareILb0ELb0EiNS0_19identity_decomposerEEEEE10hipError_tT0_T1_T2_jT3_P12ihipStream_tbPNSt15iterator_traitsISI_E10value_typeEPNSO_ISJ_E10value_typeEPSK_NS1_7vsmem_tEENKUlT_SI_SJ_SK_E_clISD_PiSD_S10_EESH_SX_SI_SJ_SK_EUlSX_E0_NS1_11comp_targetILNS1_3genE8ELNS1_11target_archE1030ELNS1_3gpuE2ELNS1_3repE0EEENS1_38merge_mergepath_config_static_selectorELNS0_4arch9wavefront6targetE1EEEvSJ_,"axG",@progbits,_ZN7rocprim17ROCPRIM_400000_NS6detail17trampoline_kernelINS0_14default_configENS1_38merge_sort_block_merge_config_selectorIiiEEZZNS1_27merge_sort_block_merge_implIS3_N6thrust23THRUST_200600_302600_NS6detail15normal_iteratorINS8_10device_ptrIiEEEESD_jNS1_19radix_merge_compareILb0ELb0EiNS0_19identity_decomposerEEEEE10hipError_tT0_T1_T2_jT3_P12ihipStream_tbPNSt15iterator_traitsISI_E10value_typeEPNSO_ISJ_E10value_typeEPSK_NS1_7vsmem_tEENKUlT_SI_SJ_SK_E_clISD_PiSD_S10_EESH_SX_SI_SJ_SK_EUlSX_E0_NS1_11comp_targetILNS1_3genE8ELNS1_11target_archE1030ELNS1_3gpuE2ELNS1_3repE0EEENS1_38merge_mergepath_config_static_selectorELNS0_4arch9wavefront6targetE1EEEvSJ_,comdat
.Lfunc_end747:
	.size	_ZN7rocprim17ROCPRIM_400000_NS6detail17trampoline_kernelINS0_14default_configENS1_38merge_sort_block_merge_config_selectorIiiEEZZNS1_27merge_sort_block_merge_implIS3_N6thrust23THRUST_200600_302600_NS6detail15normal_iteratorINS8_10device_ptrIiEEEESD_jNS1_19radix_merge_compareILb0ELb0EiNS0_19identity_decomposerEEEEE10hipError_tT0_T1_T2_jT3_P12ihipStream_tbPNSt15iterator_traitsISI_E10value_typeEPNSO_ISJ_E10value_typeEPSK_NS1_7vsmem_tEENKUlT_SI_SJ_SK_E_clISD_PiSD_S10_EESH_SX_SI_SJ_SK_EUlSX_E0_NS1_11comp_targetILNS1_3genE8ELNS1_11target_archE1030ELNS1_3gpuE2ELNS1_3repE0EEENS1_38merge_mergepath_config_static_selectorELNS0_4arch9wavefront6targetE1EEEvSJ_, .Lfunc_end747-_ZN7rocprim17ROCPRIM_400000_NS6detail17trampoline_kernelINS0_14default_configENS1_38merge_sort_block_merge_config_selectorIiiEEZZNS1_27merge_sort_block_merge_implIS3_N6thrust23THRUST_200600_302600_NS6detail15normal_iteratorINS8_10device_ptrIiEEEESD_jNS1_19radix_merge_compareILb0ELb0EiNS0_19identity_decomposerEEEEE10hipError_tT0_T1_T2_jT3_P12ihipStream_tbPNSt15iterator_traitsISI_E10value_typeEPNSO_ISJ_E10value_typeEPSK_NS1_7vsmem_tEENKUlT_SI_SJ_SK_E_clISD_PiSD_S10_EESH_SX_SI_SJ_SK_EUlSX_E0_NS1_11comp_targetILNS1_3genE8ELNS1_11target_archE1030ELNS1_3gpuE2ELNS1_3repE0EEENS1_38merge_mergepath_config_static_selectorELNS0_4arch9wavefront6targetE1EEEvSJ_
                                        ; -- End function
	.set _ZN7rocprim17ROCPRIM_400000_NS6detail17trampoline_kernelINS0_14default_configENS1_38merge_sort_block_merge_config_selectorIiiEEZZNS1_27merge_sort_block_merge_implIS3_N6thrust23THRUST_200600_302600_NS6detail15normal_iteratorINS8_10device_ptrIiEEEESD_jNS1_19radix_merge_compareILb0ELb0EiNS0_19identity_decomposerEEEEE10hipError_tT0_T1_T2_jT3_P12ihipStream_tbPNSt15iterator_traitsISI_E10value_typeEPNSO_ISJ_E10value_typeEPSK_NS1_7vsmem_tEENKUlT_SI_SJ_SK_E_clISD_PiSD_S10_EESH_SX_SI_SJ_SK_EUlSX_E0_NS1_11comp_targetILNS1_3genE8ELNS1_11target_archE1030ELNS1_3gpuE2ELNS1_3repE0EEENS1_38merge_mergepath_config_static_selectorELNS0_4arch9wavefront6targetE1EEEvSJ_.num_vgpr, 0
	.set _ZN7rocprim17ROCPRIM_400000_NS6detail17trampoline_kernelINS0_14default_configENS1_38merge_sort_block_merge_config_selectorIiiEEZZNS1_27merge_sort_block_merge_implIS3_N6thrust23THRUST_200600_302600_NS6detail15normal_iteratorINS8_10device_ptrIiEEEESD_jNS1_19radix_merge_compareILb0ELb0EiNS0_19identity_decomposerEEEEE10hipError_tT0_T1_T2_jT3_P12ihipStream_tbPNSt15iterator_traitsISI_E10value_typeEPNSO_ISJ_E10value_typeEPSK_NS1_7vsmem_tEENKUlT_SI_SJ_SK_E_clISD_PiSD_S10_EESH_SX_SI_SJ_SK_EUlSX_E0_NS1_11comp_targetILNS1_3genE8ELNS1_11target_archE1030ELNS1_3gpuE2ELNS1_3repE0EEENS1_38merge_mergepath_config_static_selectorELNS0_4arch9wavefront6targetE1EEEvSJ_.num_agpr, 0
	.set _ZN7rocprim17ROCPRIM_400000_NS6detail17trampoline_kernelINS0_14default_configENS1_38merge_sort_block_merge_config_selectorIiiEEZZNS1_27merge_sort_block_merge_implIS3_N6thrust23THRUST_200600_302600_NS6detail15normal_iteratorINS8_10device_ptrIiEEEESD_jNS1_19radix_merge_compareILb0ELb0EiNS0_19identity_decomposerEEEEE10hipError_tT0_T1_T2_jT3_P12ihipStream_tbPNSt15iterator_traitsISI_E10value_typeEPNSO_ISJ_E10value_typeEPSK_NS1_7vsmem_tEENKUlT_SI_SJ_SK_E_clISD_PiSD_S10_EESH_SX_SI_SJ_SK_EUlSX_E0_NS1_11comp_targetILNS1_3genE8ELNS1_11target_archE1030ELNS1_3gpuE2ELNS1_3repE0EEENS1_38merge_mergepath_config_static_selectorELNS0_4arch9wavefront6targetE1EEEvSJ_.numbered_sgpr, 0
	.set _ZN7rocprim17ROCPRIM_400000_NS6detail17trampoline_kernelINS0_14default_configENS1_38merge_sort_block_merge_config_selectorIiiEEZZNS1_27merge_sort_block_merge_implIS3_N6thrust23THRUST_200600_302600_NS6detail15normal_iteratorINS8_10device_ptrIiEEEESD_jNS1_19radix_merge_compareILb0ELb0EiNS0_19identity_decomposerEEEEE10hipError_tT0_T1_T2_jT3_P12ihipStream_tbPNSt15iterator_traitsISI_E10value_typeEPNSO_ISJ_E10value_typeEPSK_NS1_7vsmem_tEENKUlT_SI_SJ_SK_E_clISD_PiSD_S10_EESH_SX_SI_SJ_SK_EUlSX_E0_NS1_11comp_targetILNS1_3genE8ELNS1_11target_archE1030ELNS1_3gpuE2ELNS1_3repE0EEENS1_38merge_mergepath_config_static_selectorELNS0_4arch9wavefront6targetE1EEEvSJ_.num_named_barrier, 0
	.set _ZN7rocprim17ROCPRIM_400000_NS6detail17trampoline_kernelINS0_14default_configENS1_38merge_sort_block_merge_config_selectorIiiEEZZNS1_27merge_sort_block_merge_implIS3_N6thrust23THRUST_200600_302600_NS6detail15normal_iteratorINS8_10device_ptrIiEEEESD_jNS1_19radix_merge_compareILb0ELb0EiNS0_19identity_decomposerEEEEE10hipError_tT0_T1_T2_jT3_P12ihipStream_tbPNSt15iterator_traitsISI_E10value_typeEPNSO_ISJ_E10value_typeEPSK_NS1_7vsmem_tEENKUlT_SI_SJ_SK_E_clISD_PiSD_S10_EESH_SX_SI_SJ_SK_EUlSX_E0_NS1_11comp_targetILNS1_3genE8ELNS1_11target_archE1030ELNS1_3gpuE2ELNS1_3repE0EEENS1_38merge_mergepath_config_static_selectorELNS0_4arch9wavefront6targetE1EEEvSJ_.private_seg_size, 0
	.set _ZN7rocprim17ROCPRIM_400000_NS6detail17trampoline_kernelINS0_14default_configENS1_38merge_sort_block_merge_config_selectorIiiEEZZNS1_27merge_sort_block_merge_implIS3_N6thrust23THRUST_200600_302600_NS6detail15normal_iteratorINS8_10device_ptrIiEEEESD_jNS1_19radix_merge_compareILb0ELb0EiNS0_19identity_decomposerEEEEE10hipError_tT0_T1_T2_jT3_P12ihipStream_tbPNSt15iterator_traitsISI_E10value_typeEPNSO_ISJ_E10value_typeEPSK_NS1_7vsmem_tEENKUlT_SI_SJ_SK_E_clISD_PiSD_S10_EESH_SX_SI_SJ_SK_EUlSX_E0_NS1_11comp_targetILNS1_3genE8ELNS1_11target_archE1030ELNS1_3gpuE2ELNS1_3repE0EEENS1_38merge_mergepath_config_static_selectorELNS0_4arch9wavefront6targetE1EEEvSJ_.uses_vcc, 0
	.set _ZN7rocprim17ROCPRIM_400000_NS6detail17trampoline_kernelINS0_14default_configENS1_38merge_sort_block_merge_config_selectorIiiEEZZNS1_27merge_sort_block_merge_implIS3_N6thrust23THRUST_200600_302600_NS6detail15normal_iteratorINS8_10device_ptrIiEEEESD_jNS1_19radix_merge_compareILb0ELb0EiNS0_19identity_decomposerEEEEE10hipError_tT0_T1_T2_jT3_P12ihipStream_tbPNSt15iterator_traitsISI_E10value_typeEPNSO_ISJ_E10value_typeEPSK_NS1_7vsmem_tEENKUlT_SI_SJ_SK_E_clISD_PiSD_S10_EESH_SX_SI_SJ_SK_EUlSX_E0_NS1_11comp_targetILNS1_3genE8ELNS1_11target_archE1030ELNS1_3gpuE2ELNS1_3repE0EEENS1_38merge_mergepath_config_static_selectorELNS0_4arch9wavefront6targetE1EEEvSJ_.uses_flat_scratch, 0
	.set _ZN7rocprim17ROCPRIM_400000_NS6detail17trampoline_kernelINS0_14default_configENS1_38merge_sort_block_merge_config_selectorIiiEEZZNS1_27merge_sort_block_merge_implIS3_N6thrust23THRUST_200600_302600_NS6detail15normal_iteratorINS8_10device_ptrIiEEEESD_jNS1_19radix_merge_compareILb0ELb0EiNS0_19identity_decomposerEEEEE10hipError_tT0_T1_T2_jT3_P12ihipStream_tbPNSt15iterator_traitsISI_E10value_typeEPNSO_ISJ_E10value_typeEPSK_NS1_7vsmem_tEENKUlT_SI_SJ_SK_E_clISD_PiSD_S10_EESH_SX_SI_SJ_SK_EUlSX_E0_NS1_11comp_targetILNS1_3genE8ELNS1_11target_archE1030ELNS1_3gpuE2ELNS1_3repE0EEENS1_38merge_mergepath_config_static_selectorELNS0_4arch9wavefront6targetE1EEEvSJ_.has_dyn_sized_stack, 0
	.set _ZN7rocprim17ROCPRIM_400000_NS6detail17trampoline_kernelINS0_14default_configENS1_38merge_sort_block_merge_config_selectorIiiEEZZNS1_27merge_sort_block_merge_implIS3_N6thrust23THRUST_200600_302600_NS6detail15normal_iteratorINS8_10device_ptrIiEEEESD_jNS1_19radix_merge_compareILb0ELb0EiNS0_19identity_decomposerEEEEE10hipError_tT0_T1_T2_jT3_P12ihipStream_tbPNSt15iterator_traitsISI_E10value_typeEPNSO_ISJ_E10value_typeEPSK_NS1_7vsmem_tEENKUlT_SI_SJ_SK_E_clISD_PiSD_S10_EESH_SX_SI_SJ_SK_EUlSX_E0_NS1_11comp_targetILNS1_3genE8ELNS1_11target_archE1030ELNS1_3gpuE2ELNS1_3repE0EEENS1_38merge_mergepath_config_static_selectorELNS0_4arch9wavefront6targetE1EEEvSJ_.has_recursion, 0
	.set _ZN7rocprim17ROCPRIM_400000_NS6detail17trampoline_kernelINS0_14default_configENS1_38merge_sort_block_merge_config_selectorIiiEEZZNS1_27merge_sort_block_merge_implIS3_N6thrust23THRUST_200600_302600_NS6detail15normal_iteratorINS8_10device_ptrIiEEEESD_jNS1_19radix_merge_compareILb0ELb0EiNS0_19identity_decomposerEEEEE10hipError_tT0_T1_T2_jT3_P12ihipStream_tbPNSt15iterator_traitsISI_E10value_typeEPNSO_ISJ_E10value_typeEPSK_NS1_7vsmem_tEENKUlT_SI_SJ_SK_E_clISD_PiSD_S10_EESH_SX_SI_SJ_SK_EUlSX_E0_NS1_11comp_targetILNS1_3genE8ELNS1_11target_archE1030ELNS1_3gpuE2ELNS1_3repE0EEENS1_38merge_mergepath_config_static_selectorELNS0_4arch9wavefront6targetE1EEEvSJ_.has_indirect_call, 0
	.section	.AMDGPU.csdata,"",@progbits
; Kernel info:
; codeLenInByte = 0
; TotalNumSgprs: 6
; NumVgprs: 0
; NumAgprs: 0
; TotalNumVgprs: 0
; ScratchSize: 0
; MemoryBound: 0
; FloatMode: 240
; IeeeMode: 1
; LDSByteSize: 0 bytes/workgroup (compile time only)
; SGPRBlocks: 0
; VGPRBlocks: 0
; NumSGPRsForWavesPerEU: 6
; NumVGPRsForWavesPerEU: 1
; AccumOffset: 4
; Occupancy: 8
; WaveLimiterHint : 0
; COMPUTE_PGM_RSRC2:SCRATCH_EN: 0
; COMPUTE_PGM_RSRC2:USER_SGPR: 2
; COMPUTE_PGM_RSRC2:TRAP_HANDLER: 0
; COMPUTE_PGM_RSRC2:TGID_X_EN: 1
; COMPUTE_PGM_RSRC2:TGID_Y_EN: 0
; COMPUTE_PGM_RSRC2:TGID_Z_EN: 0
; COMPUTE_PGM_RSRC2:TIDIG_COMP_CNT: 0
; COMPUTE_PGM_RSRC3_GFX90A:ACCUM_OFFSET: 0
; COMPUTE_PGM_RSRC3_GFX90A:TG_SPLIT: 0
	.section	.text._ZN7rocprim17ROCPRIM_400000_NS6detail17trampoline_kernelINS0_14default_configENS1_38merge_sort_block_merge_config_selectorIiiEEZZNS1_27merge_sort_block_merge_implIS3_N6thrust23THRUST_200600_302600_NS6detail15normal_iteratorINS8_10device_ptrIiEEEESD_jNS1_19radix_merge_compareILb0ELb0EiNS0_19identity_decomposerEEEEE10hipError_tT0_T1_T2_jT3_P12ihipStream_tbPNSt15iterator_traitsISI_E10value_typeEPNSO_ISJ_E10value_typeEPSK_NS1_7vsmem_tEENKUlT_SI_SJ_SK_E_clISD_PiSD_S10_EESH_SX_SI_SJ_SK_EUlSX_E1_NS1_11comp_targetILNS1_3genE0ELNS1_11target_archE4294967295ELNS1_3gpuE0ELNS1_3repE0EEENS1_36merge_oddeven_config_static_selectorELNS0_4arch9wavefront6targetE1EEEvSJ_,"axG",@progbits,_ZN7rocprim17ROCPRIM_400000_NS6detail17trampoline_kernelINS0_14default_configENS1_38merge_sort_block_merge_config_selectorIiiEEZZNS1_27merge_sort_block_merge_implIS3_N6thrust23THRUST_200600_302600_NS6detail15normal_iteratorINS8_10device_ptrIiEEEESD_jNS1_19radix_merge_compareILb0ELb0EiNS0_19identity_decomposerEEEEE10hipError_tT0_T1_T2_jT3_P12ihipStream_tbPNSt15iterator_traitsISI_E10value_typeEPNSO_ISJ_E10value_typeEPSK_NS1_7vsmem_tEENKUlT_SI_SJ_SK_E_clISD_PiSD_S10_EESH_SX_SI_SJ_SK_EUlSX_E1_NS1_11comp_targetILNS1_3genE0ELNS1_11target_archE4294967295ELNS1_3gpuE0ELNS1_3repE0EEENS1_36merge_oddeven_config_static_selectorELNS0_4arch9wavefront6targetE1EEEvSJ_,comdat
	.protected	_ZN7rocprim17ROCPRIM_400000_NS6detail17trampoline_kernelINS0_14default_configENS1_38merge_sort_block_merge_config_selectorIiiEEZZNS1_27merge_sort_block_merge_implIS3_N6thrust23THRUST_200600_302600_NS6detail15normal_iteratorINS8_10device_ptrIiEEEESD_jNS1_19radix_merge_compareILb0ELb0EiNS0_19identity_decomposerEEEEE10hipError_tT0_T1_T2_jT3_P12ihipStream_tbPNSt15iterator_traitsISI_E10value_typeEPNSO_ISJ_E10value_typeEPSK_NS1_7vsmem_tEENKUlT_SI_SJ_SK_E_clISD_PiSD_S10_EESH_SX_SI_SJ_SK_EUlSX_E1_NS1_11comp_targetILNS1_3genE0ELNS1_11target_archE4294967295ELNS1_3gpuE0ELNS1_3repE0EEENS1_36merge_oddeven_config_static_selectorELNS0_4arch9wavefront6targetE1EEEvSJ_ ; -- Begin function _ZN7rocprim17ROCPRIM_400000_NS6detail17trampoline_kernelINS0_14default_configENS1_38merge_sort_block_merge_config_selectorIiiEEZZNS1_27merge_sort_block_merge_implIS3_N6thrust23THRUST_200600_302600_NS6detail15normal_iteratorINS8_10device_ptrIiEEEESD_jNS1_19radix_merge_compareILb0ELb0EiNS0_19identity_decomposerEEEEE10hipError_tT0_T1_T2_jT3_P12ihipStream_tbPNSt15iterator_traitsISI_E10value_typeEPNSO_ISJ_E10value_typeEPSK_NS1_7vsmem_tEENKUlT_SI_SJ_SK_E_clISD_PiSD_S10_EESH_SX_SI_SJ_SK_EUlSX_E1_NS1_11comp_targetILNS1_3genE0ELNS1_11target_archE4294967295ELNS1_3gpuE0ELNS1_3repE0EEENS1_36merge_oddeven_config_static_selectorELNS0_4arch9wavefront6targetE1EEEvSJ_
	.globl	_ZN7rocprim17ROCPRIM_400000_NS6detail17trampoline_kernelINS0_14default_configENS1_38merge_sort_block_merge_config_selectorIiiEEZZNS1_27merge_sort_block_merge_implIS3_N6thrust23THRUST_200600_302600_NS6detail15normal_iteratorINS8_10device_ptrIiEEEESD_jNS1_19radix_merge_compareILb0ELb0EiNS0_19identity_decomposerEEEEE10hipError_tT0_T1_T2_jT3_P12ihipStream_tbPNSt15iterator_traitsISI_E10value_typeEPNSO_ISJ_E10value_typeEPSK_NS1_7vsmem_tEENKUlT_SI_SJ_SK_E_clISD_PiSD_S10_EESH_SX_SI_SJ_SK_EUlSX_E1_NS1_11comp_targetILNS1_3genE0ELNS1_11target_archE4294967295ELNS1_3gpuE0ELNS1_3repE0EEENS1_36merge_oddeven_config_static_selectorELNS0_4arch9wavefront6targetE1EEEvSJ_
	.p2align	8
	.type	_ZN7rocprim17ROCPRIM_400000_NS6detail17trampoline_kernelINS0_14default_configENS1_38merge_sort_block_merge_config_selectorIiiEEZZNS1_27merge_sort_block_merge_implIS3_N6thrust23THRUST_200600_302600_NS6detail15normal_iteratorINS8_10device_ptrIiEEEESD_jNS1_19radix_merge_compareILb0ELb0EiNS0_19identity_decomposerEEEEE10hipError_tT0_T1_T2_jT3_P12ihipStream_tbPNSt15iterator_traitsISI_E10value_typeEPNSO_ISJ_E10value_typeEPSK_NS1_7vsmem_tEENKUlT_SI_SJ_SK_E_clISD_PiSD_S10_EESH_SX_SI_SJ_SK_EUlSX_E1_NS1_11comp_targetILNS1_3genE0ELNS1_11target_archE4294967295ELNS1_3gpuE0ELNS1_3repE0EEENS1_36merge_oddeven_config_static_selectorELNS0_4arch9wavefront6targetE1EEEvSJ_,@function
_ZN7rocprim17ROCPRIM_400000_NS6detail17trampoline_kernelINS0_14default_configENS1_38merge_sort_block_merge_config_selectorIiiEEZZNS1_27merge_sort_block_merge_implIS3_N6thrust23THRUST_200600_302600_NS6detail15normal_iteratorINS8_10device_ptrIiEEEESD_jNS1_19radix_merge_compareILb0ELb0EiNS0_19identity_decomposerEEEEE10hipError_tT0_T1_T2_jT3_P12ihipStream_tbPNSt15iterator_traitsISI_E10value_typeEPNSO_ISJ_E10value_typeEPSK_NS1_7vsmem_tEENKUlT_SI_SJ_SK_E_clISD_PiSD_S10_EESH_SX_SI_SJ_SK_EUlSX_E1_NS1_11comp_targetILNS1_3genE0ELNS1_11target_archE4294967295ELNS1_3gpuE0ELNS1_3repE0EEENS1_36merge_oddeven_config_static_selectorELNS0_4arch9wavefront6targetE1EEEvSJ_: ; @_ZN7rocprim17ROCPRIM_400000_NS6detail17trampoline_kernelINS0_14default_configENS1_38merge_sort_block_merge_config_selectorIiiEEZZNS1_27merge_sort_block_merge_implIS3_N6thrust23THRUST_200600_302600_NS6detail15normal_iteratorINS8_10device_ptrIiEEEESD_jNS1_19radix_merge_compareILb0ELb0EiNS0_19identity_decomposerEEEEE10hipError_tT0_T1_T2_jT3_P12ihipStream_tbPNSt15iterator_traitsISI_E10value_typeEPNSO_ISJ_E10value_typeEPSK_NS1_7vsmem_tEENKUlT_SI_SJ_SK_E_clISD_PiSD_S10_EESH_SX_SI_SJ_SK_EUlSX_E1_NS1_11comp_targetILNS1_3genE0ELNS1_11target_archE4294967295ELNS1_3gpuE0ELNS1_3repE0EEENS1_36merge_oddeven_config_static_selectorELNS0_4arch9wavefront6targetE1EEEvSJ_
; %bb.0:
	s_load_dword s18, s[0:1], 0x20
	s_waitcnt lgkmcnt(0)
	s_lshr_b32 s3, s18, 8
	s_cmp_eq_u32 s2, s3
	s_cselect_b64 s[6:7], -1, 0
	s_cmp_lg_u32 s2, s3
	s_cselect_b64 s[8:9], -1, 0
	s_lshl_b32 s16, s2, 8
	s_sub_i32 s3, s18, s16
	v_cmp_gt_u32_e64 s[4:5], s3, v0
	s_or_b64 s[8:9], s[8:9], s[4:5]
	s_and_saveexec_b64 s[10:11], s[8:9]
	s_cbranch_execz .LBB748_24
; %bb.1:
	s_load_dwordx8 s[8:15], s[0:1], 0x0
	s_mov_b32 s17, 0
	s_lshl_b64 s[20:21], s[16:17], 2
	v_lshlrev_b32_e32 v1, 2, v0
	s_load_dword s17, s[0:1], 0x24
	s_waitcnt lgkmcnt(0)
	s_add_u32 s22, s8, s20
	s_addc_u32 s23, s9, s21
	s_add_u32 s12, s12, s20
	s_addc_u32 s13, s13, s21
	global_load_dword v2, v1, s[12:13]
	global_load_dword v3, v1, s[22:23]
	s_lshr_b32 s0, s17, 8
	s_sub_i32 s1, 0, s0
	s_and_b32 s1, s2, s1
	s_and_b32 s0, s1, s0
	s_lshl_b32 s19, s1, 8
	s_sub_i32 s12, 0, s17
	s_cmp_eq_u32 s0, 0
	s_cselect_b64 s[0:1], -1, 0
	s_and_b64 s[2:3], s[0:1], exec
	s_cselect_b32 s12, s17, s12
	s_add_i32 s12, s12, s19
	s_mov_b64 s[2:3], -1
	s_cmp_gt_u32 s18, s12
	v_add_u32_e32 v0, s16, v0
	s_cbranch_scc1 .LBB748_9
; %bb.2:
	s_and_b64 vcc, exec, s[6:7]
	s_cbranch_vccz .LBB748_6
; %bb.3:
	v_cmp_gt_u32_e32 vcc, s18, v0
	s_and_saveexec_b64 s[2:3], vcc
	s_cbranch_execz .LBB748_5
; %bb.4:
	v_mov_b32_e32 v1, 0
	v_lshlrev_b64 v[4:5], 2, v[0:1]
	v_lshl_add_u64 v[6:7], s[10:11], 0, v[4:5]
	v_lshl_add_u64 v[4:5], s[14:15], 0, v[4:5]
	s_waitcnt vmcnt(0)
	global_store_dword v[6:7], v3, off
	global_store_dword v[4:5], v2, off
.LBB748_5:
	s_or_b64 exec, exec, s[2:3]
	s_mov_b64 s[2:3], 0
.LBB748_6:
	s_andn2_b64 vcc, exec, s[2:3]
	s_cbranch_vccnz .LBB748_8
; %bb.7:
	v_mov_b32_e32 v1, 0
	v_lshlrev_b64 v[4:5], 2, v[0:1]
	v_lshl_add_u64 v[6:7], s[10:11], 0, v[4:5]
	v_lshl_add_u64 v[4:5], s[14:15], 0, v[4:5]
	s_waitcnt vmcnt(0)
	global_store_dword v[6:7], v3, off
	global_store_dword v[4:5], v2, off
.LBB748_8:
	s_mov_b64 s[2:3], 0
.LBB748_9:
	s_andn2_b64 vcc, exec, s[2:3]
	s_cbranch_vccnz .LBB748_24
; %bb.10:
	s_min_u32 s13, s12, s18
	s_add_i32 s2, s13, s17
	s_min_u32 s16, s2, s18
	s_min_u32 s2, s19, s13
	s_add_i32 s19, s19, s13
	v_subrev_u32_e32 v0, s19, v0
	v_add_u32_e32 v4, s2, v0
	s_andn2_b64 vcc, exec, s[6:7]
	s_mov_b64 s[2:3], -1
	s_cbranch_vccnz .LBB748_18
; %bb.11:
	s_and_saveexec_b64 s[2:3], s[4:5]
	s_cbranch_execz .LBB748_17
; %bb.12:
	s_cmp_ge_u32 s12, s16
	v_mov_b32_e32 v5, s13
	s_cbranch_scc1 .LBB748_16
; %bb.13:
	s_mov_b64 s[4:5], 0
	v_mov_b32_e32 v6, s16
	v_mov_b32_e32 v5, s13
	v_mov_b32_e32 v1, 0
.LBB748_14:                             ; =>This Inner Loop Header: Depth=1
	v_add_u32_e32 v0, v5, v6
	v_lshrrev_b32_e32 v0, 1, v0
	v_lshl_add_u64 v[8:9], v[0:1], 2, s[8:9]
	global_load_dword v7, v[8:9], off
	v_add_u32_e32 v8, 1, v0
	s_waitcnt vmcnt(0)
	v_cmp_gt_i32_e32 vcc, v3, v7
	s_nop 1
	v_cndmask_b32_e64 v9, 0, 1, vcc
	v_cmp_le_i32_e32 vcc, v7, v3
	s_nop 1
	v_cndmask_b32_e64 v7, 0, 1, vcc
	v_cndmask_b32_e64 v7, v7, v9, s[0:1]
	v_and_b32_e32 v7, 1, v7
	v_cmp_eq_u32_e32 vcc, 1, v7
	s_nop 1
	v_cndmask_b32_e32 v6, v0, v6, vcc
	v_cndmask_b32_e32 v5, v5, v8, vcc
	v_cmp_ge_u32_e32 vcc, v5, v6
	s_or_b64 s[4:5], vcc, s[4:5]
	s_andn2_b64 exec, exec, s[4:5]
	s_cbranch_execnz .LBB748_14
; %bb.15:
	s_or_b64 exec, exec, s[4:5]
.LBB748_16:
	v_add_u32_e32 v0, v5, v4
	v_mov_b32_e32 v1, 0
	v_lshlrev_b64 v[0:1], 2, v[0:1]
	v_lshl_add_u64 v[6:7], s[10:11], 0, v[0:1]
	v_lshl_add_u64 v[0:1], s[14:15], 0, v[0:1]
	s_waitcnt vmcnt(0)
	global_store_dword v[6:7], v3, off
	global_store_dword v[0:1], v2, off
.LBB748_17:
	s_or_b64 exec, exec, s[2:3]
	s_mov_b64 s[2:3], 0
.LBB748_18:
	s_andn2_b64 vcc, exec, s[2:3]
	s_cbranch_vccnz .LBB748_24
; %bb.19:
	s_cmp_ge_u32 s12, s16
	v_mov_b32_e32 v5, s13
	s_cbranch_scc1 .LBB748_23
; %bb.20:
	s_mov_b64 s[2:3], 0
	v_mov_b32_e32 v6, s16
	v_mov_b32_e32 v5, s13
	;; [unrolled: 1-line block ×3, first 2 shown]
.LBB748_21:                             ; =>This Inner Loop Header: Depth=1
	v_add_u32_e32 v0, v5, v6
	v_lshrrev_b32_e32 v0, 1, v0
	v_lshl_add_u64 v[8:9], v[0:1], 2, s[8:9]
	global_load_dword v7, v[8:9], off
	v_add_u32_e32 v8, 1, v0
	s_waitcnt vmcnt(0)
	v_cmp_gt_i32_e32 vcc, v3, v7
	s_nop 1
	v_cndmask_b32_e64 v9, 0, 1, vcc
	v_cmp_le_i32_e32 vcc, v7, v3
	s_nop 1
	v_cndmask_b32_e64 v7, 0, 1, vcc
	v_cndmask_b32_e64 v7, v7, v9, s[0:1]
	v_and_b32_e32 v7, 1, v7
	v_cmp_eq_u32_e32 vcc, 1, v7
	s_nop 1
	v_cndmask_b32_e32 v6, v0, v6, vcc
	v_cndmask_b32_e32 v5, v5, v8, vcc
	v_cmp_ge_u32_e32 vcc, v5, v6
	s_or_b64 s[2:3], vcc, s[2:3]
	s_andn2_b64 exec, exec, s[2:3]
	s_cbranch_execnz .LBB748_21
; %bb.22:
	s_or_b64 exec, exec, s[2:3]
.LBB748_23:
	v_add_u32_e32 v0, v5, v4
	v_mov_b32_e32 v1, 0
	v_lshlrev_b64 v[0:1], 2, v[0:1]
	v_lshl_add_u64 v[4:5], s[10:11], 0, v[0:1]
	v_lshl_add_u64 v[0:1], s[14:15], 0, v[0:1]
	s_waitcnt vmcnt(0)
	global_store_dword v[4:5], v3, off
	global_store_dword v[0:1], v2, off
.LBB748_24:
	s_endpgm
	.section	.rodata,"a",@progbits
	.p2align	6, 0x0
	.amdhsa_kernel _ZN7rocprim17ROCPRIM_400000_NS6detail17trampoline_kernelINS0_14default_configENS1_38merge_sort_block_merge_config_selectorIiiEEZZNS1_27merge_sort_block_merge_implIS3_N6thrust23THRUST_200600_302600_NS6detail15normal_iteratorINS8_10device_ptrIiEEEESD_jNS1_19radix_merge_compareILb0ELb0EiNS0_19identity_decomposerEEEEE10hipError_tT0_T1_T2_jT3_P12ihipStream_tbPNSt15iterator_traitsISI_E10value_typeEPNSO_ISJ_E10value_typeEPSK_NS1_7vsmem_tEENKUlT_SI_SJ_SK_E_clISD_PiSD_S10_EESH_SX_SI_SJ_SK_EUlSX_E1_NS1_11comp_targetILNS1_3genE0ELNS1_11target_archE4294967295ELNS1_3gpuE0ELNS1_3repE0EEENS1_36merge_oddeven_config_static_selectorELNS0_4arch9wavefront6targetE1EEEvSJ_
		.amdhsa_group_segment_fixed_size 0
		.amdhsa_private_segment_fixed_size 0
		.amdhsa_kernarg_size 48
		.amdhsa_user_sgpr_count 2
		.amdhsa_user_sgpr_dispatch_ptr 0
		.amdhsa_user_sgpr_queue_ptr 0
		.amdhsa_user_sgpr_kernarg_segment_ptr 1
		.amdhsa_user_sgpr_dispatch_id 0
		.amdhsa_user_sgpr_kernarg_preload_length 0
		.amdhsa_user_sgpr_kernarg_preload_offset 0
		.amdhsa_user_sgpr_private_segment_size 0
		.amdhsa_uses_dynamic_stack 0
		.amdhsa_enable_private_segment 0
		.amdhsa_system_sgpr_workgroup_id_x 1
		.amdhsa_system_sgpr_workgroup_id_y 0
		.amdhsa_system_sgpr_workgroup_id_z 0
		.amdhsa_system_sgpr_workgroup_info 0
		.amdhsa_system_vgpr_workitem_id 0
		.amdhsa_next_free_vgpr 10
		.amdhsa_next_free_sgpr 24
		.amdhsa_accum_offset 12
		.amdhsa_reserve_vcc 1
		.amdhsa_float_round_mode_32 0
		.amdhsa_float_round_mode_16_64 0
		.amdhsa_float_denorm_mode_32 3
		.amdhsa_float_denorm_mode_16_64 3
		.amdhsa_dx10_clamp 1
		.amdhsa_ieee_mode 1
		.amdhsa_fp16_overflow 0
		.amdhsa_tg_split 0
		.amdhsa_exception_fp_ieee_invalid_op 0
		.amdhsa_exception_fp_denorm_src 0
		.amdhsa_exception_fp_ieee_div_zero 0
		.amdhsa_exception_fp_ieee_overflow 0
		.amdhsa_exception_fp_ieee_underflow 0
		.amdhsa_exception_fp_ieee_inexact 0
		.amdhsa_exception_int_div_zero 0
	.end_amdhsa_kernel
	.section	.text._ZN7rocprim17ROCPRIM_400000_NS6detail17trampoline_kernelINS0_14default_configENS1_38merge_sort_block_merge_config_selectorIiiEEZZNS1_27merge_sort_block_merge_implIS3_N6thrust23THRUST_200600_302600_NS6detail15normal_iteratorINS8_10device_ptrIiEEEESD_jNS1_19radix_merge_compareILb0ELb0EiNS0_19identity_decomposerEEEEE10hipError_tT0_T1_T2_jT3_P12ihipStream_tbPNSt15iterator_traitsISI_E10value_typeEPNSO_ISJ_E10value_typeEPSK_NS1_7vsmem_tEENKUlT_SI_SJ_SK_E_clISD_PiSD_S10_EESH_SX_SI_SJ_SK_EUlSX_E1_NS1_11comp_targetILNS1_3genE0ELNS1_11target_archE4294967295ELNS1_3gpuE0ELNS1_3repE0EEENS1_36merge_oddeven_config_static_selectorELNS0_4arch9wavefront6targetE1EEEvSJ_,"axG",@progbits,_ZN7rocprim17ROCPRIM_400000_NS6detail17trampoline_kernelINS0_14default_configENS1_38merge_sort_block_merge_config_selectorIiiEEZZNS1_27merge_sort_block_merge_implIS3_N6thrust23THRUST_200600_302600_NS6detail15normal_iteratorINS8_10device_ptrIiEEEESD_jNS1_19radix_merge_compareILb0ELb0EiNS0_19identity_decomposerEEEEE10hipError_tT0_T1_T2_jT3_P12ihipStream_tbPNSt15iterator_traitsISI_E10value_typeEPNSO_ISJ_E10value_typeEPSK_NS1_7vsmem_tEENKUlT_SI_SJ_SK_E_clISD_PiSD_S10_EESH_SX_SI_SJ_SK_EUlSX_E1_NS1_11comp_targetILNS1_3genE0ELNS1_11target_archE4294967295ELNS1_3gpuE0ELNS1_3repE0EEENS1_36merge_oddeven_config_static_selectorELNS0_4arch9wavefront6targetE1EEEvSJ_,comdat
.Lfunc_end748:
	.size	_ZN7rocprim17ROCPRIM_400000_NS6detail17trampoline_kernelINS0_14default_configENS1_38merge_sort_block_merge_config_selectorIiiEEZZNS1_27merge_sort_block_merge_implIS3_N6thrust23THRUST_200600_302600_NS6detail15normal_iteratorINS8_10device_ptrIiEEEESD_jNS1_19radix_merge_compareILb0ELb0EiNS0_19identity_decomposerEEEEE10hipError_tT0_T1_T2_jT3_P12ihipStream_tbPNSt15iterator_traitsISI_E10value_typeEPNSO_ISJ_E10value_typeEPSK_NS1_7vsmem_tEENKUlT_SI_SJ_SK_E_clISD_PiSD_S10_EESH_SX_SI_SJ_SK_EUlSX_E1_NS1_11comp_targetILNS1_3genE0ELNS1_11target_archE4294967295ELNS1_3gpuE0ELNS1_3repE0EEENS1_36merge_oddeven_config_static_selectorELNS0_4arch9wavefront6targetE1EEEvSJ_, .Lfunc_end748-_ZN7rocprim17ROCPRIM_400000_NS6detail17trampoline_kernelINS0_14default_configENS1_38merge_sort_block_merge_config_selectorIiiEEZZNS1_27merge_sort_block_merge_implIS3_N6thrust23THRUST_200600_302600_NS6detail15normal_iteratorINS8_10device_ptrIiEEEESD_jNS1_19radix_merge_compareILb0ELb0EiNS0_19identity_decomposerEEEEE10hipError_tT0_T1_T2_jT3_P12ihipStream_tbPNSt15iterator_traitsISI_E10value_typeEPNSO_ISJ_E10value_typeEPSK_NS1_7vsmem_tEENKUlT_SI_SJ_SK_E_clISD_PiSD_S10_EESH_SX_SI_SJ_SK_EUlSX_E1_NS1_11comp_targetILNS1_3genE0ELNS1_11target_archE4294967295ELNS1_3gpuE0ELNS1_3repE0EEENS1_36merge_oddeven_config_static_selectorELNS0_4arch9wavefront6targetE1EEEvSJ_
                                        ; -- End function
	.set _ZN7rocprim17ROCPRIM_400000_NS6detail17trampoline_kernelINS0_14default_configENS1_38merge_sort_block_merge_config_selectorIiiEEZZNS1_27merge_sort_block_merge_implIS3_N6thrust23THRUST_200600_302600_NS6detail15normal_iteratorINS8_10device_ptrIiEEEESD_jNS1_19radix_merge_compareILb0ELb0EiNS0_19identity_decomposerEEEEE10hipError_tT0_T1_T2_jT3_P12ihipStream_tbPNSt15iterator_traitsISI_E10value_typeEPNSO_ISJ_E10value_typeEPSK_NS1_7vsmem_tEENKUlT_SI_SJ_SK_E_clISD_PiSD_S10_EESH_SX_SI_SJ_SK_EUlSX_E1_NS1_11comp_targetILNS1_3genE0ELNS1_11target_archE4294967295ELNS1_3gpuE0ELNS1_3repE0EEENS1_36merge_oddeven_config_static_selectorELNS0_4arch9wavefront6targetE1EEEvSJ_.num_vgpr, 10
	.set _ZN7rocprim17ROCPRIM_400000_NS6detail17trampoline_kernelINS0_14default_configENS1_38merge_sort_block_merge_config_selectorIiiEEZZNS1_27merge_sort_block_merge_implIS3_N6thrust23THRUST_200600_302600_NS6detail15normal_iteratorINS8_10device_ptrIiEEEESD_jNS1_19radix_merge_compareILb0ELb0EiNS0_19identity_decomposerEEEEE10hipError_tT0_T1_T2_jT3_P12ihipStream_tbPNSt15iterator_traitsISI_E10value_typeEPNSO_ISJ_E10value_typeEPSK_NS1_7vsmem_tEENKUlT_SI_SJ_SK_E_clISD_PiSD_S10_EESH_SX_SI_SJ_SK_EUlSX_E1_NS1_11comp_targetILNS1_3genE0ELNS1_11target_archE4294967295ELNS1_3gpuE0ELNS1_3repE0EEENS1_36merge_oddeven_config_static_selectorELNS0_4arch9wavefront6targetE1EEEvSJ_.num_agpr, 0
	.set _ZN7rocprim17ROCPRIM_400000_NS6detail17trampoline_kernelINS0_14default_configENS1_38merge_sort_block_merge_config_selectorIiiEEZZNS1_27merge_sort_block_merge_implIS3_N6thrust23THRUST_200600_302600_NS6detail15normal_iteratorINS8_10device_ptrIiEEEESD_jNS1_19radix_merge_compareILb0ELb0EiNS0_19identity_decomposerEEEEE10hipError_tT0_T1_T2_jT3_P12ihipStream_tbPNSt15iterator_traitsISI_E10value_typeEPNSO_ISJ_E10value_typeEPSK_NS1_7vsmem_tEENKUlT_SI_SJ_SK_E_clISD_PiSD_S10_EESH_SX_SI_SJ_SK_EUlSX_E1_NS1_11comp_targetILNS1_3genE0ELNS1_11target_archE4294967295ELNS1_3gpuE0ELNS1_3repE0EEENS1_36merge_oddeven_config_static_selectorELNS0_4arch9wavefront6targetE1EEEvSJ_.numbered_sgpr, 24
	.set _ZN7rocprim17ROCPRIM_400000_NS6detail17trampoline_kernelINS0_14default_configENS1_38merge_sort_block_merge_config_selectorIiiEEZZNS1_27merge_sort_block_merge_implIS3_N6thrust23THRUST_200600_302600_NS6detail15normal_iteratorINS8_10device_ptrIiEEEESD_jNS1_19radix_merge_compareILb0ELb0EiNS0_19identity_decomposerEEEEE10hipError_tT0_T1_T2_jT3_P12ihipStream_tbPNSt15iterator_traitsISI_E10value_typeEPNSO_ISJ_E10value_typeEPSK_NS1_7vsmem_tEENKUlT_SI_SJ_SK_E_clISD_PiSD_S10_EESH_SX_SI_SJ_SK_EUlSX_E1_NS1_11comp_targetILNS1_3genE0ELNS1_11target_archE4294967295ELNS1_3gpuE0ELNS1_3repE0EEENS1_36merge_oddeven_config_static_selectorELNS0_4arch9wavefront6targetE1EEEvSJ_.num_named_barrier, 0
	.set _ZN7rocprim17ROCPRIM_400000_NS6detail17trampoline_kernelINS0_14default_configENS1_38merge_sort_block_merge_config_selectorIiiEEZZNS1_27merge_sort_block_merge_implIS3_N6thrust23THRUST_200600_302600_NS6detail15normal_iteratorINS8_10device_ptrIiEEEESD_jNS1_19radix_merge_compareILb0ELb0EiNS0_19identity_decomposerEEEEE10hipError_tT0_T1_T2_jT3_P12ihipStream_tbPNSt15iterator_traitsISI_E10value_typeEPNSO_ISJ_E10value_typeEPSK_NS1_7vsmem_tEENKUlT_SI_SJ_SK_E_clISD_PiSD_S10_EESH_SX_SI_SJ_SK_EUlSX_E1_NS1_11comp_targetILNS1_3genE0ELNS1_11target_archE4294967295ELNS1_3gpuE0ELNS1_3repE0EEENS1_36merge_oddeven_config_static_selectorELNS0_4arch9wavefront6targetE1EEEvSJ_.private_seg_size, 0
	.set _ZN7rocprim17ROCPRIM_400000_NS6detail17trampoline_kernelINS0_14default_configENS1_38merge_sort_block_merge_config_selectorIiiEEZZNS1_27merge_sort_block_merge_implIS3_N6thrust23THRUST_200600_302600_NS6detail15normal_iteratorINS8_10device_ptrIiEEEESD_jNS1_19radix_merge_compareILb0ELb0EiNS0_19identity_decomposerEEEEE10hipError_tT0_T1_T2_jT3_P12ihipStream_tbPNSt15iterator_traitsISI_E10value_typeEPNSO_ISJ_E10value_typeEPSK_NS1_7vsmem_tEENKUlT_SI_SJ_SK_E_clISD_PiSD_S10_EESH_SX_SI_SJ_SK_EUlSX_E1_NS1_11comp_targetILNS1_3genE0ELNS1_11target_archE4294967295ELNS1_3gpuE0ELNS1_3repE0EEENS1_36merge_oddeven_config_static_selectorELNS0_4arch9wavefront6targetE1EEEvSJ_.uses_vcc, 1
	.set _ZN7rocprim17ROCPRIM_400000_NS6detail17trampoline_kernelINS0_14default_configENS1_38merge_sort_block_merge_config_selectorIiiEEZZNS1_27merge_sort_block_merge_implIS3_N6thrust23THRUST_200600_302600_NS6detail15normal_iteratorINS8_10device_ptrIiEEEESD_jNS1_19radix_merge_compareILb0ELb0EiNS0_19identity_decomposerEEEEE10hipError_tT0_T1_T2_jT3_P12ihipStream_tbPNSt15iterator_traitsISI_E10value_typeEPNSO_ISJ_E10value_typeEPSK_NS1_7vsmem_tEENKUlT_SI_SJ_SK_E_clISD_PiSD_S10_EESH_SX_SI_SJ_SK_EUlSX_E1_NS1_11comp_targetILNS1_3genE0ELNS1_11target_archE4294967295ELNS1_3gpuE0ELNS1_3repE0EEENS1_36merge_oddeven_config_static_selectorELNS0_4arch9wavefront6targetE1EEEvSJ_.uses_flat_scratch, 0
	.set _ZN7rocprim17ROCPRIM_400000_NS6detail17trampoline_kernelINS0_14default_configENS1_38merge_sort_block_merge_config_selectorIiiEEZZNS1_27merge_sort_block_merge_implIS3_N6thrust23THRUST_200600_302600_NS6detail15normal_iteratorINS8_10device_ptrIiEEEESD_jNS1_19radix_merge_compareILb0ELb0EiNS0_19identity_decomposerEEEEE10hipError_tT0_T1_T2_jT3_P12ihipStream_tbPNSt15iterator_traitsISI_E10value_typeEPNSO_ISJ_E10value_typeEPSK_NS1_7vsmem_tEENKUlT_SI_SJ_SK_E_clISD_PiSD_S10_EESH_SX_SI_SJ_SK_EUlSX_E1_NS1_11comp_targetILNS1_3genE0ELNS1_11target_archE4294967295ELNS1_3gpuE0ELNS1_3repE0EEENS1_36merge_oddeven_config_static_selectorELNS0_4arch9wavefront6targetE1EEEvSJ_.has_dyn_sized_stack, 0
	.set _ZN7rocprim17ROCPRIM_400000_NS6detail17trampoline_kernelINS0_14default_configENS1_38merge_sort_block_merge_config_selectorIiiEEZZNS1_27merge_sort_block_merge_implIS3_N6thrust23THRUST_200600_302600_NS6detail15normal_iteratorINS8_10device_ptrIiEEEESD_jNS1_19radix_merge_compareILb0ELb0EiNS0_19identity_decomposerEEEEE10hipError_tT0_T1_T2_jT3_P12ihipStream_tbPNSt15iterator_traitsISI_E10value_typeEPNSO_ISJ_E10value_typeEPSK_NS1_7vsmem_tEENKUlT_SI_SJ_SK_E_clISD_PiSD_S10_EESH_SX_SI_SJ_SK_EUlSX_E1_NS1_11comp_targetILNS1_3genE0ELNS1_11target_archE4294967295ELNS1_3gpuE0ELNS1_3repE0EEENS1_36merge_oddeven_config_static_selectorELNS0_4arch9wavefront6targetE1EEEvSJ_.has_recursion, 0
	.set _ZN7rocprim17ROCPRIM_400000_NS6detail17trampoline_kernelINS0_14default_configENS1_38merge_sort_block_merge_config_selectorIiiEEZZNS1_27merge_sort_block_merge_implIS3_N6thrust23THRUST_200600_302600_NS6detail15normal_iteratorINS8_10device_ptrIiEEEESD_jNS1_19radix_merge_compareILb0ELb0EiNS0_19identity_decomposerEEEEE10hipError_tT0_T1_T2_jT3_P12ihipStream_tbPNSt15iterator_traitsISI_E10value_typeEPNSO_ISJ_E10value_typeEPSK_NS1_7vsmem_tEENKUlT_SI_SJ_SK_E_clISD_PiSD_S10_EESH_SX_SI_SJ_SK_EUlSX_E1_NS1_11comp_targetILNS1_3genE0ELNS1_11target_archE4294967295ELNS1_3gpuE0ELNS1_3repE0EEENS1_36merge_oddeven_config_static_selectorELNS0_4arch9wavefront6targetE1EEEvSJ_.has_indirect_call, 0
	.section	.AMDGPU.csdata,"",@progbits
; Kernel info:
; codeLenInByte = 780
; TotalNumSgprs: 30
; NumVgprs: 10
; NumAgprs: 0
; TotalNumVgprs: 10
; ScratchSize: 0
; MemoryBound: 0
; FloatMode: 240
; IeeeMode: 1
; LDSByteSize: 0 bytes/workgroup (compile time only)
; SGPRBlocks: 3
; VGPRBlocks: 1
; NumSGPRsForWavesPerEU: 30
; NumVGPRsForWavesPerEU: 10
; AccumOffset: 12
; Occupancy: 8
; WaveLimiterHint : 0
; COMPUTE_PGM_RSRC2:SCRATCH_EN: 0
; COMPUTE_PGM_RSRC2:USER_SGPR: 2
; COMPUTE_PGM_RSRC2:TRAP_HANDLER: 0
; COMPUTE_PGM_RSRC2:TGID_X_EN: 1
; COMPUTE_PGM_RSRC2:TGID_Y_EN: 0
; COMPUTE_PGM_RSRC2:TGID_Z_EN: 0
; COMPUTE_PGM_RSRC2:TIDIG_COMP_CNT: 0
; COMPUTE_PGM_RSRC3_GFX90A:ACCUM_OFFSET: 2
; COMPUTE_PGM_RSRC3_GFX90A:TG_SPLIT: 0
	.section	.text._ZN7rocprim17ROCPRIM_400000_NS6detail17trampoline_kernelINS0_14default_configENS1_38merge_sort_block_merge_config_selectorIiiEEZZNS1_27merge_sort_block_merge_implIS3_N6thrust23THRUST_200600_302600_NS6detail15normal_iteratorINS8_10device_ptrIiEEEESD_jNS1_19radix_merge_compareILb0ELb0EiNS0_19identity_decomposerEEEEE10hipError_tT0_T1_T2_jT3_P12ihipStream_tbPNSt15iterator_traitsISI_E10value_typeEPNSO_ISJ_E10value_typeEPSK_NS1_7vsmem_tEENKUlT_SI_SJ_SK_E_clISD_PiSD_S10_EESH_SX_SI_SJ_SK_EUlSX_E1_NS1_11comp_targetILNS1_3genE10ELNS1_11target_archE1201ELNS1_3gpuE5ELNS1_3repE0EEENS1_36merge_oddeven_config_static_selectorELNS0_4arch9wavefront6targetE1EEEvSJ_,"axG",@progbits,_ZN7rocprim17ROCPRIM_400000_NS6detail17trampoline_kernelINS0_14default_configENS1_38merge_sort_block_merge_config_selectorIiiEEZZNS1_27merge_sort_block_merge_implIS3_N6thrust23THRUST_200600_302600_NS6detail15normal_iteratorINS8_10device_ptrIiEEEESD_jNS1_19radix_merge_compareILb0ELb0EiNS0_19identity_decomposerEEEEE10hipError_tT0_T1_T2_jT3_P12ihipStream_tbPNSt15iterator_traitsISI_E10value_typeEPNSO_ISJ_E10value_typeEPSK_NS1_7vsmem_tEENKUlT_SI_SJ_SK_E_clISD_PiSD_S10_EESH_SX_SI_SJ_SK_EUlSX_E1_NS1_11comp_targetILNS1_3genE10ELNS1_11target_archE1201ELNS1_3gpuE5ELNS1_3repE0EEENS1_36merge_oddeven_config_static_selectorELNS0_4arch9wavefront6targetE1EEEvSJ_,comdat
	.protected	_ZN7rocprim17ROCPRIM_400000_NS6detail17trampoline_kernelINS0_14default_configENS1_38merge_sort_block_merge_config_selectorIiiEEZZNS1_27merge_sort_block_merge_implIS3_N6thrust23THRUST_200600_302600_NS6detail15normal_iteratorINS8_10device_ptrIiEEEESD_jNS1_19radix_merge_compareILb0ELb0EiNS0_19identity_decomposerEEEEE10hipError_tT0_T1_T2_jT3_P12ihipStream_tbPNSt15iterator_traitsISI_E10value_typeEPNSO_ISJ_E10value_typeEPSK_NS1_7vsmem_tEENKUlT_SI_SJ_SK_E_clISD_PiSD_S10_EESH_SX_SI_SJ_SK_EUlSX_E1_NS1_11comp_targetILNS1_3genE10ELNS1_11target_archE1201ELNS1_3gpuE5ELNS1_3repE0EEENS1_36merge_oddeven_config_static_selectorELNS0_4arch9wavefront6targetE1EEEvSJ_ ; -- Begin function _ZN7rocprim17ROCPRIM_400000_NS6detail17trampoline_kernelINS0_14default_configENS1_38merge_sort_block_merge_config_selectorIiiEEZZNS1_27merge_sort_block_merge_implIS3_N6thrust23THRUST_200600_302600_NS6detail15normal_iteratorINS8_10device_ptrIiEEEESD_jNS1_19radix_merge_compareILb0ELb0EiNS0_19identity_decomposerEEEEE10hipError_tT0_T1_T2_jT3_P12ihipStream_tbPNSt15iterator_traitsISI_E10value_typeEPNSO_ISJ_E10value_typeEPSK_NS1_7vsmem_tEENKUlT_SI_SJ_SK_E_clISD_PiSD_S10_EESH_SX_SI_SJ_SK_EUlSX_E1_NS1_11comp_targetILNS1_3genE10ELNS1_11target_archE1201ELNS1_3gpuE5ELNS1_3repE0EEENS1_36merge_oddeven_config_static_selectorELNS0_4arch9wavefront6targetE1EEEvSJ_
	.globl	_ZN7rocprim17ROCPRIM_400000_NS6detail17trampoline_kernelINS0_14default_configENS1_38merge_sort_block_merge_config_selectorIiiEEZZNS1_27merge_sort_block_merge_implIS3_N6thrust23THRUST_200600_302600_NS6detail15normal_iteratorINS8_10device_ptrIiEEEESD_jNS1_19radix_merge_compareILb0ELb0EiNS0_19identity_decomposerEEEEE10hipError_tT0_T1_T2_jT3_P12ihipStream_tbPNSt15iterator_traitsISI_E10value_typeEPNSO_ISJ_E10value_typeEPSK_NS1_7vsmem_tEENKUlT_SI_SJ_SK_E_clISD_PiSD_S10_EESH_SX_SI_SJ_SK_EUlSX_E1_NS1_11comp_targetILNS1_3genE10ELNS1_11target_archE1201ELNS1_3gpuE5ELNS1_3repE0EEENS1_36merge_oddeven_config_static_selectorELNS0_4arch9wavefront6targetE1EEEvSJ_
	.p2align	8
	.type	_ZN7rocprim17ROCPRIM_400000_NS6detail17trampoline_kernelINS0_14default_configENS1_38merge_sort_block_merge_config_selectorIiiEEZZNS1_27merge_sort_block_merge_implIS3_N6thrust23THRUST_200600_302600_NS6detail15normal_iteratorINS8_10device_ptrIiEEEESD_jNS1_19radix_merge_compareILb0ELb0EiNS0_19identity_decomposerEEEEE10hipError_tT0_T1_T2_jT3_P12ihipStream_tbPNSt15iterator_traitsISI_E10value_typeEPNSO_ISJ_E10value_typeEPSK_NS1_7vsmem_tEENKUlT_SI_SJ_SK_E_clISD_PiSD_S10_EESH_SX_SI_SJ_SK_EUlSX_E1_NS1_11comp_targetILNS1_3genE10ELNS1_11target_archE1201ELNS1_3gpuE5ELNS1_3repE0EEENS1_36merge_oddeven_config_static_selectorELNS0_4arch9wavefront6targetE1EEEvSJ_,@function
_ZN7rocprim17ROCPRIM_400000_NS6detail17trampoline_kernelINS0_14default_configENS1_38merge_sort_block_merge_config_selectorIiiEEZZNS1_27merge_sort_block_merge_implIS3_N6thrust23THRUST_200600_302600_NS6detail15normal_iteratorINS8_10device_ptrIiEEEESD_jNS1_19radix_merge_compareILb0ELb0EiNS0_19identity_decomposerEEEEE10hipError_tT0_T1_T2_jT3_P12ihipStream_tbPNSt15iterator_traitsISI_E10value_typeEPNSO_ISJ_E10value_typeEPSK_NS1_7vsmem_tEENKUlT_SI_SJ_SK_E_clISD_PiSD_S10_EESH_SX_SI_SJ_SK_EUlSX_E1_NS1_11comp_targetILNS1_3genE10ELNS1_11target_archE1201ELNS1_3gpuE5ELNS1_3repE0EEENS1_36merge_oddeven_config_static_selectorELNS0_4arch9wavefront6targetE1EEEvSJ_: ; @_ZN7rocprim17ROCPRIM_400000_NS6detail17trampoline_kernelINS0_14default_configENS1_38merge_sort_block_merge_config_selectorIiiEEZZNS1_27merge_sort_block_merge_implIS3_N6thrust23THRUST_200600_302600_NS6detail15normal_iteratorINS8_10device_ptrIiEEEESD_jNS1_19radix_merge_compareILb0ELb0EiNS0_19identity_decomposerEEEEE10hipError_tT0_T1_T2_jT3_P12ihipStream_tbPNSt15iterator_traitsISI_E10value_typeEPNSO_ISJ_E10value_typeEPSK_NS1_7vsmem_tEENKUlT_SI_SJ_SK_E_clISD_PiSD_S10_EESH_SX_SI_SJ_SK_EUlSX_E1_NS1_11comp_targetILNS1_3genE10ELNS1_11target_archE1201ELNS1_3gpuE5ELNS1_3repE0EEENS1_36merge_oddeven_config_static_selectorELNS0_4arch9wavefront6targetE1EEEvSJ_
; %bb.0:
	.section	.rodata,"a",@progbits
	.p2align	6, 0x0
	.amdhsa_kernel _ZN7rocprim17ROCPRIM_400000_NS6detail17trampoline_kernelINS0_14default_configENS1_38merge_sort_block_merge_config_selectorIiiEEZZNS1_27merge_sort_block_merge_implIS3_N6thrust23THRUST_200600_302600_NS6detail15normal_iteratorINS8_10device_ptrIiEEEESD_jNS1_19radix_merge_compareILb0ELb0EiNS0_19identity_decomposerEEEEE10hipError_tT0_T1_T2_jT3_P12ihipStream_tbPNSt15iterator_traitsISI_E10value_typeEPNSO_ISJ_E10value_typeEPSK_NS1_7vsmem_tEENKUlT_SI_SJ_SK_E_clISD_PiSD_S10_EESH_SX_SI_SJ_SK_EUlSX_E1_NS1_11comp_targetILNS1_3genE10ELNS1_11target_archE1201ELNS1_3gpuE5ELNS1_3repE0EEENS1_36merge_oddeven_config_static_selectorELNS0_4arch9wavefront6targetE1EEEvSJ_
		.amdhsa_group_segment_fixed_size 0
		.amdhsa_private_segment_fixed_size 0
		.amdhsa_kernarg_size 48
		.amdhsa_user_sgpr_count 2
		.amdhsa_user_sgpr_dispatch_ptr 0
		.amdhsa_user_sgpr_queue_ptr 0
		.amdhsa_user_sgpr_kernarg_segment_ptr 1
		.amdhsa_user_sgpr_dispatch_id 0
		.amdhsa_user_sgpr_kernarg_preload_length 0
		.amdhsa_user_sgpr_kernarg_preload_offset 0
		.amdhsa_user_sgpr_private_segment_size 0
		.amdhsa_uses_dynamic_stack 0
		.amdhsa_enable_private_segment 0
		.amdhsa_system_sgpr_workgroup_id_x 1
		.amdhsa_system_sgpr_workgroup_id_y 0
		.amdhsa_system_sgpr_workgroup_id_z 0
		.amdhsa_system_sgpr_workgroup_info 0
		.amdhsa_system_vgpr_workitem_id 0
		.amdhsa_next_free_vgpr 1
		.amdhsa_next_free_sgpr 0
		.amdhsa_accum_offset 4
		.amdhsa_reserve_vcc 0
		.amdhsa_float_round_mode_32 0
		.amdhsa_float_round_mode_16_64 0
		.amdhsa_float_denorm_mode_32 3
		.amdhsa_float_denorm_mode_16_64 3
		.amdhsa_dx10_clamp 1
		.amdhsa_ieee_mode 1
		.amdhsa_fp16_overflow 0
		.amdhsa_tg_split 0
		.amdhsa_exception_fp_ieee_invalid_op 0
		.amdhsa_exception_fp_denorm_src 0
		.amdhsa_exception_fp_ieee_div_zero 0
		.amdhsa_exception_fp_ieee_overflow 0
		.amdhsa_exception_fp_ieee_underflow 0
		.amdhsa_exception_fp_ieee_inexact 0
		.amdhsa_exception_int_div_zero 0
	.end_amdhsa_kernel
	.section	.text._ZN7rocprim17ROCPRIM_400000_NS6detail17trampoline_kernelINS0_14default_configENS1_38merge_sort_block_merge_config_selectorIiiEEZZNS1_27merge_sort_block_merge_implIS3_N6thrust23THRUST_200600_302600_NS6detail15normal_iteratorINS8_10device_ptrIiEEEESD_jNS1_19radix_merge_compareILb0ELb0EiNS0_19identity_decomposerEEEEE10hipError_tT0_T1_T2_jT3_P12ihipStream_tbPNSt15iterator_traitsISI_E10value_typeEPNSO_ISJ_E10value_typeEPSK_NS1_7vsmem_tEENKUlT_SI_SJ_SK_E_clISD_PiSD_S10_EESH_SX_SI_SJ_SK_EUlSX_E1_NS1_11comp_targetILNS1_3genE10ELNS1_11target_archE1201ELNS1_3gpuE5ELNS1_3repE0EEENS1_36merge_oddeven_config_static_selectorELNS0_4arch9wavefront6targetE1EEEvSJ_,"axG",@progbits,_ZN7rocprim17ROCPRIM_400000_NS6detail17trampoline_kernelINS0_14default_configENS1_38merge_sort_block_merge_config_selectorIiiEEZZNS1_27merge_sort_block_merge_implIS3_N6thrust23THRUST_200600_302600_NS6detail15normal_iteratorINS8_10device_ptrIiEEEESD_jNS1_19radix_merge_compareILb0ELb0EiNS0_19identity_decomposerEEEEE10hipError_tT0_T1_T2_jT3_P12ihipStream_tbPNSt15iterator_traitsISI_E10value_typeEPNSO_ISJ_E10value_typeEPSK_NS1_7vsmem_tEENKUlT_SI_SJ_SK_E_clISD_PiSD_S10_EESH_SX_SI_SJ_SK_EUlSX_E1_NS1_11comp_targetILNS1_3genE10ELNS1_11target_archE1201ELNS1_3gpuE5ELNS1_3repE0EEENS1_36merge_oddeven_config_static_selectorELNS0_4arch9wavefront6targetE1EEEvSJ_,comdat
.Lfunc_end749:
	.size	_ZN7rocprim17ROCPRIM_400000_NS6detail17trampoline_kernelINS0_14default_configENS1_38merge_sort_block_merge_config_selectorIiiEEZZNS1_27merge_sort_block_merge_implIS3_N6thrust23THRUST_200600_302600_NS6detail15normal_iteratorINS8_10device_ptrIiEEEESD_jNS1_19radix_merge_compareILb0ELb0EiNS0_19identity_decomposerEEEEE10hipError_tT0_T1_T2_jT3_P12ihipStream_tbPNSt15iterator_traitsISI_E10value_typeEPNSO_ISJ_E10value_typeEPSK_NS1_7vsmem_tEENKUlT_SI_SJ_SK_E_clISD_PiSD_S10_EESH_SX_SI_SJ_SK_EUlSX_E1_NS1_11comp_targetILNS1_3genE10ELNS1_11target_archE1201ELNS1_3gpuE5ELNS1_3repE0EEENS1_36merge_oddeven_config_static_selectorELNS0_4arch9wavefront6targetE1EEEvSJ_, .Lfunc_end749-_ZN7rocprim17ROCPRIM_400000_NS6detail17trampoline_kernelINS0_14default_configENS1_38merge_sort_block_merge_config_selectorIiiEEZZNS1_27merge_sort_block_merge_implIS3_N6thrust23THRUST_200600_302600_NS6detail15normal_iteratorINS8_10device_ptrIiEEEESD_jNS1_19radix_merge_compareILb0ELb0EiNS0_19identity_decomposerEEEEE10hipError_tT0_T1_T2_jT3_P12ihipStream_tbPNSt15iterator_traitsISI_E10value_typeEPNSO_ISJ_E10value_typeEPSK_NS1_7vsmem_tEENKUlT_SI_SJ_SK_E_clISD_PiSD_S10_EESH_SX_SI_SJ_SK_EUlSX_E1_NS1_11comp_targetILNS1_3genE10ELNS1_11target_archE1201ELNS1_3gpuE5ELNS1_3repE0EEENS1_36merge_oddeven_config_static_selectorELNS0_4arch9wavefront6targetE1EEEvSJ_
                                        ; -- End function
	.set _ZN7rocprim17ROCPRIM_400000_NS6detail17trampoline_kernelINS0_14default_configENS1_38merge_sort_block_merge_config_selectorIiiEEZZNS1_27merge_sort_block_merge_implIS3_N6thrust23THRUST_200600_302600_NS6detail15normal_iteratorINS8_10device_ptrIiEEEESD_jNS1_19radix_merge_compareILb0ELb0EiNS0_19identity_decomposerEEEEE10hipError_tT0_T1_T2_jT3_P12ihipStream_tbPNSt15iterator_traitsISI_E10value_typeEPNSO_ISJ_E10value_typeEPSK_NS1_7vsmem_tEENKUlT_SI_SJ_SK_E_clISD_PiSD_S10_EESH_SX_SI_SJ_SK_EUlSX_E1_NS1_11comp_targetILNS1_3genE10ELNS1_11target_archE1201ELNS1_3gpuE5ELNS1_3repE0EEENS1_36merge_oddeven_config_static_selectorELNS0_4arch9wavefront6targetE1EEEvSJ_.num_vgpr, 0
	.set _ZN7rocprim17ROCPRIM_400000_NS6detail17trampoline_kernelINS0_14default_configENS1_38merge_sort_block_merge_config_selectorIiiEEZZNS1_27merge_sort_block_merge_implIS3_N6thrust23THRUST_200600_302600_NS6detail15normal_iteratorINS8_10device_ptrIiEEEESD_jNS1_19radix_merge_compareILb0ELb0EiNS0_19identity_decomposerEEEEE10hipError_tT0_T1_T2_jT3_P12ihipStream_tbPNSt15iterator_traitsISI_E10value_typeEPNSO_ISJ_E10value_typeEPSK_NS1_7vsmem_tEENKUlT_SI_SJ_SK_E_clISD_PiSD_S10_EESH_SX_SI_SJ_SK_EUlSX_E1_NS1_11comp_targetILNS1_3genE10ELNS1_11target_archE1201ELNS1_3gpuE5ELNS1_3repE0EEENS1_36merge_oddeven_config_static_selectorELNS0_4arch9wavefront6targetE1EEEvSJ_.num_agpr, 0
	.set _ZN7rocprim17ROCPRIM_400000_NS6detail17trampoline_kernelINS0_14default_configENS1_38merge_sort_block_merge_config_selectorIiiEEZZNS1_27merge_sort_block_merge_implIS3_N6thrust23THRUST_200600_302600_NS6detail15normal_iteratorINS8_10device_ptrIiEEEESD_jNS1_19radix_merge_compareILb0ELb0EiNS0_19identity_decomposerEEEEE10hipError_tT0_T1_T2_jT3_P12ihipStream_tbPNSt15iterator_traitsISI_E10value_typeEPNSO_ISJ_E10value_typeEPSK_NS1_7vsmem_tEENKUlT_SI_SJ_SK_E_clISD_PiSD_S10_EESH_SX_SI_SJ_SK_EUlSX_E1_NS1_11comp_targetILNS1_3genE10ELNS1_11target_archE1201ELNS1_3gpuE5ELNS1_3repE0EEENS1_36merge_oddeven_config_static_selectorELNS0_4arch9wavefront6targetE1EEEvSJ_.numbered_sgpr, 0
	.set _ZN7rocprim17ROCPRIM_400000_NS6detail17trampoline_kernelINS0_14default_configENS1_38merge_sort_block_merge_config_selectorIiiEEZZNS1_27merge_sort_block_merge_implIS3_N6thrust23THRUST_200600_302600_NS6detail15normal_iteratorINS8_10device_ptrIiEEEESD_jNS1_19radix_merge_compareILb0ELb0EiNS0_19identity_decomposerEEEEE10hipError_tT0_T1_T2_jT3_P12ihipStream_tbPNSt15iterator_traitsISI_E10value_typeEPNSO_ISJ_E10value_typeEPSK_NS1_7vsmem_tEENKUlT_SI_SJ_SK_E_clISD_PiSD_S10_EESH_SX_SI_SJ_SK_EUlSX_E1_NS1_11comp_targetILNS1_3genE10ELNS1_11target_archE1201ELNS1_3gpuE5ELNS1_3repE0EEENS1_36merge_oddeven_config_static_selectorELNS0_4arch9wavefront6targetE1EEEvSJ_.num_named_barrier, 0
	.set _ZN7rocprim17ROCPRIM_400000_NS6detail17trampoline_kernelINS0_14default_configENS1_38merge_sort_block_merge_config_selectorIiiEEZZNS1_27merge_sort_block_merge_implIS3_N6thrust23THRUST_200600_302600_NS6detail15normal_iteratorINS8_10device_ptrIiEEEESD_jNS1_19radix_merge_compareILb0ELb0EiNS0_19identity_decomposerEEEEE10hipError_tT0_T1_T2_jT3_P12ihipStream_tbPNSt15iterator_traitsISI_E10value_typeEPNSO_ISJ_E10value_typeEPSK_NS1_7vsmem_tEENKUlT_SI_SJ_SK_E_clISD_PiSD_S10_EESH_SX_SI_SJ_SK_EUlSX_E1_NS1_11comp_targetILNS1_3genE10ELNS1_11target_archE1201ELNS1_3gpuE5ELNS1_3repE0EEENS1_36merge_oddeven_config_static_selectorELNS0_4arch9wavefront6targetE1EEEvSJ_.private_seg_size, 0
	.set _ZN7rocprim17ROCPRIM_400000_NS6detail17trampoline_kernelINS0_14default_configENS1_38merge_sort_block_merge_config_selectorIiiEEZZNS1_27merge_sort_block_merge_implIS3_N6thrust23THRUST_200600_302600_NS6detail15normal_iteratorINS8_10device_ptrIiEEEESD_jNS1_19radix_merge_compareILb0ELb0EiNS0_19identity_decomposerEEEEE10hipError_tT0_T1_T2_jT3_P12ihipStream_tbPNSt15iterator_traitsISI_E10value_typeEPNSO_ISJ_E10value_typeEPSK_NS1_7vsmem_tEENKUlT_SI_SJ_SK_E_clISD_PiSD_S10_EESH_SX_SI_SJ_SK_EUlSX_E1_NS1_11comp_targetILNS1_3genE10ELNS1_11target_archE1201ELNS1_3gpuE5ELNS1_3repE0EEENS1_36merge_oddeven_config_static_selectorELNS0_4arch9wavefront6targetE1EEEvSJ_.uses_vcc, 0
	.set _ZN7rocprim17ROCPRIM_400000_NS6detail17trampoline_kernelINS0_14default_configENS1_38merge_sort_block_merge_config_selectorIiiEEZZNS1_27merge_sort_block_merge_implIS3_N6thrust23THRUST_200600_302600_NS6detail15normal_iteratorINS8_10device_ptrIiEEEESD_jNS1_19radix_merge_compareILb0ELb0EiNS0_19identity_decomposerEEEEE10hipError_tT0_T1_T2_jT3_P12ihipStream_tbPNSt15iterator_traitsISI_E10value_typeEPNSO_ISJ_E10value_typeEPSK_NS1_7vsmem_tEENKUlT_SI_SJ_SK_E_clISD_PiSD_S10_EESH_SX_SI_SJ_SK_EUlSX_E1_NS1_11comp_targetILNS1_3genE10ELNS1_11target_archE1201ELNS1_3gpuE5ELNS1_3repE0EEENS1_36merge_oddeven_config_static_selectorELNS0_4arch9wavefront6targetE1EEEvSJ_.uses_flat_scratch, 0
	.set _ZN7rocprim17ROCPRIM_400000_NS6detail17trampoline_kernelINS0_14default_configENS1_38merge_sort_block_merge_config_selectorIiiEEZZNS1_27merge_sort_block_merge_implIS3_N6thrust23THRUST_200600_302600_NS6detail15normal_iteratorINS8_10device_ptrIiEEEESD_jNS1_19radix_merge_compareILb0ELb0EiNS0_19identity_decomposerEEEEE10hipError_tT0_T1_T2_jT3_P12ihipStream_tbPNSt15iterator_traitsISI_E10value_typeEPNSO_ISJ_E10value_typeEPSK_NS1_7vsmem_tEENKUlT_SI_SJ_SK_E_clISD_PiSD_S10_EESH_SX_SI_SJ_SK_EUlSX_E1_NS1_11comp_targetILNS1_3genE10ELNS1_11target_archE1201ELNS1_3gpuE5ELNS1_3repE0EEENS1_36merge_oddeven_config_static_selectorELNS0_4arch9wavefront6targetE1EEEvSJ_.has_dyn_sized_stack, 0
	.set _ZN7rocprim17ROCPRIM_400000_NS6detail17trampoline_kernelINS0_14default_configENS1_38merge_sort_block_merge_config_selectorIiiEEZZNS1_27merge_sort_block_merge_implIS3_N6thrust23THRUST_200600_302600_NS6detail15normal_iteratorINS8_10device_ptrIiEEEESD_jNS1_19radix_merge_compareILb0ELb0EiNS0_19identity_decomposerEEEEE10hipError_tT0_T1_T2_jT3_P12ihipStream_tbPNSt15iterator_traitsISI_E10value_typeEPNSO_ISJ_E10value_typeEPSK_NS1_7vsmem_tEENKUlT_SI_SJ_SK_E_clISD_PiSD_S10_EESH_SX_SI_SJ_SK_EUlSX_E1_NS1_11comp_targetILNS1_3genE10ELNS1_11target_archE1201ELNS1_3gpuE5ELNS1_3repE0EEENS1_36merge_oddeven_config_static_selectorELNS0_4arch9wavefront6targetE1EEEvSJ_.has_recursion, 0
	.set _ZN7rocprim17ROCPRIM_400000_NS6detail17trampoline_kernelINS0_14default_configENS1_38merge_sort_block_merge_config_selectorIiiEEZZNS1_27merge_sort_block_merge_implIS3_N6thrust23THRUST_200600_302600_NS6detail15normal_iteratorINS8_10device_ptrIiEEEESD_jNS1_19radix_merge_compareILb0ELb0EiNS0_19identity_decomposerEEEEE10hipError_tT0_T1_T2_jT3_P12ihipStream_tbPNSt15iterator_traitsISI_E10value_typeEPNSO_ISJ_E10value_typeEPSK_NS1_7vsmem_tEENKUlT_SI_SJ_SK_E_clISD_PiSD_S10_EESH_SX_SI_SJ_SK_EUlSX_E1_NS1_11comp_targetILNS1_3genE10ELNS1_11target_archE1201ELNS1_3gpuE5ELNS1_3repE0EEENS1_36merge_oddeven_config_static_selectorELNS0_4arch9wavefront6targetE1EEEvSJ_.has_indirect_call, 0
	.section	.AMDGPU.csdata,"",@progbits
; Kernel info:
; codeLenInByte = 0
; TotalNumSgprs: 6
; NumVgprs: 0
; NumAgprs: 0
; TotalNumVgprs: 0
; ScratchSize: 0
; MemoryBound: 0
; FloatMode: 240
; IeeeMode: 1
; LDSByteSize: 0 bytes/workgroup (compile time only)
; SGPRBlocks: 0
; VGPRBlocks: 0
; NumSGPRsForWavesPerEU: 6
; NumVGPRsForWavesPerEU: 1
; AccumOffset: 4
; Occupancy: 8
; WaveLimiterHint : 0
; COMPUTE_PGM_RSRC2:SCRATCH_EN: 0
; COMPUTE_PGM_RSRC2:USER_SGPR: 2
; COMPUTE_PGM_RSRC2:TRAP_HANDLER: 0
; COMPUTE_PGM_RSRC2:TGID_X_EN: 1
; COMPUTE_PGM_RSRC2:TGID_Y_EN: 0
; COMPUTE_PGM_RSRC2:TGID_Z_EN: 0
; COMPUTE_PGM_RSRC2:TIDIG_COMP_CNT: 0
; COMPUTE_PGM_RSRC3_GFX90A:ACCUM_OFFSET: 0
; COMPUTE_PGM_RSRC3_GFX90A:TG_SPLIT: 0
	.section	.text._ZN7rocprim17ROCPRIM_400000_NS6detail17trampoline_kernelINS0_14default_configENS1_38merge_sort_block_merge_config_selectorIiiEEZZNS1_27merge_sort_block_merge_implIS3_N6thrust23THRUST_200600_302600_NS6detail15normal_iteratorINS8_10device_ptrIiEEEESD_jNS1_19radix_merge_compareILb0ELb0EiNS0_19identity_decomposerEEEEE10hipError_tT0_T1_T2_jT3_P12ihipStream_tbPNSt15iterator_traitsISI_E10value_typeEPNSO_ISJ_E10value_typeEPSK_NS1_7vsmem_tEENKUlT_SI_SJ_SK_E_clISD_PiSD_S10_EESH_SX_SI_SJ_SK_EUlSX_E1_NS1_11comp_targetILNS1_3genE5ELNS1_11target_archE942ELNS1_3gpuE9ELNS1_3repE0EEENS1_36merge_oddeven_config_static_selectorELNS0_4arch9wavefront6targetE1EEEvSJ_,"axG",@progbits,_ZN7rocprim17ROCPRIM_400000_NS6detail17trampoline_kernelINS0_14default_configENS1_38merge_sort_block_merge_config_selectorIiiEEZZNS1_27merge_sort_block_merge_implIS3_N6thrust23THRUST_200600_302600_NS6detail15normal_iteratorINS8_10device_ptrIiEEEESD_jNS1_19radix_merge_compareILb0ELb0EiNS0_19identity_decomposerEEEEE10hipError_tT0_T1_T2_jT3_P12ihipStream_tbPNSt15iterator_traitsISI_E10value_typeEPNSO_ISJ_E10value_typeEPSK_NS1_7vsmem_tEENKUlT_SI_SJ_SK_E_clISD_PiSD_S10_EESH_SX_SI_SJ_SK_EUlSX_E1_NS1_11comp_targetILNS1_3genE5ELNS1_11target_archE942ELNS1_3gpuE9ELNS1_3repE0EEENS1_36merge_oddeven_config_static_selectorELNS0_4arch9wavefront6targetE1EEEvSJ_,comdat
	.protected	_ZN7rocprim17ROCPRIM_400000_NS6detail17trampoline_kernelINS0_14default_configENS1_38merge_sort_block_merge_config_selectorIiiEEZZNS1_27merge_sort_block_merge_implIS3_N6thrust23THRUST_200600_302600_NS6detail15normal_iteratorINS8_10device_ptrIiEEEESD_jNS1_19radix_merge_compareILb0ELb0EiNS0_19identity_decomposerEEEEE10hipError_tT0_T1_T2_jT3_P12ihipStream_tbPNSt15iterator_traitsISI_E10value_typeEPNSO_ISJ_E10value_typeEPSK_NS1_7vsmem_tEENKUlT_SI_SJ_SK_E_clISD_PiSD_S10_EESH_SX_SI_SJ_SK_EUlSX_E1_NS1_11comp_targetILNS1_3genE5ELNS1_11target_archE942ELNS1_3gpuE9ELNS1_3repE0EEENS1_36merge_oddeven_config_static_selectorELNS0_4arch9wavefront6targetE1EEEvSJ_ ; -- Begin function _ZN7rocprim17ROCPRIM_400000_NS6detail17trampoline_kernelINS0_14default_configENS1_38merge_sort_block_merge_config_selectorIiiEEZZNS1_27merge_sort_block_merge_implIS3_N6thrust23THRUST_200600_302600_NS6detail15normal_iteratorINS8_10device_ptrIiEEEESD_jNS1_19radix_merge_compareILb0ELb0EiNS0_19identity_decomposerEEEEE10hipError_tT0_T1_T2_jT3_P12ihipStream_tbPNSt15iterator_traitsISI_E10value_typeEPNSO_ISJ_E10value_typeEPSK_NS1_7vsmem_tEENKUlT_SI_SJ_SK_E_clISD_PiSD_S10_EESH_SX_SI_SJ_SK_EUlSX_E1_NS1_11comp_targetILNS1_3genE5ELNS1_11target_archE942ELNS1_3gpuE9ELNS1_3repE0EEENS1_36merge_oddeven_config_static_selectorELNS0_4arch9wavefront6targetE1EEEvSJ_
	.globl	_ZN7rocprim17ROCPRIM_400000_NS6detail17trampoline_kernelINS0_14default_configENS1_38merge_sort_block_merge_config_selectorIiiEEZZNS1_27merge_sort_block_merge_implIS3_N6thrust23THRUST_200600_302600_NS6detail15normal_iteratorINS8_10device_ptrIiEEEESD_jNS1_19radix_merge_compareILb0ELb0EiNS0_19identity_decomposerEEEEE10hipError_tT0_T1_T2_jT3_P12ihipStream_tbPNSt15iterator_traitsISI_E10value_typeEPNSO_ISJ_E10value_typeEPSK_NS1_7vsmem_tEENKUlT_SI_SJ_SK_E_clISD_PiSD_S10_EESH_SX_SI_SJ_SK_EUlSX_E1_NS1_11comp_targetILNS1_3genE5ELNS1_11target_archE942ELNS1_3gpuE9ELNS1_3repE0EEENS1_36merge_oddeven_config_static_selectorELNS0_4arch9wavefront6targetE1EEEvSJ_
	.p2align	8
	.type	_ZN7rocprim17ROCPRIM_400000_NS6detail17trampoline_kernelINS0_14default_configENS1_38merge_sort_block_merge_config_selectorIiiEEZZNS1_27merge_sort_block_merge_implIS3_N6thrust23THRUST_200600_302600_NS6detail15normal_iteratorINS8_10device_ptrIiEEEESD_jNS1_19radix_merge_compareILb0ELb0EiNS0_19identity_decomposerEEEEE10hipError_tT0_T1_T2_jT3_P12ihipStream_tbPNSt15iterator_traitsISI_E10value_typeEPNSO_ISJ_E10value_typeEPSK_NS1_7vsmem_tEENKUlT_SI_SJ_SK_E_clISD_PiSD_S10_EESH_SX_SI_SJ_SK_EUlSX_E1_NS1_11comp_targetILNS1_3genE5ELNS1_11target_archE942ELNS1_3gpuE9ELNS1_3repE0EEENS1_36merge_oddeven_config_static_selectorELNS0_4arch9wavefront6targetE1EEEvSJ_,@function
_ZN7rocprim17ROCPRIM_400000_NS6detail17trampoline_kernelINS0_14default_configENS1_38merge_sort_block_merge_config_selectorIiiEEZZNS1_27merge_sort_block_merge_implIS3_N6thrust23THRUST_200600_302600_NS6detail15normal_iteratorINS8_10device_ptrIiEEEESD_jNS1_19radix_merge_compareILb0ELb0EiNS0_19identity_decomposerEEEEE10hipError_tT0_T1_T2_jT3_P12ihipStream_tbPNSt15iterator_traitsISI_E10value_typeEPNSO_ISJ_E10value_typeEPSK_NS1_7vsmem_tEENKUlT_SI_SJ_SK_E_clISD_PiSD_S10_EESH_SX_SI_SJ_SK_EUlSX_E1_NS1_11comp_targetILNS1_3genE5ELNS1_11target_archE942ELNS1_3gpuE9ELNS1_3repE0EEENS1_36merge_oddeven_config_static_selectorELNS0_4arch9wavefront6targetE1EEEvSJ_: ; @_ZN7rocprim17ROCPRIM_400000_NS6detail17trampoline_kernelINS0_14default_configENS1_38merge_sort_block_merge_config_selectorIiiEEZZNS1_27merge_sort_block_merge_implIS3_N6thrust23THRUST_200600_302600_NS6detail15normal_iteratorINS8_10device_ptrIiEEEESD_jNS1_19radix_merge_compareILb0ELb0EiNS0_19identity_decomposerEEEEE10hipError_tT0_T1_T2_jT3_P12ihipStream_tbPNSt15iterator_traitsISI_E10value_typeEPNSO_ISJ_E10value_typeEPSK_NS1_7vsmem_tEENKUlT_SI_SJ_SK_E_clISD_PiSD_S10_EESH_SX_SI_SJ_SK_EUlSX_E1_NS1_11comp_targetILNS1_3genE5ELNS1_11target_archE942ELNS1_3gpuE9ELNS1_3repE0EEENS1_36merge_oddeven_config_static_selectorELNS0_4arch9wavefront6targetE1EEEvSJ_
; %bb.0:
	.section	.rodata,"a",@progbits
	.p2align	6, 0x0
	.amdhsa_kernel _ZN7rocprim17ROCPRIM_400000_NS6detail17trampoline_kernelINS0_14default_configENS1_38merge_sort_block_merge_config_selectorIiiEEZZNS1_27merge_sort_block_merge_implIS3_N6thrust23THRUST_200600_302600_NS6detail15normal_iteratorINS8_10device_ptrIiEEEESD_jNS1_19radix_merge_compareILb0ELb0EiNS0_19identity_decomposerEEEEE10hipError_tT0_T1_T2_jT3_P12ihipStream_tbPNSt15iterator_traitsISI_E10value_typeEPNSO_ISJ_E10value_typeEPSK_NS1_7vsmem_tEENKUlT_SI_SJ_SK_E_clISD_PiSD_S10_EESH_SX_SI_SJ_SK_EUlSX_E1_NS1_11comp_targetILNS1_3genE5ELNS1_11target_archE942ELNS1_3gpuE9ELNS1_3repE0EEENS1_36merge_oddeven_config_static_selectorELNS0_4arch9wavefront6targetE1EEEvSJ_
		.amdhsa_group_segment_fixed_size 0
		.amdhsa_private_segment_fixed_size 0
		.amdhsa_kernarg_size 48
		.amdhsa_user_sgpr_count 2
		.amdhsa_user_sgpr_dispatch_ptr 0
		.amdhsa_user_sgpr_queue_ptr 0
		.amdhsa_user_sgpr_kernarg_segment_ptr 1
		.amdhsa_user_sgpr_dispatch_id 0
		.amdhsa_user_sgpr_kernarg_preload_length 0
		.amdhsa_user_sgpr_kernarg_preload_offset 0
		.amdhsa_user_sgpr_private_segment_size 0
		.amdhsa_uses_dynamic_stack 0
		.amdhsa_enable_private_segment 0
		.amdhsa_system_sgpr_workgroup_id_x 1
		.amdhsa_system_sgpr_workgroup_id_y 0
		.amdhsa_system_sgpr_workgroup_id_z 0
		.amdhsa_system_sgpr_workgroup_info 0
		.amdhsa_system_vgpr_workitem_id 0
		.amdhsa_next_free_vgpr 1
		.amdhsa_next_free_sgpr 0
		.amdhsa_accum_offset 4
		.amdhsa_reserve_vcc 0
		.amdhsa_float_round_mode_32 0
		.amdhsa_float_round_mode_16_64 0
		.amdhsa_float_denorm_mode_32 3
		.amdhsa_float_denorm_mode_16_64 3
		.amdhsa_dx10_clamp 1
		.amdhsa_ieee_mode 1
		.amdhsa_fp16_overflow 0
		.amdhsa_tg_split 0
		.amdhsa_exception_fp_ieee_invalid_op 0
		.amdhsa_exception_fp_denorm_src 0
		.amdhsa_exception_fp_ieee_div_zero 0
		.amdhsa_exception_fp_ieee_overflow 0
		.amdhsa_exception_fp_ieee_underflow 0
		.amdhsa_exception_fp_ieee_inexact 0
		.amdhsa_exception_int_div_zero 0
	.end_amdhsa_kernel
	.section	.text._ZN7rocprim17ROCPRIM_400000_NS6detail17trampoline_kernelINS0_14default_configENS1_38merge_sort_block_merge_config_selectorIiiEEZZNS1_27merge_sort_block_merge_implIS3_N6thrust23THRUST_200600_302600_NS6detail15normal_iteratorINS8_10device_ptrIiEEEESD_jNS1_19radix_merge_compareILb0ELb0EiNS0_19identity_decomposerEEEEE10hipError_tT0_T1_T2_jT3_P12ihipStream_tbPNSt15iterator_traitsISI_E10value_typeEPNSO_ISJ_E10value_typeEPSK_NS1_7vsmem_tEENKUlT_SI_SJ_SK_E_clISD_PiSD_S10_EESH_SX_SI_SJ_SK_EUlSX_E1_NS1_11comp_targetILNS1_3genE5ELNS1_11target_archE942ELNS1_3gpuE9ELNS1_3repE0EEENS1_36merge_oddeven_config_static_selectorELNS0_4arch9wavefront6targetE1EEEvSJ_,"axG",@progbits,_ZN7rocprim17ROCPRIM_400000_NS6detail17trampoline_kernelINS0_14default_configENS1_38merge_sort_block_merge_config_selectorIiiEEZZNS1_27merge_sort_block_merge_implIS3_N6thrust23THRUST_200600_302600_NS6detail15normal_iteratorINS8_10device_ptrIiEEEESD_jNS1_19radix_merge_compareILb0ELb0EiNS0_19identity_decomposerEEEEE10hipError_tT0_T1_T2_jT3_P12ihipStream_tbPNSt15iterator_traitsISI_E10value_typeEPNSO_ISJ_E10value_typeEPSK_NS1_7vsmem_tEENKUlT_SI_SJ_SK_E_clISD_PiSD_S10_EESH_SX_SI_SJ_SK_EUlSX_E1_NS1_11comp_targetILNS1_3genE5ELNS1_11target_archE942ELNS1_3gpuE9ELNS1_3repE0EEENS1_36merge_oddeven_config_static_selectorELNS0_4arch9wavefront6targetE1EEEvSJ_,comdat
.Lfunc_end750:
	.size	_ZN7rocprim17ROCPRIM_400000_NS6detail17trampoline_kernelINS0_14default_configENS1_38merge_sort_block_merge_config_selectorIiiEEZZNS1_27merge_sort_block_merge_implIS3_N6thrust23THRUST_200600_302600_NS6detail15normal_iteratorINS8_10device_ptrIiEEEESD_jNS1_19radix_merge_compareILb0ELb0EiNS0_19identity_decomposerEEEEE10hipError_tT0_T1_T2_jT3_P12ihipStream_tbPNSt15iterator_traitsISI_E10value_typeEPNSO_ISJ_E10value_typeEPSK_NS1_7vsmem_tEENKUlT_SI_SJ_SK_E_clISD_PiSD_S10_EESH_SX_SI_SJ_SK_EUlSX_E1_NS1_11comp_targetILNS1_3genE5ELNS1_11target_archE942ELNS1_3gpuE9ELNS1_3repE0EEENS1_36merge_oddeven_config_static_selectorELNS0_4arch9wavefront6targetE1EEEvSJ_, .Lfunc_end750-_ZN7rocprim17ROCPRIM_400000_NS6detail17trampoline_kernelINS0_14default_configENS1_38merge_sort_block_merge_config_selectorIiiEEZZNS1_27merge_sort_block_merge_implIS3_N6thrust23THRUST_200600_302600_NS6detail15normal_iteratorINS8_10device_ptrIiEEEESD_jNS1_19radix_merge_compareILb0ELb0EiNS0_19identity_decomposerEEEEE10hipError_tT0_T1_T2_jT3_P12ihipStream_tbPNSt15iterator_traitsISI_E10value_typeEPNSO_ISJ_E10value_typeEPSK_NS1_7vsmem_tEENKUlT_SI_SJ_SK_E_clISD_PiSD_S10_EESH_SX_SI_SJ_SK_EUlSX_E1_NS1_11comp_targetILNS1_3genE5ELNS1_11target_archE942ELNS1_3gpuE9ELNS1_3repE0EEENS1_36merge_oddeven_config_static_selectorELNS0_4arch9wavefront6targetE1EEEvSJ_
                                        ; -- End function
	.set _ZN7rocprim17ROCPRIM_400000_NS6detail17trampoline_kernelINS0_14default_configENS1_38merge_sort_block_merge_config_selectorIiiEEZZNS1_27merge_sort_block_merge_implIS3_N6thrust23THRUST_200600_302600_NS6detail15normal_iteratorINS8_10device_ptrIiEEEESD_jNS1_19radix_merge_compareILb0ELb0EiNS0_19identity_decomposerEEEEE10hipError_tT0_T1_T2_jT3_P12ihipStream_tbPNSt15iterator_traitsISI_E10value_typeEPNSO_ISJ_E10value_typeEPSK_NS1_7vsmem_tEENKUlT_SI_SJ_SK_E_clISD_PiSD_S10_EESH_SX_SI_SJ_SK_EUlSX_E1_NS1_11comp_targetILNS1_3genE5ELNS1_11target_archE942ELNS1_3gpuE9ELNS1_3repE0EEENS1_36merge_oddeven_config_static_selectorELNS0_4arch9wavefront6targetE1EEEvSJ_.num_vgpr, 0
	.set _ZN7rocprim17ROCPRIM_400000_NS6detail17trampoline_kernelINS0_14default_configENS1_38merge_sort_block_merge_config_selectorIiiEEZZNS1_27merge_sort_block_merge_implIS3_N6thrust23THRUST_200600_302600_NS6detail15normal_iteratorINS8_10device_ptrIiEEEESD_jNS1_19radix_merge_compareILb0ELb0EiNS0_19identity_decomposerEEEEE10hipError_tT0_T1_T2_jT3_P12ihipStream_tbPNSt15iterator_traitsISI_E10value_typeEPNSO_ISJ_E10value_typeEPSK_NS1_7vsmem_tEENKUlT_SI_SJ_SK_E_clISD_PiSD_S10_EESH_SX_SI_SJ_SK_EUlSX_E1_NS1_11comp_targetILNS1_3genE5ELNS1_11target_archE942ELNS1_3gpuE9ELNS1_3repE0EEENS1_36merge_oddeven_config_static_selectorELNS0_4arch9wavefront6targetE1EEEvSJ_.num_agpr, 0
	.set _ZN7rocprim17ROCPRIM_400000_NS6detail17trampoline_kernelINS0_14default_configENS1_38merge_sort_block_merge_config_selectorIiiEEZZNS1_27merge_sort_block_merge_implIS3_N6thrust23THRUST_200600_302600_NS6detail15normal_iteratorINS8_10device_ptrIiEEEESD_jNS1_19radix_merge_compareILb0ELb0EiNS0_19identity_decomposerEEEEE10hipError_tT0_T1_T2_jT3_P12ihipStream_tbPNSt15iterator_traitsISI_E10value_typeEPNSO_ISJ_E10value_typeEPSK_NS1_7vsmem_tEENKUlT_SI_SJ_SK_E_clISD_PiSD_S10_EESH_SX_SI_SJ_SK_EUlSX_E1_NS1_11comp_targetILNS1_3genE5ELNS1_11target_archE942ELNS1_3gpuE9ELNS1_3repE0EEENS1_36merge_oddeven_config_static_selectorELNS0_4arch9wavefront6targetE1EEEvSJ_.numbered_sgpr, 0
	.set _ZN7rocprim17ROCPRIM_400000_NS6detail17trampoline_kernelINS0_14default_configENS1_38merge_sort_block_merge_config_selectorIiiEEZZNS1_27merge_sort_block_merge_implIS3_N6thrust23THRUST_200600_302600_NS6detail15normal_iteratorINS8_10device_ptrIiEEEESD_jNS1_19radix_merge_compareILb0ELb0EiNS0_19identity_decomposerEEEEE10hipError_tT0_T1_T2_jT3_P12ihipStream_tbPNSt15iterator_traitsISI_E10value_typeEPNSO_ISJ_E10value_typeEPSK_NS1_7vsmem_tEENKUlT_SI_SJ_SK_E_clISD_PiSD_S10_EESH_SX_SI_SJ_SK_EUlSX_E1_NS1_11comp_targetILNS1_3genE5ELNS1_11target_archE942ELNS1_3gpuE9ELNS1_3repE0EEENS1_36merge_oddeven_config_static_selectorELNS0_4arch9wavefront6targetE1EEEvSJ_.num_named_barrier, 0
	.set _ZN7rocprim17ROCPRIM_400000_NS6detail17trampoline_kernelINS0_14default_configENS1_38merge_sort_block_merge_config_selectorIiiEEZZNS1_27merge_sort_block_merge_implIS3_N6thrust23THRUST_200600_302600_NS6detail15normal_iteratorINS8_10device_ptrIiEEEESD_jNS1_19radix_merge_compareILb0ELb0EiNS0_19identity_decomposerEEEEE10hipError_tT0_T1_T2_jT3_P12ihipStream_tbPNSt15iterator_traitsISI_E10value_typeEPNSO_ISJ_E10value_typeEPSK_NS1_7vsmem_tEENKUlT_SI_SJ_SK_E_clISD_PiSD_S10_EESH_SX_SI_SJ_SK_EUlSX_E1_NS1_11comp_targetILNS1_3genE5ELNS1_11target_archE942ELNS1_3gpuE9ELNS1_3repE0EEENS1_36merge_oddeven_config_static_selectorELNS0_4arch9wavefront6targetE1EEEvSJ_.private_seg_size, 0
	.set _ZN7rocprim17ROCPRIM_400000_NS6detail17trampoline_kernelINS0_14default_configENS1_38merge_sort_block_merge_config_selectorIiiEEZZNS1_27merge_sort_block_merge_implIS3_N6thrust23THRUST_200600_302600_NS6detail15normal_iteratorINS8_10device_ptrIiEEEESD_jNS1_19radix_merge_compareILb0ELb0EiNS0_19identity_decomposerEEEEE10hipError_tT0_T1_T2_jT3_P12ihipStream_tbPNSt15iterator_traitsISI_E10value_typeEPNSO_ISJ_E10value_typeEPSK_NS1_7vsmem_tEENKUlT_SI_SJ_SK_E_clISD_PiSD_S10_EESH_SX_SI_SJ_SK_EUlSX_E1_NS1_11comp_targetILNS1_3genE5ELNS1_11target_archE942ELNS1_3gpuE9ELNS1_3repE0EEENS1_36merge_oddeven_config_static_selectorELNS0_4arch9wavefront6targetE1EEEvSJ_.uses_vcc, 0
	.set _ZN7rocprim17ROCPRIM_400000_NS6detail17trampoline_kernelINS0_14default_configENS1_38merge_sort_block_merge_config_selectorIiiEEZZNS1_27merge_sort_block_merge_implIS3_N6thrust23THRUST_200600_302600_NS6detail15normal_iteratorINS8_10device_ptrIiEEEESD_jNS1_19radix_merge_compareILb0ELb0EiNS0_19identity_decomposerEEEEE10hipError_tT0_T1_T2_jT3_P12ihipStream_tbPNSt15iterator_traitsISI_E10value_typeEPNSO_ISJ_E10value_typeEPSK_NS1_7vsmem_tEENKUlT_SI_SJ_SK_E_clISD_PiSD_S10_EESH_SX_SI_SJ_SK_EUlSX_E1_NS1_11comp_targetILNS1_3genE5ELNS1_11target_archE942ELNS1_3gpuE9ELNS1_3repE0EEENS1_36merge_oddeven_config_static_selectorELNS0_4arch9wavefront6targetE1EEEvSJ_.uses_flat_scratch, 0
	.set _ZN7rocprim17ROCPRIM_400000_NS6detail17trampoline_kernelINS0_14default_configENS1_38merge_sort_block_merge_config_selectorIiiEEZZNS1_27merge_sort_block_merge_implIS3_N6thrust23THRUST_200600_302600_NS6detail15normal_iteratorINS8_10device_ptrIiEEEESD_jNS1_19radix_merge_compareILb0ELb0EiNS0_19identity_decomposerEEEEE10hipError_tT0_T1_T2_jT3_P12ihipStream_tbPNSt15iterator_traitsISI_E10value_typeEPNSO_ISJ_E10value_typeEPSK_NS1_7vsmem_tEENKUlT_SI_SJ_SK_E_clISD_PiSD_S10_EESH_SX_SI_SJ_SK_EUlSX_E1_NS1_11comp_targetILNS1_3genE5ELNS1_11target_archE942ELNS1_3gpuE9ELNS1_3repE0EEENS1_36merge_oddeven_config_static_selectorELNS0_4arch9wavefront6targetE1EEEvSJ_.has_dyn_sized_stack, 0
	.set _ZN7rocprim17ROCPRIM_400000_NS6detail17trampoline_kernelINS0_14default_configENS1_38merge_sort_block_merge_config_selectorIiiEEZZNS1_27merge_sort_block_merge_implIS3_N6thrust23THRUST_200600_302600_NS6detail15normal_iteratorINS8_10device_ptrIiEEEESD_jNS1_19radix_merge_compareILb0ELb0EiNS0_19identity_decomposerEEEEE10hipError_tT0_T1_T2_jT3_P12ihipStream_tbPNSt15iterator_traitsISI_E10value_typeEPNSO_ISJ_E10value_typeEPSK_NS1_7vsmem_tEENKUlT_SI_SJ_SK_E_clISD_PiSD_S10_EESH_SX_SI_SJ_SK_EUlSX_E1_NS1_11comp_targetILNS1_3genE5ELNS1_11target_archE942ELNS1_3gpuE9ELNS1_3repE0EEENS1_36merge_oddeven_config_static_selectorELNS0_4arch9wavefront6targetE1EEEvSJ_.has_recursion, 0
	.set _ZN7rocprim17ROCPRIM_400000_NS6detail17trampoline_kernelINS0_14default_configENS1_38merge_sort_block_merge_config_selectorIiiEEZZNS1_27merge_sort_block_merge_implIS3_N6thrust23THRUST_200600_302600_NS6detail15normal_iteratorINS8_10device_ptrIiEEEESD_jNS1_19radix_merge_compareILb0ELb0EiNS0_19identity_decomposerEEEEE10hipError_tT0_T1_T2_jT3_P12ihipStream_tbPNSt15iterator_traitsISI_E10value_typeEPNSO_ISJ_E10value_typeEPSK_NS1_7vsmem_tEENKUlT_SI_SJ_SK_E_clISD_PiSD_S10_EESH_SX_SI_SJ_SK_EUlSX_E1_NS1_11comp_targetILNS1_3genE5ELNS1_11target_archE942ELNS1_3gpuE9ELNS1_3repE0EEENS1_36merge_oddeven_config_static_selectorELNS0_4arch9wavefront6targetE1EEEvSJ_.has_indirect_call, 0
	.section	.AMDGPU.csdata,"",@progbits
; Kernel info:
; codeLenInByte = 0
; TotalNumSgprs: 6
; NumVgprs: 0
; NumAgprs: 0
; TotalNumVgprs: 0
; ScratchSize: 0
; MemoryBound: 0
; FloatMode: 240
; IeeeMode: 1
; LDSByteSize: 0 bytes/workgroup (compile time only)
; SGPRBlocks: 0
; VGPRBlocks: 0
; NumSGPRsForWavesPerEU: 6
; NumVGPRsForWavesPerEU: 1
; AccumOffset: 4
; Occupancy: 8
; WaveLimiterHint : 0
; COMPUTE_PGM_RSRC2:SCRATCH_EN: 0
; COMPUTE_PGM_RSRC2:USER_SGPR: 2
; COMPUTE_PGM_RSRC2:TRAP_HANDLER: 0
; COMPUTE_PGM_RSRC2:TGID_X_EN: 1
; COMPUTE_PGM_RSRC2:TGID_Y_EN: 0
; COMPUTE_PGM_RSRC2:TGID_Z_EN: 0
; COMPUTE_PGM_RSRC2:TIDIG_COMP_CNT: 0
; COMPUTE_PGM_RSRC3_GFX90A:ACCUM_OFFSET: 0
; COMPUTE_PGM_RSRC3_GFX90A:TG_SPLIT: 0
	.section	.text._ZN7rocprim17ROCPRIM_400000_NS6detail17trampoline_kernelINS0_14default_configENS1_38merge_sort_block_merge_config_selectorIiiEEZZNS1_27merge_sort_block_merge_implIS3_N6thrust23THRUST_200600_302600_NS6detail15normal_iteratorINS8_10device_ptrIiEEEESD_jNS1_19radix_merge_compareILb0ELb0EiNS0_19identity_decomposerEEEEE10hipError_tT0_T1_T2_jT3_P12ihipStream_tbPNSt15iterator_traitsISI_E10value_typeEPNSO_ISJ_E10value_typeEPSK_NS1_7vsmem_tEENKUlT_SI_SJ_SK_E_clISD_PiSD_S10_EESH_SX_SI_SJ_SK_EUlSX_E1_NS1_11comp_targetILNS1_3genE4ELNS1_11target_archE910ELNS1_3gpuE8ELNS1_3repE0EEENS1_36merge_oddeven_config_static_selectorELNS0_4arch9wavefront6targetE1EEEvSJ_,"axG",@progbits,_ZN7rocprim17ROCPRIM_400000_NS6detail17trampoline_kernelINS0_14default_configENS1_38merge_sort_block_merge_config_selectorIiiEEZZNS1_27merge_sort_block_merge_implIS3_N6thrust23THRUST_200600_302600_NS6detail15normal_iteratorINS8_10device_ptrIiEEEESD_jNS1_19radix_merge_compareILb0ELb0EiNS0_19identity_decomposerEEEEE10hipError_tT0_T1_T2_jT3_P12ihipStream_tbPNSt15iterator_traitsISI_E10value_typeEPNSO_ISJ_E10value_typeEPSK_NS1_7vsmem_tEENKUlT_SI_SJ_SK_E_clISD_PiSD_S10_EESH_SX_SI_SJ_SK_EUlSX_E1_NS1_11comp_targetILNS1_3genE4ELNS1_11target_archE910ELNS1_3gpuE8ELNS1_3repE0EEENS1_36merge_oddeven_config_static_selectorELNS0_4arch9wavefront6targetE1EEEvSJ_,comdat
	.protected	_ZN7rocprim17ROCPRIM_400000_NS6detail17trampoline_kernelINS0_14default_configENS1_38merge_sort_block_merge_config_selectorIiiEEZZNS1_27merge_sort_block_merge_implIS3_N6thrust23THRUST_200600_302600_NS6detail15normal_iteratorINS8_10device_ptrIiEEEESD_jNS1_19radix_merge_compareILb0ELb0EiNS0_19identity_decomposerEEEEE10hipError_tT0_T1_T2_jT3_P12ihipStream_tbPNSt15iterator_traitsISI_E10value_typeEPNSO_ISJ_E10value_typeEPSK_NS1_7vsmem_tEENKUlT_SI_SJ_SK_E_clISD_PiSD_S10_EESH_SX_SI_SJ_SK_EUlSX_E1_NS1_11comp_targetILNS1_3genE4ELNS1_11target_archE910ELNS1_3gpuE8ELNS1_3repE0EEENS1_36merge_oddeven_config_static_selectorELNS0_4arch9wavefront6targetE1EEEvSJ_ ; -- Begin function _ZN7rocprim17ROCPRIM_400000_NS6detail17trampoline_kernelINS0_14default_configENS1_38merge_sort_block_merge_config_selectorIiiEEZZNS1_27merge_sort_block_merge_implIS3_N6thrust23THRUST_200600_302600_NS6detail15normal_iteratorINS8_10device_ptrIiEEEESD_jNS1_19radix_merge_compareILb0ELb0EiNS0_19identity_decomposerEEEEE10hipError_tT0_T1_T2_jT3_P12ihipStream_tbPNSt15iterator_traitsISI_E10value_typeEPNSO_ISJ_E10value_typeEPSK_NS1_7vsmem_tEENKUlT_SI_SJ_SK_E_clISD_PiSD_S10_EESH_SX_SI_SJ_SK_EUlSX_E1_NS1_11comp_targetILNS1_3genE4ELNS1_11target_archE910ELNS1_3gpuE8ELNS1_3repE0EEENS1_36merge_oddeven_config_static_selectorELNS0_4arch9wavefront6targetE1EEEvSJ_
	.globl	_ZN7rocprim17ROCPRIM_400000_NS6detail17trampoline_kernelINS0_14default_configENS1_38merge_sort_block_merge_config_selectorIiiEEZZNS1_27merge_sort_block_merge_implIS3_N6thrust23THRUST_200600_302600_NS6detail15normal_iteratorINS8_10device_ptrIiEEEESD_jNS1_19radix_merge_compareILb0ELb0EiNS0_19identity_decomposerEEEEE10hipError_tT0_T1_T2_jT3_P12ihipStream_tbPNSt15iterator_traitsISI_E10value_typeEPNSO_ISJ_E10value_typeEPSK_NS1_7vsmem_tEENKUlT_SI_SJ_SK_E_clISD_PiSD_S10_EESH_SX_SI_SJ_SK_EUlSX_E1_NS1_11comp_targetILNS1_3genE4ELNS1_11target_archE910ELNS1_3gpuE8ELNS1_3repE0EEENS1_36merge_oddeven_config_static_selectorELNS0_4arch9wavefront6targetE1EEEvSJ_
	.p2align	8
	.type	_ZN7rocprim17ROCPRIM_400000_NS6detail17trampoline_kernelINS0_14default_configENS1_38merge_sort_block_merge_config_selectorIiiEEZZNS1_27merge_sort_block_merge_implIS3_N6thrust23THRUST_200600_302600_NS6detail15normal_iteratorINS8_10device_ptrIiEEEESD_jNS1_19radix_merge_compareILb0ELb0EiNS0_19identity_decomposerEEEEE10hipError_tT0_T1_T2_jT3_P12ihipStream_tbPNSt15iterator_traitsISI_E10value_typeEPNSO_ISJ_E10value_typeEPSK_NS1_7vsmem_tEENKUlT_SI_SJ_SK_E_clISD_PiSD_S10_EESH_SX_SI_SJ_SK_EUlSX_E1_NS1_11comp_targetILNS1_3genE4ELNS1_11target_archE910ELNS1_3gpuE8ELNS1_3repE0EEENS1_36merge_oddeven_config_static_selectorELNS0_4arch9wavefront6targetE1EEEvSJ_,@function
_ZN7rocprim17ROCPRIM_400000_NS6detail17trampoline_kernelINS0_14default_configENS1_38merge_sort_block_merge_config_selectorIiiEEZZNS1_27merge_sort_block_merge_implIS3_N6thrust23THRUST_200600_302600_NS6detail15normal_iteratorINS8_10device_ptrIiEEEESD_jNS1_19radix_merge_compareILb0ELb0EiNS0_19identity_decomposerEEEEE10hipError_tT0_T1_T2_jT3_P12ihipStream_tbPNSt15iterator_traitsISI_E10value_typeEPNSO_ISJ_E10value_typeEPSK_NS1_7vsmem_tEENKUlT_SI_SJ_SK_E_clISD_PiSD_S10_EESH_SX_SI_SJ_SK_EUlSX_E1_NS1_11comp_targetILNS1_3genE4ELNS1_11target_archE910ELNS1_3gpuE8ELNS1_3repE0EEENS1_36merge_oddeven_config_static_selectorELNS0_4arch9wavefront6targetE1EEEvSJ_: ; @_ZN7rocprim17ROCPRIM_400000_NS6detail17trampoline_kernelINS0_14default_configENS1_38merge_sort_block_merge_config_selectorIiiEEZZNS1_27merge_sort_block_merge_implIS3_N6thrust23THRUST_200600_302600_NS6detail15normal_iteratorINS8_10device_ptrIiEEEESD_jNS1_19radix_merge_compareILb0ELb0EiNS0_19identity_decomposerEEEEE10hipError_tT0_T1_T2_jT3_P12ihipStream_tbPNSt15iterator_traitsISI_E10value_typeEPNSO_ISJ_E10value_typeEPSK_NS1_7vsmem_tEENKUlT_SI_SJ_SK_E_clISD_PiSD_S10_EESH_SX_SI_SJ_SK_EUlSX_E1_NS1_11comp_targetILNS1_3genE4ELNS1_11target_archE910ELNS1_3gpuE8ELNS1_3repE0EEENS1_36merge_oddeven_config_static_selectorELNS0_4arch9wavefront6targetE1EEEvSJ_
; %bb.0:
	.section	.rodata,"a",@progbits
	.p2align	6, 0x0
	.amdhsa_kernel _ZN7rocprim17ROCPRIM_400000_NS6detail17trampoline_kernelINS0_14default_configENS1_38merge_sort_block_merge_config_selectorIiiEEZZNS1_27merge_sort_block_merge_implIS3_N6thrust23THRUST_200600_302600_NS6detail15normal_iteratorINS8_10device_ptrIiEEEESD_jNS1_19radix_merge_compareILb0ELb0EiNS0_19identity_decomposerEEEEE10hipError_tT0_T1_T2_jT3_P12ihipStream_tbPNSt15iterator_traitsISI_E10value_typeEPNSO_ISJ_E10value_typeEPSK_NS1_7vsmem_tEENKUlT_SI_SJ_SK_E_clISD_PiSD_S10_EESH_SX_SI_SJ_SK_EUlSX_E1_NS1_11comp_targetILNS1_3genE4ELNS1_11target_archE910ELNS1_3gpuE8ELNS1_3repE0EEENS1_36merge_oddeven_config_static_selectorELNS0_4arch9wavefront6targetE1EEEvSJ_
		.amdhsa_group_segment_fixed_size 0
		.amdhsa_private_segment_fixed_size 0
		.amdhsa_kernarg_size 48
		.amdhsa_user_sgpr_count 2
		.amdhsa_user_sgpr_dispatch_ptr 0
		.amdhsa_user_sgpr_queue_ptr 0
		.amdhsa_user_sgpr_kernarg_segment_ptr 1
		.amdhsa_user_sgpr_dispatch_id 0
		.amdhsa_user_sgpr_kernarg_preload_length 0
		.amdhsa_user_sgpr_kernarg_preload_offset 0
		.amdhsa_user_sgpr_private_segment_size 0
		.amdhsa_uses_dynamic_stack 0
		.amdhsa_enable_private_segment 0
		.amdhsa_system_sgpr_workgroup_id_x 1
		.amdhsa_system_sgpr_workgroup_id_y 0
		.amdhsa_system_sgpr_workgroup_id_z 0
		.amdhsa_system_sgpr_workgroup_info 0
		.amdhsa_system_vgpr_workitem_id 0
		.amdhsa_next_free_vgpr 1
		.amdhsa_next_free_sgpr 0
		.amdhsa_accum_offset 4
		.amdhsa_reserve_vcc 0
		.amdhsa_float_round_mode_32 0
		.amdhsa_float_round_mode_16_64 0
		.amdhsa_float_denorm_mode_32 3
		.amdhsa_float_denorm_mode_16_64 3
		.amdhsa_dx10_clamp 1
		.amdhsa_ieee_mode 1
		.amdhsa_fp16_overflow 0
		.amdhsa_tg_split 0
		.amdhsa_exception_fp_ieee_invalid_op 0
		.amdhsa_exception_fp_denorm_src 0
		.amdhsa_exception_fp_ieee_div_zero 0
		.amdhsa_exception_fp_ieee_overflow 0
		.amdhsa_exception_fp_ieee_underflow 0
		.amdhsa_exception_fp_ieee_inexact 0
		.amdhsa_exception_int_div_zero 0
	.end_amdhsa_kernel
	.section	.text._ZN7rocprim17ROCPRIM_400000_NS6detail17trampoline_kernelINS0_14default_configENS1_38merge_sort_block_merge_config_selectorIiiEEZZNS1_27merge_sort_block_merge_implIS3_N6thrust23THRUST_200600_302600_NS6detail15normal_iteratorINS8_10device_ptrIiEEEESD_jNS1_19radix_merge_compareILb0ELb0EiNS0_19identity_decomposerEEEEE10hipError_tT0_T1_T2_jT3_P12ihipStream_tbPNSt15iterator_traitsISI_E10value_typeEPNSO_ISJ_E10value_typeEPSK_NS1_7vsmem_tEENKUlT_SI_SJ_SK_E_clISD_PiSD_S10_EESH_SX_SI_SJ_SK_EUlSX_E1_NS1_11comp_targetILNS1_3genE4ELNS1_11target_archE910ELNS1_3gpuE8ELNS1_3repE0EEENS1_36merge_oddeven_config_static_selectorELNS0_4arch9wavefront6targetE1EEEvSJ_,"axG",@progbits,_ZN7rocprim17ROCPRIM_400000_NS6detail17trampoline_kernelINS0_14default_configENS1_38merge_sort_block_merge_config_selectorIiiEEZZNS1_27merge_sort_block_merge_implIS3_N6thrust23THRUST_200600_302600_NS6detail15normal_iteratorINS8_10device_ptrIiEEEESD_jNS1_19radix_merge_compareILb0ELb0EiNS0_19identity_decomposerEEEEE10hipError_tT0_T1_T2_jT3_P12ihipStream_tbPNSt15iterator_traitsISI_E10value_typeEPNSO_ISJ_E10value_typeEPSK_NS1_7vsmem_tEENKUlT_SI_SJ_SK_E_clISD_PiSD_S10_EESH_SX_SI_SJ_SK_EUlSX_E1_NS1_11comp_targetILNS1_3genE4ELNS1_11target_archE910ELNS1_3gpuE8ELNS1_3repE0EEENS1_36merge_oddeven_config_static_selectorELNS0_4arch9wavefront6targetE1EEEvSJ_,comdat
.Lfunc_end751:
	.size	_ZN7rocprim17ROCPRIM_400000_NS6detail17trampoline_kernelINS0_14default_configENS1_38merge_sort_block_merge_config_selectorIiiEEZZNS1_27merge_sort_block_merge_implIS3_N6thrust23THRUST_200600_302600_NS6detail15normal_iteratorINS8_10device_ptrIiEEEESD_jNS1_19radix_merge_compareILb0ELb0EiNS0_19identity_decomposerEEEEE10hipError_tT0_T1_T2_jT3_P12ihipStream_tbPNSt15iterator_traitsISI_E10value_typeEPNSO_ISJ_E10value_typeEPSK_NS1_7vsmem_tEENKUlT_SI_SJ_SK_E_clISD_PiSD_S10_EESH_SX_SI_SJ_SK_EUlSX_E1_NS1_11comp_targetILNS1_3genE4ELNS1_11target_archE910ELNS1_3gpuE8ELNS1_3repE0EEENS1_36merge_oddeven_config_static_selectorELNS0_4arch9wavefront6targetE1EEEvSJ_, .Lfunc_end751-_ZN7rocprim17ROCPRIM_400000_NS6detail17trampoline_kernelINS0_14default_configENS1_38merge_sort_block_merge_config_selectorIiiEEZZNS1_27merge_sort_block_merge_implIS3_N6thrust23THRUST_200600_302600_NS6detail15normal_iteratorINS8_10device_ptrIiEEEESD_jNS1_19radix_merge_compareILb0ELb0EiNS0_19identity_decomposerEEEEE10hipError_tT0_T1_T2_jT3_P12ihipStream_tbPNSt15iterator_traitsISI_E10value_typeEPNSO_ISJ_E10value_typeEPSK_NS1_7vsmem_tEENKUlT_SI_SJ_SK_E_clISD_PiSD_S10_EESH_SX_SI_SJ_SK_EUlSX_E1_NS1_11comp_targetILNS1_3genE4ELNS1_11target_archE910ELNS1_3gpuE8ELNS1_3repE0EEENS1_36merge_oddeven_config_static_selectorELNS0_4arch9wavefront6targetE1EEEvSJ_
                                        ; -- End function
	.set _ZN7rocprim17ROCPRIM_400000_NS6detail17trampoline_kernelINS0_14default_configENS1_38merge_sort_block_merge_config_selectorIiiEEZZNS1_27merge_sort_block_merge_implIS3_N6thrust23THRUST_200600_302600_NS6detail15normal_iteratorINS8_10device_ptrIiEEEESD_jNS1_19radix_merge_compareILb0ELb0EiNS0_19identity_decomposerEEEEE10hipError_tT0_T1_T2_jT3_P12ihipStream_tbPNSt15iterator_traitsISI_E10value_typeEPNSO_ISJ_E10value_typeEPSK_NS1_7vsmem_tEENKUlT_SI_SJ_SK_E_clISD_PiSD_S10_EESH_SX_SI_SJ_SK_EUlSX_E1_NS1_11comp_targetILNS1_3genE4ELNS1_11target_archE910ELNS1_3gpuE8ELNS1_3repE0EEENS1_36merge_oddeven_config_static_selectorELNS0_4arch9wavefront6targetE1EEEvSJ_.num_vgpr, 0
	.set _ZN7rocprim17ROCPRIM_400000_NS6detail17trampoline_kernelINS0_14default_configENS1_38merge_sort_block_merge_config_selectorIiiEEZZNS1_27merge_sort_block_merge_implIS3_N6thrust23THRUST_200600_302600_NS6detail15normal_iteratorINS8_10device_ptrIiEEEESD_jNS1_19radix_merge_compareILb0ELb0EiNS0_19identity_decomposerEEEEE10hipError_tT0_T1_T2_jT3_P12ihipStream_tbPNSt15iterator_traitsISI_E10value_typeEPNSO_ISJ_E10value_typeEPSK_NS1_7vsmem_tEENKUlT_SI_SJ_SK_E_clISD_PiSD_S10_EESH_SX_SI_SJ_SK_EUlSX_E1_NS1_11comp_targetILNS1_3genE4ELNS1_11target_archE910ELNS1_3gpuE8ELNS1_3repE0EEENS1_36merge_oddeven_config_static_selectorELNS0_4arch9wavefront6targetE1EEEvSJ_.num_agpr, 0
	.set _ZN7rocprim17ROCPRIM_400000_NS6detail17trampoline_kernelINS0_14default_configENS1_38merge_sort_block_merge_config_selectorIiiEEZZNS1_27merge_sort_block_merge_implIS3_N6thrust23THRUST_200600_302600_NS6detail15normal_iteratorINS8_10device_ptrIiEEEESD_jNS1_19radix_merge_compareILb0ELb0EiNS0_19identity_decomposerEEEEE10hipError_tT0_T1_T2_jT3_P12ihipStream_tbPNSt15iterator_traitsISI_E10value_typeEPNSO_ISJ_E10value_typeEPSK_NS1_7vsmem_tEENKUlT_SI_SJ_SK_E_clISD_PiSD_S10_EESH_SX_SI_SJ_SK_EUlSX_E1_NS1_11comp_targetILNS1_3genE4ELNS1_11target_archE910ELNS1_3gpuE8ELNS1_3repE0EEENS1_36merge_oddeven_config_static_selectorELNS0_4arch9wavefront6targetE1EEEvSJ_.numbered_sgpr, 0
	.set _ZN7rocprim17ROCPRIM_400000_NS6detail17trampoline_kernelINS0_14default_configENS1_38merge_sort_block_merge_config_selectorIiiEEZZNS1_27merge_sort_block_merge_implIS3_N6thrust23THRUST_200600_302600_NS6detail15normal_iteratorINS8_10device_ptrIiEEEESD_jNS1_19radix_merge_compareILb0ELb0EiNS0_19identity_decomposerEEEEE10hipError_tT0_T1_T2_jT3_P12ihipStream_tbPNSt15iterator_traitsISI_E10value_typeEPNSO_ISJ_E10value_typeEPSK_NS1_7vsmem_tEENKUlT_SI_SJ_SK_E_clISD_PiSD_S10_EESH_SX_SI_SJ_SK_EUlSX_E1_NS1_11comp_targetILNS1_3genE4ELNS1_11target_archE910ELNS1_3gpuE8ELNS1_3repE0EEENS1_36merge_oddeven_config_static_selectorELNS0_4arch9wavefront6targetE1EEEvSJ_.num_named_barrier, 0
	.set _ZN7rocprim17ROCPRIM_400000_NS6detail17trampoline_kernelINS0_14default_configENS1_38merge_sort_block_merge_config_selectorIiiEEZZNS1_27merge_sort_block_merge_implIS3_N6thrust23THRUST_200600_302600_NS6detail15normal_iteratorINS8_10device_ptrIiEEEESD_jNS1_19radix_merge_compareILb0ELb0EiNS0_19identity_decomposerEEEEE10hipError_tT0_T1_T2_jT3_P12ihipStream_tbPNSt15iterator_traitsISI_E10value_typeEPNSO_ISJ_E10value_typeEPSK_NS1_7vsmem_tEENKUlT_SI_SJ_SK_E_clISD_PiSD_S10_EESH_SX_SI_SJ_SK_EUlSX_E1_NS1_11comp_targetILNS1_3genE4ELNS1_11target_archE910ELNS1_3gpuE8ELNS1_3repE0EEENS1_36merge_oddeven_config_static_selectorELNS0_4arch9wavefront6targetE1EEEvSJ_.private_seg_size, 0
	.set _ZN7rocprim17ROCPRIM_400000_NS6detail17trampoline_kernelINS0_14default_configENS1_38merge_sort_block_merge_config_selectorIiiEEZZNS1_27merge_sort_block_merge_implIS3_N6thrust23THRUST_200600_302600_NS6detail15normal_iteratorINS8_10device_ptrIiEEEESD_jNS1_19radix_merge_compareILb0ELb0EiNS0_19identity_decomposerEEEEE10hipError_tT0_T1_T2_jT3_P12ihipStream_tbPNSt15iterator_traitsISI_E10value_typeEPNSO_ISJ_E10value_typeEPSK_NS1_7vsmem_tEENKUlT_SI_SJ_SK_E_clISD_PiSD_S10_EESH_SX_SI_SJ_SK_EUlSX_E1_NS1_11comp_targetILNS1_3genE4ELNS1_11target_archE910ELNS1_3gpuE8ELNS1_3repE0EEENS1_36merge_oddeven_config_static_selectorELNS0_4arch9wavefront6targetE1EEEvSJ_.uses_vcc, 0
	.set _ZN7rocprim17ROCPRIM_400000_NS6detail17trampoline_kernelINS0_14default_configENS1_38merge_sort_block_merge_config_selectorIiiEEZZNS1_27merge_sort_block_merge_implIS3_N6thrust23THRUST_200600_302600_NS6detail15normal_iteratorINS8_10device_ptrIiEEEESD_jNS1_19radix_merge_compareILb0ELb0EiNS0_19identity_decomposerEEEEE10hipError_tT0_T1_T2_jT3_P12ihipStream_tbPNSt15iterator_traitsISI_E10value_typeEPNSO_ISJ_E10value_typeEPSK_NS1_7vsmem_tEENKUlT_SI_SJ_SK_E_clISD_PiSD_S10_EESH_SX_SI_SJ_SK_EUlSX_E1_NS1_11comp_targetILNS1_3genE4ELNS1_11target_archE910ELNS1_3gpuE8ELNS1_3repE0EEENS1_36merge_oddeven_config_static_selectorELNS0_4arch9wavefront6targetE1EEEvSJ_.uses_flat_scratch, 0
	.set _ZN7rocprim17ROCPRIM_400000_NS6detail17trampoline_kernelINS0_14default_configENS1_38merge_sort_block_merge_config_selectorIiiEEZZNS1_27merge_sort_block_merge_implIS3_N6thrust23THRUST_200600_302600_NS6detail15normal_iteratorINS8_10device_ptrIiEEEESD_jNS1_19radix_merge_compareILb0ELb0EiNS0_19identity_decomposerEEEEE10hipError_tT0_T1_T2_jT3_P12ihipStream_tbPNSt15iterator_traitsISI_E10value_typeEPNSO_ISJ_E10value_typeEPSK_NS1_7vsmem_tEENKUlT_SI_SJ_SK_E_clISD_PiSD_S10_EESH_SX_SI_SJ_SK_EUlSX_E1_NS1_11comp_targetILNS1_3genE4ELNS1_11target_archE910ELNS1_3gpuE8ELNS1_3repE0EEENS1_36merge_oddeven_config_static_selectorELNS0_4arch9wavefront6targetE1EEEvSJ_.has_dyn_sized_stack, 0
	.set _ZN7rocprim17ROCPRIM_400000_NS6detail17trampoline_kernelINS0_14default_configENS1_38merge_sort_block_merge_config_selectorIiiEEZZNS1_27merge_sort_block_merge_implIS3_N6thrust23THRUST_200600_302600_NS6detail15normal_iteratorINS8_10device_ptrIiEEEESD_jNS1_19radix_merge_compareILb0ELb0EiNS0_19identity_decomposerEEEEE10hipError_tT0_T1_T2_jT3_P12ihipStream_tbPNSt15iterator_traitsISI_E10value_typeEPNSO_ISJ_E10value_typeEPSK_NS1_7vsmem_tEENKUlT_SI_SJ_SK_E_clISD_PiSD_S10_EESH_SX_SI_SJ_SK_EUlSX_E1_NS1_11comp_targetILNS1_3genE4ELNS1_11target_archE910ELNS1_3gpuE8ELNS1_3repE0EEENS1_36merge_oddeven_config_static_selectorELNS0_4arch9wavefront6targetE1EEEvSJ_.has_recursion, 0
	.set _ZN7rocprim17ROCPRIM_400000_NS6detail17trampoline_kernelINS0_14default_configENS1_38merge_sort_block_merge_config_selectorIiiEEZZNS1_27merge_sort_block_merge_implIS3_N6thrust23THRUST_200600_302600_NS6detail15normal_iteratorINS8_10device_ptrIiEEEESD_jNS1_19radix_merge_compareILb0ELb0EiNS0_19identity_decomposerEEEEE10hipError_tT0_T1_T2_jT3_P12ihipStream_tbPNSt15iterator_traitsISI_E10value_typeEPNSO_ISJ_E10value_typeEPSK_NS1_7vsmem_tEENKUlT_SI_SJ_SK_E_clISD_PiSD_S10_EESH_SX_SI_SJ_SK_EUlSX_E1_NS1_11comp_targetILNS1_3genE4ELNS1_11target_archE910ELNS1_3gpuE8ELNS1_3repE0EEENS1_36merge_oddeven_config_static_selectorELNS0_4arch9wavefront6targetE1EEEvSJ_.has_indirect_call, 0
	.section	.AMDGPU.csdata,"",@progbits
; Kernel info:
; codeLenInByte = 0
; TotalNumSgprs: 6
; NumVgprs: 0
; NumAgprs: 0
; TotalNumVgprs: 0
; ScratchSize: 0
; MemoryBound: 0
; FloatMode: 240
; IeeeMode: 1
; LDSByteSize: 0 bytes/workgroup (compile time only)
; SGPRBlocks: 0
; VGPRBlocks: 0
; NumSGPRsForWavesPerEU: 6
; NumVGPRsForWavesPerEU: 1
; AccumOffset: 4
; Occupancy: 8
; WaveLimiterHint : 0
; COMPUTE_PGM_RSRC2:SCRATCH_EN: 0
; COMPUTE_PGM_RSRC2:USER_SGPR: 2
; COMPUTE_PGM_RSRC2:TRAP_HANDLER: 0
; COMPUTE_PGM_RSRC2:TGID_X_EN: 1
; COMPUTE_PGM_RSRC2:TGID_Y_EN: 0
; COMPUTE_PGM_RSRC2:TGID_Z_EN: 0
; COMPUTE_PGM_RSRC2:TIDIG_COMP_CNT: 0
; COMPUTE_PGM_RSRC3_GFX90A:ACCUM_OFFSET: 0
; COMPUTE_PGM_RSRC3_GFX90A:TG_SPLIT: 0
	.section	.text._ZN7rocprim17ROCPRIM_400000_NS6detail17trampoline_kernelINS0_14default_configENS1_38merge_sort_block_merge_config_selectorIiiEEZZNS1_27merge_sort_block_merge_implIS3_N6thrust23THRUST_200600_302600_NS6detail15normal_iteratorINS8_10device_ptrIiEEEESD_jNS1_19radix_merge_compareILb0ELb0EiNS0_19identity_decomposerEEEEE10hipError_tT0_T1_T2_jT3_P12ihipStream_tbPNSt15iterator_traitsISI_E10value_typeEPNSO_ISJ_E10value_typeEPSK_NS1_7vsmem_tEENKUlT_SI_SJ_SK_E_clISD_PiSD_S10_EESH_SX_SI_SJ_SK_EUlSX_E1_NS1_11comp_targetILNS1_3genE3ELNS1_11target_archE908ELNS1_3gpuE7ELNS1_3repE0EEENS1_36merge_oddeven_config_static_selectorELNS0_4arch9wavefront6targetE1EEEvSJ_,"axG",@progbits,_ZN7rocprim17ROCPRIM_400000_NS6detail17trampoline_kernelINS0_14default_configENS1_38merge_sort_block_merge_config_selectorIiiEEZZNS1_27merge_sort_block_merge_implIS3_N6thrust23THRUST_200600_302600_NS6detail15normal_iteratorINS8_10device_ptrIiEEEESD_jNS1_19radix_merge_compareILb0ELb0EiNS0_19identity_decomposerEEEEE10hipError_tT0_T1_T2_jT3_P12ihipStream_tbPNSt15iterator_traitsISI_E10value_typeEPNSO_ISJ_E10value_typeEPSK_NS1_7vsmem_tEENKUlT_SI_SJ_SK_E_clISD_PiSD_S10_EESH_SX_SI_SJ_SK_EUlSX_E1_NS1_11comp_targetILNS1_3genE3ELNS1_11target_archE908ELNS1_3gpuE7ELNS1_3repE0EEENS1_36merge_oddeven_config_static_selectorELNS0_4arch9wavefront6targetE1EEEvSJ_,comdat
	.protected	_ZN7rocprim17ROCPRIM_400000_NS6detail17trampoline_kernelINS0_14default_configENS1_38merge_sort_block_merge_config_selectorIiiEEZZNS1_27merge_sort_block_merge_implIS3_N6thrust23THRUST_200600_302600_NS6detail15normal_iteratorINS8_10device_ptrIiEEEESD_jNS1_19radix_merge_compareILb0ELb0EiNS0_19identity_decomposerEEEEE10hipError_tT0_T1_T2_jT3_P12ihipStream_tbPNSt15iterator_traitsISI_E10value_typeEPNSO_ISJ_E10value_typeEPSK_NS1_7vsmem_tEENKUlT_SI_SJ_SK_E_clISD_PiSD_S10_EESH_SX_SI_SJ_SK_EUlSX_E1_NS1_11comp_targetILNS1_3genE3ELNS1_11target_archE908ELNS1_3gpuE7ELNS1_3repE0EEENS1_36merge_oddeven_config_static_selectorELNS0_4arch9wavefront6targetE1EEEvSJ_ ; -- Begin function _ZN7rocprim17ROCPRIM_400000_NS6detail17trampoline_kernelINS0_14default_configENS1_38merge_sort_block_merge_config_selectorIiiEEZZNS1_27merge_sort_block_merge_implIS3_N6thrust23THRUST_200600_302600_NS6detail15normal_iteratorINS8_10device_ptrIiEEEESD_jNS1_19radix_merge_compareILb0ELb0EiNS0_19identity_decomposerEEEEE10hipError_tT0_T1_T2_jT3_P12ihipStream_tbPNSt15iterator_traitsISI_E10value_typeEPNSO_ISJ_E10value_typeEPSK_NS1_7vsmem_tEENKUlT_SI_SJ_SK_E_clISD_PiSD_S10_EESH_SX_SI_SJ_SK_EUlSX_E1_NS1_11comp_targetILNS1_3genE3ELNS1_11target_archE908ELNS1_3gpuE7ELNS1_3repE0EEENS1_36merge_oddeven_config_static_selectorELNS0_4arch9wavefront6targetE1EEEvSJ_
	.globl	_ZN7rocprim17ROCPRIM_400000_NS6detail17trampoline_kernelINS0_14default_configENS1_38merge_sort_block_merge_config_selectorIiiEEZZNS1_27merge_sort_block_merge_implIS3_N6thrust23THRUST_200600_302600_NS6detail15normal_iteratorINS8_10device_ptrIiEEEESD_jNS1_19radix_merge_compareILb0ELb0EiNS0_19identity_decomposerEEEEE10hipError_tT0_T1_T2_jT3_P12ihipStream_tbPNSt15iterator_traitsISI_E10value_typeEPNSO_ISJ_E10value_typeEPSK_NS1_7vsmem_tEENKUlT_SI_SJ_SK_E_clISD_PiSD_S10_EESH_SX_SI_SJ_SK_EUlSX_E1_NS1_11comp_targetILNS1_3genE3ELNS1_11target_archE908ELNS1_3gpuE7ELNS1_3repE0EEENS1_36merge_oddeven_config_static_selectorELNS0_4arch9wavefront6targetE1EEEvSJ_
	.p2align	8
	.type	_ZN7rocprim17ROCPRIM_400000_NS6detail17trampoline_kernelINS0_14default_configENS1_38merge_sort_block_merge_config_selectorIiiEEZZNS1_27merge_sort_block_merge_implIS3_N6thrust23THRUST_200600_302600_NS6detail15normal_iteratorINS8_10device_ptrIiEEEESD_jNS1_19radix_merge_compareILb0ELb0EiNS0_19identity_decomposerEEEEE10hipError_tT0_T1_T2_jT3_P12ihipStream_tbPNSt15iterator_traitsISI_E10value_typeEPNSO_ISJ_E10value_typeEPSK_NS1_7vsmem_tEENKUlT_SI_SJ_SK_E_clISD_PiSD_S10_EESH_SX_SI_SJ_SK_EUlSX_E1_NS1_11comp_targetILNS1_3genE3ELNS1_11target_archE908ELNS1_3gpuE7ELNS1_3repE0EEENS1_36merge_oddeven_config_static_selectorELNS0_4arch9wavefront6targetE1EEEvSJ_,@function
_ZN7rocprim17ROCPRIM_400000_NS6detail17trampoline_kernelINS0_14default_configENS1_38merge_sort_block_merge_config_selectorIiiEEZZNS1_27merge_sort_block_merge_implIS3_N6thrust23THRUST_200600_302600_NS6detail15normal_iteratorINS8_10device_ptrIiEEEESD_jNS1_19radix_merge_compareILb0ELb0EiNS0_19identity_decomposerEEEEE10hipError_tT0_T1_T2_jT3_P12ihipStream_tbPNSt15iterator_traitsISI_E10value_typeEPNSO_ISJ_E10value_typeEPSK_NS1_7vsmem_tEENKUlT_SI_SJ_SK_E_clISD_PiSD_S10_EESH_SX_SI_SJ_SK_EUlSX_E1_NS1_11comp_targetILNS1_3genE3ELNS1_11target_archE908ELNS1_3gpuE7ELNS1_3repE0EEENS1_36merge_oddeven_config_static_selectorELNS0_4arch9wavefront6targetE1EEEvSJ_: ; @_ZN7rocprim17ROCPRIM_400000_NS6detail17trampoline_kernelINS0_14default_configENS1_38merge_sort_block_merge_config_selectorIiiEEZZNS1_27merge_sort_block_merge_implIS3_N6thrust23THRUST_200600_302600_NS6detail15normal_iteratorINS8_10device_ptrIiEEEESD_jNS1_19radix_merge_compareILb0ELb0EiNS0_19identity_decomposerEEEEE10hipError_tT0_T1_T2_jT3_P12ihipStream_tbPNSt15iterator_traitsISI_E10value_typeEPNSO_ISJ_E10value_typeEPSK_NS1_7vsmem_tEENKUlT_SI_SJ_SK_E_clISD_PiSD_S10_EESH_SX_SI_SJ_SK_EUlSX_E1_NS1_11comp_targetILNS1_3genE3ELNS1_11target_archE908ELNS1_3gpuE7ELNS1_3repE0EEENS1_36merge_oddeven_config_static_selectorELNS0_4arch9wavefront6targetE1EEEvSJ_
; %bb.0:
	.section	.rodata,"a",@progbits
	.p2align	6, 0x0
	.amdhsa_kernel _ZN7rocprim17ROCPRIM_400000_NS6detail17trampoline_kernelINS0_14default_configENS1_38merge_sort_block_merge_config_selectorIiiEEZZNS1_27merge_sort_block_merge_implIS3_N6thrust23THRUST_200600_302600_NS6detail15normal_iteratorINS8_10device_ptrIiEEEESD_jNS1_19radix_merge_compareILb0ELb0EiNS0_19identity_decomposerEEEEE10hipError_tT0_T1_T2_jT3_P12ihipStream_tbPNSt15iterator_traitsISI_E10value_typeEPNSO_ISJ_E10value_typeEPSK_NS1_7vsmem_tEENKUlT_SI_SJ_SK_E_clISD_PiSD_S10_EESH_SX_SI_SJ_SK_EUlSX_E1_NS1_11comp_targetILNS1_3genE3ELNS1_11target_archE908ELNS1_3gpuE7ELNS1_3repE0EEENS1_36merge_oddeven_config_static_selectorELNS0_4arch9wavefront6targetE1EEEvSJ_
		.amdhsa_group_segment_fixed_size 0
		.amdhsa_private_segment_fixed_size 0
		.amdhsa_kernarg_size 48
		.amdhsa_user_sgpr_count 2
		.amdhsa_user_sgpr_dispatch_ptr 0
		.amdhsa_user_sgpr_queue_ptr 0
		.amdhsa_user_sgpr_kernarg_segment_ptr 1
		.amdhsa_user_sgpr_dispatch_id 0
		.amdhsa_user_sgpr_kernarg_preload_length 0
		.amdhsa_user_sgpr_kernarg_preload_offset 0
		.amdhsa_user_sgpr_private_segment_size 0
		.amdhsa_uses_dynamic_stack 0
		.amdhsa_enable_private_segment 0
		.amdhsa_system_sgpr_workgroup_id_x 1
		.amdhsa_system_sgpr_workgroup_id_y 0
		.amdhsa_system_sgpr_workgroup_id_z 0
		.amdhsa_system_sgpr_workgroup_info 0
		.amdhsa_system_vgpr_workitem_id 0
		.amdhsa_next_free_vgpr 1
		.amdhsa_next_free_sgpr 0
		.amdhsa_accum_offset 4
		.amdhsa_reserve_vcc 0
		.amdhsa_float_round_mode_32 0
		.amdhsa_float_round_mode_16_64 0
		.amdhsa_float_denorm_mode_32 3
		.amdhsa_float_denorm_mode_16_64 3
		.amdhsa_dx10_clamp 1
		.amdhsa_ieee_mode 1
		.amdhsa_fp16_overflow 0
		.amdhsa_tg_split 0
		.amdhsa_exception_fp_ieee_invalid_op 0
		.amdhsa_exception_fp_denorm_src 0
		.amdhsa_exception_fp_ieee_div_zero 0
		.amdhsa_exception_fp_ieee_overflow 0
		.amdhsa_exception_fp_ieee_underflow 0
		.amdhsa_exception_fp_ieee_inexact 0
		.amdhsa_exception_int_div_zero 0
	.end_amdhsa_kernel
	.section	.text._ZN7rocprim17ROCPRIM_400000_NS6detail17trampoline_kernelINS0_14default_configENS1_38merge_sort_block_merge_config_selectorIiiEEZZNS1_27merge_sort_block_merge_implIS3_N6thrust23THRUST_200600_302600_NS6detail15normal_iteratorINS8_10device_ptrIiEEEESD_jNS1_19radix_merge_compareILb0ELb0EiNS0_19identity_decomposerEEEEE10hipError_tT0_T1_T2_jT3_P12ihipStream_tbPNSt15iterator_traitsISI_E10value_typeEPNSO_ISJ_E10value_typeEPSK_NS1_7vsmem_tEENKUlT_SI_SJ_SK_E_clISD_PiSD_S10_EESH_SX_SI_SJ_SK_EUlSX_E1_NS1_11comp_targetILNS1_3genE3ELNS1_11target_archE908ELNS1_3gpuE7ELNS1_3repE0EEENS1_36merge_oddeven_config_static_selectorELNS0_4arch9wavefront6targetE1EEEvSJ_,"axG",@progbits,_ZN7rocprim17ROCPRIM_400000_NS6detail17trampoline_kernelINS0_14default_configENS1_38merge_sort_block_merge_config_selectorIiiEEZZNS1_27merge_sort_block_merge_implIS3_N6thrust23THRUST_200600_302600_NS6detail15normal_iteratorINS8_10device_ptrIiEEEESD_jNS1_19radix_merge_compareILb0ELb0EiNS0_19identity_decomposerEEEEE10hipError_tT0_T1_T2_jT3_P12ihipStream_tbPNSt15iterator_traitsISI_E10value_typeEPNSO_ISJ_E10value_typeEPSK_NS1_7vsmem_tEENKUlT_SI_SJ_SK_E_clISD_PiSD_S10_EESH_SX_SI_SJ_SK_EUlSX_E1_NS1_11comp_targetILNS1_3genE3ELNS1_11target_archE908ELNS1_3gpuE7ELNS1_3repE0EEENS1_36merge_oddeven_config_static_selectorELNS0_4arch9wavefront6targetE1EEEvSJ_,comdat
.Lfunc_end752:
	.size	_ZN7rocprim17ROCPRIM_400000_NS6detail17trampoline_kernelINS0_14default_configENS1_38merge_sort_block_merge_config_selectorIiiEEZZNS1_27merge_sort_block_merge_implIS3_N6thrust23THRUST_200600_302600_NS6detail15normal_iteratorINS8_10device_ptrIiEEEESD_jNS1_19radix_merge_compareILb0ELb0EiNS0_19identity_decomposerEEEEE10hipError_tT0_T1_T2_jT3_P12ihipStream_tbPNSt15iterator_traitsISI_E10value_typeEPNSO_ISJ_E10value_typeEPSK_NS1_7vsmem_tEENKUlT_SI_SJ_SK_E_clISD_PiSD_S10_EESH_SX_SI_SJ_SK_EUlSX_E1_NS1_11comp_targetILNS1_3genE3ELNS1_11target_archE908ELNS1_3gpuE7ELNS1_3repE0EEENS1_36merge_oddeven_config_static_selectorELNS0_4arch9wavefront6targetE1EEEvSJ_, .Lfunc_end752-_ZN7rocprim17ROCPRIM_400000_NS6detail17trampoline_kernelINS0_14default_configENS1_38merge_sort_block_merge_config_selectorIiiEEZZNS1_27merge_sort_block_merge_implIS3_N6thrust23THRUST_200600_302600_NS6detail15normal_iteratorINS8_10device_ptrIiEEEESD_jNS1_19radix_merge_compareILb0ELb0EiNS0_19identity_decomposerEEEEE10hipError_tT0_T1_T2_jT3_P12ihipStream_tbPNSt15iterator_traitsISI_E10value_typeEPNSO_ISJ_E10value_typeEPSK_NS1_7vsmem_tEENKUlT_SI_SJ_SK_E_clISD_PiSD_S10_EESH_SX_SI_SJ_SK_EUlSX_E1_NS1_11comp_targetILNS1_3genE3ELNS1_11target_archE908ELNS1_3gpuE7ELNS1_3repE0EEENS1_36merge_oddeven_config_static_selectorELNS0_4arch9wavefront6targetE1EEEvSJ_
                                        ; -- End function
	.set _ZN7rocprim17ROCPRIM_400000_NS6detail17trampoline_kernelINS0_14default_configENS1_38merge_sort_block_merge_config_selectorIiiEEZZNS1_27merge_sort_block_merge_implIS3_N6thrust23THRUST_200600_302600_NS6detail15normal_iteratorINS8_10device_ptrIiEEEESD_jNS1_19radix_merge_compareILb0ELb0EiNS0_19identity_decomposerEEEEE10hipError_tT0_T1_T2_jT3_P12ihipStream_tbPNSt15iterator_traitsISI_E10value_typeEPNSO_ISJ_E10value_typeEPSK_NS1_7vsmem_tEENKUlT_SI_SJ_SK_E_clISD_PiSD_S10_EESH_SX_SI_SJ_SK_EUlSX_E1_NS1_11comp_targetILNS1_3genE3ELNS1_11target_archE908ELNS1_3gpuE7ELNS1_3repE0EEENS1_36merge_oddeven_config_static_selectorELNS0_4arch9wavefront6targetE1EEEvSJ_.num_vgpr, 0
	.set _ZN7rocprim17ROCPRIM_400000_NS6detail17trampoline_kernelINS0_14default_configENS1_38merge_sort_block_merge_config_selectorIiiEEZZNS1_27merge_sort_block_merge_implIS3_N6thrust23THRUST_200600_302600_NS6detail15normal_iteratorINS8_10device_ptrIiEEEESD_jNS1_19radix_merge_compareILb0ELb0EiNS0_19identity_decomposerEEEEE10hipError_tT0_T1_T2_jT3_P12ihipStream_tbPNSt15iterator_traitsISI_E10value_typeEPNSO_ISJ_E10value_typeEPSK_NS1_7vsmem_tEENKUlT_SI_SJ_SK_E_clISD_PiSD_S10_EESH_SX_SI_SJ_SK_EUlSX_E1_NS1_11comp_targetILNS1_3genE3ELNS1_11target_archE908ELNS1_3gpuE7ELNS1_3repE0EEENS1_36merge_oddeven_config_static_selectorELNS0_4arch9wavefront6targetE1EEEvSJ_.num_agpr, 0
	.set _ZN7rocprim17ROCPRIM_400000_NS6detail17trampoline_kernelINS0_14default_configENS1_38merge_sort_block_merge_config_selectorIiiEEZZNS1_27merge_sort_block_merge_implIS3_N6thrust23THRUST_200600_302600_NS6detail15normal_iteratorINS8_10device_ptrIiEEEESD_jNS1_19radix_merge_compareILb0ELb0EiNS0_19identity_decomposerEEEEE10hipError_tT0_T1_T2_jT3_P12ihipStream_tbPNSt15iterator_traitsISI_E10value_typeEPNSO_ISJ_E10value_typeEPSK_NS1_7vsmem_tEENKUlT_SI_SJ_SK_E_clISD_PiSD_S10_EESH_SX_SI_SJ_SK_EUlSX_E1_NS1_11comp_targetILNS1_3genE3ELNS1_11target_archE908ELNS1_3gpuE7ELNS1_3repE0EEENS1_36merge_oddeven_config_static_selectorELNS0_4arch9wavefront6targetE1EEEvSJ_.numbered_sgpr, 0
	.set _ZN7rocprim17ROCPRIM_400000_NS6detail17trampoline_kernelINS0_14default_configENS1_38merge_sort_block_merge_config_selectorIiiEEZZNS1_27merge_sort_block_merge_implIS3_N6thrust23THRUST_200600_302600_NS6detail15normal_iteratorINS8_10device_ptrIiEEEESD_jNS1_19radix_merge_compareILb0ELb0EiNS0_19identity_decomposerEEEEE10hipError_tT0_T1_T2_jT3_P12ihipStream_tbPNSt15iterator_traitsISI_E10value_typeEPNSO_ISJ_E10value_typeEPSK_NS1_7vsmem_tEENKUlT_SI_SJ_SK_E_clISD_PiSD_S10_EESH_SX_SI_SJ_SK_EUlSX_E1_NS1_11comp_targetILNS1_3genE3ELNS1_11target_archE908ELNS1_3gpuE7ELNS1_3repE0EEENS1_36merge_oddeven_config_static_selectorELNS0_4arch9wavefront6targetE1EEEvSJ_.num_named_barrier, 0
	.set _ZN7rocprim17ROCPRIM_400000_NS6detail17trampoline_kernelINS0_14default_configENS1_38merge_sort_block_merge_config_selectorIiiEEZZNS1_27merge_sort_block_merge_implIS3_N6thrust23THRUST_200600_302600_NS6detail15normal_iteratorINS8_10device_ptrIiEEEESD_jNS1_19radix_merge_compareILb0ELb0EiNS0_19identity_decomposerEEEEE10hipError_tT0_T1_T2_jT3_P12ihipStream_tbPNSt15iterator_traitsISI_E10value_typeEPNSO_ISJ_E10value_typeEPSK_NS1_7vsmem_tEENKUlT_SI_SJ_SK_E_clISD_PiSD_S10_EESH_SX_SI_SJ_SK_EUlSX_E1_NS1_11comp_targetILNS1_3genE3ELNS1_11target_archE908ELNS1_3gpuE7ELNS1_3repE0EEENS1_36merge_oddeven_config_static_selectorELNS0_4arch9wavefront6targetE1EEEvSJ_.private_seg_size, 0
	.set _ZN7rocprim17ROCPRIM_400000_NS6detail17trampoline_kernelINS0_14default_configENS1_38merge_sort_block_merge_config_selectorIiiEEZZNS1_27merge_sort_block_merge_implIS3_N6thrust23THRUST_200600_302600_NS6detail15normal_iteratorINS8_10device_ptrIiEEEESD_jNS1_19radix_merge_compareILb0ELb0EiNS0_19identity_decomposerEEEEE10hipError_tT0_T1_T2_jT3_P12ihipStream_tbPNSt15iterator_traitsISI_E10value_typeEPNSO_ISJ_E10value_typeEPSK_NS1_7vsmem_tEENKUlT_SI_SJ_SK_E_clISD_PiSD_S10_EESH_SX_SI_SJ_SK_EUlSX_E1_NS1_11comp_targetILNS1_3genE3ELNS1_11target_archE908ELNS1_3gpuE7ELNS1_3repE0EEENS1_36merge_oddeven_config_static_selectorELNS0_4arch9wavefront6targetE1EEEvSJ_.uses_vcc, 0
	.set _ZN7rocprim17ROCPRIM_400000_NS6detail17trampoline_kernelINS0_14default_configENS1_38merge_sort_block_merge_config_selectorIiiEEZZNS1_27merge_sort_block_merge_implIS3_N6thrust23THRUST_200600_302600_NS6detail15normal_iteratorINS8_10device_ptrIiEEEESD_jNS1_19radix_merge_compareILb0ELb0EiNS0_19identity_decomposerEEEEE10hipError_tT0_T1_T2_jT3_P12ihipStream_tbPNSt15iterator_traitsISI_E10value_typeEPNSO_ISJ_E10value_typeEPSK_NS1_7vsmem_tEENKUlT_SI_SJ_SK_E_clISD_PiSD_S10_EESH_SX_SI_SJ_SK_EUlSX_E1_NS1_11comp_targetILNS1_3genE3ELNS1_11target_archE908ELNS1_3gpuE7ELNS1_3repE0EEENS1_36merge_oddeven_config_static_selectorELNS0_4arch9wavefront6targetE1EEEvSJ_.uses_flat_scratch, 0
	.set _ZN7rocprim17ROCPRIM_400000_NS6detail17trampoline_kernelINS0_14default_configENS1_38merge_sort_block_merge_config_selectorIiiEEZZNS1_27merge_sort_block_merge_implIS3_N6thrust23THRUST_200600_302600_NS6detail15normal_iteratorINS8_10device_ptrIiEEEESD_jNS1_19radix_merge_compareILb0ELb0EiNS0_19identity_decomposerEEEEE10hipError_tT0_T1_T2_jT3_P12ihipStream_tbPNSt15iterator_traitsISI_E10value_typeEPNSO_ISJ_E10value_typeEPSK_NS1_7vsmem_tEENKUlT_SI_SJ_SK_E_clISD_PiSD_S10_EESH_SX_SI_SJ_SK_EUlSX_E1_NS1_11comp_targetILNS1_3genE3ELNS1_11target_archE908ELNS1_3gpuE7ELNS1_3repE0EEENS1_36merge_oddeven_config_static_selectorELNS0_4arch9wavefront6targetE1EEEvSJ_.has_dyn_sized_stack, 0
	.set _ZN7rocprim17ROCPRIM_400000_NS6detail17trampoline_kernelINS0_14default_configENS1_38merge_sort_block_merge_config_selectorIiiEEZZNS1_27merge_sort_block_merge_implIS3_N6thrust23THRUST_200600_302600_NS6detail15normal_iteratorINS8_10device_ptrIiEEEESD_jNS1_19radix_merge_compareILb0ELb0EiNS0_19identity_decomposerEEEEE10hipError_tT0_T1_T2_jT3_P12ihipStream_tbPNSt15iterator_traitsISI_E10value_typeEPNSO_ISJ_E10value_typeEPSK_NS1_7vsmem_tEENKUlT_SI_SJ_SK_E_clISD_PiSD_S10_EESH_SX_SI_SJ_SK_EUlSX_E1_NS1_11comp_targetILNS1_3genE3ELNS1_11target_archE908ELNS1_3gpuE7ELNS1_3repE0EEENS1_36merge_oddeven_config_static_selectorELNS0_4arch9wavefront6targetE1EEEvSJ_.has_recursion, 0
	.set _ZN7rocprim17ROCPRIM_400000_NS6detail17trampoline_kernelINS0_14default_configENS1_38merge_sort_block_merge_config_selectorIiiEEZZNS1_27merge_sort_block_merge_implIS3_N6thrust23THRUST_200600_302600_NS6detail15normal_iteratorINS8_10device_ptrIiEEEESD_jNS1_19radix_merge_compareILb0ELb0EiNS0_19identity_decomposerEEEEE10hipError_tT0_T1_T2_jT3_P12ihipStream_tbPNSt15iterator_traitsISI_E10value_typeEPNSO_ISJ_E10value_typeEPSK_NS1_7vsmem_tEENKUlT_SI_SJ_SK_E_clISD_PiSD_S10_EESH_SX_SI_SJ_SK_EUlSX_E1_NS1_11comp_targetILNS1_3genE3ELNS1_11target_archE908ELNS1_3gpuE7ELNS1_3repE0EEENS1_36merge_oddeven_config_static_selectorELNS0_4arch9wavefront6targetE1EEEvSJ_.has_indirect_call, 0
	.section	.AMDGPU.csdata,"",@progbits
; Kernel info:
; codeLenInByte = 0
; TotalNumSgprs: 6
; NumVgprs: 0
; NumAgprs: 0
; TotalNumVgprs: 0
; ScratchSize: 0
; MemoryBound: 0
; FloatMode: 240
; IeeeMode: 1
; LDSByteSize: 0 bytes/workgroup (compile time only)
; SGPRBlocks: 0
; VGPRBlocks: 0
; NumSGPRsForWavesPerEU: 6
; NumVGPRsForWavesPerEU: 1
; AccumOffset: 4
; Occupancy: 8
; WaveLimiterHint : 0
; COMPUTE_PGM_RSRC2:SCRATCH_EN: 0
; COMPUTE_PGM_RSRC2:USER_SGPR: 2
; COMPUTE_PGM_RSRC2:TRAP_HANDLER: 0
; COMPUTE_PGM_RSRC2:TGID_X_EN: 1
; COMPUTE_PGM_RSRC2:TGID_Y_EN: 0
; COMPUTE_PGM_RSRC2:TGID_Z_EN: 0
; COMPUTE_PGM_RSRC2:TIDIG_COMP_CNT: 0
; COMPUTE_PGM_RSRC3_GFX90A:ACCUM_OFFSET: 0
; COMPUTE_PGM_RSRC3_GFX90A:TG_SPLIT: 0
	.section	.text._ZN7rocprim17ROCPRIM_400000_NS6detail17trampoline_kernelINS0_14default_configENS1_38merge_sort_block_merge_config_selectorIiiEEZZNS1_27merge_sort_block_merge_implIS3_N6thrust23THRUST_200600_302600_NS6detail15normal_iteratorINS8_10device_ptrIiEEEESD_jNS1_19radix_merge_compareILb0ELb0EiNS0_19identity_decomposerEEEEE10hipError_tT0_T1_T2_jT3_P12ihipStream_tbPNSt15iterator_traitsISI_E10value_typeEPNSO_ISJ_E10value_typeEPSK_NS1_7vsmem_tEENKUlT_SI_SJ_SK_E_clISD_PiSD_S10_EESH_SX_SI_SJ_SK_EUlSX_E1_NS1_11comp_targetILNS1_3genE2ELNS1_11target_archE906ELNS1_3gpuE6ELNS1_3repE0EEENS1_36merge_oddeven_config_static_selectorELNS0_4arch9wavefront6targetE1EEEvSJ_,"axG",@progbits,_ZN7rocprim17ROCPRIM_400000_NS6detail17trampoline_kernelINS0_14default_configENS1_38merge_sort_block_merge_config_selectorIiiEEZZNS1_27merge_sort_block_merge_implIS3_N6thrust23THRUST_200600_302600_NS6detail15normal_iteratorINS8_10device_ptrIiEEEESD_jNS1_19radix_merge_compareILb0ELb0EiNS0_19identity_decomposerEEEEE10hipError_tT0_T1_T2_jT3_P12ihipStream_tbPNSt15iterator_traitsISI_E10value_typeEPNSO_ISJ_E10value_typeEPSK_NS1_7vsmem_tEENKUlT_SI_SJ_SK_E_clISD_PiSD_S10_EESH_SX_SI_SJ_SK_EUlSX_E1_NS1_11comp_targetILNS1_3genE2ELNS1_11target_archE906ELNS1_3gpuE6ELNS1_3repE0EEENS1_36merge_oddeven_config_static_selectorELNS0_4arch9wavefront6targetE1EEEvSJ_,comdat
	.protected	_ZN7rocprim17ROCPRIM_400000_NS6detail17trampoline_kernelINS0_14default_configENS1_38merge_sort_block_merge_config_selectorIiiEEZZNS1_27merge_sort_block_merge_implIS3_N6thrust23THRUST_200600_302600_NS6detail15normal_iteratorINS8_10device_ptrIiEEEESD_jNS1_19radix_merge_compareILb0ELb0EiNS0_19identity_decomposerEEEEE10hipError_tT0_T1_T2_jT3_P12ihipStream_tbPNSt15iterator_traitsISI_E10value_typeEPNSO_ISJ_E10value_typeEPSK_NS1_7vsmem_tEENKUlT_SI_SJ_SK_E_clISD_PiSD_S10_EESH_SX_SI_SJ_SK_EUlSX_E1_NS1_11comp_targetILNS1_3genE2ELNS1_11target_archE906ELNS1_3gpuE6ELNS1_3repE0EEENS1_36merge_oddeven_config_static_selectorELNS0_4arch9wavefront6targetE1EEEvSJ_ ; -- Begin function _ZN7rocprim17ROCPRIM_400000_NS6detail17trampoline_kernelINS0_14default_configENS1_38merge_sort_block_merge_config_selectorIiiEEZZNS1_27merge_sort_block_merge_implIS3_N6thrust23THRUST_200600_302600_NS6detail15normal_iteratorINS8_10device_ptrIiEEEESD_jNS1_19radix_merge_compareILb0ELb0EiNS0_19identity_decomposerEEEEE10hipError_tT0_T1_T2_jT3_P12ihipStream_tbPNSt15iterator_traitsISI_E10value_typeEPNSO_ISJ_E10value_typeEPSK_NS1_7vsmem_tEENKUlT_SI_SJ_SK_E_clISD_PiSD_S10_EESH_SX_SI_SJ_SK_EUlSX_E1_NS1_11comp_targetILNS1_3genE2ELNS1_11target_archE906ELNS1_3gpuE6ELNS1_3repE0EEENS1_36merge_oddeven_config_static_selectorELNS0_4arch9wavefront6targetE1EEEvSJ_
	.globl	_ZN7rocprim17ROCPRIM_400000_NS6detail17trampoline_kernelINS0_14default_configENS1_38merge_sort_block_merge_config_selectorIiiEEZZNS1_27merge_sort_block_merge_implIS3_N6thrust23THRUST_200600_302600_NS6detail15normal_iteratorINS8_10device_ptrIiEEEESD_jNS1_19radix_merge_compareILb0ELb0EiNS0_19identity_decomposerEEEEE10hipError_tT0_T1_T2_jT3_P12ihipStream_tbPNSt15iterator_traitsISI_E10value_typeEPNSO_ISJ_E10value_typeEPSK_NS1_7vsmem_tEENKUlT_SI_SJ_SK_E_clISD_PiSD_S10_EESH_SX_SI_SJ_SK_EUlSX_E1_NS1_11comp_targetILNS1_3genE2ELNS1_11target_archE906ELNS1_3gpuE6ELNS1_3repE0EEENS1_36merge_oddeven_config_static_selectorELNS0_4arch9wavefront6targetE1EEEvSJ_
	.p2align	8
	.type	_ZN7rocprim17ROCPRIM_400000_NS6detail17trampoline_kernelINS0_14default_configENS1_38merge_sort_block_merge_config_selectorIiiEEZZNS1_27merge_sort_block_merge_implIS3_N6thrust23THRUST_200600_302600_NS6detail15normal_iteratorINS8_10device_ptrIiEEEESD_jNS1_19radix_merge_compareILb0ELb0EiNS0_19identity_decomposerEEEEE10hipError_tT0_T1_T2_jT3_P12ihipStream_tbPNSt15iterator_traitsISI_E10value_typeEPNSO_ISJ_E10value_typeEPSK_NS1_7vsmem_tEENKUlT_SI_SJ_SK_E_clISD_PiSD_S10_EESH_SX_SI_SJ_SK_EUlSX_E1_NS1_11comp_targetILNS1_3genE2ELNS1_11target_archE906ELNS1_3gpuE6ELNS1_3repE0EEENS1_36merge_oddeven_config_static_selectorELNS0_4arch9wavefront6targetE1EEEvSJ_,@function
_ZN7rocprim17ROCPRIM_400000_NS6detail17trampoline_kernelINS0_14default_configENS1_38merge_sort_block_merge_config_selectorIiiEEZZNS1_27merge_sort_block_merge_implIS3_N6thrust23THRUST_200600_302600_NS6detail15normal_iteratorINS8_10device_ptrIiEEEESD_jNS1_19radix_merge_compareILb0ELb0EiNS0_19identity_decomposerEEEEE10hipError_tT0_T1_T2_jT3_P12ihipStream_tbPNSt15iterator_traitsISI_E10value_typeEPNSO_ISJ_E10value_typeEPSK_NS1_7vsmem_tEENKUlT_SI_SJ_SK_E_clISD_PiSD_S10_EESH_SX_SI_SJ_SK_EUlSX_E1_NS1_11comp_targetILNS1_3genE2ELNS1_11target_archE906ELNS1_3gpuE6ELNS1_3repE0EEENS1_36merge_oddeven_config_static_selectorELNS0_4arch9wavefront6targetE1EEEvSJ_: ; @_ZN7rocprim17ROCPRIM_400000_NS6detail17trampoline_kernelINS0_14default_configENS1_38merge_sort_block_merge_config_selectorIiiEEZZNS1_27merge_sort_block_merge_implIS3_N6thrust23THRUST_200600_302600_NS6detail15normal_iteratorINS8_10device_ptrIiEEEESD_jNS1_19radix_merge_compareILb0ELb0EiNS0_19identity_decomposerEEEEE10hipError_tT0_T1_T2_jT3_P12ihipStream_tbPNSt15iterator_traitsISI_E10value_typeEPNSO_ISJ_E10value_typeEPSK_NS1_7vsmem_tEENKUlT_SI_SJ_SK_E_clISD_PiSD_S10_EESH_SX_SI_SJ_SK_EUlSX_E1_NS1_11comp_targetILNS1_3genE2ELNS1_11target_archE906ELNS1_3gpuE6ELNS1_3repE0EEENS1_36merge_oddeven_config_static_selectorELNS0_4arch9wavefront6targetE1EEEvSJ_
; %bb.0:
	.section	.rodata,"a",@progbits
	.p2align	6, 0x0
	.amdhsa_kernel _ZN7rocprim17ROCPRIM_400000_NS6detail17trampoline_kernelINS0_14default_configENS1_38merge_sort_block_merge_config_selectorIiiEEZZNS1_27merge_sort_block_merge_implIS3_N6thrust23THRUST_200600_302600_NS6detail15normal_iteratorINS8_10device_ptrIiEEEESD_jNS1_19radix_merge_compareILb0ELb0EiNS0_19identity_decomposerEEEEE10hipError_tT0_T1_T2_jT3_P12ihipStream_tbPNSt15iterator_traitsISI_E10value_typeEPNSO_ISJ_E10value_typeEPSK_NS1_7vsmem_tEENKUlT_SI_SJ_SK_E_clISD_PiSD_S10_EESH_SX_SI_SJ_SK_EUlSX_E1_NS1_11comp_targetILNS1_3genE2ELNS1_11target_archE906ELNS1_3gpuE6ELNS1_3repE0EEENS1_36merge_oddeven_config_static_selectorELNS0_4arch9wavefront6targetE1EEEvSJ_
		.amdhsa_group_segment_fixed_size 0
		.amdhsa_private_segment_fixed_size 0
		.amdhsa_kernarg_size 48
		.amdhsa_user_sgpr_count 2
		.amdhsa_user_sgpr_dispatch_ptr 0
		.amdhsa_user_sgpr_queue_ptr 0
		.amdhsa_user_sgpr_kernarg_segment_ptr 1
		.amdhsa_user_sgpr_dispatch_id 0
		.amdhsa_user_sgpr_kernarg_preload_length 0
		.amdhsa_user_sgpr_kernarg_preload_offset 0
		.amdhsa_user_sgpr_private_segment_size 0
		.amdhsa_uses_dynamic_stack 0
		.amdhsa_enable_private_segment 0
		.amdhsa_system_sgpr_workgroup_id_x 1
		.amdhsa_system_sgpr_workgroup_id_y 0
		.amdhsa_system_sgpr_workgroup_id_z 0
		.amdhsa_system_sgpr_workgroup_info 0
		.amdhsa_system_vgpr_workitem_id 0
		.amdhsa_next_free_vgpr 1
		.amdhsa_next_free_sgpr 0
		.amdhsa_accum_offset 4
		.amdhsa_reserve_vcc 0
		.amdhsa_float_round_mode_32 0
		.amdhsa_float_round_mode_16_64 0
		.amdhsa_float_denorm_mode_32 3
		.amdhsa_float_denorm_mode_16_64 3
		.amdhsa_dx10_clamp 1
		.amdhsa_ieee_mode 1
		.amdhsa_fp16_overflow 0
		.amdhsa_tg_split 0
		.amdhsa_exception_fp_ieee_invalid_op 0
		.amdhsa_exception_fp_denorm_src 0
		.amdhsa_exception_fp_ieee_div_zero 0
		.amdhsa_exception_fp_ieee_overflow 0
		.amdhsa_exception_fp_ieee_underflow 0
		.amdhsa_exception_fp_ieee_inexact 0
		.amdhsa_exception_int_div_zero 0
	.end_amdhsa_kernel
	.section	.text._ZN7rocprim17ROCPRIM_400000_NS6detail17trampoline_kernelINS0_14default_configENS1_38merge_sort_block_merge_config_selectorIiiEEZZNS1_27merge_sort_block_merge_implIS3_N6thrust23THRUST_200600_302600_NS6detail15normal_iteratorINS8_10device_ptrIiEEEESD_jNS1_19radix_merge_compareILb0ELb0EiNS0_19identity_decomposerEEEEE10hipError_tT0_T1_T2_jT3_P12ihipStream_tbPNSt15iterator_traitsISI_E10value_typeEPNSO_ISJ_E10value_typeEPSK_NS1_7vsmem_tEENKUlT_SI_SJ_SK_E_clISD_PiSD_S10_EESH_SX_SI_SJ_SK_EUlSX_E1_NS1_11comp_targetILNS1_3genE2ELNS1_11target_archE906ELNS1_3gpuE6ELNS1_3repE0EEENS1_36merge_oddeven_config_static_selectorELNS0_4arch9wavefront6targetE1EEEvSJ_,"axG",@progbits,_ZN7rocprim17ROCPRIM_400000_NS6detail17trampoline_kernelINS0_14default_configENS1_38merge_sort_block_merge_config_selectorIiiEEZZNS1_27merge_sort_block_merge_implIS3_N6thrust23THRUST_200600_302600_NS6detail15normal_iteratorINS8_10device_ptrIiEEEESD_jNS1_19radix_merge_compareILb0ELb0EiNS0_19identity_decomposerEEEEE10hipError_tT0_T1_T2_jT3_P12ihipStream_tbPNSt15iterator_traitsISI_E10value_typeEPNSO_ISJ_E10value_typeEPSK_NS1_7vsmem_tEENKUlT_SI_SJ_SK_E_clISD_PiSD_S10_EESH_SX_SI_SJ_SK_EUlSX_E1_NS1_11comp_targetILNS1_3genE2ELNS1_11target_archE906ELNS1_3gpuE6ELNS1_3repE0EEENS1_36merge_oddeven_config_static_selectorELNS0_4arch9wavefront6targetE1EEEvSJ_,comdat
.Lfunc_end753:
	.size	_ZN7rocprim17ROCPRIM_400000_NS6detail17trampoline_kernelINS0_14default_configENS1_38merge_sort_block_merge_config_selectorIiiEEZZNS1_27merge_sort_block_merge_implIS3_N6thrust23THRUST_200600_302600_NS6detail15normal_iteratorINS8_10device_ptrIiEEEESD_jNS1_19radix_merge_compareILb0ELb0EiNS0_19identity_decomposerEEEEE10hipError_tT0_T1_T2_jT3_P12ihipStream_tbPNSt15iterator_traitsISI_E10value_typeEPNSO_ISJ_E10value_typeEPSK_NS1_7vsmem_tEENKUlT_SI_SJ_SK_E_clISD_PiSD_S10_EESH_SX_SI_SJ_SK_EUlSX_E1_NS1_11comp_targetILNS1_3genE2ELNS1_11target_archE906ELNS1_3gpuE6ELNS1_3repE0EEENS1_36merge_oddeven_config_static_selectorELNS0_4arch9wavefront6targetE1EEEvSJ_, .Lfunc_end753-_ZN7rocprim17ROCPRIM_400000_NS6detail17trampoline_kernelINS0_14default_configENS1_38merge_sort_block_merge_config_selectorIiiEEZZNS1_27merge_sort_block_merge_implIS3_N6thrust23THRUST_200600_302600_NS6detail15normal_iteratorINS8_10device_ptrIiEEEESD_jNS1_19radix_merge_compareILb0ELb0EiNS0_19identity_decomposerEEEEE10hipError_tT0_T1_T2_jT3_P12ihipStream_tbPNSt15iterator_traitsISI_E10value_typeEPNSO_ISJ_E10value_typeEPSK_NS1_7vsmem_tEENKUlT_SI_SJ_SK_E_clISD_PiSD_S10_EESH_SX_SI_SJ_SK_EUlSX_E1_NS1_11comp_targetILNS1_3genE2ELNS1_11target_archE906ELNS1_3gpuE6ELNS1_3repE0EEENS1_36merge_oddeven_config_static_selectorELNS0_4arch9wavefront6targetE1EEEvSJ_
                                        ; -- End function
	.set _ZN7rocprim17ROCPRIM_400000_NS6detail17trampoline_kernelINS0_14default_configENS1_38merge_sort_block_merge_config_selectorIiiEEZZNS1_27merge_sort_block_merge_implIS3_N6thrust23THRUST_200600_302600_NS6detail15normal_iteratorINS8_10device_ptrIiEEEESD_jNS1_19radix_merge_compareILb0ELb0EiNS0_19identity_decomposerEEEEE10hipError_tT0_T1_T2_jT3_P12ihipStream_tbPNSt15iterator_traitsISI_E10value_typeEPNSO_ISJ_E10value_typeEPSK_NS1_7vsmem_tEENKUlT_SI_SJ_SK_E_clISD_PiSD_S10_EESH_SX_SI_SJ_SK_EUlSX_E1_NS1_11comp_targetILNS1_3genE2ELNS1_11target_archE906ELNS1_3gpuE6ELNS1_3repE0EEENS1_36merge_oddeven_config_static_selectorELNS0_4arch9wavefront6targetE1EEEvSJ_.num_vgpr, 0
	.set _ZN7rocprim17ROCPRIM_400000_NS6detail17trampoline_kernelINS0_14default_configENS1_38merge_sort_block_merge_config_selectorIiiEEZZNS1_27merge_sort_block_merge_implIS3_N6thrust23THRUST_200600_302600_NS6detail15normal_iteratorINS8_10device_ptrIiEEEESD_jNS1_19radix_merge_compareILb0ELb0EiNS0_19identity_decomposerEEEEE10hipError_tT0_T1_T2_jT3_P12ihipStream_tbPNSt15iterator_traitsISI_E10value_typeEPNSO_ISJ_E10value_typeEPSK_NS1_7vsmem_tEENKUlT_SI_SJ_SK_E_clISD_PiSD_S10_EESH_SX_SI_SJ_SK_EUlSX_E1_NS1_11comp_targetILNS1_3genE2ELNS1_11target_archE906ELNS1_3gpuE6ELNS1_3repE0EEENS1_36merge_oddeven_config_static_selectorELNS0_4arch9wavefront6targetE1EEEvSJ_.num_agpr, 0
	.set _ZN7rocprim17ROCPRIM_400000_NS6detail17trampoline_kernelINS0_14default_configENS1_38merge_sort_block_merge_config_selectorIiiEEZZNS1_27merge_sort_block_merge_implIS3_N6thrust23THRUST_200600_302600_NS6detail15normal_iteratorINS8_10device_ptrIiEEEESD_jNS1_19radix_merge_compareILb0ELb0EiNS0_19identity_decomposerEEEEE10hipError_tT0_T1_T2_jT3_P12ihipStream_tbPNSt15iterator_traitsISI_E10value_typeEPNSO_ISJ_E10value_typeEPSK_NS1_7vsmem_tEENKUlT_SI_SJ_SK_E_clISD_PiSD_S10_EESH_SX_SI_SJ_SK_EUlSX_E1_NS1_11comp_targetILNS1_3genE2ELNS1_11target_archE906ELNS1_3gpuE6ELNS1_3repE0EEENS1_36merge_oddeven_config_static_selectorELNS0_4arch9wavefront6targetE1EEEvSJ_.numbered_sgpr, 0
	.set _ZN7rocprim17ROCPRIM_400000_NS6detail17trampoline_kernelINS0_14default_configENS1_38merge_sort_block_merge_config_selectorIiiEEZZNS1_27merge_sort_block_merge_implIS3_N6thrust23THRUST_200600_302600_NS6detail15normal_iteratorINS8_10device_ptrIiEEEESD_jNS1_19radix_merge_compareILb0ELb0EiNS0_19identity_decomposerEEEEE10hipError_tT0_T1_T2_jT3_P12ihipStream_tbPNSt15iterator_traitsISI_E10value_typeEPNSO_ISJ_E10value_typeEPSK_NS1_7vsmem_tEENKUlT_SI_SJ_SK_E_clISD_PiSD_S10_EESH_SX_SI_SJ_SK_EUlSX_E1_NS1_11comp_targetILNS1_3genE2ELNS1_11target_archE906ELNS1_3gpuE6ELNS1_3repE0EEENS1_36merge_oddeven_config_static_selectorELNS0_4arch9wavefront6targetE1EEEvSJ_.num_named_barrier, 0
	.set _ZN7rocprim17ROCPRIM_400000_NS6detail17trampoline_kernelINS0_14default_configENS1_38merge_sort_block_merge_config_selectorIiiEEZZNS1_27merge_sort_block_merge_implIS3_N6thrust23THRUST_200600_302600_NS6detail15normal_iteratorINS8_10device_ptrIiEEEESD_jNS1_19radix_merge_compareILb0ELb0EiNS0_19identity_decomposerEEEEE10hipError_tT0_T1_T2_jT3_P12ihipStream_tbPNSt15iterator_traitsISI_E10value_typeEPNSO_ISJ_E10value_typeEPSK_NS1_7vsmem_tEENKUlT_SI_SJ_SK_E_clISD_PiSD_S10_EESH_SX_SI_SJ_SK_EUlSX_E1_NS1_11comp_targetILNS1_3genE2ELNS1_11target_archE906ELNS1_3gpuE6ELNS1_3repE0EEENS1_36merge_oddeven_config_static_selectorELNS0_4arch9wavefront6targetE1EEEvSJ_.private_seg_size, 0
	.set _ZN7rocprim17ROCPRIM_400000_NS6detail17trampoline_kernelINS0_14default_configENS1_38merge_sort_block_merge_config_selectorIiiEEZZNS1_27merge_sort_block_merge_implIS3_N6thrust23THRUST_200600_302600_NS6detail15normal_iteratorINS8_10device_ptrIiEEEESD_jNS1_19radix_merge_compareILb0ELb0EiNS0_19identity_decomposerEEEEE10hipError_tT0_T1_T2_jT3_P12ihipStream_tbPNSt15iterator_traitsISI_E10value_typeEPNSO_ISJ_E10value_typeEPSK_NS1_7vsmem_tEENKUlT_SI_SJ_SK_E_clISD_PiSD_S10_EESH_SX_SI_SJ_SK_EUlSX_E1_NS1_11comp_targetILNS1_3genE2ELNS1_11target_archE906ELNS1_3gpuE6ELNS1_3repE0EEENS1_36merge_oddeven_config_static_selectorELNS0_4arch9wavefront6targetE1EEEvSJ_.uses_vcc, 0
	.set _ZN7rocprim17ROCPRIM_400000_NS6detail17trampoline_kernelINS0_14default_configENS1_38merge_sort_block_merge_config_selectorIiiEEZZNS1_27merge_sort_block_merge_implIS3_N6thrust23THRUST_200600_302600_NS6detail15normal_iteratorINS8_10device_ptrIiEEEESD_jNS1_19radix_merge_compareILb0ELb0EiNS0_19identity_decomposerEEEEE10hipError_tT0_T1_T2_jT3_P12ihipStream_tbPNSt15iterator_traitsISI_E10value_typeEPNSO_ISJ_E10value_typeEPSK_NS1_7vsmem_tEENKUlT_SI_SJ_SK_E_clISD_PiSD_S10_EESH_SX_SI_SJ_SK_EUlSX_E1_NS1_11comp_targetILNS1_3genE2ELNS1_11target_archE906ELNS1_3gpuE6ELNS1_3repE0EEENS1_36merge_oddeven_config_static_selectorELNS0_4arch9wavefront6targetE1EEEvSJ_.uses_flat_scratch, 0
	.set _ZN7rocprim17ROCPRIM_400000_NS6detail17trampoline_kernelINS0_14default_configENS1_38merge_sort_block_merge_config_selectorIiiEEZZNS1_27merge_sort_block_merge_implIS3_N6thrust23THRUST_200600_302600_NS6detail15normal_iteratorINS8_10device_ptrIiEEEESD_jNS1_19radix_merge_compareILb0ELb0EiNS0_19identity_decomposerEEEEE10hipError_tT0_T1_T2_jT3_P12ihipStream_tbPNSt15iterator_traitsISI_E10value_typeEPNSO_ISJ_E10value_typeEPSK_NS1_7vsmem_tEENKUlT_SI_SJ_SK_E_clISD_PiSD_S10_EESH_SX_SI_SJ_SK_EUlSX_E1_NS1_11comp_targetILNS1_3genE2ELNS1_11target_archE906ELNS1_3gpuE6ELNS1_3repE0EEENS1_36merge_oddeven_config_static_selectorELNS0_4arch9wavefront6targetE1EEEvSJ_.has_dyn_sized_stack, 0
	.set _ZN7rocprim17ROCPRIM_400000_NS6detail17trampoline_kernelINS0_14default_configENS1_38merge_sort_block_merge_config_selectorIiiEEZZNS1_27merge_sort_block_merge_implIS3_N6thrust23THRUST_200600_302600_NS6detail15normal_iteratorINS8_10device_ptrIiEEEESD_jNS1_19radix_merge_compareILb0ELb0EiNS0_19identity_decomposerEEEEE10hipError_tT0_T1_T2_jT3_P12ihipStream_tbPNSt15iterator_traitsISI_E10value_typeEPNSO_ISJ_E10value_typeEPSK_NS1_7vsmem_tEENKUlT_SI_SJ_SK_E_clISD_PiSD_S10_EESH_SX_SI_SJ_SK_EUlSX_E1_NS1_11comp_targetILNS1_3genE2ELNS1_11target_archE906ELNS1_3gpuE6ELNS1_3repE0EEENS1_36merge_oddeven_config_static_selectorELNS0_4arch9wavefront6targetE1EEEvSJ_.has_recursion, 0
	.set _ZN7rocprim17ROCPRIM_400000_NS6detail17trampoline_kernelINS0_14default_configENS1_38merge_sort_block_merge_config_selectorIiiEEZZNS1_27merge_sort_block_merge_implIS3_N6thrust23THRUST_200600_302600_NS6detail15normal_iteratorINS8_10device_ptrIiEEEESD_jNS1_19radix_merge_compareILb0ELb0EiNS0_19identity_decomposerEEEEE10hipError_tT0_T1_T2_jT3_P12ihipStream_tbPNSt15iterator_traitsISI_E10value_typeEPNSO_ISJ_E10value_typeEPSK_NS1_7vsmem_tEENKUlT_SI_SJ_SK_E_clISD_PiSD_S10_EESH_SX_SI_SJ_SK_EUlSX_E1_NS1_11comp_targetILNS1_3genE2ELNS1_11target_archE906ELNS1_3gpuE6ELNS1_3repE0EEENS1_36merge_oddeven_config_static_selectorELNS0_4arch9wavefront6targetE1EEEvSJ_.has_indirect_call, 0
	.section	.AMDGPU.csdata,"",@progbits
; Kernel info:
; codeLenInByte = 0
; TotalNumSgprs: 6
; NumVgprs: 0
; NumAgprs: 0
; TotalNumVgprs: 0
; ScratchSize: 0
; MemoryBound: 0
; FloatMode: 240
; IeeeMode: 1
; LDSByteSize: 0 bytes/workgroup (compile time only)
; SGPRBlocks: 0
; VGPRBlocks: 0
; NumSGPRsForWavesPerEU: 6
; NumVGPRsForWavesPerEU: 1
; AccumOffset: 4
; Occupancy: 8
; WaveLimiterHint : 0
; COMPUTE_PGM_RSRC2:SCRATCH_EN: 0
; COMPUTE_PGM_RSRC2:USER_SGPR: 2
; COMPUTE_PGM_RSRC2:TRAP_HANDLER: 0
; COMPUTE_PGM_RSRC2:TGID_X_EN: 1
; COMPUTE_PGM_RSRC2:TGID_Y_EN: 0
; COMPUTE_PGM_RSRC2:TGID_Z_EN: 0
; COMPUTE_PGM_RSRC2:TIDIG_COMP_CNT: 0
; COMPUTE_PGM_RSRC3_GFX90A:ACCUM_OFFSET: 0
; COMPUTE_PGM_RSRC3_GFX90A:TG_SPLIT: 0
	.section	.text._ZN7rocprim17ROCPRIM_400000_NS6detail17trampoline_kernelINS0_14default_configENS1_38merge_sort_block_merge_config_selectorIiiEEZZNS1_27merge_sort_block_merge_implIS3_N6thrust23THRUST_200600_302600_NS6detail15normal_iteratorINS8_10device_ptrIiEEEESD_jNS1_19radix_merge_compareILb0ELb0EiNS0_19identity_decomposerEEEEE10hipError_tT0_T1_T2_jT3_P12ihipStream_tbPNSt15iterator_traitsISI_E10value_typeEPNSO_ISJ_E10value_typeEPSK_NS1_7vsmem_tEENKUlT_SI_SJ_SK_E_clISD_PiSD_S10_EESH_SX_SI_SJ_SK_EUlSX_E1_NS1_11comp_targetILNS1_3genE9ELNS1_11target_archE1100ELNS1_3gpuE3ELNS1_3repE0EEENS1_36merge_oddeven_config_static_selectorELNS0_4arch9wavefront6targetE1EEEvSJ_,"axG",@progbits,_ZN7rocprim17ROCPRIM_400000_NS6detail17trampoline_kernelINS0_14default_configENS1_38merge_sort_block_merge_config_selectorIiiEEZZNS1_27merge_sort_block_merge_implIS3_N6thrust23THRUST_200600_302600_NS6detail15normal_iteratorINS8_10device_ptrIiEEEESD_jNS1_19radix_merge_compareILb0ELb0EiNS0_19identity_decomposerEEEEE10hipError_tT0_T1_T2_jT3_P12ihipStream_tbPNSt15iterator_traitsISI_E10value_typeEPNSO_ISJ_E10value_typeEPSK_NS1_7vsmem_tEENKUlT_SI_SJ_SK_E_clISD_PiSD_S10_EESH_SX_SI_SJ_SK_EUlSX_E1_NS1_11comp_targetILNS1_3genE9ELNS1_11target_archE1100ELNS1_3gpuE3ELNS1_3repE0EEENS1_36merge_oddeven_config_static_selectorELNS0_4arch9wavefront6targetE1EEEvSJ_,comdat
	.protected	_ZN7rocprim17ROCPRIM_400000_NS6detail17trampoline_kernelINS0_14default_configENS1_38merge_sort_block_merge_config_selectorIiiEEZZNS1_27merge_sort_block_merge_implIS3_N6thrust23THRUST_200600_302600_NS6detail15normal_iteratorINS8_10device_ptrIiEEEESD_jNS1_19radix_merge_compareILb0ELb0EiNS0_19identity_decomposerEEEEE10hipError_tT0_T1_T2_jT3_P12ihipStream_tbPNSt15iterator_traitsISI_E10value_typeEPNSO_ISJ_E10value_typeEPSK_NS1_7vsmem_tEENKUlT_SI_SJ_SK_E_clISD_PiSD_S10_EESH_SX_SI_SJ_SK_EUlSX_E1_NS1_11comp_targetILNS1_3genE9ELNS1_11target_archE1100ELNS1_3gpuE3ELNS1_3repE0EEENS1_36merge_oddeven_config_static_selectorELNS0_4arch9wavefront6targetE1EEEvSJ_ ; -- Begin function _ZN7rocprim17ROCPRIM_400000_NS6detail17trampoline_kernelINS0_14default_configENS1_38merge_sort_block_merge_config_selectorIiiEEZZNS1_27merge_sort_block_merge_implIS3_N6thrust23THRUST_200600_302600_NS6detail15normal_iteratorINS8_10device_ptrIiEEEESD_jNS1_19radix_merge_compareILb0ELb0EiNS0_19identity_decomposerEEEEE10hipError_tT0_T1_T2_jT3_P12ihipStream_tbPNSt15iterator_traitsISI_E10value_typeEPNSO_ISJ_E10value_typeEPSK_NS1_7vsmem_tEENKUlT_SI_SJ_SK_E_clISD_PiSD_S10_EESH_SX_SI_SJ_SK_EUlSX_E1_NS1_11comp_targetILNS1_3genE9ELNS1_11target_archE1100ELNS1_3gpuE3ELNS1_3repE0EEENS1_36merge_oddeven_config_static_selectorELNS0_4arch9wavefront6targetE1EEEvSJ_
	.globl	_ZN7rocprim17ROCPRIM_400000_NS6detail17trampoline_kernelINS0_14default_configENS1_38merge_sort_block_merge_config_selectorIiiEEZZNS1_27merge_sort_block_merge_implIS3_N6thrust23THRUST_200600_302600_NS6detail15normal_iteratorINS8_10device_ptrIiEEEESD_jNS1_19radix_merge_compareILb0ELb0EiNS0_19identity_decomposerEEEEE10hipError_tT0_T1_T2_jT3_P12ihipStream_tbPNSt15iterator_traitsISI_E10value_typeEPNSO_ISJ_E10value_typeEPSK_NS1_7vsmem_tEENKUlT_SI_SJ_SK_E_clISD_PiSD_S10_EESH_SX_SI_SJ_SK_EUlSX_E1_NS1_11comp_targetILNS1_3genE9ELNS1_11target_archE1100ELNS1_3gpuE3ELNS1_3repE0EEENS1_36merge_oddeven_config_static_selectorELNS0_4arch9wavefront6targetE1EEEvSJ_
	.p2align	8
	.type	_ZN7rocprim17ROCPRIM_400000_NS6detail17trampoline_kernelINS0_14default_configENS1_38merge_sort_block_merge_config_selectorIiiEEZZNS1_27merge_sort_block_merge_implIS3_N6thrust23THRUST_200600_302600_NS6detail15normal_iteratorINS8_10device_ptrIiEEEESD_jNS1_19radix_merge_compareILb0ELb0EiNS0_19identity_decomposerEEEEE10hipError_tT0_T1_T2_jT3_P12ihipStream_tbPNSt15iterator_traitsISI_E10value_typeEPNSO_ISJ_E10value_typeEPSK_NS1_7vsmem_tEENKUlT_SI_SJ_SK_E_clISD_PiSD_S10_EESH_SX_SI_SJ_SK_EUlSX_E1_NS1_11comp_targetILNS1_3genE9ELNS1_11target_archE1100ELNS1_3gpuE3ELNS1_3repE0EEENS1_36merge_oddeven_config_static_selectorELNS0_4arch9wavefront6targetE1EEEvSJ_,@function
_ZN7rocprim17ROCPRIM_400000_NS6detail17trampoline_kernelINS0_14default_configENS1_38merge_sort_block_merge_config_selectorIiiEEZZNS1_27merge_sort_block_merge_implIS3_N6thrust23THRUST_200600_302600_NS6detail15normal_iteratorINS8_10device_ptrIiEEEESD_jNS1_19radix_merge_compareILb0ELb0EiNS0_19identity_decomposerEEEEE10hipError_tT0_T1_T2_jT3_P12ihipStream_tbPNSt15iterator_traitsISI_E10value_typeEPNSO_ISJ_E10value_typeEPSK_NS1_7vsmem_tEENKUlT_SI_SJ_SK_E_clISD_PiSD_S10_EESH_SX_SI_SJ_SK_EUlSX_E1_NS1_11comp_targetILNS1_3genE9ELNS1_11target_archE1100ELNS1_3gpuE3ELNS1_3repE0EEENS1_36merge_oddeven_config_static_selectorELNS0_4arch9wavefront6targetE1EEEvSJ_: ; @_ZN7rocprim17ROCPRIM_400000_NS6detail17trampoline_kernelINS0_14default_configENS1_38merge_sort_block_merge_config_selectorIiiEEZZNS1_27merge_sort_block_merge_implIS3_N6thrust23THRUST_200600_302600_NS6detail15normal_iteratorINS8_10device_ptrIiEEEESD_jNS1_19radix_merge_compareILb0ELb0EiNS0_19identity_decomposerEEEEE10hipError_tT0_T1_T2_jT3_P12ihipStream_tbPNSt15iterator_traitsISI_E10value_typeEPNSO_ISJ_E10value_typeEPSK_NS1_7vsmem_tEENKUlT_SI_SJ_SK_E_clISD_PiSD_S10_EESH_SX_SI_SJ_SK_EUlSX_E1_NS1_11comp_targetILNS1_3genE9ELNS1_11target_archE1100ELNS1_3gpuE3ELNS1_3repE0EEENS1_36merge_oddeven_config_static_selectorELNS0_4arch9wavefront6targetE1EEEvSJ_
; %bb.0:
	.section	.rodata,"a",@progbits
	.p2align	6, 0x0
	.amdhsa_kernel _ZN7rocprim17ROCPRIM_400000_NS6detail17trampoline_kernelINS0_14default_configENS1_38merge_sort_block_merge_config_selectorIiiEEZZNS1_27merge_sort_block_merge_implIS3_N6thrust23THRUST_200600_302600_NS6detail15normal_iteratorINS8_10device_ptrIiEEEESD_jNS1_19radix_merge_compareILb0ELb0EiNS0_19identity_decomposerEEEEE10hipError_tT0_T1_T2_jT3_P12ihipStream_tbPNSt15iterator_traitsISI_E10value_typeEPNSO_ISJ_E10value_typeEPSK_NS1_7vsmem_tEENKUlT_SI_SJ_SK_E_clISD_PiSD_S10_EESH_SX_SI_SJ_SK_EUlSX_E1_NS1_11comp_targetILNS1_3genE9ELNS1_11target_archE1100ELNS1_3gpuE3ELNS1_3repE0EEENS1_36merge_oddeven_config_static_selectorELNS0_4arch9wavefront6targetE1EEEvSJ_
		.amdhsa_group_segment_fixed_size 0
		.amdhsa_private_segment_fixed_size 0
		.amdhsa_kernarg_size 48
		.amdhsa_user_sgpr_count 2
		.amdhsa_user_sgpr_dispatch_ptr 0
		.amdhsa_user_sgpr_queue_ptr 0
		.amdhsa_user_sgpr_kernarg_segment_ptr 1
		.amdhsa_user_sgpr_dispatch_id 0
		.amdhsa_user_sgpr_kernarg_preload_length 0
		.amdhsa_user_sgpr_kernarg_preload_offset 0
		.amdhsa_user_sgpr_private_segment_size 0
		.amdhsa_uses_dynamic_stack 0
		.amdhsa_enable_private_segment 0
		.amdhsa_system_sgpr_workgroup_id_x 1
		.amdhsa_system_sgpr_workgroup_id_y 0
		.amdhsa_system_sgpr_workgroup_id_z 0
		.amdhsa_system_sgpr_workgroup_info 0
		.amdhsa_system_vgpr_workitem_id 0
		.amdhsa_next_free_vgpr 1
		.amdhsa_next_free_sgpr 0
		.amdhsa_accum_offset 4
		.amdhsa_reserve_vcc 0
		.amdhsa_float_round_mode_32 0
		.amdhsa_float_round_mode_16_64 0
		.amdhsa_float_denorm_mode_32 3
		.amdhsa_float_denorm_mode_16_64 3
		.amdhsa_dx10_clamp 1
		.amdhsa_ieee_mode 1
		.amdhsa_fp16_overflow 0
		.amdhsa_tg_split 0
		.amdhsa_exception_fp_ieee_invalid_op 0
		.amdhsa_exception_fp_denorm_src 0
		.amdhsa_exception_fp_ieee_div_zero 0
		.amdhsa_exception_fp_ieee_overflow 0
		.amdhsa_exception_fp_ieee_underflow 0
		.amdhsa_exception_fp_ieee_inexact 0
		.amdhsa_exception_int_div_zero 0
	.end_amdhsa_kernel
	.section	.text._ZN7rocprim17ROCPRIM_400000_NS6detail17trampoline_kernelINS0_14default_configENS1_38merge_sort_block_merge_config_selectorIiiEEZZNS1_27merge_sort_block_merge_implIS3_N6thrust23THRUST_200600_302600_NS6detail15normal_iteratorINS8_10device_ptrIiEEEESD_jNS1_19radix_merge_compareILb0ELb0EiNS0_19identity_decomposerEEEEE10hipError_tT0_T1_T2_jT3_P12ihipStream_tbPNSt15iterator_traitsISI_E10value_typeEPNSO_ISJ_E10value_typeEPSK_NS1_7vsmem_tEENKUlT_SI_SJ_SK_E_clISD_PiSD_S10_EESH_SX_SI_SJ_SK_EUlSX_E1_NS1_11comp_targetILNS1_3genE9ELNS1_11target_archE1100ELNS1_3gpuE3ELNS1_3repE0EEENS1_36merge_oddeven_config_static_selectorELNS0_4arch9wavefront6targetE1EEEvSJ_,"axG",@progbits,_ZN7rocprim17ROCPRIM_400000_NS6detail17trampoline_kernelINS0_14default_configENS1_38merge_sort_block_merge_config_selectorIiiEEZZNS1_27merge_sort_block_merge_implIS3_N6thrust23THRUST_200600_302600_NS6detail15normal_iteratorINS8_10device_ptrIiEEEESD_jNS1_19radix_merge_compareILb0ELb0EiNS0_19identity_decomposerEEEEE10hipError_tT0_T1_T2_jT3_P12ihipStream_tbPNSt15iterator_traitsISI_E10value_typeEPNSO_ISJ_E10value_typeEPSK_NS1_7vsmem_tEENKUlT_SI_SJ_SK_E_clISD_PiSD_S10_EESH_SX_SI_SJ_SK_EUlSX_E1_NS1_11comp_targetILNS1_3genE9ELNS1_11target_archE1100ELNS1_3gpuE3ELNS1_3repE0EEENS1_36merge_oddeven_config_static_selectorELNS0_4arch9wavefront6targetE1EEEvSJ_,comdat
.Lfunc_end754:
	.size	_ZN7rocprim17ROCPRIM_400000_NS6detail17trampoline_kernelINS0_14default_configENS1_38merge_sort_block_merge_config_selectorIiiEEZZNS1_27merge_sort_block_merge_implIS3_N6thrust23THRUST_200600_302600_NS6detail15normal_iteratorINS8_10device_ptrIiEEEESD_jNS1_19radix_merge_compareILb0ELb0EiNS0_19identity_decomposerEEEEE10hipError_tT0_T1_T2_jT3_P12ihipStream_tbPNSt15iterator_traitsISI_E10value_typeEPNSO_ISJ_E10value_typeEPSK_NS1_7vsmem_tEENKUlT_SI_SJ_SK_E_clISD_PiSD_S10_EESH_SX_SI_SJ_SK_EUlSX_E1_NS1_11comp_targetILNS1_3genE9ELNS1_11target_archE1100ELNS1_3gpuE3ELNS1_3repE0EEENS1_36merge_oddeven_config_static_selectorELNS0_4arch9wavefront6targetE1EEEvSJ_, .Lfunc_end754-_ZN7rocprim17ROCPRIM_400000_NS6detail17trampoline_kernelINS0_14default_configENS1_38merge_sort_block_merge_config_selectorIiiEEZZNS1_27merge_sort_block_merge_implIS3_N6thrust23THRUST_200600_302600_NS6detail15normal_iteratorINS8_10device_ptrIiEEEESD_jNS1_19radix_merge_compareILb0ELb0EiNS0_19identity_decomposerEEEEE10hipError_tT0_T1_T2_jT3_P12ihipStream_tbPNSt15iterator_traitsISI_E10value_typeEPNSO_ISJ_E10value_typeEPSK_NS1_7vsmem_tEENKUlT_SI_SJ_SK_E_clISD_PiSD_S10_EESH_SX_SI_SJ_SK_EUlSX_E1_NS1_11comp_targetILNS1_3genE9ELNS1_11target_archE1100ELNS1_3gpuE3ELNS1_3repE0EEENS1_36merge_oddeven_config_static_selectorELNS0_4arch9wavefront6targetE1EEEvSJ_
                                        ; -- End function
	.set _ZN7rocprim17ROCPRIM_400000_NS6detail17trampoline_kernelINS0_14default_configENS1_38merge_sort_block_merge_config_selectorIiiEEZZNS1_27merge_sort_block_merge_implIS3_N6thrust23THRUST_200600_302600_NS6detail15normal_iteratorINS8_10device_ptrIiEEEESD_jNS1_19radix_merge_compareILb0ELb0EiNS0_19identity_decomposerEEEEE10hipError_tT0_T1_T2_jT3_P12ihipStream_tbPNSt15iterator_traitsISI_E10value_typeEPNSO_ISJ_E10value_typeEPSK_NS1_7vsmem_tEENKUlT_SI_SJ_SK_E_clISD_PiSD_S10_EESH_SX_SI_SJ_SK_EUlSX_E1_NS1_11comp_targetILNS1_3genE9ELNS1_11target_archE1100ELNS1_3gpuE3ELNS1_3repE0EEENS1_36merge_oddeven_config_static_selectorELNS0_4arch9wavefront6targetE1EEEvSJ_.num_vgpr, 0
	.set _ZN7rocprim17ROCPRIM_400000_NS6detail17trampoline_kernelINS0_14default_configENS1_38merge_sort_block_merge_config_selectorIiiEEZZNS1_27merge_sort_block_merge_implIS3_N6thrust23THRUST_200600_302600_NS6detail15normal_iteratorINS8_10device_ptrIiEEEESD_jNS1_19radix_merge_compareILb0ELb0EiNS0_19identity_decomposerEEEEE10hipError_tT0_T1_T2_jT3_P12ihipStream_tbPNSt15iterator_traitsISI_E10value_typeEPNSO_ISJ_E10value_typeEPSK_NS1_7vsmem_tEENKUlT_SI_SJ_SK_E_clISD_PiSD_S10_EESH_SX_SI_SJ_SK_EUlSX_E1_NS1_11comp_targetILNS1_3genE9ELNS1_11target_archE1100ELNS1_3gpuE3ELNS1_3repE0EEENS1_36merge_oddeven_config_static_selectorELNS0_4arch9wavefront6targetE1EEEvSJ_.num_agpr, 0
	.set _ZN7rocprim17ROCPRIM_400000_NS6detail17trampoline_kernelINS0_14default_configENS1_38merge_sort_block_merge_config_selectorIiiEEZZNS1_27merge_sort_block_merge_implIS3_N6thrust23THRUST_200600_302600_NS6detail15normal_iteratorINS8_10device_ptrIiEEEESD_jNS1_19radix_merge_compareILb0ELb0EiNS0_19identity_decomposerEEEEE10hipError_tT0_T1_T2_jT3_P12ihipStream_tbPNSt15iterator_traitsISI_E10value_typeEPNSO_ISJ_E10value_typeEPSK_NS1_7vsmem_tEENKUlT_SI_SJ_SK_E_clISD_PiSD_S10_EESH_SX_SI_SJ_SK_EUlSX_E1_NS1_11comp_targetILNS1_3genE9ELNS1_11target_archE1100ELNS1_3gpuE3ELNS1_3repE0EEENS1_36merge_oddeven_config_static_selectorELNS0_4arch9wavefront6targetE1EEEvSJ_.numbered_sgpr, 0
	.set _ZN7rocprim17ROCPRIM_400000_NS6detail17trampoline_kernelINS0_14default_configENS1_38merge_sort_block_merge_config_selectorIiiEEZZNS1_27merge_sort_block_merge_implIS3_N6thrust23THRUST_200600_302600_NS6detail15normal_iteratorINS8_10device_ptrIiEEEESD_jNS1_19radix_merge_compareILb0ELb0EiNS0_19identity_decomposerEEEEE10hipError_tT0_T1_T2_jT3_P12ihipStream_tbPNSt15iterator_traitsISI_E10value_typeEPNSO_ISJ_E10value_typeEPSK_NS1_7vsmem_tEENKUlT_SI_SJ_SK_E_clISD_PiSD_S10_EESH_SX_SI_SJ_SK_EUlSX_E1_NS1_11comp_targetILNS1_3genE9ELNS1_11target_archE1100ELNS1_3gpuE3ELNS1_3repE0EEENS1_36merge_oddeven_config_static_selectorELNS0_4arch9wavefront6targetE1EEEvSJ_.num_named_barrier, 0
	.set _ZN7rocprim17ROCPRIM_400000_NS6detail17trampoline_kernelINS0_14default_configENS1_38merge_sort_block_merge_config_selectorIiiEEZZNS1_27merge_sort_block_merge_implIS3_N6thrust23THRUST_200600_302600_NS6detail15normal_iteratorINS8_10device_ptrIiEEEESD_jNS1_19radix_merge_compareILb0ELb0EiNS0_19identity_decomposerEEEEE10hipError_tT0_T1_T2_jT3_P12ihipStream_tbPNSt15iterator_traitsISI_E10value_typeEPNSO_ISJ_E10value_typeEPSK_NS1_7vsmem_tEENKUlT_SI_SJ_SK_E_clISD_PiSD_S10_EESH_SX_SI_SJ_SK_EUlSX_E1_NS1_11comp_targetILNS1_3genE9ELNS1_11target_archE1100ELNS1_3gpuE3ELNS1_3repE0EEENS1_36merge_oddeven_config_static_selectorELNS0_4arch9wavefront6targetE1EEEvSJ_.private_seg_size, 0
	.set _ZN7rocprim17ROCPRIM_400000_NS6detail17trampoline_kernelINS0_14default_configENS1_38merge_sort_block_merge_config_selectorIiiEEZZNS1_27merge_sort_block_merge_implIS3_N6thrust23THRUST_200600_302600_NS6detail15normal_iteratorINS8_10device_ptrIiEEEESD_jNS1_19radix_merge_compareILb0ELb0EiNS0_19identity_decomposerEEEEE10hipError_tT0_T1_T2_jT3_P12ihipStream_tbPNSt15iterator_traitsISI_E10value_typeEPNSO_ISJ_E10value_typeEPSK_NS1_7vsmem_tEENKUlT_SI_SJ_SK_E_clISD_PiSD_S10_EESH_SX_SI_SJ_SK_EUlSX_E1_NS1_11comp_targetILNS1_3genE9ELNS1_11target_archE1100ELNS1_3gpuE3ELNS1_3repE0EEENS1_36merge_oddeven_config_static_selectorELNS0_4arch9wavefront6targetE1EEEvSJ_.uses_vcc, 0
	.set _ZN7rocprim17ROCPRIM_400000_NS6detail17trampoline_kernelINS0_14default_configENS1_38merge_sort_block_merge_config_selectorIiiEEZZNS1_27merge_sort_block_merge_implIS3_N6thrust23THRUST_200600_302600_NS6detail15normal_iteratorINS8_10device_ptrIiEEEESD_jNS1_19radix_merge_compareILb0ELb0EiNS0_19identity_decomposerEEEEE10hipError_tT0_T1_T2_jT3_P12ihipStream_tbPNSt15iterator_traitsISI_E10value_typeEPNSO_ISJ_E10value_typeEPSK_NS1_7vsmem_tEENKUlT_SI_SJ_SK_E_clISD_PiSD_S10_EESH_SX_SI_SJ_SK_EUlSX_E1_NS1_11comp_targetILNS1_3genE9ELNS1_11target_archE1100ELNS1_3gpuE3ELNS1_3repE0EEENS1_36merge_oddeven_config_static_selectorELNS0_4arch9wavefront6targetE1EEEvSJ_.uses_flat_scratch, 0
	.set _ZN7rocprim17ROCPRIM_400000_NS6detail17trampoline_kernelINS0_14default_configENS1_38merge_sort_block_merge_config_selectorIiiEEZZNS1_27merge_sort_block_merge_implIS3_N6thrust23THRUST_200600_302600_NS6detail15normal_iteratorINS8_10device_ptrIiEEEESD_jNS1_19radix_merge_compareILb0ELb0EiNS0_19identity_decomposerEEEEE10hipError_tT0_T1_T2_jT3_P12ihipStream_tbPNSt15iterator_traitsISI_E10value_typeEPNSO_ISJ_E10value_typeEPSK_NS1_7vsmem_tEENKUlT_SI_SJ_SK_E_clISD_PiSD_S10_EESH_SX_SI_SJ_SK_EUlSX_E1_NS1_11comp_targetILNS1_3genE9ELNS1_11target_archE1100ELNS1_3gpuE3ELNS1_3repE0EEENS1_36merge_oddeven_config_static_selectorELNS0_4arch9wavefront6targetE1EEEvSJ_.has_dyn_sized_stack, 0
	.set _ZN7rocprim17ROCPRIM_400000_NS6detail17trampoline_kernelINS0_14default_configENS1_38merge_sort_block_merge_config_selectorIiiEEZZNS1_27merge_sort_block_merge_implIS3_N6thrust23THRUST_200600_302600_NS6detail15normal_iteratorINS8_10device_ptrIiEEEESD_jNS1_19radix_merge_compareILb0ELb0EiNS0_19identity_decomposerEEEEE10hipError_tT0_T1_T2_jT3_P12ihipStream_tbPNSt15iterator_traitsISI_E10value_typeEPNSO_ISJ_E10value_typeEPSK_NS1_7vsmem_tEENKUlT_SI_SJ_SK_E_clISD_PiSD_S10_EESH_SX_SI_SJ_SK_EUlSX_E1_NS1_11comp_targetILNS1_3genE9ELNS1_11target_archE1100ELNS1_3gpuE3ELNS1_3repE0EEENS1_36merge_oddeven_config_static_selectorELNS0_4arch9wavefront6targetE1EEEvSJ_.has_recursion, 0
	.set _ZN7rocprim17ROCPRIM_400000_NS6detail17trampoline_kernelINS0_14default_configENS1_38merge_sort_block_merge_config_selectorIiiEEZZNS1_27merge_sort_block_merge_implIS3_N6thrust23THRUST_200600_302600_NS6detail15normal_iteratorINS8_10device_ptrIiEEEESD_jNS1_19radix_merge_compareILb0ELb0EiNS0_19identity_decomposerEEEEE10hipError_tT0_T1_T2_jT3_P12ihipStream_tbPNSt15iterator_traitsISI_E10value_typeEPNSO_ISJ_E10value_typeEPSK_NS1_7vsmem_tEENKUlT_SI_SJ_SK_E_clISD_PiSD_S10_EESH_SX_SI_SJ_SK_EUlSX_E1_NS1_11comp_targetILNS1_3genE9ELNS1_11target_archE1100ELNS1_3gpuE3ELNS1_3repE0EEENS1_36merge_oddeven_config_static_selectorELNS0_4arch9wavefront6targetE1EEEvSJ_.has_indirect_call, 0
	.section	.AMDGPU.csdata,"",@progbits
; Kernel info:
; codeLenInByte = 0
; TotalNumSgprs: 6
; NumVgprs: 0
; NumAgprs: 0
; TotalNumVgprs: 0
; ScratchSize: 0
; MemoryBound: 0
; FloatMode: 240
; IeeeMode: 1
; LDSByteSize: 0 bytes/workgroup (compile time only)
; SGPRBlocks: 0
; VGPRBlocks: 0
; NumSGPRsForWavesPerEU: 6
; NumVGPRsForWavesPerEU: 1
; AccumOffset: 4
; Occupancy: 8
; WaveLimiterHint : 0
; COMPUTE_PGM_RSRC2:SCRATCH_EN: 0
; COMPUTE_PGM_RSRC2:USER_SGPR: 2
; COMPUTE_PGM_RSRC2:TRAP_HANDLER: 0
; COMPUTE_PGM_RSRC2:TGID_X_EN: 1
; COMPUTE_PGM_RSRC2:TGID_Y_EN: 0
; COMPUTE_PGM_RSRC2:TGID_Z_EN: 0
; COMPUTE_PGM_RSRC2:TIDIG_COMP_CNT: 0
; COMPUTE_PGM_RSRC3_GFX90A:ACCUM_OFFSET: 0
; COMPUTE_PGM_RSRC3_GFX90A:TG_SPLIT: 0
	.section	.text._ZN7rocprim17ROCPRIM_400000_NS6detail17trampoline_kernelINS0_14default_configENS1_38merge_sort_block_merge_config_selectorIiiEEZZNS1_27merge_sort_block_merge_implIS3_N6thrust23THRUST_200600_302600_NS6detail15normal_iteratorINS8_10device_ptrIiEEEESD_jNS1_19radix_merge_compareILb0ELb0EiNS0_19identity_decomposerEEEEE10hipError_tT0_T1_T2_jT3_P12ihipStream_tbPNSt15iterator_traitsISI_E10value_typeEPNSO_ISJ_E10value_typeEPSK_NS1_7vsmem_tEENKUlT_SI_SJ_SK_E_clISD_PiSD_S10_EESH_SX_SI_SJ_SK_EUlSX_E1_NS1_11comp_targetILNS1_3genE8ELNS1_11target_archE1030ELNS1_3gpuE2ELNS1_3repE0EEENS1_36merge_oddeven_config_static_selectorELNS0_4arch9wavefront6targetE1EEEvSJ_,"axG",@progbits,_ZN7rocprim17ROCPRIM_400000_NS6detail17trampoline_kernelINS0_14default_configENS1_38merge_sort_block_merge_config_selectorIiiEEZZNS1_27merge_sort_block_merge_implIS3_N6thrust23THRUST_200600_302600_NS6detail15normal_iteratorINS8_10device_ptrIiEEEESD_jNS1_19radix_merge_compareILb0ELb0EiNS0_19identity_decomposerEEEEE10hipError_tT0_T1_T2_jT3_P12ihipStream_tbPNSt15iterator_traitsISI_E10value_typeEPNSO_ISJ_E10value_typeEPSK_NS1_7vsmem_tEENKUlT_SI_SJ_SK_E_clISD_PiSD_S10_EESH_SX_SI_SJ_SK_EUlSX_E1_NS1_11comp_targetILNS1_3genE8ELNS1_11target_archE1030ELNS1_3gpuE2ELNS1_3repE0EEENS1_36merge_oddeven_config_static_selectorELNS0_4arch9wavefront6targetE1EEEvSJ_,comdat
	.protected	_ZN7rocprim17ROCPRIM_400000_NS6detail17trampoline_kernelINS0_14default_configENS1_38merge_sort_block_merge_config_selectorIiiEEZZNS1_27merge_sort_block_merge_implIS3_N6thrust23THRUST_200600_302600_NS6detail15normal_iteratorINS8_10device_ptrIiEEEESD_jNS1_19radix_merge_compareILb0ELb0EiNS0_19identity_decomposerEEEEE10hipError_tT0_T1_T2_jT3_P12ihipStream_tbPNSt15iterator_traitsISI_E10value_typeEPNSO_ISJ_E10value_typeEPSK_NS1_7vsmem_tEENKUlT_SI_SJ_SK_E_clISD_PiSD_S10_EESH_SX_SI_SJ_SK_EUlSX_E1_NS1_11comp_targetILNS1_3genE8ELNS1_11target_archE1030ELNS1_3gpuE2ELNS1_3repE0EEENS1_36merge_oddeven_config_static_selectorELNS0_4arch9wavefront6targetE1EEEvSJ_ ; -- Begin function _ZN7rocprim17ROCPRIM_400000_NS6detail17trampoline_kernelINS0_14default_configENS1_38merge_sort_block_merge_config_selectorIiiEEZZNS1_27merge_sort_block_merge_implIS3_N6thrust23THRUST_200600_302600_NS6detail15normal_iteratorINS8_10device_ptrIiEEEESD_jNS1_19radix_merge_compareILb0ELb0EiNS0_19identity_decomposerEEEEE10hipError_tT0_T1_T2_jT3_P12ihipStream_tbPNSt15iterator_traitsISI_E10value_typeEPNSO_ISJ_E10value_typeEPSK_NS1_7vsmem_tEENKUlT_SI_SJ_SK_E_clISD_PiSD_S10_EESH_SX_SI_SJ_SK_EUlSX_E1_NS1_11comp_targetILNS1_3genE8ELNS1_11target_archE1030ELNS1_3gpuE2ELNS1_3repE0EEENS1_36merge_oddeven_config_static_selectorELNS0_4arch9wavefront6targetE1EEEvSJ_
	.globl	_ZN7rocprim17ROCPRIM_400000_NS6detail17trampoline_kernelINS0_14default_configENS1_38merge_sort_block_merge_config_selectorIiiEEZZNS1_27merge_sort_block_merge_implIS3_N6thrust23THRUST_200600_302600_NS6detail15normal_iteratorINS8_10device_ptrIiEEEESD_jNS1_19radix_merge_compareILb0ELb0EiNS0_19identity_decomposerEEEEE10hipError_tT0_T1_T2_jT3_P12ihipStream_tbPNSt15iterator_traitsISI_E10value_typeEPNSO_ISJ_E10value_typeEPSK_NS1_7vsmem_tEENKUlT_SI_SJ_SK_E_clISD_PiSD_S10_EESH_SX_SI_SJ_SK_EUlSX_E1_NS1_11comp_targetILNS1_3genE8ELNS1_11target_archE1030ELNS1_3gpuE2ELNS1_3repE0EEENS1_36merge_oddeven_config_static_selectorELNS0_4arch9wavefront6targetE1EEEvSJ_
	.p2align	8
	.type	_ZN7rocprim17ROCPRIM_400000_NS6detail17trampoline_kernelINS0_14default_configENS1_38merge_sort_block_merge_config_selectorIiiEEZZNS1_27merge_sort_block_merge_implIS3_N6thrust23THRUST_200600_302600_NS6detail15normal_iteratorINS8_10device_ptrIiEEEESD_jNS1_19radix_merge_compareILb0ELb0EiNS0_19identity_decomposerEEEEE10hipError_tT0_T1_T2_jT3_P12ihipStream_tbPNSt15iterator_traitsISI_E10value_typeEPNSO_ISJ_E10value_typeEPSK_NS1_7vsmem_tEENKUlT_SI_SJ_SK_E_clISD_PiSD_S10_EESH_SX_SI_SJ_SK_EUlSX_E1_NS1_11comp_targetILNS1_3genE8ELNS1_11target_archE1030ELNS1_3gpuE2ELNS1_3repE0EEENS1_36merge_oddeven_config_static_selectorELNS0_4arch9wavefront6targetE1EEEvSJ_,@function
_ZN7rocprim17ROCPRIM_400000_NS6detail17trampoline_kernelINS0_14default_configENS1_38merge_sort_block_merge_config_selectorIiiEEZZNS1_27merge_sort_block_merge_implIS3_N6thrust23THRUST_200600_302600_NS6detail15normal_iteratorINS8_10device_ptrIiEEEESD_jNS1_19radix_merge_compareILb0ELb0EiNS0_19identity_decomposerEEEEE10hipError_tT0_T1_T2_jT3_P12ihipStream_tbPNSt15iterator_traitsISI_E10value_typeEPNSO_ISJ_E10value_typeEPSK_NS1_7vsmem_tEENKUlT_SI_SJ_SK_E_clISD_PiSD_S10_EESH_SX_SI_SJ_SK_EUlSX_E1_NS1_11comp_targetILNS1_3genE8ELNS1_11target_archE1030ELNS1_3gpuE2ELNS1_3repE0EEENS1_36merge_oddeven_config_static_selectorELNS0_4arch9wavefront6targetE1EEEvSJ_: ; @_ZN7rocprim17ROCPRIM_400000_NS6detail17trampoline_kernelINS0_14default_configENS1_38merge_sort_block_merge_config_selectorIiiEEZZNS1_27merge_sort_block_merge_implIS3_N6thrust23THRUST_200600_302600_NS6detail15normal_iteratorINS8_10device_ptrIiEEEESD_jNS1_19radix_merge_compareILb0ELb0EiNS0_19identity_decomposerEEEEE10hipError_tT0_T1_T2_jT3_P12ihipStream_tbPNSt15iterator_traitsISI_E10value_typeEPNSO_ISJ_E10value_typeEPSK_NS1_7vsmem_tEENKUlT_SI_SJ_SK_E_clISD_PiSD_S10_EESH_SX_SI_SJ_SK_EUlSX_E1_NS1_11comp_targetILNS1_3genE8ELNS1_11target_archE1030ELNS1_3gpuE2ELNS1_3repE0EEENS1_36merge_oddeven_config_static_selectorELNS0_4arch9wavefront6targetE1EEEvSJ_
; %bb.0:
	.section	.rodata,"a",@progbits
	.p2align	6, 0x0
	.amdhsa_kernel _ZN7rocprim17ROCPRIM_400000_NS6detail17trampoline_kernelINS0_14default_configENS1_38merge_sort_block_merge_config_selectorIiiEEZZNS1_27merge_sort_block_merge_implIS3_N6thrust23THRUST_200600_302600_NS6detail15normal_iteratorINS8_10device_ptrIiEEEESD_jNS1_19radix_merge_compareILb0ELb0EiNS0_19identity_decomposerEEEEE10hipError_tT0_T1_T2_jT3_P12ihipStream_tbPNSt15iterator_traitsISI_E10value_typeEPNSO_ISJ_E10value_typeEPSK_NS1_7vsmem_tEENKUlT_SI_SJ_SK_E_clISD_PiSD_S10_EESH_SX_SI_SJ_SK_EUlSX_E1_NS1_11comp_targetILNS1_3genE8ELNS1_11target_archE1030ELNS1_3gpuE2ELNS1_3repE0EEENS1_36merge_oddeven_config_static_selectorELNS0_4arch9wavefront6targetE1EEEvSJ_
		.amdhsa_group_segment_fixed_size 0
		.amdhsa_private_segment_fixed_size 0
		.amdhsa_kernarg_size 48
		.amdhsa_user_sgpr_count 2
		.amdhsa_user_sgpr_dispatch_ptr 0
		.amdhsa_user_sgpr_queue_ptr 0
		.amdhsa_user_sgpr_kernarg_segment_ptr 1
		.amdhsa_user_sgpr_dispatch_id 0
		.amdhsa_user_sgpr_kernarg_preload_length 0
		.amdhsa_user_sgpr_kernarg_preload_offset 0
		.amdhsa_user_sgpr_private_segment_size 0
		.amdhsa_uses_dynamic_stack 0
		.amdhsa_enable_private_segment 0
		.amdhsa_system_sgpr_workgroup_id_x 1
		.amdhsa_system_sgpr_workgroup_id_y 0
		.amdhsa_system_sgpr_workgroup_id_z 0
		.amdhsa_system_sgpr_workgroup_info 0
		.amdhsa_system_vgpr_workitem_id 0
		.amdhsa_next_free_vgpr 1
		.amdhsa_next_free_sgpr 0
		.amdhsa_accum_offset 4
		.amdhsa_reserve_vcc 0
		.amdhsa_float_round_mode_32 0
		.amdhsa_float_round_mode_16_64 0
		.amdhsa_float_denorm_mode_32 3
		.amdhsa_float_denorm_mode_16_64 3
		.amdhsa_dx10_clamp 1
		.amdhsa_ieee_mode 1
		.amdhsa_fp16_overflow 0
		.amdhsa_tg_split 0
		.amdhsa_exception_fp_ieee_invalid_op 0
		.amdhsa_exception_fp_denorm_src 0
		.amdhsa_exception_fp_ieee_div_zero 0
		.amdhsa_exception_fp_ieee_overflow 0
		.amdhsa_exception_fp_ieee_underflow 0
		.amdhsa_exception_fp_ieee_inexact 0
		.amdhsa_exception_int_div_zero 0
	.end_amdhsa_kernel
	.section	.text._ZN7rocprim17ROCPRIM_400000_NS6detail17trampoline_kernelINS0_14default_configENS1_38merge_sort_block_merge_config_selectorIiiEEZZNS1_27merge_sort_block_merge_implIS3_N6thrust23THRUST_200600_302600_NS6detail15normal_iteratorINS8_10device_ptrIiEEEESD_jNS1_19radix_merge_compareILb0ELb0EiNS0_19identity_decomposerEEEEE10hipError_tT0_T1_T2_jT3_P12ihipStream_tbPNSt15iterator_traitsISI_E10value_typeEPNSO_ISJ_E10value_typeEPSK_NS1_7vsmem_tEENKUlT_SI_SJ_SK_E_clISD_PiSD_S10_EESH_SX_SI_SJ_SK_EUlSX_E1_NS1_11comp_targetILNS1_3genE8ELNS1_11target_archE1030ELNS1_3gpuE2ELNS1_3repE0EEENS1_36merge_oddeven_config_static_selectorELNS0_4arch9wavefront6targetE1EEEvSJ_,"axG",@progbits,_ZN7rocprim17ROCPRIM_400000_NS6detail17trampoline_kernelINS0_14default_configENS1_38merge_sort_block_merge_config_selectorIiiEEZZNS1_27merge_sort_block_merge_implIS3_N6thrust23THRUST_200600_302600_NS6detail15normal_iteratorINS8_10device_ptrIiEEEESD_jNS1_19radix_merge_compareILb0ELb0EiNS0_19identity_decomposerEEEEE10hipError_tT0_T1_T2_jT3_P12ihipStream_tbPNSt15iterator_traitsISI_E10value_typeEPNSO_ISJ_E10value_typeEPSK_NS1_7vsmem_tEENKUlT_SI_SJ_SK_E_clISD_PiSD_S10_EESH_SX_SI_SJ_SK_EUlSX_E1_NS1_11comp_targetILNS1_3genE8ELNS1_11target_archE1030ELNS1_3gpuE2ELNS1_3repE0EEENS1_36merge_oddeven_config_static_selectorELNS0_4arch9wavefront6targetE1EEEvSJ_,comdat
.Lfunc_end755:
	.size	_ZN7rocprim17ROCPRIM_400000_NS6detail17trampoline_kernelINS0_14default_configENS1_38merge_sort_block_merge_config_selectorIiiEEZZNS1_27merge_sort_block_merge_implIS3_N6thrust23THRUST_200600_302600_NS6detail15normal_iteratorINS8_10device_ptrIiEEEESD_jNS1_19radix_merge_compareILb0ELb0EiNS0_19identity_decomposerEEEEE10hipError_tT0_T1_T2_jT3_P12ihipStream_tbPNSt15iterator_traitsISI_E10value_typeEPNSO_ISJ_E10value_typeEPSK_NS1_7vsmem_tEENKUlT_SI_SJ_SK_E_clISD_PiSD_S10_EESH_SX_SI_SJ_SK_EUlSX_E1_NS1_11comp_targetILNS1_3genE8ELNS1_11target_archE1030ELNS1_3gpuE2ELNS1_3repE0EEENS1_36merge_oddeven_config_static_selectorELNS0_4arch9wavefront6targetE1EEEvSJ_, .Lfunc_end755-_ZN7rocprim17ROCPRIM_400000_NS6detail17trampoline_kernelINS0_14default_configENS1_38merge_sort_block_merge_config_selectorIiiEEZZNS1_27merge_sort_block_merge_implIS3_N6thrust23THRUST_200600_302600_NS6detail15normal_iteratorINS8_10device_ptrIiEEEESD_jNS1_19radix_merge_compareILb0ELb0EiNS0_19identity_decomposerEEEEE10hipError_tT0_T1_T2_jT3_P12ihipStream_tbPNSt15iterator_traitsISI_E10value_typeEPNSO_ISJ_E10value_typeEPSK_NS1_7vsmem_tEENKUlT_SI_SJ_SK_E_clISD_PiSD_S10_EESH_SX_SI_SJ_SK_EUlSX_E1_NS1_11comp_targetILNS1_3genE8ELNS1_11target_archE1030ELNS1_3gpuE2ELNS1_3repE0EEENS1_36merge_oddeven_config_static_selectorELNS0_4arch9wavefront6targetE1EEEvSJ_
                                        ; -- End function
	.set _ZN7rocprim17ROCPRIM_400000_NS6detail17trampoline_kernelINS0_14default_configENS1_38merge_sort_block_merge_config_selectorIiiEEZZNS1_27merge_sort_block_merge_implIS3_N6thrust23THRUST_200600_302600_NS6detail15normal_iteratorINS8_10device_ptrIiEEEESD_jNS1_19radix_merge_compareILb0ELb0EiNS0_19identity_decomposerEEEEE10hipError_tT0_T1_T2_jT3_P12ihipStream_tbPNSt15iterator_traitsISI_E10value_typeEPNSO_ISJ_E10value_typeEPSK_NS1_7vsmem_tEENKUlT_SI_SJ_SK_E_clISD_PiSD_S10_EESH_SX_SI_SJ_SK_EUlSX_E1_NS1_11comp_targetILNS1_3genE8ELNS1_11target_archE1030ELNS1_3gpuE2ELNS1_3repE0EEENS1_36merge_oddeven_config_static_selectorELNS0_4arch9wavefront6targetE1EEEvSJ_.num_vgpr, 0
	.set _ZN7rocprim17ROCPRIM_400000_NS6detail17trampoline_kernelINS0_14default_configENS1_38merge_sort_block_merge_config_selectorIiiEEZZNS1_27merge_sort_block_merge_implIS3_N6thrust23THRUST_200600_302600_NS6detail15normal_iteratorINS8_10device_ptrIiEEEESD_jNS1_19radix_merge_compareILb0ELb0EiNS0_19identity_decomposerEEEEE10hipError_tT0_T1_T2_jT3_P12ihipStream_tbPNSt15iterator_traitsISI_E10value_typeEPNSO_ISJ_E10value_typeEPSK_NS1_7vsmem_tEENKUlT_SI_SJ_SK_E_clISD_PiSD_S10_EESH_SX_SI_SJ_SK_EUlSX_E1_NS1_11comp_targetILNS1_3genE8ELNS1_11target_archE1030ELNS1_3gpuE2ELNS1_3repE0EEENS1_36merge_oddeven_config_static_selectorELNS0_4arch9wavefront6targetE1EEEvSJ_.num_agpr, 0
	.set _ZN7rocprim17ROCPRIM_400000_NS6detail17trampoline_kernelINS0_14default_configENS1_38merge_sort_block_merge_config_selectorIiiEEZZNS1_27merge_sort_block_merge_implIS3_N6thrust23THRUST_200600_302600_NS6detail15normal_iteratorINS8_10device_ptrIiEEEESD_jNS1_19radix_merge_compareILb0ELb0EiNS0_19identity_decomposerEEEEE10hipError_tT0_T1_T2_jT3_P12ihipStream_tbPNSt15iterator_traitsISI_E10value_typeEPNSO_ISJ_E10value_typeEPSK_NS1_7vsmem_tEENKUlT_SI_SJ_SK_E_clISD_PiSD_S10_EESH_SX_SI_SJ_SK_EUlSX_E1_NS1_11comp_targetILNS1_3genE8ELNS1_11target_archE1030ELNS1_3gpuE2ELNS1_3repE0EEENS1_36merge_oddeven_config_static_selectorELNS0_4arch9wavefront6targetE1EEEvSJ_.numbered_sgpr, 0
	.set _ZN7rocprim17ROCPRIM_400000_NS6detail17trampoline_kernelINS0_14default_configENS1_38merge_sort_block_merge_config_selectorIiiEEZZNS1_27merge_sort_block_merge_implIS3_N6thrust23THRUST_200600_302600_NS6detail15normal_iteratorINS8_10device_ptrIiEEEESD_jNS1_19radix_merge_compareILb0ELb0EiNS0_19identity_decomposerEEEEE10hipError_tT0_T1_T2_jT3_P12ihipStream_tbPNSt15iterator_traitsISI_E10value_typeEPNSO_ISJ_E10value_typeEPSK_NS1_7vsmem_tEENKUlT_SI_SJ_SK_E_clISD_PiSD_S10_EESH_SX_SI_SJ_SK_EUlSX_E1_NS1_11comp_targetILNS1_3genE8ELNS1_11target_archE1030ELNS1_3gpuE2ELNS1_3repE0EEENS1_36merge_oddeven_config_static_selectorELNS0_4arch9wavefront6targetE1EEEvSJ_.num_named_barrier, 0
	.set _ZN7rocprim17ROCPRIM_400000_NS6detail17trampoline_kernelINS0_14default_configENS1_38merge_sort_block_merge_config_selectorIiiEEZZNS1_27merge_sort_block_merge_implIS3_N6thrust23THRUST_200600_302600_NS6detail15normal_iteratorINS8_10device_ptrIiEEEESD_jNS1_19radix_merge_compareILb0ELb0EiNS0_19identity_decomposerEEEEE10hipError_tT0_T1_T2_jT3_P12ihipStream_tbPNSt15iterator_traitsISI_E10value_typeEPNSO_ISJ_E10value_typeEPSK_NS1_7vsmem_tEENKUlT_SI_SJ_SK_E_clISD_PiSD_S10_EESH_SX_SI_SJ_SK_EUlSX_E1_NS1_11comp_targetILNS1_3genE8ELNS1_11target_archE1030ELNS1_3gpuE2ELNS1_3repE0EEENS1_36merge_oddeven_config_static_selectorELNS0_4arch9wavefront6targetE1EEEvSJ_.private_seg_size, 0
	.set _ZN7rocprim17ROCPRIM_400000_NS6detail17trampoline_kernelINS0_14default_configENS1_38merge_sort_block_merge_config_selectorIiiEEZZNS1_27merge_sort_block_merge_implIS3_N6thrust23THRUST_200600_302600_NS6detail15normal_iteratorINS8_10device_ptrIiEEEESD_jNS1_19radix_merge_compareILb0ELb0EiNS0_19identity_decomposerEEEEE10hipError_tT0_T1_T2_jT3_P12ihipStream_tbPNSt15iterator_traitsISI_E10value_typeEPNSO_ISJ_E10value_typeEPSK_NS1_7vsmem_tEENKUlT_SI_SJ_SK_E_clISD_PiSD_S10_EESH_SX_SI_SJ_SK_EUlSX_E1_NS1_11comp_targetILNS1_3genE8ELNS1_11target_archE1030ELNS1_3gpuE2ELNS1_3repE0EEENS1_36merge_oddeven_config_static_selectorELNS0_4arch9wavefront6targetE1EEEvSJ_.uses_vcc, 0
	.set _ZN7rocprim17ROCPRIM_400000_NS6detail17trampoline_kernelINS0_14default_configENS1_38merge_sort_block_merge_config_selectorIiiEEZZNS1_27merge_sort_block_merge_implIS3_N6thrust23THRUST_200600_302600_NS6detail15normal_iteratorINS8_10device_ptrIiEEEESD_jNS1_19radix_merge_compareILb0ELb0EiNS0_19identity_decomposerEEEEE10hipError_tT0_T1_T2_jT3_P12ihipStream_tbPNSt15iterator_traitsISI_E10value_typeEPNSO_ISJ_E10value_typeEPSK_NS1_7vsmem_tEENKUlT_SI_SJ_SK_E_clISD_PiSD_S10_EESH_SX_SI_SJ_SK_EUlSX_E1_NS1_11comp_targetILNS1_3genE8ELNS1_11target_archE1030ELNS1_3gpuE2ELNS1_3repE0EEENS1_36merge_oddeven_config_static_selectorELNS0_4arch9wavefront6targetE1EEEvSJ_.uses_flat_scratch, 0
	.set _ZN7rocprim17ROCPRIM_400000_NS6detail17trampoline_kernelINS0_14default_configENS1_38merge_sort_block_merge_config_selectorIiiEEZZNS1_27merge_sort_block_merge_implIS3_N6thrust23THRUST_200600_302600_NS6detail15normal_iteratorINS8_10device_ptrIiEEEESD_jNS1_19radix_merge_compareILb0ELb0EiNS0_19identity_decomposerEEEEE10hipError_tT0_T1_T2_jT3_P12ihipStream_tbPNSt15iterator_traitsISI_E10value_typeEPNSO_ISJ_E10value_typeEPSK_NS1_7vsmem_tEENKUlT_SI_SJ_SK_E_clISD_PiSD_S10_EESH_SX_SI_SJ_SK_EUlSX_E1_NS1_11comp_targetILNS1_3genE8ELNS1_11target_archE1030ELNS1_3gpuE2ELNS1_3repE0EEENS1_36merge_oddeven_config_static_selectorELNS0_4arch9wavefront6targetE1EEEvSJ_.has_dyn_sized_stack, 0
	.set _ZN7rocprim17ROCPRIM_400000_NS6detail17trampoline_kernelINS0_14default_configENS1_38merge_sort_block_merge_config_selectorIiiEEZZNS1_27merge_sort_block_merge_implIS3_N6thrust23THRUST_200600_302600_NS6detail15normal_iteratorINS8_10device_ptrIiEEEESD_jNS1_19radix_merge_compareILb0ELb0EiNS0_19identity_decomposerEEEEE10hipError_tT0_T1_T2_jT3_P12ihipStream_tbPNSt15iterator_traitsISI_E10value_typeEPNSO_ISJ_E10value_typeEPSK_NS1_7vsmem_tEENKUlT_SI_SJ_SK_E_clISD_PiSD_S10_EESH_SX_SI_SJ_SK_EUlSX_E1_NS1_11comp_targetILNS1_3genE8ELNS1_11target_archE1030ELNS1_3gpuE2ELNS1_3repE0EEENS1_36merge_oddeven_config_static_selectorELNS0_4arch9wavefront6targetE1EEEvSJ_.has_recursion, 0
	.set _ZN7rocprim17ROCPRIM_400000_NS6detail17trampoline_kernelINS0_14default_configENS1_38merge_sort_block_merge_config_selectorIiiEEZZNS1_27merge_sort_block_merge_implIS3_N6thrust23THRUST_200600_302600_NS6detail15normal_iteratorINS8_10device_ptrIiEEEESD_jNS1_19radix_merge_compareILb0ELb0EiNS0_19identity_decomposerEEEEE10hipError_tT0_T1_T2_jT3_P12ihipStream_tbPNSt15iterator_traitsISI_E10value_typeEPNSO_ISJ_E10value_typeEPSK_NS1_7vsmem_tEENKUlT_SI_SJ_SK_E_clISD_PiSD_S10_EESH_SX_SI_SJ_SK_EUlSX_E1_NS1_11comp_targetILNS1_3genE8ELNS1_11target_archE1030ELNS1_3gpuE2ELNS1_3repE0EEENS1_36merge_oddeven_config_static_selectorELNS0_4arch9wavefront6targetE1EEEvSJ_.has_indirect_call, 0
	.section	.AMDGPU.csdata,"",@progbits
; Kernel info:
; codeLenInByte = 0
; TotalNumSgprs: 6
; NumVgprs: 0
; NumAgprs: 0
; TotalNumVgprs: 0
; ScratchSize: 0
; MemoryBound: 0
; FloatMode: 240
; IeeeMode: 1
; LDSByteSize: 0 bytes/workgroup (compile time only)
; SGPRBlocks: 0
; VGPRBlocks: 0
; NumSGPRsForWavesPerEU: 6
; NumVGPRsForWavesPerEU: 1
; AccumOffset: 4
; Occupancy: 8
; WaveLimiterHint : 0
; COMPUTE_PGM_RSRC2:SCRATCH_EN: 0
; COMPUTE_PGM_RSRC2:USER_SGPR: 2
; COMPUTE_PGM_RSRC2:TRAP_HANDLER: 0
; COMPUTE_PGM_RSRC2:TGID_X_EN: 1
; COMPUTE_PGM_RSRC2:TGID_Y_EN: 0
; COMPUTE_PGM_RSRC2:TGID_Z_EN: 0
; COMPUTE_PGM_RSRC2:TIDIG_COMP_CNT: 0
; COMPUTE_PGM_RSRC3_GFX90A:ACCUM_OFFSET: 0
; COMPUTE_PGM_RSRC3_GFX90A:TG_SPLIT: 0
	.section	.text._ZN7rocprim17ROCPRIM_400000_NS6detail17trampoline_kernelINS0_14default_configENS1_38merge_sort_block_merge_config_selectorIiiEEZZNS1_27merge_sort_block_merge_implIS3_N6thrust23THRUST_200600_302600_NS6detail15normal_iteratorINS8_10device_ptrIiEEEESD_jNS1_19radix_merge_compareILb0ELb1EiNS0_19identity_decomposerEEEEE10hipError_tT0_T1_T2_jT3_P12ihipStream_tbPNSt15iterator_traitsISI_E10value_typeEPNSO_ISJ_E10value_typeEPSK_NS1_7vsmem_tEENKUlT_SI_SJ_SK_E_clIPiSD_S10_SD_EESH_SX_SI_SJ_SK_EUlSX_E_NS1_11comp_targetILNS1_3genE0ELNS1_11target_archE4294967295ELNS1_3gpuE0ELNS1_3repE0EEENS1_48merge_mergepath_partition_config_static_selectorELNS0_4arch9wavefront6targetE1EEEvSJ_,"axG",@progbits,_ZN7rocprim17ROCPRIM_400000_NS6detail17trampoline_kernelINS0_14default_configENS1_38merge_sort_block_merge_config_selectorIiiEEZZNS1_27merge_sort_block_merge_implIS3_N6thrust23THRUST_200600_302600_NS6detail15normal_iteratorINS8_10device_ptrIiEEEESD_jNS1_19radix_merge_compareILb0ELb1EiNS0_19identity_decomposerEEEEE10hipError_tT0_T1_T2_jT3_P12ihipStream_tbPNSt15iterator_traitsISI_E10value_typeEPNSO_ISJ_E10value_typeEPSK_NS1_7vsmem_tEENKUlT_SI_SJ_SK_E_clIPiSD_S10_SD_EESH_SX_SI_SJ_SK_EUlSX_E_NS1_11comp_targetILNS1_3genE0ELNS1_11target_archE4294967295ELNS1_3gpuE0ELNS1_3repE0EEENS1_48merge_mergepath_partition_config_static_selectorELNS0_4arch9wavefront6targetE1EEEvSJ_,comdat
	.protected	_ZN7rocprim17ROCPRIM_400000_NS6detail17trampoline_kernelINS0_14default_configENS1_38merge_sort_block_merge_config_selectorIiiEEZZNS1_27merge_sort_block_merge_implIS3_N6thrust23THRUST_200600_302600_NS6detail15normal_iteratorINS8_10device_ptrIiEEEESD_jNS1_19radix_merge_compareILb0ELb1EiNS0_19identity_decomposerEEEEE10hipError_tT0_T1_T2_jT3_P12ihipStream_tbPNSt15iterator_traitsISI_E10value_typeEPNSO_ISJ_E10value_typeEPSK_NS1_7vsmem_tEENKUlT_SI_SJ_SK_E_clIPiSD_S10_SD_EESH_SX_SI_SJ_SK_EUlSX_E_NS1_11comp_targetILNS1_3genE0ELNS1_11target_archE4294967295ELNS1_3gpuE0ELNS1_3repE0EEENS1_48merge_mergepath_partition_config_static_selectorELNS0_4arch9wavefront6targetE1EEEvSJ_ ; -- Begin function _ZN7rocprim17ROCPRIM_400000_NS6detail17trampoline_kernelINS0_14default_configENS1_38merge_sort_block_merge_config_selectorIiiEEZZNS1_27merge_sort_block_merge_implIS3_N6thrust23THRUST_200600_302600_NS6detail15normal_iteratorINS8_10device_ptrIiEEEESD_jNS1_19radix_merge_compareILb0ELb1EiNS0_19identity_decomposerEEEEE10hipError_tT0_T1_T2_jT3_P12ihipStream_tbPNSt15iterator_traitsISI_E10value_typeEPNSO_ISJ_E10value_typeEPSK_NS1_7vsmem_tEENKUlT_SI_SJ_SK_E_clIPiSD_S10_SD_EESH_SX_SI_SJ_SK_EUlSX_E_NS1_11comp_targetILNS1_3genE0ELNS1_11target_archE4294967295ELNS1_3gpuE0ELNS1_3repE0EEENS1_48merge_mergepath_partition_config_static_selectorELNS0_4arch9wavefront6targetE1EEEvSJ_
	.globl	_ZN7rocprim17ROCPRIM_400000_NS6detail17trampoline_kernelINS0_14default_configENS1_38merge_sort_block_merge_config_selectorIiiEEZZNS1_27merge_sort_block_merge_implIS3_N6thrust23THRUST_200600_302600_NS6detail15normal_iteratorINS8_10device_ptrIiEEEESD_jNS1_19radix_merge_compareILb0ELb1EiNS0_19identity_decomposerEEEEE10hipError_tT0_T1_T2_jT3_P12ihipStream_tbPNSt15iterator_traitsISI_E10value_typeEPNSO_ISJ_E10value_typeEPSK_NS1_7vsmem_tEENKUlT_SI_SJ_SK_E_clIPiSD_S10_SD_EESH_SX_SI_SJ_SK_EUlSX_E_NS1_11comp_targetILNS1_3genE0ELNS1_11target_archE4294967295ELNS1_3gpuE0ELNS1_3repE0EEENS1_48merge_mergepath_partition_config_static_selectorELNS0_4arch9wavefront6targetE1EEEvSJ_
	.p2align	8
	.type	_ZN7rocprim17ROCPRIM_400000_NS6detail17trampoline_kernelINS0_14default_configENS1_38merge_sort_block_merge_config_selectorIiiEEZZNS1_27merge_sort_block_merge_implIS3_N6thrust23THRUST_200600_302600_NS6detail15normal_iteratorINS8_10device_ptrIiEEEESD_jNS1_19radix_merge_compareILb0ELb1EiNS0_19identity_decomposerEEEEE10hipError_tT0_T1_T2_jT3_P12ihipStream_tbPNSt15iterator_traitsISI_E10value_typeEPNSO_ISJ_E10value_typeEPSK_NS1_7vsmem_tEENKUlT_SI_SJ_SK_E_clIPiSD_S10_SD_EESH_SX_SI_SJ_SK_EUlSX_E_NS1_11comp_targetILNS1_3genE0ELNS1_11target_archE4294967295ELNS1_3gpuE0ELNS1_3repE0EEENS1_48merge_mergepath_partition_config_static_selectorELNS0_4arch9wavefront6targetE1EEEvSJ_,@function
_ZN7rocprim17ROCPRIM_400000_NS6detail17trampoline_kernelINS0_14default_configENS1_38merge_sort_block_merge_config_selectorIiiEEZZNS1_27merge_sort_block_merge_implIS3_N6thrust23THRUST_200600_302600_NS6detail15normal_iteratorINS8_10device_ptrIiEEEESD_jNS1_19radix_merge_compareILb0ELb1EiNS0_19identity_decomposerEEEEE10hipError_tT0_T1_T2_jT3_P12ihipStream_tbPNSt15iterator_traitsISI_E10value_typeEPNSO_ISJ_E10value_typeEPSK_NS1_7vsmem_tEENKUlT_SI_SJ_SK_E_clIPiSD_S10_SD_EESH_SX_SI_SJ_SK_EUlSX_E_NS1_11comp_targetILNS1_3genE0ELNS1_11target_archE4294967295ELNS1_3gpuE0ELNS1_3repE0EEENS1_48merge_mergepath_partition_config_static_selectorELNS0_4arch9wavefront6targetE1EEEvSJ_: ; @_ZN7rocprim17ROCPRIM_400000_NS6detail17trampoline_kernelINS0_14default_configENS1_38merge_sort_block_merge_config_selectorIiiEEZZNS1_27merge_sort_block_merge_implIS3_N6thrust23THRUST_200600_302600_NS6detail15normal_iteratorINS8_10device_ptrIiEEEESD_jNS1_19radix_merge_compareILb0ELb1EiNS0_19identity_decomposerEEEEE10hipError_tT0_T1_T2_jT3_P12ihipStream_tbPNSt15iterator_traitsISI_E10value_typeEPNSO_ISJ_E10value_typeEPSK_NS1_7vsmem_tEENKUlT_SI_SJ_SK_E_clIPiSD_S10_SD_EESH_SX_SI_SJ_SK_EUlSX_E_NS1_11comp_targetILNS1_3genE0ELNS1_11target_archE4294967295ELNS1_3gpuE0ELNS1_3repE0EEENS1_48merge_mergepath_partition_config_static_selectorELNS0_4arch9wavefront6targetE1EEEvSJ_
; %bb.0:
	s_load_dword s3, s[0:1], 0x0
	v_lshl_or_b32 v0, s2, 7, v0
	s_waitcnt lgkmcnt(0)
	v_cmp_gt_u32_e32 vcc, s3, v0
	s_and_saveexec_b64 s[2:3], vcc
	s_cbranch_execz .LBB756_6
; %bb.1:
	s_load_dwordx2 s[4:5], s[0:1], 0x4
	s_load_dwordx2 s[2:3], s[0:1], 0x20
	s_waitcnt lgkmcnt(0)
	s_lshr_b32 s6, s4, 9
	s_and_b32 s6, s6, 0x7ffffe
	s_add_i32 s7, s6, -1
	s_sub_i32 s6, 0, s6
	v_and_b32_e32 v1, s6, v0
	v_lshlrev_b32_e32 v1, 10, v1
	v_min_u32_e32 v2, s5, v1
	v_add_u32_e32 v1, s4, v1
	v_min_u32_e32 v4, s5, v1
	v_add_u32_e32 v1, s4, v4
	v_and_b32_e32 v3, s7, v0
	v_min_u32_e32 v1, s5, v1
	v_sub_u32_e32 v5, v1, v2
	v_lshlrev_b32_e32 v3, 10, v3
	v_min_u32_e32 v10, v5, v3
	v_sub_u32_e32 v3, v4, v2
	v_sub_u32_e32 v1, v1, v4
	v_sub_u32_e64 v1, v10, v1 clamp
	v_min_u32_e32 v11, v10, v3
	v_cmp_lt_u32_e32 vcc, v1, v11
	s_and_saveexec_b64 s[4:5], vcc
	s_cbranch_execz .LBB756_5
; %bb.2:
	s_load_dwordx2 s[8:9], s[0:1], 0x10
	s_load_dword s6, s[0:1], 0x18
	v_mov_b32_e32 v5, 0
	v_mov_b32_e32 v3, v5
	s_mov_b64 s[0:1], 0
	s_waitcnt lgkmcnt(0)
	v_lshl_add_u64 v[6:7], v[2:3], 2, s[8:9]
	v_lshl_add_u64 v[8:9], v[4:5], 2, s[8:9]
.LBB756_3:                              ; =>This Inner Loop Header: Depth=1
	v_add_u32_e32 v3, v11, v1
	v_lshrrev_b32_e32 v4, 1, v3
	v_mov_b32_e32 v13, v5
	v_xad_u32 v12, v4, -1, v10
	v_lshl_add_u64 v[14:15], v[4:5], 2, v[6:7]
	v_lshl_add_u64 v[12:13], v[12:13], 2, v[8:9]
	global_load_dword v3, v[14:15], off
	global_load_dword v16, v[12:13], off
	v_add_u32_e32 v12, 1, v4
	s_waitcnt vmcnt(1)
	v_and_b32_e32 v3, s6, v3
	s_waitcnt vmcnt(0)
	v_and_b32_e32 v13, s6, v16
	v_cmp_gt_i32_e32 vcc, v3, v13
	s_nop 1
	v_cndmask_b32_e32 v11, v11, v4, vcc
	v_cndmask_b32_e32 v1, v12, v1, vcc
	v_cmp_ge_u32_e32 vcc, v1, v11
	s_or_b64 s[0:1], vcc, s[0:1]
	s_andn2_b64 exec, exec, s[0:1]
	s_cbranch_execnz .LBB756_3
; %bb.4:
	s_or_b64 exec, exec, s[0:1]
.LBB756_5:
	s_or_b64 exec, exec, s[4:5]
	v_add_u32_e32 v2, v1, v2
	v_mov_b32_e32 v1, 0
	v_lshl_add_u64 v[0:1], v[0:1], 2, s[2:3]
	global_store_dword v[0:1], v2, off
.LBB756_6:
	s_endpgm
	.section	.rodata,"a",@progbits
	.p2align	6, 0x0
	.amdhsa_kernel _ZN7rocprim17ROCPRIM_400000_NS6detail17trampoline_kernelINS0_14default_configENS1_38merge_sort_block_merge_config_selectorIiiEEZZNS1_27merge_sort_block_merge_implIS3_N6thrust23THRUST_200600_302600_NS6detail15normal_iteratorINS8_10device_ptrIiEEEESD_jNS1_19radix_merge_compareILb0ELb1EiNS0_19identity_decomposerEEEEE10hipError_tT0_T1_T2_jT3_P12ihipStream_tbPNSt15iterator_traitsISI_E10value_typeEPNSO_ISJ_E10value_typeEPSK_NS1_7vsmem_tEENKUlT_SI_SJ_SK_E_clIPiSD_S10_SD_EESH_SX_SI_SJ_SK_EUlSX_E_NS1_11comp_targetILNS1_3genE0ELNS1_11target_archE4294967295ELNS1_3gpuE0ELNS1_3repE0EEENS1_48merge_mergepath_partition_config_static_selectorELNS0_4arch9wavefront6targetE1EEEvSJ_
		.amdhsa_group_segment_fixed_size 0
		.amdhsa_private_segment_fixed_size 0
		.amdhsa_kernarg_size 40
		.amdhsa_user_sgpr_count 2
		.amdhsa_user_sgpr_dispatch_ptr 0
		.amdhsa_user_sgpr_queue_ptr 0
		.amdhsa_user_sgpr_kernarg_segment_ptr 1
		.amdhsa_user_sgpr_dispatch_id 0
		.amdhsa_user_sgpr_kernarg_preload_length 0
		.amdhsa_user_sgpr_kernarg_preload_offset 0
		.amdhsa_user_sgpr_private_segment_size 0
		.amdhsa_uses_dynamic_stack 0
		.amdhsa_enable_private_segment 0
		.amdhsa_system_sgpr_workgroup_id_x 1
		.amdhsa_system_sgpr_workgroup_id_y 0
		.amdhsa_system_sgpr_workgroup_id_z 0
		.amdhsa_system_sgpr_workgroup_info 0
		.amdhsa_system_vgpr_workitem_id 0
		.amdhsa_next_free_vgpr 17
		.amdhsa_next_free_sgpr 10
		.amdhsa_accum_offset 20
		.amdhsa_reserve_vcc 1
		.amdhsa_float_round_mode_32 0
		.amdhsa_float_round_mode_16_64 0
		.amdhsa_float_denorm_mode_32 3
		.amdhsa_float_denorm_mode_16_64 3
		.amdhsa_dx10_clamp 1
		.amdhsa_ieee_mode 1
		.amdhsa_fp16_overflow 0
		.amdhsa_tg_split 0
		.amdhsa_exception_fp_ieee_invalid_op 0
		.amdhsa_exception_fp_denorm_src 0
		.amdhsa_exception_fp_ieee_div_zero 0
		.amdhsa_exception_fp_ieee_overflow 0
		.amdhsa_exception_fp_ieee_underflow 0
		.amdhsa_exception_fp_ieee_inexact 0
		.amdhsa_exception_int_div_zero 0
	.end_amdhsa_kernel
	.section	.text._ZN7rocprim17ROCPRIM_400000_NS6detail17trampoline_kernelINS0_14default_configENS1_38merge_sort_block_merge_config_selectorIiiEEZZNS1_27merge_sort_block_merge_implIS3_N6thrust23THRUST_200600_302600_NS6detail15normal_iteratorINS8_10device_ptrIiEEEESD_jNS1_19radix_merge_compareILb0ELb1EiNS0_19identity_decomposerEEEEE10hipError_tT0_T1_T2_jT3_P12ihipStream_tbPNSt15iterator_traitsISI_E10value_typeEPNSO_ISJ_E10value_typeEPSK_NS1_7vsmem_tEENKUlT_SI_SJ_SK_E_clIPiSD_S10_SD_EESH_SX_SI_SJ_SK_EUlSX_E_NS1_11comp_targetILNS1_3genE0ELNS1_11target_archE4294967295ELNS1_3gpuE0ELNS1_3repE0EEENS1_48merge_mergepath_partition_config_static_selectorELNS0_4arch9wavefront6targetE1EEEvSJ_,"axG",@progbits,_ZN7rocprim17ROCPRIM_400000_NS6detail17trampoline_kernelINS0_14default_configENS1_38merge_sort_block_merge_config_selectorIiiEEZZNS1_27merge_sort_block_merge_implIS3_N6thrust23THRUST_200600_302600_NS6detail15normal_iteratorINS8_10device_ptrIiEEEESD_jNS1_19radix_merge_compareILb0ELb1EiNS0_19identity_decomposerEEEEE10hipError_tT0_T1_T2_jT3_P12ihipStream_tbPNSt15iterator_traitsISI_E10value_typeEPNSO_ISJ_E10value_typeEPSK_NS1_7vsmem_tEENKUlT_SI_SJ_SK_E_clIPiSD_S10_SD_EESH_SX_SI_SJ_SK_EUlSX_E_NS1_11comp_targetILNS1_3genE0ELNS1_11target_archE4294967295ELNS1_3gpuE0ELNS1_3repE0EEENS1_48merge_mergepath_partition_config_static_selectorELNS0_4arch9wavefront6targetE1EEEvSJ_,comdat
.Lfunc_end756:
	.size	_ZN7rocprim17ROCPRIM_400000_NS6detail17trampoline_kernelINS0_14default_configENS1_38merge_sort_block_merge_config_selectorIiiEEZZNS1_27merge_sort_block_merge_implIS3_N6thrust23THRUST_200600_302600_NS6detail15normal_iteratorINS8_10device_ptrIiEEEESD_jNS1_19radix_merge_compareILb0ELb1EiNS0_19identity_decomposerEEEEE10hipError_tT0_T1_T2_jT3_P12ihipStream_tbPNSt15iterator_traitsISI_E10value_typeEPNSO_ISJ_E10value_typeEPSK_NS1_7vsmem_tEENKUlT_SI_SJ_SK_E_clIPiSD_S10_SD_EESH_SX_SI_SJ_SK_EUlSX_E_NS1_11comp_targetILNS1_3genE0ELNS1_11target_archE4294967295ELNS1_3gpuE0ELNS1_3repE0EEENS1_48merge_mergepath_partition_config_static_selectorELNS0_4arch9wavefront6targetE1EEEvSJ_, .Lfunc_end756-_ZN7rocprim17ROCPRIM_400000_NS6detail17trampoline_kernelINS0_14default_configENS1_38merge_sort_block_merge_config_selectorIiiEEZZNS1_27merge_sort_block_merge_implIS3_N6thrust23THRUST_200600_302600_NS6detail15normal_iteratorINS8_10device_ptrIiEEEESD_jNS1_19radix_merge_compareILb0ELb1EiNS0_19identity_decomposerEEEEE10hipError_tT0_T1_T2_jT3_P12ihipStream_tbPNSt15iterator_traitsISI_E10value_typeEPNSO_ISJ_E10value_typeEPSK_NS1_7vsmem_tEENKUlT_SI_SJ_SK_E_clIPiSD_S10_SD_EESH_SX_SI_SJ_SK_EUlSX_E_NS1_11comp_targetILNS1_3genE0ELNS1_11target_archE4294967295ELNS1_3gpuE0ELNS1_3repE0EEENS1_48merge_mergepath_partition_config_static_selectorELNS0_4arch9wavefront6targetE1EEEvSJ_
                                        ; -- End function
	.set _ZN7rocprim17ROCPRIM_400000_NS6detail17trampoline_kernelINS0_14default_configENS1_38merge_sort_block_merge_config_selectorIiiEEZZNS1_27merge_sort_block_merge_implIS3_N6thrust23THRUST_200600_302600_NS6detail15normal_iteratorINS8_10device_ptrIiEEEESD_jNS1_19radix_merge_compareILb0ELb1EiNS0_19identity_decomposerEEEEE10hipError_tT0_T1_T2_jT3_P12ihipStream_tbPNSt15iterator_traitsISI_E10value_typeEPNSO_ISJ_E10value_typeEPSK_NS1_7vsmem_tEENKUlT_SI_SJ_SK_E_clIPiSD_S10_SD_EESH_SX_SI_SJ_SK_EUlSX_E_NS1_11comp_targetILNS1_3genE0ELNS1_11target_archE4294967295ELNS1_3gpuE0ELNS1_3repE0EEENS1_48merge_mergepath_partition_config_static_selectorELNS0_4arch9wavefront6targetE1EEEvSJ_.num_vgpr, 17
	.set _ZN7rocprim17ROCPRIM_400000_NS6detail17trampoline_kernelINS0_14default_configENS1_38merge_sort_block_merge_config_selectorIiiEEZZNS1_27merge_sort_block_merge_implIS3_N6thrust23THRUST_200600_302600_NS6detail15normal_iteratorINS8_10device_ptrIiEEEESD_jNS1_19radix_merge_compareILb0ELb1EiNS0_19identity_decomposerEEEEE10hipError_tT0_T1_T2_jT3_P12ihipStream_tbPNSt15iterator_traitsISI_E10value_typeEPNSO_ISJ_E10value_typeEPSK_NS1_7vsmem_tEENKUlT_SI_SJ_SK_E_clIPiSD_S10_SD_EESH_SX_SI_SJ_SK_EUlSX_E_NS1_11comp_targetILNS1_3genE0ELNS1_11target_archE4294967295ELNS1_3gpuE0ELNS1_3repE0EEENS1_48merge_mergepath_partition_config_static_selectorELNS0_4arch9wavefront6targetE1EEEvSJ_.num_agpr, 0
	.set _ZN7rocprim17ROCPRIM_400000_NS6detail17trampoline_kernelINS0_14default_configENS1_38merge_sort_block_merge_config_selectorIiiEEZZNS1_27merge_sort_block_merge_implIS3_N6thrust23THRUST_200600_302600_NS6detail15normal_iteratorINS8_10device_ptrIiEEEESD_jNS1_19radix_merge_compareILb0ELb1EiNS0_19identity_decomposerEEEEE10hipError_tT0_T1_T2_jT3_P12ihipStream_tbPNSt15iterator_traitsISI_E10value_typeEPNSO_ISJ_E10value_typeEPSK_NS1_7vsmem_tEENKUlT_SI_SJ_SK_E_clIPiSD_S10_SD_EESH_SX_SI_SJ_SK_EUlSX_E_NS1_11comp_targetILNS1_3genE0ELNS1_11target_archE4294967295ELNS1_3gpuE0ELNS1_3repE0EEENS1_48merge_mergepath_partition_config_static_selectorELNS0_4arch9wavefront6targetE1EEEvSJ_.numbered_sgpr, 10
	.set _ZN7rocprim17ROCPRIM_400000_NS6detail17trampoline_kernelINS0_14default_configENS1_38merge_sort_block_merge_config_selectorIiiEEZZNS1_27merge_sort_block_merge_implIS3_N6thrust23THRUST_200600_302600_NS6detail15normal_iteratorINS8_10device_ptrIiEEEESD_jNS1_19radix_merge_compareILb0ELb1EiNS0_19identity_decomposerEEEEE10hipError_tT0_T1_T2_jT3_P12ihipStream_tbPNSt15iterator_traitsISI_E10value_typeEPNSO_ISJ_E10value_typeEPSK_NS1_7vsmem_tEENKUlT_SI_SJ_SK_E_clIPiSD_S10_SD_EESH_SX_SI_SJ_SK_EUlSX_E_NS1_11comp_targetILNS1_3genE0ELNS1_11target_archE4294967295ELNS1_3gpuE0ELNS1_3repE0EEENS1_48merge_mergepath_partition_config_static_selectorELNS0_4arch9wavefront6targetE1EEEvSJ_.num_named_barrier, 0
	.set _ZN7rocprim17ROCPRIM_400000_NS6detail17trampoline_kernelINS0_14default_configENS1_38merge_sort_block_merge_config_selectorIiiEEZZNS1_27merge_sort_block_merge_implIS3_N6thrust23THRUST_200600_302600_NS6detail15normal_iteratorINS8_10device_ptrIiEEEESD_jNS1_19radix_merge_compareILb0ELb1EiNS0_19identity_decomposerEEEEE10hipError_tT0_T1_T2_jT3_P12ihipStream_tbPNSt15iterator_traitsISI_E10value_typeEPNSO_ISJ_E10value_typeEPSK_NS1_7vsmem_tEENKUlT_SI_SJ_SK_E_clIPiSD_S10_SD_EESH_SX_SI_SJ_SK_EUlSX_E_NS1_11comp_targetILNS1_3genE0ELNS1_11target_archE4294967295ELNS1_3gpuE0ELNS1_3repE0EEENS1_48merge_mergepath_partition_config_static_selectorELNS0_4arch9wavefront6targetE1EEEvSJ_.private_seg_size, 0
	.set _ZN7rocprim17ROCPRIM_400000_NS6detail17trampoline_kernelINS0_14default_configENS1_38merge_sort_block_merge_config_selectorIiiEEZZNS1_27merge_sort_block_merge_implIS3_N6thrust23THRUST_200600_302600_NS6detail15normal_iteratorINS8_10device_ptrIiEEEESD_jNS1_19radix_merge_compareILb0ELb1EiNS0_19identity_decomposerEEEEE10hipError_tT0_T1_T2_jT3_P12ihipStream_tbPNSt15iterator_traitsISI_E10value_typeEPNSO_ISJ_E10value_typeEPSK_NS1_7vsmem_tEENKUlT_SI_SJ_SK_E_clIPiSD_S10_SD_EESH_SX_SI_SJ_SK_EUlSX_E_NS1_11comp_targetILNS1_3genE0ELNS1_11target_archE4294967295ELNS1_3gpuE0ELNS1_3repE0EEENS1_48merge_mergepath_partition_config_static_selectorELNS0_4arch9wavefront6targetE1EEEvSJ_.uses_vcc, 1
	.set _ZN7rocprim17ROCPRIM_400000_NS6detail17trampoline_kernelINS0_14default_configENS1_38merge_sort_block_merge_config_selectorIiiEEZZNS1_27merge_sort_block_merge_implIS3_N6thrust23THRUST_200600_302600_NS6detail15normal_iteratorINS8_10device_ptrIiEEEESD_jNS1_19radix_merge_compareILb0ELb1EiNS0_19identity_decomposerEEEEE10hipError_tT0_T1_T2_jT3_P12ihipStream_tbPNSt15iterator_traitsISI_E10value_typeEPNSO_ISJ_E10value_typeEPSK_NS1_7vsmem_tEENKUlT_SI_SJ_SK_E_clIPiSD_S10_SD_EESH_SX_SI_SJ_SK_EUlSX_E_NS1_11comp_targetILNS1_3genE0ELNS1_11target_archE4294967295ELNS1_3gpuE0ELNS1_3repE0EEENS1_48merge_mergepath_partition_config_static_selectorELNS0_4arch9wavefront6targetE1EEEvSJ_.uses_flat_scratch, 0
	.set _ZN7rocprim17ROCPRIM_400000_NS6detail17trampoline_kernelINS0_14default_configENS1_38merge_sort_block_merge_config_selectorIiiEEZZNS1_27merge_sort_block_merge_implIS3_N6thrust23THRUST_200600_302600_NS6detail15normal_iteratorINS8_10device_ptrIiEEEESD_jNS1_19radix_merge_compareILb0ELb1EiNS0_19identity_decomposerEEEEE10hipError_tT0_T1_T2_jT3_P12ihipStream_tbPNSt15iterator_traitsISI_E10value_typeEPNSO_ISJ_E10value_typeEPSK_NS1_7vsmem_tEENKUlT_SI_SJ_SK_E_clIPiSD_S10_SD_EESH_SX_SI_SJ_SK_EUlSX_E_NS1_11comp_targetILNS1_3genE0ELNS1_11target_archE4294967295ELNS1_3gpuE0ELNS1_3repE0EEENS1_48merge_mergepath_partition_config_static_selectorELNS0_4arch9wavefront6targetE1EEEvSJ_.has_dyn_sized_stack, 0
	.set _ZN7rocprim17ROCPRIM_400000_NS6detail17trampoline_kernelINS0_14default_configENS1_38merge_sort_block_merge_config_selectorIiiEEZZNS1_27merge_sort_block_merge_implIS3_N6thrust23THRUST_200600_302600_NS6detail15normal_iteratorINS8_10device_ptrIiEEEESD_jNS1_19radix_merge_compareILb0ELb1EiNS0_19identity_decomposerEEEEE10hipError_tT0_T1_T2_jT3_P12ihipStream_tbPNSt15iterator_traitsISI_E10value_typeEPNSO_ISJ_E10value_typeEPSK_NS1_7vsmem_tEENKUlT_SI_SJ_SK_E_clIPiSD_S10_SD_EESH_SX_SI_SJ_SK_EUlSX_E_NS1_11comp_targetILNS1_3genE0ELNS1_11target_archE4294967295ELNS1_3gpuE0ELNS1_3repE0EEENS1_48merge_mergepath_partition_config_static_selectorELNS0_4arch9wavefront6targetE1EEEvSJ_.has_recursion, 0
	.set _ZN7rocprim17ROCPRIM_400000_NS6detail17trampoline_kernelINS0_14default_configENS1_38merge_sort_block_merge_config_selectorIiiEEZZNS1_27merge_sort_block_merge_implIS3_N6thrust23THRUST_200600_302600_NS6detail15normal_iteratorINS8_10device_ptrIiEEEESD_jNS1_19radix_merge_compareILb0ELb1EiNS0_19identity_decomposerEEEEE10hipError_tT0_T1_T2_jT3_P12ihipStream_tbPNSt15iterator_traitsISI_E10value_typeEPNSO_ISJ_E10value_typeEPSK_NS1_7vsmem_tEENKUlT_SI_SJ_SK_E_clIPiSD_S10_SD_EESH_SX_SI_SJ_SK_EUlSX_E_NS1_11comp_targetILNS1_3genE0ELNS1_11target_archE4294967295ELNS1_3gpuE0ELNS1_3repE0EEENS1_48merge_mergepath_partition_config_static_selectorELNS0_4arch9wavefront6targetE1EEEvSJ_.has_indirect_call, 0
	.section	.AMDGPU.csdata,"",@progbits
; Kernel info:
; codeLenInByte = 336
; TotalNumSgprs: 16
; NumVgprs: 17
; NumAgprs: 0
; TotalNumVgprs: 17
; ScratchSize: 0
; MemoryBound: 0
; FloatMode: 240
; IeeeMode: 1
; LDSByteSize: 0 bytes/workgroup (compile time only)
; SGPRBlocks: 1
; VGPRBlocks: 2
; NumSGPRsForWavesPerEU: 16
; NumVGPRsForWavesPerEU: 17
; AccumOffset: 20
; Occupancy: 8
; WaveLimiterHint : 0
; COMPUTE_PGM_RSRC2:SCRATCH_EN: 0
; COMPUTE_PGM_RSRC2:USER_SGPR: 2
; COMPUTE_PGM_RSRC2:TRAP_HANDLER: 0
; COMPUTE_PGM_RSRC2:TGID_X_EN: 1
; COMPUTE_PGM_RSRC2:TGID_Y_EN: 0
; COMPUTE_PGM_RSRC2:TGID_Z_EN: 0
; COMPUTE_PGM_RSRC2:TIDIG_COMP_CNT: 0
; COMPUTE_PGM_RSRC3_GFX90A:ACCUM_OFFSET: 4
; COMPUTE_PGM_RSRC3_GFX90A:TG_SPLIT: 0
	.section	.text._ZN7rocprim17ROCPRIM_400000_NS6detail17trampoline_kernelINS0_14default_configENS1_38merge_sort_block_merge_config_selectorIiiEEZZNS1_27merge_sort_block_merge_implIS3_N6thrust23THRUST_200600_302600_NS6detail15normal_iteratorINS8_10device_ptrIiEEEESD_jNS1_19radix_merge_compareILb0ELb1EiNS0_19identity_decomposerEEEEE10hipError_tT0_T1_T2_jT3_P12ihipStream_tbPNSt15iterator_traitsISI_E10value_typeEPNSO_ISJ_E10value_typeEPSK_NS1_7vsmem_tEENKUlT_SI_SJ_SK_E_clIPiSD_S10_SD_EESH_SX_SI_SJ_SK_EUlSX_E_NS1_11comp_targetILNS1_3genE10ELNS1_11target_archE1201ELNS1_3gpuE5ELNS1_3repE0EEENS1_48merge_mergepath_partition_config_static_selectorELNS0_4arch9wavefront6targetE1EEEvSJ_,"axG",@progbits,_ZN7rocprim17ROCPRIM_400000_NS6detail17trampoline_kernelINS0_14default_configENS1_38merge_sort_block_merge_config_selectorIiiEEZZNS1_27merge_sort_block_merge_implIS3_N6thrust23THRUST_200600_302600_NS6detail15normal_iteratorINS8_10device_ptrIiEEEESD_jNS1_19radix_merge_compareILb0ELb1EiNS0_19identity_decomposerEEEEE10hipError_tT0_T1_T2_jT3_P12ihipStream_tbPNSt15iterator_traitsISI_E10value_typeEPNSO_ISJ_E10value_typeEPSK_NS1_7vsmem_tEENKUlT_SI_SJ_SK_E_clIPiSD_S10_SD_EESH_SX_SI_SJ_SK_EUlSX_E_NS1_11comp_targetILNS1_3genE10ELNS1_11target_archE1201ELNS1_3gpuE5ELNS1_3repE0EEENS1_48merge_mergepath_partition_config_static_selectorELNS0_4arch9wavefront6targetE1EEEvSJ_,comdat
	.protected	_ZN7rocprim17ROCPRIM_400000_NS6detail17trampoline_kernelINS0_14default_configENS1_38merge_sort_block_merge_config_selectorIiiEEZZNS1_27merge_sort_block_merge_implIS3_N6thrust23THRUST_200600_302600_NS6detail15normal_iteratorINS8_10device_ptrIiEEEESD_jNS1_19radix_merge_compareILb0ELb1EiNS0_19identity_decomposerEEEEE10hipError_tT0_T1_T2_jT3_P12ihipStream_tbPNSt15iterator_traitsISI_E10value_typeEPNSO_ISJ_E10value_typeEPSK_NS1_7vsmem_tEENKUlT_SI_SJ_SK_E_clIPiSD_S10_SD_EESH_SX_SI_SJ_SK_EUlSX_E_NS1_11comp_targetILNS1_3genE10ELNS1_11target_archE1201ELNS1_3gpuE5ELNS1_3repE0EEENS1_48merge_mergepath_partition_config_static_selectorELNS0_4arch9wavefront6targetE1EEEvSJ_ ; -- Begin function _ZN7rocprim17ROCPRIM_400000_NS6detail17trampoline_kernelINS0_14default_configENS1_38merge_sort_block_merge_config_selectorIiiEEZZNS1_27merge_sort_block_merge_implIS3_N6thrust23THRUST_200600_302600_NS6detail15normal_iteratorINS8_10device_ptrIiEEEESD_jNS1_19radix_merge_compareILb0ELb1EiNS0_19identity_decomposerEEEEE10hipError_tT0_T1_T2_jT3_P12ihipStream_tbPNSt15iterator_traitsISI_E10value_typeEPNSO_ISJ_E10value_typeEPSK_NS1_7vsmem_tEENKUlT_SI_SJ_SK_E_clIPiSD_S10_SD_EESH_SX_SI_SJ_SK_EUlSX_E_NS1_11comp_targetILNS1_3genE10ELNS1_11target_archE1201ELNS1_3gpuE5ELNS1_3repE0EEENS1_48merge_mergepath_partition_config_static_selectorELNS0_4arch9wavefront6targetE1EEEvSJ_
	.globl	_ZN7rocprim17ROCPRIM_400000_NS6detail17trampoline_kernelINS0_14default_configENS1_38merge_sort_block_merge_config_selectorIiiEEZZNS1_27merge_sort_block_merge_implIS3_N6thrust23THRUST_200600_302600_NS6detail15normal_iteratorINS8_10device_ptrIiEEEESD_jNS1_19radix_merge_compareILb0ELb1EiNS0_19identity_decomposerEEEEE10hipError_tT0_T1_T2_jT3_P12ihipStream_tbPNSt15iterator_traitsISI_E10value_typeEPNSO_ISJ_E10value_typeEPSK_NS1_7vsmem_tEENKUlT_SI_SJ_SK_E_clIPiSD_S10_SD_EESH_SX_SI_SJ_SK_EUlSX_E_NS1_11comp_targetILNS1_3genE10ELNS1_11target_archE1201ELNS1_3gpuE5ELNS1_3repE0EEENS1_48merge_mergepath_partition_config_static_selectorELNS0_4arch9wavefront6targetE1EEEvSJ_
	.p2align	8
	.type	_ZN7rocprim17ROCPRIM_400000_NS6detail17trampoline_kernelINS0_14default_configENS1_38merge_sort_block_merge_config_selectorIiiEEZZNS1_27merge_sort_block_merge_implIS3_N6thrust23THRUST_200600_302600_NS6detail15normal_iteratorINS8_10device_ptrIiEEEESD_jNS1_19radix_merge_compareILb0ELb1EiNS0_19identity_decomposerEEEEE10hipError_tT0_T1_T2_jT3_P12ihipStream_tbPNSt15iterator_traitsISI_E10value_typeEPNSO_ISJ_E10value_typeEPSK_NS1_7vsmem_tEENKUlT_SI_SJ_SK_E_clIPiSD_S10_SD_EESH_SX_SI_SJ_SK_EUlSX_E_NS1_11comp_targetILNS1_3genE10ELNS1_11target_archE1201ELNS1_3gpuE5ELNS1_3repE0EEENS1_48merge_mergepath_partition_config_static_selectorELNS0_4arch9wavefront6targetE1EEEvSJ_,@function
_ZN7rocprim17ROCPRIM_400000_NS6detail17trampoline_kernelINS0_14default_configENS1_38merge_sort_block_merge_config_selectorIiiEEZZNS1_27merge_sort_block_merge_implIS3_N6thrust23THRUST_200600_302600_NS6detail15normal_iteratorINS8_10device_ptrIiEEEESD_jNS1_19radix_merge_compareILb0ELb1EiNS0_19identity_decomposerEEEEE10hipError_tT0_T1_T2_jT3_P12ihipStream_tbPNSt15iterator_traitsISI_E10value_typeEPNSO_ISJ_E10value_typeEPSK_NS1_7vsmem_tEENKUlT_SI_SJ_SK_E_clIPiSD_S10_SD_EESH_SX_SI_SJ_SK_EUlSX_E_NS1_11comp_targetILNS1_3genE10ELNS1_11target_archE1201ELNS1_3gpuE5ELNS1_3repE0EEENS1_48merge_mergepath_partition_config_static_selectorELNS0_4arch9wavefront6targetE1EEEvSJ_: ; @_ZN7rocprim17ROCPRIM_400000_NS6detail17trampoline_kernelINS0_14default_configENS1_38merge_sort_block_merge_config_selectorIiiEEZZNS1_27merge_sort_block_merge_implIS3_N6thrust23THRUST_200600_302600_NS6detail15normal_iteratorINS8_10device_ptrIiEEEESD_jNS1_19radix_merge_compareILb0ELb1EiNS0_19identity_decomposerEEEEE10hipError_tT0_T1_T2_jT3_P12ihipStream_tbPNSt15iterator_traitsISI_E10value_typeEPNSO_ISJ_E10value_typeEPSK_NS1_7vsmem_tEENKUlT_SI_SJ_SK_E_clIPiSD_S10_SD_EESH_SX_SI_SJ_SK_EUlSX_E_NS1_11comp_targetILNS1_3genE10ELNS1_11target_archE1201ELNS1_3gpuE5ELNS1_3repE0EEENS1_48merge_mergepath_partition_config_static_selectorELNS0_4arch9wavefront6targetE1EEEvSJ_
; %bb.0:
	.section	.rodata,"a",@progbits
	.p2align	6, 0x0
	.amdhsa_kernel _ZN7rocprim17ROCPRIM_400000_NS6detail17trampoline_kernelINS0_14default_configENS1_38merge_sort_block_merge_config_selectorIiiEEZZNS1_27merge_sort_block_merge_implIS3_N6thrust23THRUST_200600_302600_NS6detail15normal_iteratorINS8_10device_ptrIiEEEESD_jNS1_19radix_merge_compareILb0ELb1EiNS0_19identity_decomposerEEEEE10hipError_tT0_T1_T2_jT3_P12ihipStream_tbPNSt15iterator_traitsISI_E10value_typeEPNSO_ISJ_E10value_typeEPSK_NS1_7vsmem_tEENKUlT_SI_SJ_SK_E_clIPiSD_S10_SD_EESH_SX_SI_SJ_SK_EUlSX_E_NS1_11comp_targetILNS1_3genE10ELNS1_11target_archE1201ELNS1_3gpuE5ELNS1_3repE0EEENS1_48merge_mergepath_partition_config_static_selectorELNS0_4arch9wavefront6targetE1EEEvSJ_
		.amdhsa_group_segment_fixed_size 0
		.amdhsa_private_segment_fixed_size 0
		.amdhsa_kernarg_size 40
		.amdhsa_user_sgpr_count 2
		.amdhsa_user_sgpr_dispatch_ptr 0
		.amdhsa_user_sgpr_queue_ptr 0
		.amdhsa_user_sgpr_kernarg_segment_ptr 1
		.amdhsa_user_sgpr_dispatch_id 0
		.amdhsa_user_sgpr_kernarg_preload_length 0
		.amdhsa_user_sgpr_kernarg_preload_offset 0
		.amdhsa_user_sgpr_private_segment_size 0
		.amdhsa_uses_dynamic_stack 0
		.amdhsa_enable_private_segment 0
		.amdhsa_system_sgpr_workgroup_id_x 1
		.amdhsa_system_sgpr_workgroup_id_y 0
		.amdhsa_system_sgpr_workgroup_id_z 0
		.amdhsa_system_sgpr_workgroup_info 0
		.amdhsa_system_vgpr_workitem_id 0
		.amdhsa_next_free_vgpr 1
		.amdhsa_next_free_sgpr 0
		.amdhsa_accum_offset 4
		.amdhsa_reserve_vcc 0
		.amdhsa_float_round_mode_32 0
		.amdhsa_float_round_mode_16_64 0
		.amdhsa_float_denorm_mode_32 3
		.amdhsa_float_denorm_mode_16_64 3
		.amdhsa_dx10_clamp 1
		.amdhsa_ieee_mode 1
		.amdhsa_fp16_overflow 0
		.amdhsa_tg_split 0
		.amdhsa_exception_fp_ieee_invalid_op 0
		.amdhsa_exception_fp_denorm_src 0
		.amdhsa_exception_fp_ieee_div_zero 0
		.amdhsa_exception_fp_ieee_overflow 0
		.amdhsa_exception_fp_ieee_underflow 0
		.amdhsa_exception_fp_ieee_inexact 0
		.amdhsa_exception_int_div_zero 0
	.end_amdhsa_kernel
	.section	.text._ZN7rocprim17ROCPRIM_400000_NS6detail17trampoline_kernelINS0_14default_configENS1_38merge_sort_block_merge_config_selectorIiiEEZZNS1_27merge_sort_block_merge_implIS3_N6thrust23THRUST_200600_302600_NS6detail15normal_iteratorINS8_10device_ptrIiEEEESD_jNS1_19radix_merge_compareILb0ELb1EiNS0_19identity_decomposerEEEEE10hipError_tT0_T1_T2_jT3_P12ihipStream_tbPNSt15iterator_traitsISI_E10value_typeEPNSO_ISJ_E10value_typeEPSK_NS1_7vsmem_tEENKUlT_SI_SJ_SK_E_clIPiSD_S10_SD_EESH_SX_SI_SJ_SK_EUlSX_E_NS1_11comp_targetILNS1_3genE10ELNS1_11target_archE1201ELNS1_3gpuE5ELNS1_3repE0EEENS1_48merge_mergepath_partition_config_static_selectorELNS0_4arch9wavefront6targetE1EEEvSJ_,"axG",@progbits,_ZN7rocprim17ROCPRIM_400000_NS6detail17trampoline_kernelINS0_14default_configENS1_38merge_sort_block_merge_config_selectorIiiEEZZNS1_27merge_sort_block_merge_implIS3_N6thrust23THRUST_200600_302600_NS6detail15normal_iteratorINS8_10device_ptrIiEEEESD_jNS1_19radix_merge_compareILb0ELb1EiNS0_19identity_decomposerEEEEE10hipError_tT0_T1_T2_jT3_P12ihipStream_tbPNSt15iterator_traitsISI_E10value_typeEPNSO_ISJ_E10value_typeEPSK_NS1_7vsmem_tEENKUlT_SI_SJ_SK_E_clIPiSD_S10_SD_EESH_SX_SI_SJ_SK_EUlSX_E_NS1_11comp_targetILNS1_3genE10ELNS1_11target_archE1201ELNS1_3gpuE5ELNS1_3repE0EEENS1_48merge_mergepath_partition_config_static_selectorELNS0_4arch9wavefront6targetE1EEEvSJ_,comdat
.Lfunc_end757:
	.size	_ZN7rocprim17ROCPRIM_400000_NS6detail17trampoline_kernelINS0_14default_configENS1_38merge_sort_block_merge_config_selectorIiiEEZZNS1_27merge_sort_block_merge_implIS3_N6thrust23THRUST_200600_302600_NS6detail15normal_iteratorINS8_10device_ptrIiEEEESD_jNS1_19radix_merge_compareILb0ELb1EiNS0_19identity_decomposerEEEEE10hipError_tT0_T1_T2_jT3_P12ihipStream_tbPNSt15iterator_traitsISI_E10value_typeEPNSO_ISJ_E10value_typeEPSK_NS1_7vsmem_tEENKUlT_SI_SJ_SK_E_clIPiSD_S10_SD_EESH_SX_SI_SJ_SK_EUlSX_E_NS1_11comp_targetILNS1_3genE10ELNS1_11target_archE1201ELNS1_3gpuE5ELNS1_3repE0EEENS1_48merge_mergepath_partition_config_static_selectorELNS0_4arch9wavefront6targetE1EEEvSJ_, .Lfunc_end757-_ZN7rocprim17ROCPRIM_400000_NS6detail17trampoline_kernelINS0_14default_configENS1_38merge_sort_block_merge_config_selectorIiiEEZZNS1_27merge_sort_block_merge_implIS3_N6thrust23THRUST_200600_302600_NS6detail15normal_iteratorINS8_10device_ptrIiEEEESD_jNS1_19radix_merge_compareILb0ELb1EiNS0_19identity_decomposerEEEEE10hipError_tT0_T1_T2_jT3_P12ihipStream_tbPNSt15iterator_traitsISI_E10value_typeEPNSO_ISJ_E10value_typeEPSK_NS1_7vsmem_tEENKUlT_SI_SJ_SK_E_clIPiSD_S10_SD_EESH_SX_SI_SJ_SK_EUlSX_E_NS1_11comp_targetILNS1_3genE10ELNS1_11target_archE1201ELNS1_3gpuE5ELNS1_3repE0EEENS1_48merge_mergepath_partition_config_static_selectorELNS0_4arch9wavefront6targetE1EEEvSJ_
                                        ; -- End function
	.set _ZN7rocprim17ROCPRIM_400000_NS6detail17trampoline_kernelINS0_14default_configENS1_38merge_sort_block_merge_config_selectorIiiEEZZNS1_27merge_sort_block_merge_implIS3_N6thrust23THRUST_200600_302600_NS6detail15normal_iteratorINS8_10device_ptrIiEEEESD_jNS1_19radix_merge_compareILb0ELb1EiNS0_19identity_decomposerEEEEE10hipError_tT0_T1_T2_jT3_P12ihipStream_tbPNSt15iterator_traitsISI_E10value_typeEPNSO_ISJ_E10value_typeEPSK_NS1_7vsmem_tEENKUlT_SI_SJ_SK_E_clIPiSD_S10_SD_EESH_SX_SI_SJ_SK_EUlSX_E_NS1_11comp_targetILNS1_3genE10ELNS1_11target_archE1201ELNS1_3gpuE5ELNS1_3repE0EEENS1_48merge_mergepath_partition_config_static_selectorELNS0_4arch9wavefront6targetE1EEEvSJ_.num_vgpr, 0
	.set _ZN7rocprim17ROCPRIM_400000_NS6detail17trampoline_kernelINS0_14default_configENS1_38merge_sort_block_merge_config_selectorIiiEEZZNS1_27merge_sort_block_merge_implIS3_N6thrust23THRUST_200600_302600_NS6detail15normal_iteratorINS8_10device_ptrIiEEEESD_jNS1_19radix_merge_compareILb0ELb1EiNS0_19identity_decomposerEEEEE10hipError_tT0_T1_T2_jT3_P12ihipStream_tbPNSt15iterator_traitsISI_E10value_typeEPNSO_ISJ_E10value_typeEPSK_NS1_7vsmem_tEENKUlT_SI_SJ_SK_E_clIPiSD_S10_SD_EESH_SX_SI_SJ_SK_EUlSX_E_NS1_11comp_targetILNS1_3genE10ELNS1_11target_archE1201ELNS1_3gpuE5ELNS1_3repE0EEENS1_48merge_mergepath_partition_config_static_selectorELNS0_4arch9wavefront6targetE1EEEvSJ_.num_agpr, 0
	.set _ZN7rocprim17ROCPRIM_400000_NS6detail17trampoline_kernelINS0_14default_configENS1_38merge_sort_block_merge_config_selectorIiiEEZZNS1_27merge_sort_block_merge_implIS3_N6thrust23THRUST_200600_302600_NS6detail15normal_iteratorINS8_10device_ptrIiEEEESD_jNS1_19radix_merge_compareILb0ELb1EiNS0_19identity_decomposerEEEEE10hipError_tT0_T1_T2_jT3_P12ihipStream_tbPNSt15iterator_traitsISI_E10value_typeEPNSO_ISJ_E10value_typeEPSK_NS1_7vsmem_tEENKUlT_SI_SJ_SK_E_clIPiSD_S10_SD_EESH_SX_SI_SJ_SK_EUlSX_E_NS1_11comp_targetILNS1_3genE10ELNS1_11target_archE1201ELNS1_3gpuE5ELNS1_3repE0EEENS1_48merge_mergepath_partition_config_static_selectorELNS0_4arch9wavefront6targetE1EEEvSJ_.numbered_sgpr, 0
	.set _ZN7rocprim17ROCPRIM_400000_NS6detail17trampoline_kernelINS0_14default_configENS1_38merge_sort_block_merge_config_selectorIiiEEZZNS1_27merge_sort_block_merge_implIS3_N6thrust23THRUST_200600_302600_NS6detail15normal_iteratorINS8_10device_ptrIiEEEESD_jNS1_19radix_merge_compareILb0ELb1EiNS0_19identity_decomposerEEEEE10hipError_tT0_T1_T2_jT3_P12ihipStream_tbPNSt15iterator_traitsISI_E10value_typeEPNSO_ISJ_E10value_typeEPSK_NS1_7vsmem_tEENKUlT_SI_SJ_SK_E_clIPiSD_S10_SD_EESH_SX_SI_SJ_SK_EUlSX_E_NS1_11comp_targetILNS1_3genE10ELNS1_11target_archE1201ELNS1_3gpuE5ELNS1_3repE0EEENS1_48merge_mergepath_partition_config_static_selectorELNS0_4arch9wavefront6targetE1EEEvSJ_.num_named_barrier, 0
	.set _ZN7rocprim17ROCPRIM_400000_NS6detail17trampoline_kernelINS0_14default_configENS1_38merge_sort_block_merge_config_selectorIiiEEZZNS1_27merge_sort_block_merge_implIS3_N6thrust23THRUST_200600_302600_NS6detail15normal_iteratorINS8_10device_ptrIiEEEESD_jNS1_19radix_merge_compareILb0ELb1EiNS0_19identity_decomposerEEEEE10hipError_tT0_T1_T2_jT3_P12ihipStream_tbPNSt15iterator_traitsISI_E10value_typeEPNSO_ISJ_E10value_typeEPSK_NS1_7vsmem_tEENKUlT_SI_SJ_SK_E_clIPiSD_S10_SD_EESH_SX_SI_SJ_SK_EUlSX_E_NS1_11comp_targetILNS1_3genE10ELNS1_11target_archE1201ELNS1_3gpuE5ELNS1_3repE0EEENS1_48merge_mergepath_partition_config_static_selectorELNS0_4arch9wavefront6targetE1EEEvSJ_.private_seg_size, 0
	.set _ZN7rocprim17ROCPRIM_400000_NS6detail17trampoline_kernelINS0_14default_configENS1_38merge_sort_block_merge_config_selectorIiiEEZZNS1_27merge_sort_block_merge_implIS3_N6thrust23THRUST_200600_302600_NS6detail15normal_iteratorINS8_10device_ptrIiEEEESD_jNS1_19radix_merge_compareILb0ELb1EiNS0_19identity_decomposerEEEEE10hipError_tT0_T1_T2_jT3_P12ihipStream_tbPNSt15iterator_traitsISI_E10value_typeEPNSO_ISJ_E10value_typeEPSK_NS1_7vsmem_tEENKUlT_SI_SJ_SK_E_clIPiSD_S10_SD_EESH_SX_SI_SJ_SK_EUlSX_E_NS1_11comp_targetILNS1_3genE10ELNS1_11target_archE1201ELNS1_3gpuE5ELNS1_3repE0EEENS1_48merge_mergepath_partition_config_static_selectorELNS0_4arch9wavefront6targetE1EEEvSJ_.uses_vcc, 0
	.set _ZN7rocprim17ROCPRIM_400000_NS6detail17trampoline_kernelINS0_14default_configENS1_38merge_sort_block_merge_config_selectorIiiEEZZNS1_27merge_sort_block_merge_implIS3_N6thrust23THRUST_200600_302600_NS6detail15normal_iteratorINS8_10device_ptrIiEEEESD_jNS1_19radix_merge_compareILb0ELb1EiNS0_19identity_decomposerEEEEE10hipError_tT0_T1_T2_jT3_P12ihipStream_tbPNSt15iterator_traitsISI_E10value_typeEPNSO_ISJ_E10value_typeEPSK_NS1_7vsmem_tEENKUlT_SI_SJ_SK_E_clIPiSD_S10_SD_EESH_SX_SI_SJ_SK_EUlSX_E_NS1_11comp_targetILNS1_3genE10ELNS1_11target_archE1201ELNS1_3gpuE5ELNS1_3repE0EEENS1_48merge_mergepath_partition_config_static_selectorELNS0_4arch9wavefront6targetE1EEEvSJ_.uses_flat_scratch, 0
	.set _ZN7rocprim17ROCPRIM_400000_NS6detail17trampoline_kernelINS0_14default_configENS1_38merge_sort_block_merge_config_selectorIiiEEZZNS1_27merge_sort_block_merge_implIS3_N6thrust23THRUST_200600_302600_NS6detail15normal_iteratorINS8_10device_ptrIiEEEESD_jNS1_19radix_merge_compareILb0ELb1EiNS0_19identity_decomposerEEEEE10hipError_tT0_T1_T2_jT3_P12ihipStream_tbPNSt15iterator_traitsISI_E10value_typeEPNSO_ISJ_E10value_typeEPSK_NS1_7vsmem_tEENKUlT_SI_SJ_SK_E_clIPiSD_S10_SD_EESH_SX_SI_SJ_SK_EUlSX_E_NS1_11comp_targetILNS1_3genE10ELNS1_11target_archE1201ELNS1_3gpuE5ELNS1_3repE0EEENS1_48merge_mergepath_partition_config_static_selectorELNS0_4arch9wavefront6targetE1EEEvSJ_.has_dyn_sized_stack, 0
	.set _ZN7rocprim17ROCPRIM_400000_NS6detail17trampoline_kernelINS0_14default_configENS1_38merge_sort_block_merge_config_selectorIiiEEZZNS1_27merge_sort_block_merge_implIS3_N6thrust23THRUST_200600_302600_NS6detail15normal_iteratorINS8_10device_ptrIiEEEESD_jNS1_19radix_merge_compareILb0ELb1EiNS0_19identity_decomposerEEEEE10hipError_tT0_T1_T2_jT3_P12ihipStream_tbPNSt15iterator_traitsISI_E10value_typeEPNSO_ISJ_E10value_typeEPSK_NS1_7vsmem_tEENKUlT_SI_SJ_SK_E_clIPiSD_S10_SD_EESH_SX_SI_SJ_SK_EUlSX_E_NS1_11comp_targetILNS1_3genE10ELNS1_11target_archE1201ELNS1_3gpuE5ELNS1_3repE0EEENS1_48merge_mergepath_partition_config_static_selectorELNS0_4arch9wavefront6targetE1EEEvSJ_.has_recursion, 0
	.set _ZN7rocprim17ROCPRIM_400000_NS6detail17trampoline_kernelINS0_14default_configENS1_38merge_sort_block_merge_config_selectorIiiEEZZNS1_27merge_sort_block_merge_implIS3_N6thrust23THRUST_200600_302600_NS6detail15normal_iteratorINS8_10device_ptrIiEEEESD_jNS1_19radix_merge_compareILb0ELb1EiNS0_19identity_decomposerEEEEE10hipError_tT0_T1_T2_jT3_P12ihipStream_tbPNSt15iterator_traitsISI_E10value_typeEPNSO_ISJ_E10value_typeEPSK_NS1_7vsmem_tEENKUlT_SI_SJ_SK_E_clIPiSD_S10_SD_EESH_SX_SI_SJ_SK_EUlSX_E_NS1_11comp_targetILNS1_3genE10ELNS1_11target_archE1201ELNS1_3gpuE5ELNS1_3repE0EEENS1_48merge_mergepath_partition_config_static_selectorELNS0_4arch9wavefront6targetE1EEEvSJ_.has_indirect_call, 0
	.section	.AMDGPU.csdata,"",@progbits
; Kernel info:
; codeLenInByte = 0
; TotalNumSgprs: 6
; NumVgprs: 0
; NumAgprs: 0
; TotalNumVgprs: 0
; ScratchSize: 0
; MemoryBound: 0
; FloatMode: 240
; IeeeMode: 1
; LDSByteSize: 0 bytes/workgroup (compile time only)
; SGPRBlocks: 0
; VGPRBlocks: 0
; NumSGPRsForWavesPerEU: 6
; NumVGPRsForWavesPerEU: 1
; AccumOffset: 4
; Occupancy: 8
; WaveLimiterHint : 0
; COMPUTE_PGM_RSRC2:SCRATCH_EN: 0
; COMPUTE_PGM_RSRC2:USER_SGPR: 2
; COMPUTE_PGM_RSRC2:TRAP_HANDLER: 0
; COMPUTE_PGM_RSRC2:TGID_X_EN: 1
; COMPUTE_PGM_RSRC2:TGID_Y_EN: 0
; COMPUTE_PGM_RSRC2:TGID_Z_EN: 0
; COMPUTE_PGM_RSRC2:TIDIG_COMP_CNT: 0
; COMPUTE_PGM_RSRC3_GFX90A:ACCUM_OFFSET: 0
; COMPUTE_PGM_RSRC3_GFX90A:TG_SPLIT: 0
	.section	.text._ZN7rocprim17ROCPRIM_400000_NS6detail17trampoline_kernelINS0_14default_configENS1_38merge_sort_block_merge_config_selectorIiiEEZZNS1_27merge_sort_block_merge_implIS3_N6thrust23THRUST_200600_302600_NS6detail15normal_iteratorINS8_10device_ptrIiEEEESD_jNS1_19radix_merge_compareILb0ELb1EiNS0_19identity_decomposerEEEEE10hipError_tT0_T1_T2_jT3_P12ihipStream_tbPNSt15iterator_traitsISI_E10value_typeEPNSO_ISJ_E10value_typeEPSK_NS1_7vsmem_tEENKUlT_SI_SJ_SK_E_clIPiSD_S10_SD_EESH_SX_SI_SJ_SK_EUlSX_E_NS1_11comp_targetILNS1_3genE5ELNS1_11target_archE942ELNS1_3gpuE9ELNS1_3repE0EEENS1_48merge_mergepath_partition_config_static_selectorELNS0_4arch9wavefront6targetE1EEEvSJ_,"axG",@progbits,_ZN7rocprim17ROCPRIM_400000_NS6detail17trampoline_kernelINS0_14default_configENS1_38merge_sort_block_merge_config_selectorIiiEEZZNS1_27merge_sort_block_merge_implIS3_N6thrust23THRUST_200600_302600_NS6detail15normal_iteratorINS8_10device_ptrIiEEEESD_jNS1_19radix_merge_compareILb0ELb1EiNS0_19identity_decomposerEEEEE10hipError_tT0_T1_T2_jT3_P12ihipStream_tbPNSt15iterator_traitsISI_E10value_typeEPNSO_ISJ_E10value_typeEPSK_NS1_7vsmem_tEENKUlT_SI_SJ_SK_E_clIPiSD_S10_SD_EESH_SX_SI_SJ_SK_EUlSX_E_NS1_11comp_targetILNS1_3genE5ELNS1_11target_archE942ELNS1_3gpuE9ELNS1_3repE0EEENS1_48merge_mergepath_partition_config_static_selectorELNS0_4arch9wavefront6targetE1EEEvSJ_,comdat
	.protected	_ZN7rocprim17ROCPRIM_400000_NS6detail17trampoline_kernelINS0_14default_configENS1_38merge_sort_block_merge_config_selectorIiiEEZZNS1_27merge_sort_block_merge_implIS3_N6thrust23THRUST_200600_302600_NS6detail15normal_iteratorINS8_10device_ptrIiEEEESD_jNS1_19radix_merge_compareILb0ELb1EiNS0_19identity_decomposerEEEEE10hipError_tT0_T1_T2_jT3_P12ihipStream_tbPNSt15iterator_traitsISI_E10value_typeEPNSO_ISJ_E10value_typeEPSK_NS1_7vsmem_tEENKUlT_SI_SJ_SK_E_clIPiSD_S10_SD_EESH_SX_SI_SJ_SK_EUlSX_E_NS1_11comp_targetILNS1_3genE5ELNS1_11target_archE942ELNS1_3gpuE9ELNS1_3repE0EEENS1_48merge_mergepath_partition_config_static_selectorELNS0_4arch9wavefront6targetE1EEEvSJ_ ; -- Begin function _ZN7rocprim17ROCPRIM_400000_NS6detail17trampoline_kernelINS0_14default_configENS1_38merge_sort_block_merge_config_selectorIiiEEZZNS1_27merge_sort_block_merge_implIS3_N6thrust23THRUST_200600_302600_NS6detail15normal_iteratorINS8_10device_ptrIiEEEESD_jNS1_19radix_merge_compareILb0ELb1EiNS0_19identity_decomposerEEEEE10hipError_tT0_T1_T2_jT3_P12ihipStream_tbPNSt15iterator_traitsISI_E10value_typeEPNSO_ISJ_E10value_typeEPSK_NS1_7vsmem_tEENKUlT_SI_SJ_SK_E_clIPiSD_S10_SD_EESH_SX_SI_SJ_SK_EUlSX_E_NS1_11comp_targetILNS1_3genE5ELNS1_11target_archE942ELNS1_3gpuE9ELNS1_3repE0EEENS1_48merge_mergepath_partition_config_static_selectorELNS0_4arch9wavefront6targetE1EEEvSJ_
	.globl	_ZN7rocprim17ROCPRIM_400000_NS6detail17trampoline_kernelINS0_14default_configENS1_38merge_sort_block_merge_config_selectorIiiEEZZNS1_27merge_sort_block_merge_implIS3_N6thrust23THRUST_200600_302600_NS6detail15normal_iteratorINS8_10device_ptrIiEEEESD_jNS1_19radix_merge_compareILb0ELb1EiNS0_19identity_decomposerEEEEE10hipError_tT0_T1_T2_jT3_P12ihipStream_tbPNSt15iterator_traitsISI_E10value_typeEPNSO_ISJ_E10value_typeEPSK_NS1_7vsmem_tEENKUlT_SI_SJ_SK_E_clIPiSD_S10_SD_EESH_SX_SI_SJ_SK_EUlSX_E_NS1_11comp_targetILNS1_3genE5ELNS1_11target_archE942ELNS1_3gpuE9ELNS1_3repE0EEENS1_48merge_mergepath_partition_config_static_selectorELNS0_4arch9wavefront6targetE1EEEvSJ_
	.p2align	8
	.type	_ZN7rocprim17ROCPRIM_400000_NS6detail17trampoline_kernelINS0_14default_configENS1_38merge_sort_block_merge_config_selectorIiiEEZZNS1_27merge_sort_block_merge_implIS3_N6thrust23THRUST_200600_302600_NS6detail15normal_iteratorINS8_10device_ptrIiEEEESD_jNS1_19radix_merge_compareILb0ELb1EiNS0_19identity_decomposerEEEEE10hipError_tT0_T1_T2_jT3_P12ihipStream_tbPNSt15iterator_traitsISI_E10value_typeEPNSO_ISJ_E10value_typeEPSK_NS1_7vsmem_tEENKUlT_SI_SJ_SK_E_clIPiSD_S10_SD_EESH_SX_SI_SJ_SK_EUlSX_E_NS1_11comp_targetILNS1_3genE5ELNS1_11target_archE942ELNS1_3gpuE9ELNS1_3repE0EEENS1_48merge_mergepath_partition_config_static_selectorELNS0_4arch9wavefront6targetE1EEEvSJ_,@function
_ZN7rocprim17ROCPRIM_400000_NS6detail17trampoline_kernelINS0_14default_configENS1_38merge_sort_block_merge_config_selectorIiiEEZZNS1_27merge_sort_block_merge_implIS3_N6thrust23THRUST_200600_302600_NS6detail15normal_iteratorINS8_10device_ptrIiEEEESD_jNS1_19radix_merge_compareILb0ELb1EiNS0_19identity_decomposerEEEEE10hipError_tT0_T1_T2_jT3_P12ihipStream_tbPNSt15iterator_traitsISI_E10value_typeEPNSO_ISJ_E10value_typeEPSK_NS1_7vsmem_tEENKUlT_SI_SJ_SK_E_clIPiSD_S10_SD_EESH_SX_SI_SJ_SK_EUlSX_E_NS1_11comp_targetILNS1_3genE5ELNS1_11target_archE942ELNS1_3gpuE9ELNS1_3repE0EEENS1_48merge_mergepath_partition_config_static_selectorELNS0_4arch9wavefront6targetE1EEEvSJ_: ; @_ZN7rocprim17ROCPRIM_400000_NS6detail17trampoline_kernelINS0_14default_configENS1_38merge_sort_block_merge_config_selectorIiiEEZZNS1_27merge_sort_block_merge_implIS3_N6thrust23THRUST_200600_302600_NS6detail15normal_iteratorINS8_10device_ptrIiEEEESD_jNS1_19radix_merge_compareILb0ELb1EiNS0_19identity_decomposerEEEEE10hipError_tT0_T1_T2_jT3_P12ihipStream_tbPNSt15iterator_traitsISI_E10value_typeEPNSO_ISJ_E10value_typeEPSK_NS1_7vsmem_tEENKUlT_SI_SJ_SK_E_clIPiSD_S10_SD_EESH_SX_SI_SJ_SK_EUlSX_E_NS1_11comp_targetILNS1_3genE5ELNS1_11target_archE942ELNS1_3gpuE9ELNS1_3repE0EEENS1_48merge_mergepath_partition_config_static_selectorELNS0_4arch9wavefront6targetE1EEEvSJ_
; %bb.0:
	.section	.rodata,"a",@progbits
	.p2align	6, 0x0
	.amdhsa_kernel _ZN7rocprim17ROCPRIM_400000_NS6detail17trampoline_kernelINS0_14default_configENS1_38merge_sort_block_merge_config_selectorIiiEEZZNS1_27merge_sort_block_merge_implIS3_N6thrust23THRUST_200600_302600_NS6detail15normal_iteratorINS8_10device_ptrIiEEEESD_jNS1_19radix_merge_compareILb0ELb1EiNS0_19identity_decomposerEEEEE10hipError_tT0_T1_T2_jT3_P12ihipStream_tbPNSt15iterator_traitsISI_E10value_typeEPNSO_ISJ_E10value_typeEPSK_NS1_7vsmem_tEENKUlT_SI_SJ_SK_E_clIPiSD_S10_SD_EESH_SX_SI_SJ_SK_EUlSX_E_NS1_11comp_targetILNS1_3genE5ELNS1_11target_archE942ELNS1_3gpuE9ELNS1_3repE0EEENS1_48merge_mergepath_partition_config_static_selectorELNS0_4arch9wavefront6targetE1EEEvSJ_
		.amdhsa_group_segment_fixed_size 0
		.amdhsa_private_segment_fixed_size 0
		.amdhsa_kernarg_size 40
		.amdhsa_user_sgpr_count 2
		.amdhsa_user_sgpr_dispatch_ptr 0
		.amdhsa_user_sgpr_queue_ptr 0
		.amdhsa_user_sgpr_kernarg_segment_ptr 1
		.amdhsa_user_sgpr_dispatch_id 0
		.amdhsa_user_sgpr_kernarg_preload_length 0
		.amdhsa_user_sgpr_kernarg_preload_offset 0
		.amdhsa_user_sgpr_private_segment_size 0
		.amdhsa_uses_dynamic_stack 0
		.amdhsa_enable_private_segment 0
		.amdhsa_system_sgpr_workgroup_id_x 1
		.amdhsa_system_sgpr_workgroup_id_y 0
		.amdhsa_system_sgpr_workgroup_id_z 0
		.amdhsa_system_sgpr_workgroup_info 0
		.amdhsa_system_vgpr_workitem_id 0
		.amdhsa_next_free_vgpr 1
		.amdhsa_next_free_sgpr 0
		.amdhsa_accum_offset 4
		.amdhsa_reserve_vcc 0
		.amdhsa_float_round_mode_32 0
		.amdhsa_float_round_mode_16_64 0
		.amdhsa_float_denorm_mode_32 3
		.amdhsa_float_denorm_mode_16_64 3
		.amdhsa_dx10_clamp 1
		.amdhsa_ieee_mode 1
		.amdhsa_fp16_overflow 0
		.amdhsa_tg_split 0
		.amdhsa_exception_fp_ieee_invalid_op 0
		.amdhsa_exception_fp_denorm_src 0
		.amdhsa_exception_fp_ieee_div_zero 0
		.amdhsa_exception_fp_ieee_overflow 0
		.amdhsa_exception_fp_ieee_underflow 0
		.amdhsa_exception_fp_ieee_inexact 0
		.amdhsa_exception_int_div_zero 0
	.end_amdhsa_kernel
	.section	.text._ZN7rocprim17ROCPRIM_400000_NS6detail17trampoline_kernelINS0_14default_configENS1_38merge_sort_block_merge_config_selectorIiiEEZZNS1_27merge_sort_block_merge_implIS3_N6thrust23THRUST_200600_302600_NS6detail15normal_iteratorINS8_10device_ptrIiEEEESD_jNS1_19radix_merge_compareILb0ELb1EiNS0_19identity_decomposerEEEEE10hipError_tT0_T1_T2_jT3_P12ihipStream_tbPNSt15iterator_traitsISI_E10value_typeEPNSO_ISJ_E10value_typeEPSK_NS1_7vsmem_tEENKUlT_SI_SJ_SK_E_clIPiSD_S10_SD_EESH_SX_SI_SJ_SK_EUlSX_E_NS1_11comp_targetILNS1_3genE5ELNS1_11target_archE942ELNS1_3gpuE9ELNS1_3repE0EEENS1_48merge_mergepath_partition_config_static_selectorELNS0_4arch9wavefront6targetE1EEEvSJ_,"axG",@progbits,_ZN7rocprim17ROCPRIM_400000_NS6detail17trampoline_kernelINS0_14default_configENS1_38merge_sort_block_merge_config_selectorIiiEEZZNS1_27merge_sort_block_merge_implIS3_N6thrust23THRUST_200600_302600_NS6detail15normal_iteratorINS8_10device_ptrIiEEEESD_jNS1_19radix_merge_compareILb0ELb1EiNS0_19identity_decomposerEEEEE10hipError_tT0_T1_T2_jT3_P12ihipStream_tbPNSt15iterator_traitsISI_E10value_typeEPNSO_ISJ_E10value_typeEPSK_NS1_7vsmem_tEENKUlT_SI_SJ_SK_E_clIPiSD_S10_SD_EESH_SX_SI_SJ_SK_EUlSX_E_NS1_11comp_targetILNS1_3genE5ELNS1_11target_archE942ELNS1_3gpuE9ELNS1_3repE0EEENS1_48merge_mergepath_partition_config_static_selectorELNS0_4arch9wavefront6targetE1EEEvSJ_,comdat
.Lfunc_end758:
	.size	_ZN7rocprim17ROCPRIM_400000_NS6detail17trampoline_kernelINS0_14default_configENS1_38merge_sort_block_merge_config_selectorIiiEEZZNS1_27merge_sort_block_merge_implIS3_N6thrust23THRUST_200600_302600_NS6detail15normal_iteratorINS8_10device_ptrIiEEEESD_jNS1_19radix_merge_compareILb0ELb1EiNS0_19identity_decomposerEEEEE10hipError_tT0_T1_T2_jT3_P12ihipStream_tbPNSt15iterator_traitsISI_E10value_typeEPNSO_ISJ_E10value_typeEPSK_NS1_7vsmem_tEENKUlT_SI_SJ_SK_E_clIPiSD_S10_SD_EESH_SX_SI_SJ_SK_EUlSX_E_NS1_11comp_targetILNS1_3genE5ELNS1_11target_archE942ELNS1_3gpuE9ELNS1_3repE0EEENS1_48merge_mergepath_partition_config_static_selectorELNS0_4arch9wavefront6targetE1EEEvSJ_, .Lfunc_end758-_ZN7rocprim17ROCPRIM_400000_NS6detail17trampoline_kernelINS0_14default_configENS1_38merge_sort_block_merge_config_selectorIiiEEZZNS1_27merge_sort_block_merge_implIS3_N6thrust23THRUST_200600_302600_NS6detail15normal_iteratorINS8_10device_ptrIiEEEESD_jNS1_19radix_merge_compareILb0ELb1EiNS0_19identity_decomposerEEEEE10hipError_tT0_T1_T2_jT3_P12ihipStream_tbPNSt15iterator_traitsISI_E10value_typeEPNSO_ISJ_E10value_typeEPSK_NS1_7vsmem_tEENKUlT_SI_SJ_SK_E_clIPiSD_S10_SD_EESH_SX_SI_SJ_SK_EUlSX_E_NS1_11comp_targetILNS1_3genE5ELNS1_11target_archE942ELNS1_3gpuE9ELNS1_3repE0EEENS1_48merge_mergepath_partition_config_static_selectorELNS0_4arch9wavefront6targetE1EEEvSJ_
                                        ; -- End function
	.set _ZN7rocprim17ROCPRIM_400000_NS6detail17trampoline_kernelINS0_14default_configENS1_38merge_sort_block_merge_config_selectorIiiEEZZNS1_27merge_sort_block_merge_implIS3_N6thrust23THRUST_200600_302600_NS6detail15normal_iteratorINS8_10device_ptrIiEEEESD_jNS1_19radix_merge_compareILb0ELb1EiNS0_19identity_decomposerEEEEE10hipError_tT0_T1_T2_jT3_P12ihipStream_tbPNSt15iterator_traitsISI_E10value_typeEPNSO_ISJ_E10value_typeEPSK_NS1_7vsmem_tEENKUlT_SI_SJ_SK_E_clIPiSD_S10_SD_EESH_SX_SI_SJ_SK_EUlSX_E_NS1_11comp_targetILNS1_3genE5ELNS1_11target_archE942ELNS1_3gpuE9ELNS1_3repE0EEENS1_48merge_mergepath_partition_config_static_selectorELNS0_4arch9wavefront6targetE1EEEvSJ_.num_vgpr, 0
	.set _ZN7rocprim17ROCPRIM_400000_NS6detail17trampoline_kernelINS0_14default_configENS1_38merge_sort_block_merge_config_selectorIiiEEZZNS1_27merge_sort_block_merge_implIS3_N6thrust23THRUST_200600_302600_NS6detail15normal_iteratorINS8_10device_ptrIiEEEESD_jNS1_19radix_merge_compareILb0ELb1EiNS0_19identity_decomposerEEEEE10hipError_tT0_T1_T2_jT3_P12ihipStream_tbPNSt15iterator_traitsISI_E10value_typeEPNSO_ISJ_E10value_typeEPSK_NS1_7vsmem_tEENKUlT_SI_SJ_SK_E_clIPiSD_S10_SD_EESH_SX_SI_SJ_SK_EUlSX_E_NS1_11comp_targetILNS1_3genE5ELNS1_11target_archE942ELNS1_3gpuE9ELNS1_3repE0EEENS1_48merge_mergepath_partition_config_static_selectorELNS0_4arch9wavefront6targetE1EEEvSJ_.num_agpr, 0
	.set _ZN7rocprim17ROCPRIM_400000_NS6detail17trampoline_kernelINS0_14default_configENS1_38merge_sort_block_merge_config_selectorIiiEEZZNS1_27merge_sort_block_merge_implIS3_N6thrust23THRUST_200600_302600_NS6detail15normal_iteratorINS8_10device_ptrIiEEEESD_jNS1_19radix_merge_compareILb0ELb1EiNS0_19identity_decomposerEEEEE10hipError_tT0_T1_T2_jT3_P12ihipStream_tbPNSt15iterator_traitsISI_E10value_typeEPNSO_ISJ_E10value_typeEPSK_NS1_7vsmem_tEENKUlT_SI_SJ_SK_E_clIPiSD_S10_SD_EESH_SX_SI_SJ_SK_EUlSX_E_NS1_11comp_targetILNS1_3genE5ELNS1_11target_archE942ELNS1_3gpuE9ELNS1_3repE0EEENS1_48merge_mergepath_partition_config_static_selectorELNS0_4arch9wavefront6targetE1EEEvSJ_.numbered_sgpr, 0
	.set _ZN7rocprim17ROCPRIM_400000_NS6detail17trampoline_kernelINS0_14default_configENS1_38merge_sort_block_merge_config_selectorIiiEEZZNS1_27merge_sort_block_merge_implIS3_N6thrust23THRUST_200600_302600_NS6detail15normal_iteratorINS8_10device_ptrIiEEEESD_jNS1_19radix_merge_compareILb0ELb1EiNS0_19identity_decomposerEEEEE10hipError_tT0_T1_T2_jT3_P12ihipStream_tbPNSt15iterator_traitsISI_E10value_typeEPNSO_ISJ_E10value_typeEPSK_NS1_7vsmem_tEENKUlT_SI_SJ_SK_E_clIPiSD_S10_SD_EESH_SX_SI_SJ_SK_EUlSX_E_NS1_11comp_targetILNS1_3genE5ELNS1_11target_archE942ELNS1_3gpuE9ELNS1_3repE0EEENS1_48merge_mergepath_partition_config_static_selectorELNS0_4arch9wavefront6targetE1EEEvSJ_.num_named_barrier, 0
	.set _ZN7rocprim17ROCPRIM_400000_NS6detail17trampoline_kernelINS0_14default_configENS1_38merge_sort_block_merge_config_selectorIiiEEZZNS1_27merge_sort_block_merge_implIS3_N6thrust23THRUST_200600_302600_NS6detail15normal_iteratorINS8_10device_ptrIiEEEESD_jNS1_19radix_merge_compareILb0ELb1EiNS0_19identity_decomposerEEEEE10hipError_tT0_T1_T2_jT3_P12ihipStream_tbPNSt15iterator_traitsISI_E10value_typeEPNSO_ISJ_E10value_typeEPSK_NS1_7vsmem_tEENKUlT_SI_SJ_SK_E_clIPiSD_S10_SD_EESH_SX_SI_SJ_SK_EUlSX_E_NS1_11comp_targetILNS1_3genE5ELNS1_11target_archE942ELNS1_3gpuE9ELNS1_3repE0EEENS1_48merge_mergepath_partition_config_static_selectorELNS0_4arch9wavefront6targetE1EEEvSJ_.private_seg_size, 0
	.set _ZN7rocprim17ROCPRIM_400000_NS6detail17trampoline_kernelINS0_14default_configENS1_38merge_sort_block_merge_config_selectorIiiEEZZNS1_27merge_sort_block_merge_implIS3_N6thrust23THRUST_200600_302600_NS6detail15normal_iteratorINS8_10device_ptrIiEEEESD_jNS1_19radix_merge_compareILb0ELb1EiNS0_19identity_decomposerEEEEE10hipError_tT0_T1_T2_jT3_P12ihipStream_tbPNSt15iterator_traitsISI_E10value_typeEPNSO_ISJ_E10value_typeEPSK_NS1_7vsmem_tEENKUlT_SI_SJ_SK_E_clIPiSD_S10_SD_EESH_SX_SI_SJ_SK_EUlSX_E_NS1_11comp_targetILNS1_3genE5ELNS1_11target_archE942ELNS1_3gpuE9ELNS1_3repE0EEENS1_48merge_mergepath_partition_config_static_selectorELNS0_4arch9wavefront6targetE1EEEvSJ_.uses_vcc, 0
	.set _ZN7rocprim17ROCPRIM_400000_NS6detail17trampoline_kernelINS0_14default_configENS1_38merge_sort_block_merge_config_selectorIiiEEZZNS1_27merge_sort_block_merge_implIS3_N6thrust23THRUST_200600_302600_NS6detail15normal_iteratorINS8_10device_ptrIiEEEESD_jNS1_19radix_merge_compareILb0ELb1EiNS0_19identity_decomposerEEEEE10hipError_tT0_T1_T2_jT3_P12ihipStream_tbPNSt15iterator_traitsISI_E10value_typeEPNSO_ISJ_E10value_typeEPSK_NS1_7vsmem_tEENKUlT_SI_SJ_SK_E_clIPiSD_S10_SD_EESH_SX_SI_SJ_SK_EUlSX_E_NS1_11comp_targetILNS1_3genE5ELNS1_11target_archE942ELNS1_3gpuE9ELNS1_3repE0EEENS1_48merge_mergepath_partition_config_static_selectorELNS0_4arch9wavefront6targetE1EEEvSJ_.uses_flat_scratch, 0
	.set _ZN7rocprim17ROCPRIM_400000_NS6detail17trampoline_kernelINS0_14default_configENS1_38merge_sort_block_merge_config_selectorIiiEEZZNS1_27merge_sort_block_merge_implIS3_N6thrust23THRUST_200600_302600_NS6detail15normal_iteratorINS8_10device_ptrIiEEEESD_jNS1_19radix_merge_compareILb0ELb1EiNS0_19identity_decomposerEEEEE10hipError_tT0_T1_T2_jT3_P12ihipStream_tbPNSt15iterator_traitsISI_E10value_typeEPNSO_ISJ_E10value_typeEPSK_NS1_7vsmem_tEENKUlT_SI_SJ_SK_E_clIPiSD_S10_SD_EESH_SX_SI_SJ_SK_EUlSX_E_NS1_11comp_targetILNS1_3genE5ELNS1_11target_archE942ELNS1_3gpuE9ELNS1_3repE0EEENS1_48merge_mergepath_partition_config_static_selectorELNS0_4arch9wavefront6targetE1EEEvSJ_.has_dyn_sized_stack, 0
	.set _ZN7rocprim17ROCPRIM_400000_NS6detail17trampoline_kernelINS0_14default_configENS1_38merge_sort_block_merge_config_selectorIiiEEZZNS1_27merge_sort_block_merge_implIS3_N6thrust23THRUST_200600_302600_NS6detail15normal_iteratorINS8_10device_ptrIiEEEESD_jNS1_19radix_merge_compareILb0ELb1EiNS0_19identity_decomposerEEEEE10hipError_tT0_T1_T2_jT3_P12ihipStream_tbPNSt15iterator_traitsISI_E10value_typeEPNSO_ISJ_E10value_typeEPSK_NS1_7vsmem_tEENKUlT_SI_SJ_SK_E_clIPiSD_S10_SD_EESH_SX_SI_SJ_SK_EUlSX_E_NS1_11comp_targetILNS1_3genE5ELNS1_11target_archE942ELNS1_3gpuE9ELNS1_3repE0EEENS1_48merge_mergepath_partition_config_static_selectorELNS0_4arch9wavefront6targetE1EEEvSJ_.has_recursion, 0
	.set _ZN7rocprim17ROCPRIM_400000_NS6detail17trampoline_kernelINS0_14default_configENS1_38merge_sort_block_merge_config_selectorIiiEEZZNS1_27merge_sort_block_merge_implIS3_N6thrust23THRUST_200600_302600_NS6detail15normal_iteratorINS8_10device_ptrIiEEEESD_jNS1_19radix_merge_compareILb0ELb1EiNS0_19identity_decomposerEEEEE10hipError_tT0_T1_T2_jT3_P12ihipStream_tbPNSt15iterator_traitsISI_E10value_typeEPNSO_ISJ_E10value_typeEPSK_NS1_7vsmem_tEENKUlT_SI_SJ_SK_E_clIPiSD_S10_SD_EESH_SX_SI_SJ_SK_EUlSX_E_NS1_11comp_targetILNS1_3genE5ELNS1_11target_archE942ELNS1_3gpuE9ELNS1_3repE0EEENS1_48merge_mergepath_partition_config_static_selectorELNS0_4arch9wavefront6targetE1EEEvSJ_.has_indirect_call, 0
	.section	.AMDGPU.csdata,"",@progbits
; Kernel info:
; codeLenInByte = 0
; TotalNumSgprs: 6
; NumVgprs: 0
; NumAgprs: 0
; TotalNumVgprs: 0
; ScratchSize: 0
; MemoryBound: 0
; FloatMode: 240
; IeeeMode: 1
; LDSByteSize: 0 bytes/workgroup (compile time only)
; SGPRBlocks: 0
; VGPRBlocks: 0
; NumSGPRsForWavesPerEU: 6
; NumVGPRsForWavesPerEU: 1
; AccumOffset: 4
; Occupancy: 8
; WaveLimiterHint : 0
; COMPUTE_PGM_RSRC2:SCRATCH_EN: 0
; COMPUTE_PGM_RSRC2:USER_SGPR: 2
; COMPUTE_PGM_RSRC2:TRAP_HANDLER: 0
; COMPUTE_PGM_RSRC2:TGID_X_EN: 1
; COMPUTE_PGM_RSRC2:TGID_Y_EN: 0
; COMPUTE_PGM_RSRC2:TGID_Z_EN: 0
; COMPUTE_PGM_RSRC2:TIDIG_COMP_CNT: 0
; COMPUTE_PGM_RSRC3_GFX90A:ACCUM_OFFSET: 0
; COMPUTE_PGM_RSRC3_GFX90A:TG_SPLIT: 0
	.section	.text._ZN7rocprim17ROCPRIM_400000_NS6detail17trampoline_kernelINS0_14default_configENS1_38merge_sort_block_merge_config_selectorIiiEEZZNS1_27merge_sort_block_merge_implIS3_N6thrust23THRUST_200600_302600_NS6detail15normal_iteratorINS8_10device_ptrIiEEEESD_jNS1_19radix_merge_compareILb0ELb1EiNS0_19identity_decomposerEEEEE10hipError_tT0_T1_T2_jT3_P12ihipStream_tbPNSt15iterator_traitsISI_E10value_typeEPNSO_ISJ_E10value_typeEPSK_NS1_7vsmem_tEENKUlT_SI_SJ_SK_E_clIPiSD_S10_SD_EESH_SX_SI_SJ_SK_EUlSX_E_NS1_11comp_targetILNS1_3genE4ELNS1_11target_archE910ELNS1_3gpuE8ELNS1_3repE0EEENS1_48merge_mergepath_partition_config_static_selectorELNS0_4arch9wavefront6targetE1EEEvSJ_,"axG",@progbits,_ZN7rocprim17ROCPRIM_400000_NS6detail17trampoline_kernelINS0_14default_configENS1_38merge_sort_block_merge_config_selectorIiiEEZZNS1_27merge_sort_block_merge_implIS3_N6thrust23THRUST_200600_302600_NS6detail15normal_iteratorINS8_10device_ptrIiEEEESD_jNS1_19radix_merge_compareILb0ELb1EiNS0_19identity_decomposerEEEEE10hipError_tT0_T1_T2_jT3_P12ihipStream_tbPNSt15iterator_traitsISI_E10value_typeEPNSO_ISJ_E10value_typeEPSK_NS1_7vsmem_tEENKUlT_SI_SJ_SK_E_clIPiSD_S10_SD_EESH_SX_SI_SJ_SK_EUlSX_E_NS1_11comp_targetILNS1_3genE4ELNS1_11target_archE910ELNS1_3gpuE8ELNS1_3repE0EEENS1_48merge_mergepath_partition_config_static_selectorELNS0_4arch9wavefront6targetE1EEEvSJ_,comdat
	.protected	_ZN7rocprim17ROCPRIM_400000_NS6detail17trampoline_kernelINS0_14default_configENS1_38merge_sort_block_merge_config_selectorIiiEEZZNS1_27merge_sort_block_merge_implIS3_N6thrust23THRUST_200600_302600_NS6detail15normal_iteratorINS8_10device_ptrIiEEEESD_jNS1_19radix_merge_compareILb0ELb1EiNS0_19identity_decomposerEEEEE10hipError_tT0_T1_T2_jT3_P12ihipStream_tbPNSt15iterator_traitsISI_E10value_typeEPNSO_ISJ_E10value_typeEPSK_NS1_7vsmem_tEENKUlT_SI_SJ_SK_E_clIPiSD_S10_SD_EESH_SX_SI_SJ_SK_EUlSX_E_NS1_11comp_targetILNS1_3genE4ELNS1_11target_archE910ELNS1_3gpuE8ELNS1_3repE0EEENS1_48merge_mergepath_partition_config_static_selectorELNS0_4arch9wavefront6targetE1EEEvSJ_ ; -- Begin function _ZN7rocprim17ROCPRIM_400000_NS6detail17trampoline_kernelINS0_14default_configENS1_38merge_sort_block_merge_config_selectorIiiEEZZNS1_27merge_sort_block_merge_implIS3_N6thrust23THRUST_200600_302600_NS6detail15normal_iteratorINS8_10device_ptrIiEEEESD_jNS1_19radix_merge_compareILb0ELb1EiNS0_19identity_decomposerEEEEE10hipError_tT0_T1_T2_jT3_P12ihipStream_tbPNSt15iterator_traitsISI_E10value_typeEPNSO_ISJ_E10value_typeEPSK_NS1_7vsmem_tEENKUlT_SI_SJ_SK_E_clIPiSD_S10_SD_EESH_SX_SI_SJ_SK_EUlSX_E_NS1_11comp_targetILNS1_3genE4ELNS1_11target_archE910ELNS1_3gpuE8ELNS1_3repE0EEENS1_48merge_mergepath_partition_config_static_selectorELNS0_4arch9wavefront6targetE1EEEvSJ_
	.globl	_ZN7rocprim17ROCPRIM_400000_NS6detail17trampoline_kernelINS0_14default_configENS1_38merge_sort_block_merge_config_selectorIiiEEZZNS1_27merge_sort_block_merge_implIS3_N6thrust23THRUST_200600_302600_NS6detail15normal_iteratorINS8_10device_ptrIiEEEESD_jNS1_19radix_merge_compareILb0ELb1EiNS0_19identity_decomposerEEEEE10hipError_tT0_T1_T2_jT3_P12ihipStream_tbPNSt15iterator_traitsISI_E10value_typeEPNSO_ISJ_E10value_typeEPSK_NS1_7vsmem_tEENKUlT_SI_SJ_SK_E_clIPiSD_S10_SD_EESH_SX_SI_SJ_SK_EUlSX_E_NS1_11comp_targetILNS1_3genE4ELNS1_11target_archE910ELNS1_3gpuE8ELNS1_3repE0EEENS1_48merge_mergepath_partition_config_static_selectorELNS0_4arch9wavefront6targetE1EEEvSJ_
	.p2align	8
	.type	_ZN7rocprim17ROCPRIM_400000_NS6detail17trampoline_kernelINS0_14default_configENS1_38merge_sort_block_merge_config_selectorIiiEEZZNS1_27merge_sort_block_merge_implIS3_N6thrust23THRUST_200600_302600_NS6detail15normal_iteratorINS8_10device_ptrIiEEEESD_jNS1_19radix_merge_compareILb0ELb1EiNS0_19identity_decomposerEEEEE10hipError_tT0_T1_T2_jT3_P12ihipStream_tbPNSt15iterator_traitsISI_E10value_typeEPNSO_ISJ_E10value_typeEPSK_NS1_7vsmem_tEENKUlT_SI_SJ_SK_E_clIPiSD_S10_SD_EESH_SX_SI_SJ_SK_EUlSX_E_NS1_11comp_targetILNS1_3genE4ELNS1_11target_archE910ELNS1_3gpuE8ELNS1_3repE0EEENS1_48merge_mergepath_partition_config_static_selectorELNS0_4arch9wavefront6targetE1EEEvSJ_,@function
_ZN7rocprim17ROCPRIM_400000_NS6detail17trampoline_kernelINS0_14default_configENS1_38merge_sort_block_merge_config_selectorIiiEEZZNS1_27merge_sort_block_merge_implIS3_N6thrust23THRUST_200600_302600_NS6detail15normal_iteratorINS8_10device_ptrIiEEEESD_jNS1_19radix_merge_compareILb0ELb1EiNS0_19identity_decomposerEEEEE10hipError_tT0_T1_T2_jT3_P12ihipStream_tbPNSt15iterator_traitsISI_E10value_typeEPNSO_ISJ_E10value_typeEPSK_NS1_7vsmem_tEENKUlT_SI_SJ_SK_E_clIPiSD_S10_SD_EESH_SX_SI_SJ_SK_EUlSX_E_NS1_11comp_targetILNS1_3genE4ELNS1_11target_archE910ELNS1_3gpuE8ELNS1_3repE0EEENS1_48merge_mergepath_partition_config_static_selectorELNS0_4arch9wavefront6targetE1EEEvSJ_: ; @_ZN7rocprim17ROCPRIM_400000_NS6detail17trampoline_kernelINS0_14default_configENS1_38merge_sort_block_merge_config_selectorIiiEEZZNS1_27merge_sort_block_merge_implIS3_N6thrust23THRUST_200600_302600_NS6detail15normal_iteratorINS8_10device_ptrIiEEEESD_jNS1_19radix_merge_compareILb0ELb1EiNS0_19identity_decomposerEEEEE10hipError_tT0_T1_T2_jT3_P12ihipStream_tbPNSt15iterator_traitsISI_E10value_typeEPNSO_ISJ_E10value_typeEPSK_NS1_7vsmem_tEENKUlT_SI_SJ_SK_E_clIPiSD_S10_SD_EESH_SX_SI_SJ_SK_EUlSX_E_NS1_11comp_targetILNS1_3genE4ELNS1_11target_archE910ELNS1_3gpuE8ELNS1_3repE0EEENS1_48merge_mergepath_partition_config_static_selectorELNS0_4arch9wavefront6targetE1EEEvSJ_
; %bb.0:
	.section	.rodata,"a",@progbits
	.p2align	6, 0x0
	.amdhsa_kernel _ZN7rocprim17ROCPRIM_400000_NS6detail17trampoline_kernelINS0_14default_configENS1_38merge_sort_block_merge_config_selectorIiiEEZZNS1_27merge_sort_block_merge_implIS3_N6thrust23THRUST_200600_302600_NS6detail15normal_iteratorINS8_10device_ptrIiEEEESD_jNS1_19radix_merge_compareILb0ELb1EiNS0_19identity_decomposerEEEEE10hipError_tT0_T1_T2_jT3_P12ihipStream_tbPNSt15iterator_traitsISI_E10value_typeEPNSO_ISJ_E10value_typeEPSK_NS1_7vsmem_tEENKUlT_SI_SJ_SK_E_clIPiSD_S10_SD_EESH_SX_SI_SJ_SK_EUlSX_E_NS1_11comp_targetILNS1_3genE4ELNS1_11target_archE910ELNS1_3gpuE8ELNS1_3repE0EEENS1_48merge_mergepath_partition_config_static_selectorELNS0_4arch9wavefront6targetE1EEEvSJ_
		.amdhsa_group_segment_fixed_size 0
		.amdhsa_private_segment_fixed_size 0
		.amdhsa_kernarg_size 40
		.amdhsa_user_sgpr_count 2
		.amdhsa_user_sgpr_dispatch_ptr 0
		.amdhsa_user_sgpr_queue_ptr 0
		.amdhsa_user_sgpr_kernarg_segment_ptr 1
		.amdhsa_user_sgpr_dispatch_id 0
		.amdhsa_user_sgpr_kernarg_preload_length 0
		.amdhsa_user_sgpr_kernarg_preload_offset 0
		.amdhsa_user_sgpr_private_segment_size 0
		.amdhsa_uses_dynamic_stack 0
		.amdhsa_enable_private_segment 0
		.amdhsa_system_sgpr_workgroup_id_x 1
		.amdhsa_system_sgpr_workgroup_id_y 0
		.amdhsa_system_sgpr_workgroup_id_z 0
		.amdhsa_system_sgpr_workgroup_info 0
		.amdhsa_system_vgpr_workitem_id 0
		.amdhsa_next_free_vgpr 1
		.amdhsa_next_free_sgpr 0
		.amdhsa_accum_offset 4
		.amdhsa_reserve_vcc 0
		.amdhsa_float_round_mode_32 0
		.amdhsa_float_round_mode_16_64 0
		.amdhsa_float_denorm_mode_32 3
		.amdhsa_float_denorm_mode_16_64 3
		.amdhsa_dx10_clamp 1
		.amdhsa_ieee_mode 1
		.amdhsa_fp16_overflow 0
		.amdhsa_tg_split 0
		.amdhsa_exception_fp_ieee_invalid_op 0
		.amdhsa_exception_fp_denorm_src 0
		.amdhsa_exception_fp_ieee_div_zero 0
		.amdhsa_exception_fp_ieee_overflow 0
		.amdhsa_exception_fp_ieee_underflow 0
		.amdhsa_exception_fp_ieee_inexact 0
		.amdhsa_exception_int_div_zero 0
	.end_amdhsa_kernel
	.section	.text._ZN7rocprim17ROCPRIM_400000_NS6detail17trampoline_kernelINS0_14default_configENS1_38merge_sort_block_merge_config_selectorIiiEEZZNS1_27merge_sort_block_merge_implIS3_N6thrust23THRUST_200600_302600_NS6detail15normal_iteratorINS8_10device_ptrIiEEEESD_jNS1_19radix_merge_compareILb0ELb1EiNS0_19identity_decomposerEEEEE10hipError_tT0_T1_T2_jT3_P12ihipStream_tbPNSt15iterator_traitsISI_E10value_typeEPNSO_ISJ_E10value_typeEPSK_NS1_7vsmem_tEENKUlT_SI_SJ_SK_E_clIPiSD_S10_SD_EESH_SX_SI_SJ_SK_EUlSX_E_NS1_11comp_targetILNS1_3genE4ELNS1_11target_archE910ELNS1_3gpuE8ELNS1_3repE0EEENS1_48merge_mergepath_partition_config_static_selectorELNS0_4arch9wavefront6targetE1EEEvSJ_,"axG",@progbits,_ZN7rocprim17ROCPRIM_400000_NS6detail17trampoline_kernelINS0_14default_configENS1_38merge_sort_block_merge_config_selectorIiiEEZZNS1_27merge_sort_block_merge_implIS3_N6thrust23THRUST_200600_302600_NS6detail15normal_iteratorINS8_10device_ptrIiEEEESD_jNS1_19radix_merge_compareILb0ELb1EiNS0_19identity_decomposerEEEEE10hipError_tT0_T1_T2_jT3_P12ihipStream_tbPNSt15iterator_traitsISI_E10value_typeEPNSO_ISJ_E10value_typeEPSK_NS1_7vsmem_tEENKUlT_SI_SJ_SK_E_clIPiSD_S10_SD_EESH_SX_SI_SJ_SK_EUlSX_E_NS1_11comp_targetILNS1_3genE4ELNS1_11target_archE910ELNS1_3gpuE8ELNS1_3repE0EEENS1_48merge_mergepath_partition_config_static_selectorELNS0_4arch9wavefront6targetE1EEEvSJ_,comdat
.Lfunc_end759:
	.size	_ZN7rocprim17ROCPRIM_400000_NS6detail17trampoline_kernelINS0_14default_configENS1_38merge_sort_block_merge_config_selectorIiiEEZZNS1_27merge_sort_block_merge_implIS3_N6thrust23THRUST_200600_302600_NS6detail15normal_iteratorINS8_10device_ptrIiEEEESD_jNS1_19radix_merge_compareILb0ELb1EiNS0_19identity_decomposerEEEEE10hipError_tT0_T1_T2_jT3_P12ihipStream_tbPNSt15iterator_traitsISI_E10value_typeEPNSO_ISJ_E10value_typeEPSK_NS1_7vsmem_tEENKUlT_SI_SJ_SK_E_clIPiSD_S10_SD_EESH_SX_SI_SJ_SK_EUlSX_E_NS1_11comp_targetILNS1_3genE4ELNS1_11target_archE910ELNS1_3gpuE8ELNS1_3repE0EEENS1_48merge_mergepath_partition_config_static_selectorELNS0_4arch9wavefront6targetE1EEEvSJ_, .Lfunc_end759-_ZN7rocprim17ROCPRIM_400000_NS6detail17trampoline_kernelINS0_14default_configENS1_38merge_sort_block_merge_config_selectorIiiEEZZNS1_27merge_sort_block_merge_implIS3_N6thrust23THRUST_200600_302600_NS6detail15normal_iteratorINS8_10device_ptrIiEEEESD_jNS1_19radix_merge_compareILb0ELb1EiNS0_19identity_decomposerEEEEE10hipError_tT0_T1_T2_jT3_P12ihipStream_tbPNSt15iterator_traitsISI_E10value_typeEPNSO_ISJ_E10value_typeEPSK_NS1_7vsmem_tEENKUlT_SI_SJ_SK_E_clIPiSD_S10_SD_EESH_SX_SI_SJ_SK_EUlSX_E_NS1_11comp_targetILNS1_3genE4ELNS1_11target_archE910ELNS1_3gpuE8ELNS1_3repE0EEENS1_48merge_mergepath_partition_config_static_selectorELNS0_4arch9wavefront6targetE1EEEvSJ_
                                        ; -- End function
	.set _ZN7rocprim17ROCPRIM_400000_NS6detail17trampoline_kernelINS0_14default_configENS1_38merge_sort_block_merge_config_selectorIiiEEZZNS1_27merge_sort_block_merge_implIS3_N6thrust23THRUST_200600_302600_NS6detail15normal_iteratorINS8_10device_ptrIiEEEESD_jNS1_19radix_merge_compareILb0ELb1EiNS0_19identity_decomposerEEEEE10hipError_tT0_T1_T2_jT3_P12ihipStream_tbPNSt15iterator_traitsISI_E10value_typeEPNSO_ISJ_E10value_typeEPSK_NS1_7vsmem_tEENKUlT_SI_SJ_SK_E_clIPiSD_S10_SD_EESH_SX_SI_SJ_SK_EUlSX_E_NS1_11comp_targetILNS1_3genE4ELNS1_11target_archE910ELNS1_3gpuE8ELNS1_3repE0EEENS1_48merge_mergepath_partition_config_static_selectorELNS0_4arch9wavefront6targetE1EEEvSJ_.num_vgpr, 0
	.set _ZN7rocprim17ROCPRIM_400000_NS6detail17trampoline_kernelINS0_14default_configENS1_38merge_sort_block_merge_config_selectorIiiEEZZNS1_27merge_sort_block_merge_implIS3_N6thrust23THRUST_200600_302600_NS6detail15normal_iteratorINS8_10device_ptrIiEEEESD_jNS1_19radix_merge_compareILb0ELb1EiNS0_19identity_decomposerEEEEE10hipError_tT0_T1_T2_jT3_P12ihipStream_tbPNSt15iterator_traitsISI_E10value_typeEPNSO_ISJ_E10value_typeEPSK_NS1_7vsmem_tEENKUlT_SI_SJ_SK_E_clIPiSD_S10_SD_EESH_SX_SI_SJ_SK_EUlSX_E_NS1_11comp_targetILNS1_3genE4ELNS1_11target_archE910ELNS1_3gpuE8ELNS1_3repE0EEENS1_48merge_mergepath_partition_config_static_selectorELNS0_4arch9wavefront6targetE1EEEvSJ_.num_agpr, 0
	.set _ZN7rocprim17ROCPRIM_400000_NS6detail17trampoline_kernelINS0_14default_configENS1_38merge_sort_block_merge_config_selectorIiiEEZZNS1_27merge_sort_block_merge_implIS3_N6thrust23THRUST_200600_302600_NS6detail15normal_iteratorINS8_10device_ptrIiEEEESD_jNS1_19radix_merge_compareILb0ELb1EiNS0_19identity_decomposerEEEEE10hipError_tT0_T1_T2_jT3_P12ihipStream_tbPNSt15iterator_traitsISI_E10value_typeEPNSO_ISJ_E10value_typeEPSK_NS1_7vsmem_tEENKUlT_SI_SJ_SK_E_clIPiSD_S10_SD_EESH_SX_SI_SJ_SK_EUlSX_E_NS1_11comp_targetILNS1_3genE4ELNS1_11target_archE910ELNS1_3gpuE8ELNS1_3repE0EEENS1_48merge_mergepath_partition_config_static_selectorELNS0_4arch9wavefront6targetE1EEEvSJ_.numbered_sgpr, 0
	.set _ZN7rocprim17ROCPRIM_400000_NS6detail17trampoline_kernelINS0_14default_configENS1_38merge_sort_block_merge_config_selectorIiiEEZZNS1_27merge_sort_block_merge_implIS3_N6thrust23THRUST_200600_302600_NS6detail15normal_iteratorINS8_10device_ptrIiEEEESD_jNS1_19radix_merge_compareILb0ELb1EiNS0_19identity_decomposerEEEEE10hipError_tT0_T1_T2_jT3_P12ihipStream_tbPNSt15iterator_traitsISI_E10value_typeEPNSO_ISJ_E10value_typeEPSK_NS1_7vsmem_tEENKUlT_SI_SJ_SK_E_clIPiSD_S10_SD_EESH_SX_SI_SJ_SK_EUlSX_E_NS1_11comp_targetILNS1_3genE4ELNS1_11target_archE910ELNS1_3gpuE8ELNS1_3repE0EEENS1_48merge_mergepath_partition_config_static_selectorELNS0_4arch9wavefront6targetE1EEEvSJ_.num_named_barrier, 0
	.set _ZN7rocprim17ROCPRIM_400000_NS6detail17trampoline_kernelINS0_14default_configENS1_38merge_sort_block_merge_config_selectorIiiEEZZNS1_27merge_sort_block_merge_implIS3_N6thrust23THRUST_200600_302600_NS6detail15normal_iteratorINS8_10device_ptrIiEEEESD_jNS1_19radix_merge_compareILb0ELb1EiNS0_19identity_decomposerEEEEE10hipError_tT0_T1_T2_jT3_P12ihipStream_tbPNSt15iterator_traitsISI_E10value_typeEPNSO_ISJ_E10value_typeEPSK_NS1_7vsmem_tEENKUlT_SI_SJ_SK_E_clIPiSD_S10_SD_EESH_SX_SI_SJ_SK_EUlSX_E_NS1_11comp_targetILNS1_3genE4ELNS1_11target_archE910ELNS1_3gpuE8ELNS1_3repE0EEENS1_48merge_mergepath_partition_config_static_selectorELNS0_4arch9wavefront6targetE1EEEvSJ_.private_seg_size, 0
	.set _ZN7rocprim17ROCPRIM_400000_NS6detail17trampoline_kernelINS0_14default_configENS1_38merge_sort_block_merge_config_selectorIiiEEZZNS1_27merge_sort_block_merge_implIS3_N6thrust23THRUST_200600_302600_NS6detail15normal_iteratorINS8_10device_ptrIiEEEESD_jNS1_19radix_merge_compareILb0ELb1EiNS0_19identity_decomposerEEEEE10hipError_tT0_T1_T2_jT3_P12ihipStream_tbPNSt15iterator_traitsISI_E10value_typeEPNSO_ISJ_E10value_typeEPSK_NS1_7vsmem_tEENKUlT_SI_SJ_SK_E_clIPiSD_S10_SD_EESH_SX_SI_SJ_SK_EUlSX_E_NS1_11comp_targetILNS1_3genE4ELNS1_11target_archE910ELNS1_3gpuE8ELNS1_3repE0EEENS1_48merge_mergepath_partition_config_static_selectorELNS0_4arch9wavefront6targetE1EEEvSJ_.uses_vcc, 0
	.set _ZN7rocprim17ROCPRIM_400000_NS6detail17trampoline_kernelINS0_14default_configENS1_38merge_sort_block_merge_config_selectorIiiEEZZNS1_27merge_sort_block_merge_implIS3_N6thrust23THRUST_200600_302600_NS6detail15normal_iteratorINS8_10device_ptrIiEEEESD_jNS1_19radix_merge_compareILb0ELb1EiNS0_19identity_decomposerEEEEE10hipError_tT0_T1_T2_jT3_P12ihipStream_tbPNSt15iterator_traitsISI_E10value_typeEPNSO_ISJ_E10value_typeEPSK_NS1_7vsmem_tEENKUlT_SI_SJ_SK_E_clIPiSD_S10_SD_EESH_SX_SI_SJ_SK_EUlSX_E_NS1_11comp_targetILNS1_3genE4ELNS1_11target_archE910ELNS1_3gpuE8ELNS1_3repE0EEENS1_48merge_mergepath_partition_config_static_selectorELNS0_4arch9wavefront6targetE1EEEvSJ_.uses_flat_scratch, 0
	.set _ZN7rocprim17ROCPRIM_400000_NS6detail17trampoline_kernelINS0_14default_configENS1_38merge_sort_block_merge_config_selectorIiiEEZZNS1_27merge_sort_block_merge_implIS3_N6thrust23THRUST_200600_302600_NS6detail15normal_iteratorINS8_10device_ptrIiEEEESD_jNS1_19radix_merge_compareILb0ELb1EiNS0_19identity_decomposerEEEEE10hipError_tT0_T1_T2_jT3_P12ihipStream_tbPNSt15iterator_traitsISI_E10value_typeEPNSO_ISJ_E10value_typeEPSK_NS1_7vsmem_tEENKUlT_SI_SJ_SK_E_clIPiSD_S10_SD_EESH_SX_SI_SJ_SK_EUlSX_E_NS1_11comp_targetILNS1_3genE4ELNS1_11target_archE910ELNS1_3gpuE8ELNS1_3repE0EEENS1_48merge_mergepath_partition_config_static_selectorELNS0_4arch9wavefront6targetE1EEEvSJ_.has_dyn_sized_stack, 0
	.set _ZN7rocprim17ROCPRIM_400000_NS6detail17trampoline_kernelINS0_14default_configENS1_38merge_sort_block_merge_config_selectorIiiEEZZNS1_27merge_sort_block_merge_implIS3_N6thrust23THRUST_200600_302600_NS6detail15normal_iteratorINS8_10device_ptrIiEEEESD_jNS1_19radix_merge_compareILb0ELb1EiNS0_19identity_decomposerEEEEE10hipError_tT0_T1_T2_jT3_P12ihipStream_tbPNSt15iterator_traitsISI_E10value_typeEPNSO_ISJ_E10value_typeEPSK_NS1_7vsmem_tEENKUlT_SI_SJ_SK_E_clIPiSD_S10_SD_EESH_SX_SI_SJ_SK_EUlSX_E_NS1_11comp_targetILNS1_3genE4ELNS1_11target_archE910ELNS1_3gpuE8ELNS1_3repE0EEENS1_48merge_mergepath_partition_config_static_selectorELNS0_4arch9wavefront6targetE1EEEvSJ_.has_recursion, 0
	.set _ZN7rocprim17ROCPRIM_400000_NS6detail17trampoline_kernelINS0_14default_configENS1_38merge_sort_block_merge_config_selectorIiiEEZZNS1_27merge_sort_block_merge_implIS3_N6thrust23THRUST_200600_302600_NS6detail15normal_iteratorINS8_10device_ptrIiEEEESD_jNS1_19radix_merge_compareILb0ELb1EiNS0_19identity_decomposerEEEEE10hipError_tT0_T1_T2_jT3_P12ihipStream_tbPNSt15iterator_traitsISI_E10value_typeEPNSO_ISJ_E10value_typeEPSK_NS1_7vsmem_tEENKUlT_SI_SJ_SK_E_clIPiSD_S10_SD_EESH_SX_SI_SJ_SK_EUlSX_E_NS1_11comp_targetILNS1_3genE4ELNS1_11target_archE910ELNS1_3gpuE8ELNS1_3repE0EEENS1_48merge_mergepath_partition_config_static_selectorELNS0_4arch9wavefront6targetE1EEEvSJ_.has_indirect_call, 0
	.section	.AMDGPU.csdata,"",@progbits
; Kernel info:
; codeLenInByte = 0
; TotalNumSgprs: 6
; NumVgprs: 0
; NumAgprs: 0
; TotalNumVgprs: 0
; ScratchSize: 0
; MemoryBound: 0
; FloatMode: 240
; IeeeMode: 1
; LDSByteSize: 0 bytes/workgroup (compile time only)
; SGPRBlocks: 0
; VGPRBlocks: 0
; NumSGPRsForWavesPerEU: 6
; NumVGPRsForWavesPerEU: 1
; AccumOffset: 4
; Occupancy: 8
; WaveLimiterHint : 0
; COMPUTE_PGM_RSRC2:SCRATCH_EN: 0
; COMPUTE_PGM_RSRC2:USER_SGPR: 2
; COMPUTE_PGM_RSRC2:TRAP_HANDLER: 0
; COMPUTE_PGM_RSRC2:TGID_X_EN: 1
; COMPUTE_PGM_RSRC2:TGID_Y_EN: 0
; COMPUTE_PGM_RSRC2:TGID_Z_EN: 0
; COMPUTE_PGM_RSRC2:TIDIG_COMP_CNT: 0
; COMPUTE_PGM_RSRC3_GFX90A:ACCUM_OFFSET: 0
; COMPUTE_PGM_RSRC3_GFX90A:TG_SPLIT: 0
	.section	.text._ZN7rocprim17ROCPRIM_400000_NS6detail17trampoline_kernelINS0_14default_configENS1_38merge_sort_block_merge_config_selectorIiiEEZZNS1_27merge_sort_block_merge_implIS3_N6thrust23THRUST_200600_302600_NS6detail15normal_iteratorINS8_10device_ptrIiEEEESD_jNS1_19radix_merge_compareILb0ELb1EiNS0_19identity_decomposerEEEEE10hipError_tT0_T1_T2_jT3_P12ihipStream_tbPNSt15iterator_traitsISI_E10value_typeEPNSO_ISJ_E10value_typeEPSK_NS1_7vsmem_tEENKUlT_SI_SJ_SK_E_clIPiSD_S10_SD_EESH_SX_SI_SJ_SK_EUlSX_E_NS1_11comp_targetILNS1_3genE3ELNS1_11target_archE908ELNS1_3gpuE7ELNS1_3repE0EEENS1_48merge_mergepath_partition_config_static_selectorELNS0_4arch9wavefront6targetE1EEEvSJ_,"axG",@progbits,_ZN7rocprim17ROCPRIM_400000_NS6detail17trampoline_kernelINS0_14default_configENS1_38merge_sort_block_merge_config_selectorIiiEEZZNS1_27merge_sort_block_merge_implIS3_N6thrust23THRUST_200600_302600_NS6detail15normal_iteratorINS8_10device_ptrIiEEEESD_jNS1_19radix_merge_compareILb0ELb1EiNS0_19identity_decomposerEEEEE10hipError_tT0_T1_T2_jT3_P12ihipStream_tbPNSt15iterator_traitsISI_E10value_typeEPNSO_ISJ_E10value_typeEPSK_NS1_7vsmem_tEENKUlT_SI_SJ_SK_E_clIPiSD_S10_SD_EESH_SX_SI_SJ_SK_EUlSX_E_NS1_11comp_targetILNS1_3genE3ELNS1_11target_archE908ELNS1_3gpuE7ELNS1_3repE0EEENS1_48merge_mergepath_partition_config_static_selectorELNS0_4arch9wavefront6targetE1EEEvSJ_,comdat
	.protected	_ZN7rocprim17ROCPRIM_400000_NS6detail17trampoline_kernelINS0_14default_configENS1_38merge_sort_block_merge_config_selectorIiiEEZZNS1_27merge_sort_block_merge_implIS3_N6thrust23THRUST_200600_302600_NS6detail15normal_iteratorINS8_10device_ptrIiEEEESD_jNS1_19radix_merge_compareILb0ELb1EiNS0_19identity_decomposerEEEEE10hipError_tT0_T1_T2_jT3_P12ihipStream_tbPNSt15iterator_traitsISI_E10value_typeEPNSO_ISJ_E10value_typeEPSK_NS1_7vsmem_tEENKUlT_SI_SJ_SK_E_clIPiSD_S10_SD_EESH_SX_SI_SJ_SK_EUlSX_E_NS1_11comp_targetILNS1_3genE3ELNS1_11target_archE908ELNS1_3gpuE7ELNS1_3repE0EEENS1_48merge_mergepath_partition_config_static_selectorELNS0_4arch9wavefront6targetE1EEEvSJ_ ; -- Begin function _ZN7rocprim17ROCPRIM_400000_NS6detail17trampoline_kernelINS0_14default_configENS1_38merge_sort_block_merge_config_selectorIiiEEZZNS1_27merge_sort_block_merge_implIS3_N6thrust23THRUST_200600_302600_NS6detail15normal_iteratorINS8_10device_ptrIiEEEESD_jNS1_19radix_merge_compareILb0ELb1EiNS0_19identity_decomposerEEEEE10hipError_tT0_T1_T2_jT3_P12ihipStream_tbPNSt15iterator_traitsISI_E10value_typeEPNSO_ISJ_E10value_typeEPSK_NS1_7vsmem_tEENKUlT_SI_SJ_SK_E_clIPiSD_S10_SD_EESH_SX_SI_SJ_SK_EUlSX_E_NS1_11comp_targetILNS1_3genE3ELNS1_11target_archE908ELNS1_3gpuE7ELNS1_3repE0EEENS1_48merge_mergepath_partition_config_static_selectorELNS0_4arch9wavefront6targetE1EEEvSJ_
	.globl	_ZN7rocprim17ROCPRIM_400000_NS6detail17trampoline_kernelINS0_14default_configENS1_38merge_sort_block_merge_config_selectorIiiEEZZNS1_27merge_sort_block_merge_implIS3_N6thrust23THRUST_200600_302600_NS6detail15normal_iteratorINS8_10device_ptrIiEEEESD_jNS1_19radix_merge_compareILb0ELb1EiNS0_19identity_decomposerEEEEE10hipError_tT0_T1_T2_jT3_P12ihipStream_tbPNSt15iterator_traitsISI_E10value_typeEPNSO_ISJ_E10value_typeEPSK_NS1_7vsmem_tEENKUlT_SI_SJ_SK_E_clIPiSD_S10_SD_EESH_SX_SI_SJ_SK_EUlSX_E_NS1_11comp_targetILNS1_3genE3ELNS1_11target_archE908ELNS1_3gpuE7ELNS1_3repE0EEENS1_48merge_mergepath_partition_config_static_selectorELNS0_4arch9wavefront6targetE1EEEvSJ_
	.p2align	8
	.type	_ZN7rocprim17ROCPRIM_400000_NS6detail17trampoline_kernelINS0_14default_configENS1_38merge_sort_block_merge_config_selectorIiiEEZZNS1_27merge_sort_block_merge_implIS3_N6thrust23THRUST_200600_302600_NS6detail15normal_iteratorINS8_10device_ptrIiEEEESD_jNS1_19radix_merge_compareILb0ELb1EiNS0_19identity_decomposerEEEEE10hipError_tT0_T1_T2_jT3_P12ihipStream_tbPNSt15iterator_traitsISI_E10value_typeEPNSO_ISJ_E10value_typeEPSK_NS1_7vsmem_tEENKUlT_SI_SJ_SK_E_clIPiSD_S10_SD_EESH_SX_SI_SJ_SK_EUlSX_E_NS1_11comp_targetILNS1_3genE3ELNS1_11target_archE908ELNS1_3gpuE7ELNS1_3repE0EEENS1_48merge_mergepath_partition_config_static_selectorELNS0_4arch9wavefront6targetE1EEEvSJ_,@function
_ZN7rocprim17ROCPRIM_400000_NS6detail17trampoline_kernelINS0_14default_configENS1_38merge_sort_block_merge_config_selectorIiiEEZZNS1_27merge_sort_block_merge_implIS3_N6thrust23THRUST_200600_302600_NS6detail15normal_iteratorINS8_10device_ptrIiEEEESD_jNS1_19radix_merge_compareILb0ELb1EiNS0_19identity_decomposerEEEEE10hipError_tT0_T1_T2_jT3_P12ihipStream_tbPNSt15iterator_traitsISI_E10value_typeEPNSO_ISJ_E10value_typeEPSK_NS1_7vsmem_tEENKUlT_SI_SJ_SK_E_clIPiSD_S10_SD_EESH_SX_SI_SJ_SK_EUlSX_E_NS1_11comp_targetILNS1_3genE3ELNS1_11target_archE908ELNS1_3gpuE7ELNS1_3repE0EEENS1_48merge_mergepath_partition_config_static_selectorELNS0_4arch9wavefront6targetE1EEEvSJ_: ; @_ZN7rocprim17ROCPRIM_400000_NS6detail17trampoline_kernelINS0_14default_configENS1_38merge_sort_block_merge_config_selectorIiiEEZZNS1_27merge_sort_block_merge_implIS3_N6thrust23THRUST_200600_302600_NS6detail15normal_iteratorINS8_10device_ptrIiEEEESD_jNS1_19radix_merge_compareILb0ELb1EiNS0_19identity_decomposerEEEEE10hipError_tT0_T1_T2_jT3_P12ihipStream_tbPNSt15iterator_traitsISI_E10value_typeEPNSO_ISJ_E10value_typeEPSK_NS1_7vsmem_tEENKUlT_SI_SJ_SK_E_clIPiSD_S10_SD_EESH_SX_SI_SJ_SK_EUlSX_E_NS1_11comp_targetILNS1_3genE3ELNS1_11target_archE908ELNS1_3gpuE7ELNS1_3repE0EEENS1_48merge_mergepath_partition_config_static_selectorELNS0_4arch9wavefront6targetE1EEEvSJ_
; %bb.0:
	.section	.rodata,"a",@progbits
	.p2align	6, 0x0
	.amdhsa_kernel _ZN7rocprim17ROCPRIM_400000_NS6detail17trampoline_kernelINS0_14default_configENS1_38merge_sort_block_merge_config_selectorIiiEEZZNS1_27merge_sort_block_merge_implIS3_N6thrust23THRUST_200600_302600_NS6detail15normal_iteratorINS8_10device_ptrIiEEEESD_jNS1_19radix_merge_compareILb0ELb1EiNS0_19identity_decomposerEEEEE10hipError_tT0_T1_T2_jT3_P12ihipStream_tbPNSt15iterator_traitsISI_E10value_typeEPNSO_ISJ_E10value_typeEPSK_NS1_7vsmem_tEENKUlT_SI_SJ_SK_E_clIPiSD_S10_SD_EESH_SX_SI_SJ_SK_EUlSX_E_NS1_11comp_targetILNS1_3genE3ELNS1_11target_archE908ELNS1_3gpuE7ELNS1_3repE0EEENS1_48merge_mergepath_partition_config_static_selectorELNS0_4arch9wavefront6targetE1EEEvSJ_
		.amdhsa_group_segment_fixed_size 0
		.amdhsa_private_segment_fixed_size 0
		.amdhsa_kernarg_size 40
		.amdhsa_user_sgpr_count 2
		.amdhsa_user_sgpr_dispatch_ptr 0
		.amdhsa_user_sgpr_queue_ptr 0
		.amdhsa_user_sgpr_kernarg_segment_ptr 1
		.amdhsa_user_sgpr_dispatch_id 0
		.amdhsa_user_sgpr_kernarg_preload_length 0
		.amdhsa_user_sgpr_kernarg_preload_offset 0
		.amdhsa_user_sgpr_private_segment_size 0
		.amdhsa_uses_dynamic_stack 0
		.amdhsa_enable_private_segment 0
		.amdhsa_system_sgpr_workgroup_id_x 1
		.amdhsa_system_sgpr_workgroup_id_y 0
		.amdhsa_system_sgpr_workgroup_id_z 0
		.amdhsa_system_sgpr_workgroup_info 0
		.amdhsa_system_vgpr_workitem_id 0
		.amdhsa_next_free_vgpr 1
		.amdhsa_next_free_sgpr 0
		.amdhsa_accum_offset 4
		.amdhsa_reserve_vcc 0
		.amdhsa_float_round_mode_32 0
		.amdhsa_float_round_mode_16_64 0
		.amdhsa_float_denorm_mode_32 3
		.amdhsa_float_denorm_mode_16_64 3
		.amdhsa_dx10_clamp 1
		.amdhsa_ieee_mode 1
		.amdhsa_fp16_overflow 0
		.amdhsa_tg_split 0
		.amdhsa_exception_fp_ieee_invalid_op 0
		.amdhsa_exception_fp_denorm_src 0
		.amdhsa_exception_fp_ieee_div_zero 0
		.amdhsa_exception_fp_ieee_overflow 0
		.amdhsa_exception_fp_ieee_underflow 0
		.amdhsa_exception_fp_ieee_inexact 0
		.amdhsa_exception_int_div_zero 0
	.end_amdhsa_kernel
	.section	.text._ZN7rocprim17ROCPRIM_400000_NS6detail17trampoline_kernelINS0_14default_configENS1_38merge_sort_block_merge_config_selectorIiiEEZZNS1_27merge_sort_block_merge_implIS3_N6thrust23THRUST_200600_302600_NS6detail15normal_iteratorINS8_10device_ptrIiEEEESD_jNS1_19radix_merge_compareILb0ELb1EiNS0_19identity_decomposerEEEEE10hipError_tT0_T1_T2_jT3_P12ihipStream_tbPNSt15iterator_traitsISI_E10value_typeEPNSO_ISJ_E10value_typeEPSK_NS1_7vsmem_tEENKUlT_SI_SJ_SK_E_clIPiSD_S10_SD_EESH_SX_SI_SJ_SK_EUlSX_E_NS1_11comp_targetILNS1_3genE3ELNS1_11target_archE908ELNS1_3gpuE7ELNS1_3repE0EEENS1_48merge_mergepath_partition_config_static_selectorELNS0_4arch9wavefront6targetE1EEEvSJ_,"axG",@progbits,_ZN7rocprim17ROCPRIM_400000_NS6detail17trampoline_kernelINS0_14default_configENS1_38merge_sort_block_merge_config_selectorIiiEEZZNS1_27merge_sort_block_merge_implIS3_N6thrust23THRUST_200600_302600_NS6detail15normal_iteratorINS8_10device_ptrIiEEEESD_jNS1_19radix_merge_compareILb0ELb1EiNS0_19identity_decomposerEEEEE10hipError_tT0_T1_T2_jT3_P12ihipStream_tbPNSt15iterator_traitsISI_E10value_typeEPNSO_ISJ_E10value_typeEPSK_NS1_7vsmem_tEENKUlT_SI_SJ_SK_E_clIPiSD_S10_SD_EESH_SX_SI_SJ_SK_EUlSX_E_NS1_11comp_targetILNS1_3genE3ELNS1_11target_archE908ELNS1_3gpuE7ELNS1_3repE0EEENS1_48merge_mergepath_partition_config_static_selectorELNS0_4arch9wavefront6targetE1EEEvSJ_,comdat
.Lfunc_end760:
	.size	_ZN7rocprim17ROCPRIM_400000_NS6detail17trampoline_kernelINS0_14default_configENS1_38merge_sort_block_merge_config_selectorIiiEEZZNS1_27merge_sort_block_merge_implIS3_N6thrust23THRUST_200600_302600_NS6detail15normal_iteratorINS8_10device_ptrIiEEEESD_jNS1_19radix_merge_compareILb0ELb1EiNS0_19identity_decomposerEEEEE10hipError_tT0_T1_T2_jT3_P12ihipStream_tbPNSt15iterator_traitsISI_E10value_typeEPNSO_ISJ_E10value_typeEPSK_NS1_7vsmem_tEENKUlT_SI_SJ_SK_E_clIPiSD_S10_SD_EESH_SX_SI_SJ_SK_EUlSX_E_NS1_11comp_targetILNS1_3genE3ELNS1_11target_archE908ELNS1_3gpuE7ELNS1_3repE0EEENS1_48merge_mergepath_partition_config_static_selectorELNS0_4arch9wavefront6targetE1EEEvSJ_, .Lfunc_end760-_ZN7rocprim17ROCPRIM_400000_NS6detail17trampoline_kernelINS0_14default_configENS1_38merge_sort_block_merge_config_selectorIiiEEZZNS1_27merge_sort_block_merge_implIS3_N6thrust23THRUST_200600_302600_NS6detail15normal_iteratorINS8_10device_ptrIiEEEESD_jNS1_19radix_merge_compareILb0ELb1EiNS0_19identity_decomposerEEEEE10hipError_tT0_T1_T2_jT3_P12ihipStream_tbPNSt15iterator_traitsISI_E10value_typeEPNSO_ISJ_E10value_typeEPSK_NS1_7vsmem_tEENKUlT_SI_SJ_SK_E_clIPiSD_S10_SD_EESH_SX_SI_SJ_SK_EUlSX_E_NS1_11comp_targetILNS1_3genE3ELNS1_11target_archE908ELNS1_3gpuE7ELNS1_3repE0EEENS1_48merge_mergepath_partition_config_static_selectorELNS0_4arch9wavefront6targetE1EEEvSJ_
                                        ; -- End function
	.set _ZN7rocprim17ROCPRIM_400000_NS6detail17trampoline_kernelINS0_14default_configENS1_38merge_sort_block_merge_config_selectorIiiEEZZNS1_27merge_sort_block_merge_implIS3_N6thrust23THRUST_200600_302600_NS6detail15normal_iteratorINS8_10device_ptrIiEEEESD_jNS1_19radix_merge_compareILb0ELb1EiNS0_19identity_decomposerEEEEE10hipError_tT0_T1_T2_jT3_P12ihipStream_tbPNSt15iterator_traitsISI_E10value_typeEPNSO_ISJ_E10value_typeEPSK_NS1_7vsmem_tEENKUlT_SI_SJ_SK_E_clIPiSD_S10_SD_EESH_SX_SI_SJ_SK_EUlSX_E_NS1_11comp_targetILNS1_3genE3ELNS1_11target_archE908ELNS1_3gpuE7ELNS1_3repE0EEENS1_48merge_mergepath_partition_config_static_selectorELNS0_4arch9wavefront6targetE1EEEvSJ_.num_vgpr, 0
	.set _ZN7rocprim17ROCPRIM_400000_NS6detail17trampoline_kernelINS0_14default_configENS1_38merge_sort_block_merge_config_selectorIiiEEZZNS1_27merge_sort_block_merge_implIS3_N6thrust23THRUST_200600_302600_NS6detail15normal_iteratorINS8_10device_ptrIiEEEESD_jNS1_19radix_merge_compareILb0ELb1EiNS0_19identity_decomposerEEEEE10hipError_tT0_T1_T2_jT3_P12ihipStream_tbPNSt15iterator_traitsISI_E10value_typeEPNSO_ISJ_E10value_typeEPSK_NS1_7vsmem_tEENKUlT_SI_SJ_SK_E_clIPiSD_S10_SD_EESH_SX_SI_SJ_SK_EUlSX_E_NS1_11comp_targetILNS1_3genE3ELNS1_11target_archE908ELNS1_3gpuE7ELNS1_3repE0EEENS1_48merge_mergepath_partition_config_static_selectorELNS0_4arch9wavefront6targetE1EEEvSJ_.num_agpr, 0
	.set _ZN7rocprim17ROCPRIM_400000_NS6detail17trampoline_kernelINS0_14default_configENS1_38merge_sort_block_merge_config_selectorIiiEEZZNS1_27merge_sort_block_merge_implIS3_N6thrust23THRUST_200600_302600_NS6detail15normal_iteratorINS8_10device_ptrIiEEEESD_jNS1_19radix_merge_compareILb0ELb1EiNS0_19identity_decomposerEEEEE10hipError_tT0_T1_T2_jT3_P12ihipStream_tbPNSt15iterator_traitsISI_E10value_typeEPNSO_ISJ_E10value_typeEPSK_NS1_7vsmem_tEENKUlT_SI_SJ_SK_E_clIPiSD_S10_SD_EESH_SX_SI_SJ_SK_EUlSX_E_NS1_11comp_targetILNS1_3genE3ELNS1_11target_archE908ELNS1_3gpuE7ELNS1_3repE0EEENS1_48merge_mergepath_partition_config_static_selectorELNS0_4arch9wavefront6targetE1EEEvSJ_.numbered_sgpr, 0
	.set _ZN7rocprim17ROCPRIM_400000_NS6detail17trampoline_kernelINS0_14default_configENS1_38merge_sort_block_merge_config_selectorIiiEEZZNS1_27merge_sort_block_merge_implIS3_N6thrust23THRUST_200600_302600_NS6detail15normal_iteratorINS8_10device_ptrIiEEEESD_jNS1_19radix_merge_compareILb0ELb1EiNS0_19identity_decomposerEEEEE10hipError_tT0_T1_T2_jT3_P12ihipStream_tbPNSt15iterator_traitsISI_E10value_typeEPNSO_ISJ_E10value_typeEPSK_NS1_7vsmem_tEENKUlT_SI_SJ_SK_E_clIPiSD_S10_SD_EESH_SX_SI_SJ_SK_EUlSX_E_NS1_11comp_targetILNS1_3genE3ELNS1_11target_archE908ELNS1_3gpuE7ELNS1_3repE0EEENS1_48merge_mergepath_partition_config_static_selectorELNS0_4arch9wavefront6targetE1EEEvSJ_.num_named_barrier, 0
	.set _ZN7rocprim17ROCPRIM_400000_NS6detail17trampoline_kernelINS0_14default_configENS1_38merge_sort_block_merge_config_selectorIiiEEZZNS1_27merge_sort_block_merge_implIS3_N6thrust23THRUST_200600_302600_NS6detail15normal_iteratorINS8_10device_ptrIiEEEESD_jNS1_19radix_merge_compareILb0ELb1EiNS0_19identity_decomposerEEEEE10hipError_tT0_T1_T2_jT3_P12ihipStream_tbPNSt15iterator_traitsISI_E10value_typeEPNSO_ISJ_E10value_typeEPSK_NS1_7vsmem_tEENKUlT_SI_SJ_SK_E_clIPiSD_S10_SD_EESH_SX_SI_SJ_SK_EUlSX_E_NS1_11comp_targetILNS1_3genE3ELNS1_11target_archE908ELNS1_3gpuE7ELNS1_3repE0EEENS1_48merge_mergepath_partition_config_static_selectorELNS0_4arch9wavefront6targetE1EEEvSJ_.private_seg_size, 0
	.set _ZN7rocprim17ROCPRIM_400000_NS6detail17trampoline_kernelINS0_14default_configENS1_38merge_sort_block_merge_config_selectorIiiEEZZNS1_27merge_sort_block_merge_implIS3_N6thrust23THRUST_200600_302600_NS6detail15normal_iteratorINS8_10device_ptrIiEEEESD_jNS1_19radix_merge_compareILb0ELb1EiNS0_19identity_decomposerEEEEE10hipError_tT0_T1_T2_jT3_P12ihipStream_tbPNSt15iterator_traitsISI_E10value_typeEPNSO_ISJ_E10value_typeEPSK_NS1_7vsmem_tEENKUlT_SI_SJ_SK_E_clIPiSD_S10_SD_EESH_SX_SI_SJ_SK_EUlSX_E_NS1_11comp_targetILNS1_3genE3ELNS1_11target_archE908ELNS1_3gpuE7ELNS1_3repE0EEENS1_48merge_mergepath_partition_config_static_selectorELNS0_4arch9wavefront6targetE1EEEvSJ_.uses_vcc, 0
	.set _ZN7rocprim17ROCPRIM_400000_NS6detail17trampoline_kernelINS0_14default_configENS1_38merge_sort_block_merge_config_selectorIiiEEZZNS1_27merge_sort_block_merge_implIS3_N6thrust23THRUST_200600_302600_NS6detail15normal_iteratorINS8_10device_ptrIiEEEESD_jNS1_19radix_merge_compareILb0ELb1EiNS0_19identity_decomposerEEEEE10hipError_tT0_T1_T2_jT3_P12ihipStream_tbPNSt15iterator_traitsISI_E10value_typeEPNSO_ISJ_E10value_typeEPSK_NS1_7vsmem_tEENKUlT_SI_SJ_SK_E_clIPiSD_S10_SD_EESH_SX_SI_SJ_SK_EUlSX_E_NS1_11comp_targetILNS1_3genE3ELNS1_11target_archE908ELNS1_3gpuE7ELNS1_3repE0EEENS1_48merge_mergepath_partition_config_static_selectorELNS0_4arch9wavefront6targetE1EEEvSJ_.uses_flat_scratch, 0
	.set _ZN7rocprim17ROCPRIM_400000_NS6detail17trampoline_kernelINS0_14default_configENS1_38merge_sort_block_merge_config_selectorIiiEEZZNS1_27merge_sort_block_merge_implIS3_N6thrust23THRUST_200600_302600_NS6detail15normal_iteratorINS8_10device_ptrIiEEEESD_jNS1_19radix_merge_compareILb0ELb1EiNS0_19identity_decomposerEEEEE10hipError_tT0_T1_T2_jT3_P12ihipStream_tbPNSt15iterator_traitsISI_E10value_typeEPNSO_ISJ_E10value_typeEPSK_NS1_7vsmem_tEENKUlT_SI_SJ_SK_E_clIPiSD_S10_SD_EESH_SX_SI_SJ_SK_EUlSX_E_NS1_11comp_targetILNS1_3genE3ELNS1_11target_archE908ELNS1_3gpuE7ELNS1_3repE0EEENS1_48merge_mergepath_partition_config_static_selectorELNS0_4arch9wavefront6targetE1EEEvSJ_.has_dyn_sized_stack, 0
	.set _ZN7rocprim17ROCPRIM_400000_NS6detail17trampoline_kernelINS0_14default_configENS1_38merge_sort_block_merge_config_selectorIiiEEZZNS1_27merge_sort_block_merge_implIS3_N6thrust23THRUST_200600_302600_NS6detail15normal_iteratorINS8_10device_ptrIiEEEESD_jNS1_19radix_merge_compareILb0ELb1EiNS0_19identity_decomposerEEEEE10hipError_tT0_T1_T2_jT3_P12ihipStream_tbPNSt15iterator_traitsISI_E10value_typeEPNSO_ISJ_E10value_typeEPSK_NS1_7vsmem_tEENKUlT_SI_SJ_SK_E_clIPiSD_S10_SD_EESH_SX_SI_SJ_SK_EUlSX_E_NS1_11comp_targetILNS1_3genE3ELNS1_11target_archE908ELNS1_3gpuE7ELNS1_3repE0EEENS1_48merge_mergepath_partition_config_static_selectorELNS0_4arch9wavefront6targetE1EEEvSJ_.has_recursion, 0
	.set _ZN7rocprim17ROCPRIM_400000_NS6detail17trampoline_kernelINS0_14default_configENS1_38merge_sort_block_merge_config_selectorIiiEEZZNS1_27merge_sort_block_merge_implIS3_N6thrust23THRUST_200600_302600_NS6detail15normal_iteratorINS8_10device_ptrIiEEEESD_jNS1_19radix_merge_compareILb0ELb1EiNS0_19identity_decomposerEEEEE10hipError_tT0_T1_T2_jT3_P12ihipStream_tbPNSt15iterator_traitsISI_E10value_typeEPNSO_ISJ_E10value_typeEPSK_NS1_7vsmem_tEENKUlT_SI_SJ_SK_E_clIPiSD_S10_SD_EESH_SX_SI_SJ_SK_EUlSX_E_NS1_11comp_targetILNS1_3genE3ELNS1_11target_archE908ELNS1_3gpuE7ELNS1_3repE0EEENS1_48merge_mergepath_partition_config_static_selectorELNS0_4arch9wavefront6targetE1EEEvSJ_.has_indirect_call, 0
	.section	.AMDGPU.csdata,"",@progbits
; Kernel info:
; codeLenInByte = 0
; TotalNumSgprs: 6
; NumVgprs: 0
; NumAgprs: 0
; TotalNumVgprs: 0
; ScratchSize: 0
; MemoryBound: 0
; FloatMode: 240
; IeeeMode: 1
; LDSByteSize: 0 bytes/workgroup (compile time only)
; SGPRBlocks: 0
; VGPRBlocks: 0
; NumSGPRsForWavesPerEU: 6
; NumVGPRsForWavesPerEU: 1
; AccumOffset: 4
; Occupancy: 8
; WaveLimiterHint : 0
; COMPUTE_PGM_RSRC2:SCRATCH_EN: 0
; COMPUTE_PGM_RSRC2:USER_SGPR: 2
; COMPUTE_PGM_RSRC2:TRAP_HANDLER: 0
; COMPUTE_PGM_RSRC2:TGID_X_EN: 1
; COMPUTE_PGM_RSRC2:TGID_Y_EN: 0
; COMPUTE_PGM_RSRC2:TGID_Z_EN: 0
; COMPUTE_PGM_RSRC2:TIDIG_COMP_CNT: 0
; COMPUTE_PGM_RSRC3_GFX90A:ACCUM_OFFSET: 0
; COMPUTE_PGM_RSRC3_GFX90A:TG_SPLIT: 0
	.section	.text._ZN7rocprim17ROCPRIM_400000_NS6detail17trampoline_kernelINS0_14default_configENS1_38merge_sort_block_merge_config_selectorIiiEEZZNS1_27merge_sort_block_merge_implIS3_N6thrust23THRUST_200600_302600_NS6detail15normal_iteratorINS8_10device_ptrIiEEEESD_jNS1_19radix_merge_compareILb0ELb1EiNS0_19identity_decomposerEEEEE10hipError_tT0_T1_T2_jT3_P12ihipStream_tbPNSt15iterator_traitsISI_E10value_typeEPNSO_ISJ_E10value_typeEPSK_NS1_7vsmem_tEENKUlT_SI_SJ_SK_E_clIPiSD_S10_SD_EESH_SX_SI_SJ_SK_EUlSX_E_NS1_11comp_targetILNS1_3genE2ELNS1_11target_archE906ELNS1_3gpuE6ELNS1_3repE0EEENS1_48merge_mergepath_partition_config_static_selectorELNS0_4arch9wavefront6targetE1EEEvSJ_,"axG",@progbits,_ZN7rocprim17ROCPRIM_400000_NS6detail17trampoline_kernelINS0_14default_configENS1_38merge_sort_block_merge_config_selectorIiiEEZZNS1_27merge_sort_block_merge_implIS3_N6thrust23THRUST_200600_302600_NS6detail15normal_iteratorINS8_10device_ptrIiEEEESD_jNS1_19radix_merge_compareILb0ELb1EiNS0_19identity_decomposerEEEEE10hipError_tT0_T1_T2_jT3_P12ihipStream_tbPNSt15iterator_traitsISI_E10value_typeEPNSO_ISJ_E10value_typeEPSK_NS1_7vsmem_tEENKUlT_SI_SJ_SK_E_clIPiSD_S10_SD_EESH_SX_SI_SJ_SK_EUlSX_E_NS1_11comp_targetILNS1_3genE2ELNS1_11target_archE906ELNS1_3gpuE6ELNS1_3repE0EEENS1_48merge_mergepath_partition_config_static_selectorELNS0_4arch9wavefront6targetE1EEEvSJ_,comdat
	.protected	_ZN7rocprim17ROCPRIM_400000_NS6detail17trampoline_kernelINS0_14default_configENS1_38merge_sort_block_merge_config_selectorIiiEEZZNS1_27merge_sort_block_merge_implIS3_N6thrust23THRUST_200600_302600_NS6detail15normal_iteratorINS8_10device_ptrIiEEEESD_jNS1_19radix_merge_compareILb0ELb1EiNS0_19identity_decomposerEEEEE10hipError_tT0_T1_T2_jT3_P12ihipStream_tbPNSt15iterator_traitsISI_E10value_typeEPNSO_ISJ_E10value_typeEPSK_NS1_7vsmem_tEENKUlT_SI_SJ_SK_E_clIPiSD_S10_SD_EESH_SX_SI_SJ_SK_EUlSX_E_NS1_11comp_targetILNS1_3genE2ELNS1_11target_archE906ELNS1_3gpuE6ELNS1_3repE0EEENS1_48merge_mergepath_partition_config_static_selectorELNS0_4arch9wavefront6targetE1EEEvSJ_ ; -- Begin function _ZN7rocprim17ROCPRIM_400000_NS6detail17trampoline_kernelINS0_14default_configENS1_38merge_sort_block_merge_config_selectorIiiEEZZNS1_27merge_sort_block_merge_implIS3_N6thrust23THRUST_200600_302600_NS6detail15normal_iteratorINS8_10device_ptrIiEEEESD_jNS1_19radix_merge_compareILb0ELb1EiNS0_19identity_decomposerEEEEE10hipError_tT0_T1_T2_jT3_P12ihipStream_tbPNSt15iterator_traitsISI_E10value_typeEPNSO_ISJ_E10value_typeEPSK_NS1_7vsmem_tEENKUlT_SI_SJ_SK_E_clIPiSD_S10_SD_EESH_SX_SI_SJ_SK_EUlSX_E_NS1_11comp_targetILNS1_3genE2ELNS1_11target_archE906ELNS1_3gpuE6ELNS1_3repE0EEENS1_48merge_mergepath_partition_config_static_selectorELNS0_4arch9wavefront6targetE1EEEvSJ_
	.globl	_ZN7rocprim17ROCPRIM_400000_NS6detail17trampoline_kernelINS0_14default_configENS1_38merge_sort_block_merge_config_selectorIiiEEZZNS1_27merge_sort_block_merge_implIS3_N6thrust23THRUST_200600_302600_NS6detail15normal_iteratorINS8_10device_ptrIiEEEESD_jNS1_19radix_merge_compareILb0ELb1EiNS0_19identity_decomposerEEEEE10hipError_tT0_T1_T2_jT3_P12ihipStream_tbPNSt15iterator_traitsISI_E10value_typeEPNSO_ISJ_E10value_typeEPSK_NS1_7vsmem_tEENKUlT_SI_SJ_SK_E_clIPiSD_S10_SD_EESH_SX_SI_SJ_SK_EUlSX_E_NS1_11comp_targetILNS1_3genE2ELNS1_11target_archE906ELNS1_3gpuE6ELNS1_3repE0EEENS1_48merge_mergepath_partition_config_static_selectorELNS0_4arch9wavefront6targetE1EEEvSJ_
	.p2align	8
	.type	_ZN7rocprim17ROCPRIM_400000_NS6detail17trampoline_kernelINS0_14default_configENS1_38merge_sort_block_merge_config_selectorIiiEEZZNS1_27merge_sort_block_merge_implIS3_N6thrust23THRUST_200600_302600_NS6detail15normal_iteratorINS8_10device_ptrIiEEEESD_jNS1_19radix_merge_compareILb0ELb1EiNS0_19identity_decomposerEEEEE10hipError_tT0_T1_T2_jT3_P12ihipStream_tbPNSt15iterator_traitsISI_E10value_typeEPNSO_ISJ_E10value_typeEPSK_NS1_7vsmem_tEENKUlT_SI_SJ_SK_E_clIPiSD_S10_SD_EESH_SX_SI_SJ_SK_EUlSX_E_NS1_11comp_targetILNS1_3genE2ELNS1_11target_archE906ELNS1_3gpuE6ELNS1_3repE0EEENS1_48merge_mergepath_partition_config_static_selectorELNS0_4arch9wavefront6targetE1EEEvSJ_,@function
_ZN7rocprim17ROCPRIM_400000_NS6detail17trampoline_kernelINS0_14default_configENS1_38merge_sort_block_merge_config_selectorIiiEEZZNS1_27merge_sort_block_merge_implIS3_N6thrust23THRUST_200600_302600_NS6detail15normal_iteratorINS8_10device_ptrIiEEEESD_jNS1_19radix_merge_compareILb0ELb1EiNS0_19identity_decomposerEEEEE10hipError_tT0_T1_T2_jT3_P12ihipStream_tbPNSt15iterator_traitsISI_E10value_typeEPNSO_ISJ_E10value_typeEPSK_NS1_7vsmem_tEENKUlT_SI_SJ_SK_E_clIPiSD_S10_SD_EESH_SX_SI_SJ_SK_EUlSX_E_NS1_11comp_targetILNS1_3genE2ELNS1_11target_archE906ELNS1_3gpuE6ELNS1_3repE0EEENS1_48merge_mergepath_partition_config_static_selectorELNS0_4arch9wavefront6targetE1EEEvSJ_: ; @_ZN7rocprim17ROCPRIM_400000_NS6detail17trampoline_kernelINS0_14default_configENS1_38merge_sort_block_merge_config_selectorIiiEEZZNS1_27merge_sort_block_merge_implIS3_N6thrust23THRUST_200600_302600_NS6detail15normal_iteratorINS8_10device_ptrIiEEEESD_jNS1_19radix_merge_compareILb0ELb1EiNS0_19identity_decomposerEEEEE10hipError_tT0_T1_T2_jT3_P12ihipStream_tbPNSt15iterator_traitsISI_E10value_typeEPNSO_ISJ_E10value_typeEPSK_NS1_7vsmem_tEENKUlT_SI_SJ_SK_E_clIPiSD_S10_SD_EESH_SX_SI_SJ_SK_EUlSX_E_NS1_11comp_targetILNS1_3genE2ELNS1_11target_archE906ELNS1_3gpuE6ELNS1_3repE0EEENS1_48merge_mergepath_partition_config_static_selectorELNS0_4arch9wavefront6targetE1EEEvSJ_
; %bb.0:
	.section	.rodata,"a",@progbits
	.p2align	6, 0x0
	.amdhsa_kernel _ZN7rocprim17ROCPRIM_400000_NS6detail17trampoline_kernelINS0_14default_configENS1_38merge_sort_block_merge_config_selectorIiiEEZZNS1_27merge_sort_block_merge_implIS3_N6thrust23THRUST_200600_302600_NS6detail15normal_iteratorINS8_10device_ptrIiEEEESD_jNS1_19radix_merge_compareILb0ELb1EiNS0_19identity_decomposerEEEEE10hipError_tT0_T1_T2_jT3_P12ihipStream_tbPNSt15iterator_traitsISI_E10value_typeEPNSO_ISJ_E10value_typeEPSK_NS1_7vsmem_tEENKUlT_SI_SJ_SK_E_clIPiSD_S10_SD_EESH_SX_SI_SJ_SK_EUlSX_E_NS1_11comp_targetILNS1_3genE2ELNS1_11target_archE906ELNS1_3gpuE6ELNS1_3repE0EEENS1_48merge_mergepath_partition_config_static_selectorELNS0_4arch9wavefront6targetE1EEEvSJ_
		.amdhsa_group_segment_fixed_size 0
		.amdhsa_private_segment_fixed_size 0
		.amdhsa_kernarg_size 40
		.amdhsa_user_sgpr_count 2
		.amdhsa_user_sgpr_dispatch_ptr 0
		.amdhsa_user_sgpr_queue_ptr 0
		.amdhsa_user_sgpr_kernarg_segment_ptr 1
		.amdhsa_user_sgpr_dispatch_id 0
		.amdhsa_user_sgpr_kernarg_preload_length 0
		.amdhsa_user_sgpr_kernarg_preload_offset 0
		.amdhsa_user_sgpr_private_segment_size 0
		.amdhsa_uses_dynamic_stack 0
		.amdhsa_enable_private_segment 0
		.amdhsa_system_sgpr_workgroup_id_x 1
		.amdhsa_system_sgpr_workgroup_id_y 0
		.amdhsa_system_sgpr_workgroup_id_z 0
		.amdhsa_system_sgpr_workgroup_info 0
		.amdhsa_system_vgpr_workitem_id 0
		.amdhsa_next_free_vgpr 1
		.amdhsa_next_free_sgpr 0
		.amdhsa_accum_offset 4
		.amdhsa_reserve_vcc 0
		.amdhsa_float_round_mode_32 0
		.amdhsa_float_round_mode_16_64 0
		.amdhsa_float_denorm_mode_32 3
		.amdhsa_float_denorm_mode_16_64 3
		.amdhsa_dx10_clamp 1
		.amdhsa_ieee_mode 1
		.amdhsa_fp16_overflow 0
		.amdhsa_tg_split 0
		.amdhsa_exception_fp_ieee_invalid_op 0
		.amdhsa_exception_fp_denorm_src 0
		.amdhsa_exception_fp_ieee_div_zero 0
		.amdhsa_exception_fp_ieee_overflow 0
		.amdhsa_exception_fp_ieee_underflow 0
		.amdhsa_exception_fp_ieee_inexact 0
		.amdhsa_exception_int_div_zero 0
	.end_amdhsa_kernel
	.section	.text._ZN7rocprim17ROCPRIM_400000_NS6detail17trampoline_kernelINS0_14default_configENS1_38merge_sort_block_merge_config_selectorIiiEEZZNS1_27merge_sort_block_merge_implIS3_N6thrust23THRUST_200600_302600_NS6detail15normal_iteratorINS8_10device_ptrIiEEEESD_jNS1_19radix_merge_compareILb0ELb1EiNS0_19identity_decomposerEEEEE10hipError_tT0_T1_T2_jT3_P12ihipStream_tbPNSt15iterator_traitsISI_E10value_typeEPNSO_ISJ_E10value_typeEPSK_NS1_7vsmem_tEENKUlT_SI_SJ_SK_E_clIPiSD_S10_SD_EESH_SX_SI_SJ_SK_EUlSX_E_NS1_11comp_targetILNS1_3genE2ELNS1_11target_archE906ELNS1_3gpuE6ELNS1_3repE0EEENS1_48merge_mergepath_partition_config_static_selectorELNS0_4arch9wavefront6targetE1EEEvSJ_,"axG",@progbits,_ZN7rocprim17ROCPRIM_400000_NS6detail17trampoline_kernelINS0_14default_configENS1_38merge_sort_block_merge_config_selectorIiiEEZZNS1_27merge_sort_block_merge_implIS3_N6thrust23THRUST_200600_302600_NS6detail15normal_iteratorINS8_10device_ptrIiEEEESD_jNS1_19radix_merge_compareILb0ELb1EiNS0_19identity_decomposerEEEEE10hipError_tT0_T1_T2_jT3_P12ihipStream_tbPNSt15iterator_traitsISI_E10value_typeEPNSO_ISJ_E10value_typeEPSK_NS1_7vsmem_tEENKUlT_SI_SJ_SK_E_clIPiSD_S10_SD_EESH_SX_SI_SJ_SK_EUlSX_E_NS1_11comp_targetILNS1_3genE2ELNS1_11target_archE906ELNS1_3gpuE6ELNS1_3repE0EEENS1_48merge_mergepath_partition_config_static_selectorELNS0_4arch9wavefront6targetE1EEEvSJ_,comdat
.Lfunc_end761:
	.size	_ZN7rocprim17ROCPRIM_400000_NS6detail17trampoline_kernelINS0_14default_configENS1_38merge_sort_block_merge_config_selectorIiiEEZZNS1_27merge_sort_block_merge_implIS3_N6thrust23THRUST_200600_302600_NS6detail15normal_iteratorINS8_10device_ptrIiEEEESD_jNS1_19radix_merge_compareILb0ELb1EiNS0_19identity_decomposerEEEEE10hipError_tT0_T1_T2_jT3_P12ihipStream_tbPNSt15iterator_traitsISI_E10value_typeEPNSO_ISJ_E10value_typeEPSK_NS1_7vsmem_tEENKUlT_SI_SJ_SK_E_clIPiSD_S10_SD_EESH_SX_SI_SJ_SK_EUlSX_E_NS1_11comp_targetILNS1_3genE2ELNS1_11target_archE906ELNS1_3gpuE6ELNS1_3repE0EEENS1_48merge_mergepath_partition_config_static_selectorELNS0_4arch9wavefront6targetE1EEEvSJ_, .Lfunc_end761-_ZN7rocprim17ROCPRIM_400000_NS6detail17trampoline_kernelINS0_14default_configENS1_38merge_sort_block_merge_config_selectorIiiEEZZNS1_27merge_sort_block_merge_implIS3_N6thrust23THRUST_200600_302600_NS6detail15normal_iteratorINS8_10device_ptrIiEEEESD_jNS1_19radix_merge_compareILb0ELb1EiNS0_19identity_decomposerEEEEE10hipError_tT0_T1_T2_jT3_P12ihipStream_tbPNSt15iterator_traitsISI_E10value_typeEPNSO_ISJ_E10value_typeEPSK_NS1_7vsmem_tEENKUlT_SI_SJ_SK_E_clIPiSD_S10_SD_EESH_SX_SI_SJ_SK_EUlSX_E_NS1_11comp_targetILNS1_3genE2ELNS1_11target_archE906ELNS1_3gpuE6ELNS1_3repE0EEENS1_48merge_mergepath_partition_config_static_selectorELNS0_4arch9wavefront6targetE1EEEvSJ_
                                        ; -- End function
	.set _ZN7rocprim17ROCPRIM_400000_NS6detail17trampoline_kernelINS0_14default_configENS1_38merge_sort_block_merge_config_selectorIiiEEZZNS1_27merge_sort_block_merge_implIS3_N6thrust23THRUST_200600_302600_NS6detail15normal_iteratorINS8_10device_ptrIiEEEESD_jNS1_19radix_merge_compareILb0ELb1EiNS0_19identity_decomposerEEEEE10hipError_tT0_T1_T2_jT3_P12ihipStream_tbPNSt15iterator_traitsISI_E10value_typeEPNSO_ISJ_E10value_typeEPSK_NS1_7vsmem_tEENKUlT_SI_SJ_SK_E_clIPiSD_S10_SD_EESH_SX_SI_SJ_SK_EUlSX_E_NS1_11comp_targetILNS1_3genE2ELNS1_11target_archE906ELNS1_3gpuE6ELNS1_3repE0EEENS1_48merge_mergepath_partition_config_static_selectorELNS0_4arch9wavefront6targetE1EEEvSJ_.num_vgpr, 0
	.set _ZN7rocprim17ROCPRIM_400000_NS6detail17trampoline_kernelINS0_14default_configENS1_38merge_sort_block_merge_config_selectorIiiEEZZNS1_27merge_sort_block_merge_implIS3_N6thrust23THRUST_200600_302600_NS6detail15normal_iteratorINS8_10device_ptrIiEEEESD_jNS1_19radix_merge_compareILb0ELb1EiNS0_19identity_decomposerEEEEE10hipError_tT0_T1_T2_jT3_P12ihipStream_tbPNSt15iterator_traitsISI_E10value_typeEPNSO_ISJ_E10value_typeEPSK_NS1_7vsmem_tEENKUlT_SI_SJ_SK_E_clIPiSD_S10_SD_EESH_SX_SI_SJ_SK_EUlSX_E_NS1_11comp_targetILNS1_3genE2ELNS1_11target_archE906ELNS1_3gpuE6ELNS1_3repE0EEENS1_48merge_mergepath_partition_config_static_selectorELNS0_4arch9wavefront6targetE1EEEvSJ_.num_agpr, 0
	.set _ZN7rocprim17ROCPRIM_400000_NS6detail17trampoline_kernelINS0_14default_configENS1_38merge_sort_block_merge_config_selectorIiiEEZZNS1_27merge_sort_block_merge_implIS3_N6thrust23THRUST_200600_302600_NS6detail15normal_iteratorINS8_10device_ptrIiEEEESD_jNS1_19radix_merge_compareILb0ELb1EiNS0_19identity_decomposerEEEEE10hipError_tT0_T1_T2_jT3_P12ihipStream_tbPNSt15iterator_traitsISI_E10value_typeEPNSO_ISJ_E10value_typeEPSK_NS1_7vsmem_tEENKUlT_SI_SJ_SK_E_clIPiSD_S10_SD_EESH_SX_SI_SJ_SK_EUlSX_E_NS1_11comp_targetILNS1_3genE2ELNS1_11target_archE906ELNS1_3gpuE6ELNS1_3repE0EEENS1_48merge_mergepath_partition_config_static_selectorELNS0_4arch9wavefront6targetE1EEEvSJ_.numbered_sgpr, 0
	.set _ZN7rocprim17ROCPRIM_400000_NS6detail17trampoline_kernelINS0_14default_configENS1_38merge_sort_block_merge_config_selectorIiiEEZZNS1_27merge_sort_block_merge_implIS3_N6thrust23THRUST_200600_302600_NS6detail15normal_iteratorINS8_10device_ptrIiEEEESD_jNS1_19radix_merge_compareILb0ELb1EiNS0_19identity_decomposerEEEEE10hipError_tT0_T1_T2_jT3_P12ihipStream_tbPNSt15iterator_traitsISI_E10value_typeEPNSO_ISJ_E10value_typeEPSK_NS1_7vsmem_tEENKUlT_SI_SJ_SK_E_clIPiSD_S10_SD_EESH_SX_SI_SJ_SK_EUlSX_E_NS1_11comp_targetILNS1_3genE2ELNS1_11target_archE906ELNS1_3gpuE6ELNS1_3repE0EEENS1_48merge_mergepath_partition_config_static_selectorELNS0_4arch9wavefront6targetE1EEEvSJ_.num_named_barrier, 0
	.set _ZN7rocprim17ROCPRIM_400000_NS6detail17trampoline_kernelINS0_14default_configENS1_38merge_sort_block_merge_config_selectorIiiEEZZNS1_27merge_sort_block_merge_implIS3_N6thrust23THRUST_200600_302600_NS6detail15normal_iteratorINS8_10device_ptrIiEEEESD_jNS1_19radix_merge_compareILb0ELb1EiNS0_19identity_decomposerEEEEE10hipError_tT0_T1_T2_jT3_P12ihipStream_tbPNSt15iterator_traitsISI_E10value_typeEPNSO_ISJ_E10value_typeEPSK_NS1_7vsmem_tEENKUlT_SI_SJ_SK_E_clIPiSD_S10_SD_EESH_SX_SI_SJ_SK_EUlSX_E_NS1_11comp_targetILNS1_3genE2ELNS1_11target_archE906ELNS1_3gpuE6ELNS1_3repE0EEENS1_48merge_mergepath_partition_config_static_selectorELNS0_4arch9wavefront6targetE1EEEvSJ_.private_seg_size, 0
	.set _ZN7rocprim17ROCPRIM_400000_NS6detail17trampoline_kernelINS0_14default_configENS1_38merge_sort_block_merge_config_selectorIiiEEZZNS1_27merge_sort_block_merge_implIS3_N6thrust23THRUST_200600_302600_NS6detail15normal_iteratorINS8_10device_ptrIiEEEESD_jNS1_19radix_merge_compareILb0ELb1EiNS0_19identity_decomposerEEEEE10hipError_tT0_T1_T2_jT3_P12ihipStream_tbPNSt15iterator_traitsISI_E10value_typeEPNSO_ISJ_E10value_typeEPSK_NS1_7vsmem_tEENKUlT_SI_SJ_SK_E_clIPiSD_S10_SD_EESH_SX_SI_SJ_SK_EUlSX_E_NS1_11comp_targetILNS1_3genE2ELNS1_11target_archE906ELNS1_3gpuE6ELNS1_3repE0EEENS1_48merge_mergepath_partition_config_static_selectorELNS0_4arch9wavefront6targetE1EEEvSJ_.uses_vcc, 0
	.set _ZN7rocprim17ROCPRIM_400000_NS6detail17trampoline_kernelINS0_14default_configENS1_38merge_sort_block_merge_config_selectorIiiEEZZNS1_27merge_sort_block_merge_implIS3_N6thrust23THRUST_200600_302600_NS6detail15normal_iteratorINS8_10device_ptrIiEEEESD_jNS1_19radix_merge_compareILb0ELb1EiNS0_19identity_decomposerEEEEE10hipError_tT0_T1_T2_jT3_P12ihipStream_tbPNSt15iterator_traitsISI_E10value_typeEPNSO_ISJ_E10value_typeEPSK_NS1_7vsmem_tEENKUlT_SI_SJ_SK_E_clIPiSD_S10_SD_EESH_SX_SI_SJ_SK_EUlSX_E_NS1_11comp_targetILNS1_3genE2ELNS1_11target_archE906ELNS1_3gpuE6ELNS1_3repE0EEENS1_48merge_mergepath_partition_config_static_selectorELNS0_4arch9wavefront6targetE1EEEvSJ_.uses_flat_scratch, 0
	.set _ZN7rocprim17ROCPRIM_400000_NS6detail17trampoline_kernelINS0_14default_configENS1_38merge_sort_block_merge_config_selectorIiiEEZZNS1_27merge_sort_block_merge_implIS3_N6thrust23THRUST_200600_302600_NS6detail15normal_iteratorINS8_10device_ptrIiEEEESD_jNS1_19radix_merge_compareILb0ELb1EiNS0_19identity_decomposerEEEEE10hipError_tT0_T1_T2_jT3_P12ihipStream_tbPNSt15iterator_traitsISI_E10value_typeEPNSO_ISJ_E10value_typeEPSK_NS1_7vsmem_tEENKUlT_SI_SJ_SK_E_clIPiSD_S10_SD_EESH_SX_SI_SJ_SK_EUlSX_E_NS1_11comp_targetILNS1_3genE2ELNS1_11target_archE906ELNS1_3gpuE6ELNS1_3repE0EEENS1_48merge_mergepath_partition_config_static_selectorELNS0_4arch9wavefront6targetE1EEEvSJ_.has_dyn_sized_stack, 0
	.set _ZN7rocprim17ROCPRIM_400000_NS6detail17trampoline_kernelINS0_14default_configENS1_38merge_sort_block_merge_config_selectorIiiEEZZNS1_27merge_sort_block_merge_implIS3_N6thrust23THRUST_200600_302600_NS6detail15normal_iteratorINS8_10device_ptrIiEEEESD_jNS1_19radix_merge_compareILb0ELb1EiNS0_19identity_decomposerEEEEE10hipError_tT0_T1_T2_jT3_P12ihipStream_tbPNSt15iterator_traitsISI_E10value_typeEPNSO_ISJ_E10value_typeEPSK_NS1_7vsmem_tEENKUlT_SI_SJ_SK_E_clIPiSD_S10_SD_EESH_SX_SI_SJ_SK_EUlSX_E_NS1_11comp_targetILNS1_3genE2ELNS1_11target_archE906ELNS1_3gpuE6ELNS1_3repE0EEENS1_48merge_mergepath_partition_config_static_selectorELNS0_4arch9wavefront6targetE1EEEvSJ_.has_recursion, 0
	.set _ZN7rocprim17ROCPRIM_400000_NS6detail17trampoline_kernelINS0_14default_configENS1_38merge_sort_block_merge_config_selectorIiiEEZZNS1_27merge_sort_block_merge_implIS3_N6thrust23THRUST_200600_302600_NS6detail15normal_iteratorINS8_10device_ptrIiEEEESD_jNS1_19radix_merge_compareILb0ELb1EiNS0_19identity_decomposerEEEEE10hipError_tT0_T1_T2_jT3_P12ihipStream_tbPNSt15iterator_traitsISI_E10value_typeEPNSO_ISJ_E10value_typeEPSK_NS1_7vsmem_tEENKUlT_SI_SJ_SK_E_clIPiSD_S10_SD_EESH_SX_SI_SJ_SK_EUlSX_E_NS1_11comp_targetILNS1_3genE2ELNS1_11target_archE906ELNS1_3gpuE6ELNS1_3repE0EEENS1_48merge_mergepath_partition_config_static_selectorELNS0_4arch9wavefront6targetE1EEEvSJ_.has_indirect_call, 0
	.section	.AMDGPU.csdata,"",@progbits
; Kernel info:
; codeLenInByte = 0
; TotalNumSgprs: 6
; NumVgprs: 0
; NumAgprs: 0
; TotalNumVgprs: 0
; ScratchSize: 0
; MemoryBound: 0
; FloatMode: 240
; IeeeMode: 1
; LDSByteSize: 0 bytes/workgroup (compile time only)
; SGPRBlocks: 0
; VGPRBlocks: 0
; NumSGPRsForWavesPerEU: 6
; NumVGPRsForWavesPerEU: 1
; AccumOffset: 4
; Occupancy: 8
; WaveLimiterHint : 0
; COMPUTE_PGM_RSRC2:SCRATCH_EN: 0
; COMPUTE_PGM_RSRC2:USER_SGPR: 2
; COMPUTE_PGM_RSRC2:TRAP_HANDLER: 0
; COMPUTE_PGM_RSRC2:TGID_X_EN: 1
; COMPUTE_PGM_RSRC2:TGID_Y_EN: 0
; COMPUTE_PGM_RSRC2:TGID_Z_EN: 0
; COMPUTE_PGM_RSRC2:TIDIG_COMP_CNT: 0
; COMPUTE_PGM_RSRC3_GFX90A:ACCUM_OFFSET: 0
; COMPUTE_PGM_RSRC3_GFX90A:TG_SPLIT: 0
	.section	.text._ZN7rocprim17ROCPRIM_400000_NS6detail17trampoline_kernelINS0_14default_configENS1_38merge_sort_block_merge_config_selectorIiiEEZZNS1_27merge_sort_block_merge_implIS3_N6thrust23THRUST_200600_302600_NS6detail15normal_iteratorINS8_10device_ptrIiEEEESD_jNS1_19radix_merge_compareILb0ELb1EiNS0_19identity_decomposerEEEEE10hipError_tT0_T1_T2_jT3_P12ihipStream_tbPNSt15iterator_traitsISI_E10value_typeEPNSO_ISJ_E10value_typeEPSK_NS1_7vsmem_tEENKUlT_SI_SJ_SK_E_clIPiSD_S10_SD_EESH_SX_SI_SJ_SK_EUlSX_E_NS1_11comp_targetILNS1_3genE9ELNS1_11target_archE1100ELNS1_3gpuE3ELNS1_3repE0EEENS1_48merge_mergepath_partition_config_static_selectorELNS0_4arch9wavefront6targetE1EEEvSJ_,"axG",@progbits,_ZN7rocprim17ROCPRIM_400000_NS6detail17trampoline_kernelINS0_14default_configENS1_38merge_sort_block_merge_config_selectorIiiEEZZNS1_27merge_sort_block_merge_implIS3_N6thrust23THRUST_200600_302600_NS6detail15normal_iteratorINS8_10device_ptrIiEEEESD_jNS1_19radix_merge_compareILb0ELb1EiNS0_19identity_decomposerEEEEE10hipError_tT0_T1_T2_jT3_P12ihipStream_tbPNSt15iterator_traitsISI_E10value_typeEPNSO_ISJ_E10value_typeEPSK_NS1_7vsmem_tEENKUlT_SI_SJ_SK_E_clIPiSD_S10_SD_EESH_SX_SI_SJ_SK_EUlSX_E_NS1_11comp_targetILNS1_3genE9ELNS1_11target_archE1100ELNS1_3gpuE3ELNS1_3repE0EEENS1_48merge_mergepath_partition_config_static_selectorELNS0_4arch9wavefront6targetE1EEEvSJ_,comdat
	.protected	_ZN7rocprim17ROCPRIM_400000_NS6detail17trampoline_kernelINS0_14default_configENS1_38merge_sort_block_merge_config_selectorIiiEEZZNS1_27merge_sort_block_merge_implIS3_N6thrust23THRUST_200600_302600_NS6detail15normal_iteratorINS8_10device_ptrIiEEEESD_jNS1_19radix_merge_compareILb0ELb1EiNS0_19identity_decomposerEEEEE10hipError_tT0_T1_T2_jT3_P12ihipStream_tbPNSt15iterator_traitsISI_E10value_typeEPNSO_ISJ_E10value_typeEPSK_NS1_7vsmem_tEENKUlT_SI_SJ_SK_E_clIPiSD_S10_SD_EESH_SX_SI_SJ_SK_EUlSX_E_NS1_11comp_targetILNS1_3genE9ELNS1_11target_archE1100ELNS1_3gpuE3ELNS1_3repE0EEENS1_48merge_mergepath_partition_config_static_selectorELNS0_4arch9wavefront6targetE1EEEvSJ_ ; -- Begin function _ZN7rocprim17ROCPRIM_400000_NS6detail17trampoline_kernelINS0_14default_configENS1_38merge_sort_block_merge_config_selectorIiiEEZZNS1_27merge_sort_block_merge_implIS3_N6thrust23THRUST_200600_302600_NS6detail15normal_iteratorINS8_10device_ptrIiEEEESD_jNS1_19radix_merge_compareILb0ELb1EiNS0_19identity_decomposerEEEEE10hipError_tT0_T1_T2_jT3_P12ihipStream_tbPNSt15iterator_traitsISI_E10value_typeEPNSO_ISJ_E10value_typeEPSK_NS1_7vsmem_tEENKUlT_SI_SJ_SK_E_clIPiSD_S10_SD_EESH_SX_SI_SJ_SK_EUlSX_E_NS1_11comp_targetILNS1_3genE9ELNS1_11target_archE1100ELNS1_3gpuE3ELNS1_3repE0EEENS1_48merge_mergepath_partition_config_static_selectorELNS0_4arch9wavefront6targetE1EEEvSJ_
	.globl	_ZN7rocprim17ROCPRIM_400000_NS6detail17trampoline_kernelINS0_14default_configENS1_38merge_sort_block_merge_config_selectorIiiEEZZNS1_27merge_sort_block_merge_implIS3_N6thrust23THRUST_200600_302600_NS6detail15normal_iteratorINS8_10device_ptrIiEEEESD_jNS1_19radix_merge_compareILb0ELb1EiNS0_19identity_decomposerEEEEE10hipError_tT0_T1_T2_jT3_P12ihipStream_tbPNSt15iterator_traitsISI_E10value_typeEPNSO_ISJ_E10value_typeEPSK_NS1_7vsmem_tEENKUlT_SI_SJ_SK_E_clIPiSD_S10_SD_EESH_SX_SI_SJ_SK_EUlSX_E_NS1_11comp_targetILNS1_3genE9ELNS1_11target_archE1100ELNS1_3gpuE3ELNS1_3repE0EEENS1_48merge_mergepath_partition_config_static_selectorELNS0_4arch9wavefront6targetE1EEEvSJ_
	.p2align	8
	.type	_ZN7rocprim17ROCPRIM_400000_NS6detail17trampoline_kernelINS0_14default_configENS1_38merge_sort_block_merge_config_selectorIiiEEZZNS1_27merge_sort_block_merge_implIS3_N6thrust23THRUST_200600_302600_NS6detail15normal_iteratorINS8_10device_ptrIiEEEESD_jNS1_19radix_merge_compareILb0ELb1EiNS0_19identity_decomposerEEEEE10hipError_tT0_T1_T2_jT3_P12ihipStream_tbPNSt15iterator_traitsISI_E10value_typeEPNSO_ISJ_E10value_typeEPSK_NS1_7vsmem_tEENKUlT_SI_SJ_SK_E_clIPiSD_S10_SD_EESH_SX_SI_SJ_SK_EUlSX_E_NS1_11comp_targetILNS1_3genE9ELNS1_11target_archE1100ELNS1_3gpuE3ELNS1_3repE0EEENS1_48merge_mergepath_partition_config_static_selectorELNS0_4arch9wavefront6targetE1EEEvSJ_,@function
_ZN7rocprim17ROCPRIM_400000_NS6detail17trampoline_kernelINS0_14default_configENS1_38merge_sort_block_merge_config_selectorIiiEEZZNS1_27merge_sort_block_merge_implIS3_N6thrust23THRUST_200600_302600_NS6detail15normal_iteratorINS8_10device_ptrIiEEEESD_jNS1_19radix_merge_compareILb0ELb1EiNS0_19identity_decomposerEEEEE10hipError_tT0_T1_T2_jT3_P12ihipStream_tbPNSt15iterator_traitsISI_E10value_typeEPNSO_ISJ_E10value_typeEPSK_NS1_7vsmem_tEENKUlT_SI_SJ_SK_E_clIPiSD_S10_SD_EESH_SX_SI_SJ_SK_EUlSX_E_NS1_11comp_targetILNS1_3genE9ELNS1_11target_archE1100ELNS1_3gpuE3ELNS1_3repE0EEENS1_48merge_mergepath_partition_config_static_selectorELNS0_4arch9wavefront6targetE1EEEvSJ_: ; @_ZN7rocprim17ROCPRIM_400000_NS6detail17trampoline_kernelINS0_14default_configENS1_38merge_sort_block_merge_config_selectorIiiEEZZNS1_27merge_sort_block_merge_implIS3_N6thrust23THRUST_200600_302600_NS6detail15normal_iteratorINS8_10device_ptrIiEEEESD_jNS1_19radix_merge_compareILb0ELb1EiNS0_19identity_decomposerEEEEE10hipError_tT0_T1_T2_jT3_P12ihipStream_tbPNSt15iterator_traitsISI_E10value_typeEPNSO_ISJ_E10value_typeEPSK_NS1_7vsmem_tEENKUlT_SI_SJ_SK_E_clIPiSD_S10_SD_EESH_SX_SI_SJ_SK_EUlSX_E_NS1_11comp_targetILNS1_3genE9ELNS1_11target_archE1100ELNS1_3gpuE3ELNS1_3repE0EEENS1_48merge_mergepath_partition_config_static_selectorELNS0_4arch9wavefront6targetE1EEEvSJ_
; %bb.0:
	.section	.rodata,"a",@progbits
	.p2align	6, 0x0
	.amdhsa_kernel _ZN7rocprim17ROCPRIM_400000_NS6detail17trampoline_kernelINS0_14default_configENS1_38merge_sort_block_merge_config_selectorIiiEEZZNS1_27merge_sort_block_merge_implIS3_N6thrust23THRUST_200600_302600_NS6detail15normal_iteratorINS8_10device_ptrIiEEEESD_jNS1_19radix_merge_compareILb0ELb1EiNS0_19identity_decomposerEEEEE10hipError_tT0_T1_T2_jT3_P12ihipStream_tbPNSt15iterator_traitsISI_E10value_typeEPNSO_ISJ_E10value_typeEPSK_NS1_7vsmem_tEENKUlT_SI_SJ_SK_E_clIPiSD_S10_SD_EESH_SX_SI_SJ_SK_EUlSX_E_NS1_11comp_targetILNS1_3genE9ELNS1_11target_archE1100ELNS1_3gpuE3ELNS1_3repE0EEENS1_48merge_mergepath_partition_config_static_selectorELNS0_4arch9wavefront6targetE1EEEvSJ_
		.amdhsa_group_segment_fixed_size 0
		.amdhsa_private_segment_fixed_size 0
		.amdhsa_kernarg_size 40
		.amdhsa_user_sgpr_count 2
		.amdhsa_user_sgpr_dispatch_ptr 0
		.amdhsa_user_sgpr_queue_ptr 0
		.amdhsa_user_sgpr_kernarg_segment_ptr 1
		.amdhsa_user_sgpr_dispatch_id 0
		.amdhsa_user_sgpr_kernarg_preload_length 0
		.amdhsa_user_sgpr_kernarg_preload_offset 0
		.amdhsa_user_sgpr_private_segment_size 0
		.amdhsa_uses_dynamic_stack 0
		.amdhsa_enable_private_segment 0
		.amdhsa_system_sgpr_workgroup_id_x 1
		.amdhsa_system_sgpr_workgroup_id_y 0
		.amdhsa_system_sgpr_workgroup_id_z 0
		.amdhsa_system_sgpr_workgroup_info 0
		.amdhsa_system_vgpr_workitem_id 0
		.amdhsa_next_free_vgpr 1
		.amdhsa_next_free_sgpr 0
		.amdhsa_accum_offset 4
		.amdhsa_reserve_vcc 0
		.amdhsa_float_round_mode_32 0
		.amdhsa_float_round_mode_16_64 0
		.amdhsa_float_denorm_mode_32 3
		.amdhsa_float_denorm_mode_16_64 3
		.amdhsa_dx10_clamp 1
		.amdhsa_ieee_mode 1
		.amdhsa_fp16_overflow 0
		.amdhsa_tg_split 0
		.amdhsa_exception_fp_ieee_invalid_op 0
		.amdhsa_exception_fp_denorm_src 0
		.amdhsa_exception_fp_ieee_div_zero 0
		.amdhsa_exception_fp_ieee_overflow 0
		.amdhsa_exception_fp_ieee_underflow 0
		.amdhsa_exception_fp_ieee_inexact 0
		.amdhsa_exception_int_div_zero 0
	.end_amdhsa_kernel
	.section	.text._ZN7rocprim17ROCPRIM_400000_NS6detail17trampoline_kernelINS0_14default_configENS1_38merge_sort_block_merge_config_selectorIiiEEZZNS1_27merge_sort_block_merge_implIS3_N6thrust23THRUST_200600_302600_NS6detail15normal_iteratorINS8_10device_ptrIiEEEESD_jNS1_19radix_merge_compareILb0ELb1EiNS0_19identity_decomposerEEEEE10hipError_tT0_T1_T2_jT3_P12ihipStream_tbPNSt15iterator_traitsISI_E10value_typeEPNSO_ISJ_E10value_typeEPSK_NS1_7vsmem_tEENKUlT_SI_SJ_SK_E_clIPiSD_S10_SD_EESH_SX_SI_SJ_SK_EUlSX_E_NS1_11comp_targetILNS1_3genE9ELNS1_11target_archE1100ELNS1_3gpuE3ELNS1_3repE0EEENS1_48merge_mergepath_partition_config_static_selectorELNS0_4arch9wavefront6targetE1EEEvSJ_,"axG",@progbits,_ZN7rocprim17ROCPRIM_400000_NS6detail17trampoline_kernelINS0_14default_configENS1_38merge_sort_block_merge_config_selectorIiiEEZZNS1_27merge_sort_block_merge_implIS3_N6thrust23THRUST_200600_302600_NS6detail15normal_iteratorINS8_10device_ptrIiEEEESD_jNS1_19radix_merge_compareILb0ELb1EiNS0_19identity_decomposerEEEEE10hipError_tT0_T1_T2_jT3_P12ihipStream_tbPNSt15iterator_traitsISI_E10value_typeEPNSO_ISJ_E10value_typeEPSK_NS1_7vsmem_tEENKUlT_SI_SJ_SK_E_clIPiSD_S10_SD_EESH_SX_SI_SJ_SK_EUlSX_E_NS1_11comp_targetILNS1_3genE9ELNS1_11target_archE1100ELNS1_3gpuE3ELNS1_3repE0EEENS1_48merge_mergepath_partition_config_static_selectorELNS0_4arch9wavefront6targetE1EEEvSJ_,comdat
.Lfunc_end762:
	.size	_ZN7rocprim17ROCPRIM_400000_NS6detail17trampoline_kernelINS0_14default_configENS1_38merge_sort_block_merge_config_selectorIiiEEZZNS1_27merge_sort_block_merge_implIS3_N6thrust23THRUST_200600_302600_NS6detail15normal_iteratorINS8_10device_ptrIiEEEESD_jNS1_19radix_merge_compareILb0ELb1EiNS0_19identity_decomposerEEEEE10hipError_tT0_T1_T2_jT3_P12ihipStream_tbPNSt15iterator_traitsISI_E10value_typeEPNSO_ISJ_E10value_typeEPSK_NS1_7vsmem_tEENKUlT_SI_SJ_SK_E_clIPiSD_S10_SD_EESH_SX_SI_SJ_SK_EUlSX_E_NS1_11comp_targetILNS1_3genE9ELNS1_11target_archE1100ELNS1_3gpuE3ELNS1_3repE0EEENS1_48merge_mergepath_partition_config_static_selectorELNS0_4arch9wavefront6targetE1EEEvSJ_, .Lfunc_end762-_ZN7rocprim17ROCPRIM_400000_NS6detail17trampoline_kernelINS0_14default_configENS1_38merge_sort_block_merge_config_selectorIiiEEZZNS1_27merge_sort_block_merge_implIS3_N6thrust23THRUST_200600_302600_NS6detail15normal_iteratorINS8_10device_ptrIiEEEESD_jNS1_19radix_merge_compareILb0ELb1EiNS0_19identity_decomposerEEEEE10hipError_tT0_T1_T2_jT3_P12ihipStream_tbPNSt15iterator_traitsISI_E10value_typeEPNSO_ISJ_E10value_typeEPSK_NS1_7vsmem_tEENKUlT_SI_SJ_SK_E_clIPiSD_S10_SD_EESH_SX_SI_SJ_SK_EUlSX_E_NS1_11comp_targetILNS1_3genE9ELNS1_11target_archE1100ELNS1_3gpuE3ELNS1_3repE0EEENS1_48merge_mergepath_partition_config_static_selectorELNS0_4arch9wavefront6targetE1EEEvSJ_
                                        ; -- End function
	.set _ZN7rocprim17ROCPRIM_400000_NS6detail17trampoline_kernelINS0_14default_configENS1_38merge_sort_block_merge_config_selectorIiiEEZZNS1_27merge_sort_block_merge_implIS3_N6thrust23THRUST_200600_302600_NS6detail15normal_iteratorINS8_10device_ptrIiEEEESD_jNS1_19radix_merge_compareILb0ELb1EiNS0_19identity_decomposerEEEEE10hipError_tT0_T1_T2_jT3_P12ihipStream_tbPNSt15iterator_traitsISI_E10value_typeEPNSO_ISJ_E10value_typeEPSK_NS1_7vsmem_tEENKUlT_SI_SJ_SK_E_clIPiSD_S10_SD_EESH_SX_SI_SJ_SK_EUlSX_E_NS1_11comp_targetILNS1_3genE9ELNS1_11target_archE1100ELNS1_3gpuE3ELNS1_3repE0EEENS1_48merge_mergepath_partition_config_static_selectorELNS0_4arch9wavefront6targetE1EEEvSJ_.num_vgpr, 0
	.set _ZN7rocprim17ROCPRIM_400000_NS6detail17trampoline_kernelINS0_14default_configENS1_38merge_sort_block_merge_config_selectorIiiEEZZNS1_27merge_sort_block_merge_implIS3_N6thrust23THRUST_200600_302600_NS6detail15normal_iteratorINS8_10device_ptrIiEEEESD_jNS1_19radix_merge_compareILb0ELb1EiNS0_19identity_decomposerEEEEE10hipError_tT0_T1_T2_jT3_P12ihipStream_tbPNSt15iterator_traitsISI_E10value_typeEPNSO_ISJ_E10value_typeEPSK_NS1_7vsmem_tEENKUlT_SI_SJ_SK_E_clIPiSD_S10_SD_EESH_SX_SI_SJ_SK_EUlSX_E_NS1_11comp_targetILNS1_3genE9ELNS1_11target_archE1100ELNS1_3gpuE3ELNS1_3repE0EEENS1_48merge_mergepath_partition_config_static_selectorELNS0_4arch9wavefront6targetE1EEEvSJ_.num_agpr, 0
	.set _ZN7rocprim17ROCPRIM_400000_NS6detail17trampoline_kernelINS0_14default_configENS1_38merge_sort_block_merge_config_selectorIiiEEZZNS1_27merge_sort_block_merge_implIS3_N6thrust23THRUST_200600_302600_NS6detail15normal_iteratorINS8_10device_ptrIiEEEESD_jNS1_19radix_merge_compareILb0ELb1EiNS0_19identity_decomposerEEEEE10hipError_tT0_T1_T2_jT3_P12ihipStream_tbPNSt15iterator_traitsISI_E10value_typeEPNSO_ISJ_E10value_typeEPSK_NS1_7vsmem_tEENKUlT_SI_SJ_SK_E_clIPiSD_S10_SD_EESH_SX_SI_SJ_SK_EUlSX_E_NS1_11comp_targetILNS1_3genE9ELNS1_11target_archE1100ELNS1_3gpuE3ELNS1_3repE0EEENS1_48merge_mergepath_partition_config_static_selectorELNS0_4arch9wavefront6targetE1EEEvSJ_.numbered_sgpr, 0
	.set _ZN7rocprim17ROCPRIM_400000_NS6detail17trampoline_kernelINS0_14default_configENS1_38merge_sort_block_merge_config_selectorIiiEEZZNS1_27merge_sort_block_merge_implIS3_N6thrust23THRUST_200600_302600_NS6detail15normal_iteratorINS8_10device_ptrIiEEEESD_jNS1_19radix_merge_compareILb0ELb1EiNS0_19identity_decomposerEEEEE10hipError_tT0_T1_T2_jT3_P12ihipStream_tbPNSt15iterator_traitsISI_E10value_typeEPNSO_ISJ_E10value_typeEPSK_NS1_7vsmem_tEENKUlT_SI_SJ_SK_E_clIPiSD_S10_SD_EESH_SX_SI_SJ_SK_EUlSX_E_NS1_11comp_targetILNS1_3genE9ELNS1_11target_archE1100ELNS1_3gpuE3ELNS1_3repE0EEENS1_48merge_mergepath_partition_config_static_selectorELNS0_4arch9wavefront6targetE1EEEvSJ_.num_named_barrier, 0
	.set _ZN7rocprim17ROCPRIM_400000_NS6detail17trampoline_kernelINS0_14default_configENS1_38merge_sort_block_merge_config_selectorIiiEEZZNS1_27merge_sort_block_merge_implIS3_N6thrust23THRUST_200600_302600_NS6detail15normal_iteratorINS8_10device_ptrIiEEEESD_jNS1_19radix_merge_compareILb0ELb1EiNS0_19identity_decomposerEEEEE10hipError_tT0_T1_T2_jT3_P12ihipStream_tbPNSt15iterator_traitsISI_E10value_typeEPNSO_ISJ_E10value_typeEPSK_NS1_7vsmem_tEENKUlT_SI_SJ_SK_E_clIPiSD_S10_SD_EESH_SX_SI_SJ_SK_EUlSX_E_NS1_11comp_targetILNS1_3genE9ELNS1_11target_archE1100ELNS1_3gpuE3ELNS1_3repE0EEENS1_48merge_mergepath_partition_config_static_selectorELNS0_4arch9wavefront6targetE1EEEvSJ_.private_seg_size, 0
	.set _ZN7rocprim17ROCPRIM_400000_NS6detail17trampoline_kernelINS0_14default_configENS1_38merge_sort_block_merge_config_selectorIiiEEZZNS1_27merge_sort_block_merge_implIS3_N6thrust23THRUST_200600_302600_NS6detail15normal_iteratorINS8_10device_ptrIiEEEESD_jNS1_19radix_merge_compareILb0ELb1EiNS0_19identity_decomposerEEEEE10hipError_tT0_T1_T2_jT3_P12ihipStream_tbPNSt15iterator_traitsISI_E10value_typeEPNSO_ISJ_E10value_typeEPSK_NS1_7vsmem_tEENKUlT_SI_SJ_SK_E_clIPiSD_S10_SD_EESH_SX_SI_SJ_SK_EUlSX_E_NS1_11comp_targetILNS1_3genE9ELNS1_11target_archE1100ELNS1_3gpuE3ELNS1_3repE0EEENS1_48merge_mergepath_partition_config_static_selectorELNS0_4arch9wavefront6targetE1EEEvSJ_.uses_vcc, 0
	.set _ZN7rocprim17ROCPRIM_400000_NS6detail17trampoline_kernelINS0_14default_configENS1_38merge_sort_block_merge_config_selectorIiiEEZZNS1_27merge_sort_block_merge_implIS3_N6thrust23THRUST_200600_302600_NS6detail15normal_iteratorINS8_10device_ptrIiEEEESD_jNS1_19radix_merge_compareILb0ELb1EiNS0_19identity_decomposerEEEEE10hipError_tT0_T1_T2_jT3_P12ihipStream_tbPNSt15iterator_traitsISI_E10value_typeEPNSO_ISJ_E10value_typeEPSK_NS1_7vsmem_tEENKUlT_SI_SJ_SK_E_clIPiSD_S10_SD_EESH_SX_SI_SJ_SK_EUlSX_E_NS1_11comp_targetILNS1_3genE9ELNS1_11target_archE1100ELNS1_3gpuE3ELNS1_3repE0EEENS1_48merge_mergepath_partition_config_static_selectorELNS0_4arch9wavefront6targetE1EEEvSJ_.uses_flat_scratch, 0
	.set _ZN7rocprim17ROCPRIM_400000_NS6detail17trampoline_kernelINS0_14default_configENS1_38merge_sort_block_merge_config_selectorIiiEEZZNS1_27merge_sort_block_merge_implIS3_N6thrust23THRUST_200600_302600_NS6detail15normal_iteratorINS8_10device_ptrIiEEEESD_jNS1_19radix_merge_compareILb0ELb1EiNS0_19identity_decomposerEEEEE10hipError_tT0_T1_T2_jT3_P12ihipStream_tbPNSt15iterator_traitsISI_E10value_typeEPNSO_ISJ_E10value_typeEPSK_NS1_7vsmem_tEENKUlT_SI_SJ_SK_E_clIPiSD_S10_SD_EESH_SX_SI_SJ_SK_EUlSX_E_NS1_11comp_targetILNS1_3genE9ELNS1_11target_archE1100ELNS1_3gpuE3ELNS1_3repE0EEENS1_48merge_mergepath_partition_config_static_selectorELNS0_4arch9wavefront6targetE1EEEvSJ_.has_dyn_sized_stack, 0
	.set _ZN7rocprim17ROCPRIM_400000_NS6detail17trampoline_kernelINS0_14default_configENS1_38merge_sort_block_merge_config_selectorIiiEEZZNS1_27merge_sort_block_merge_implIS3_N6thrust23THRUST_200600_302600_NS6detail15normal_iteratorINS8_10device_ptrIiEEEESD_jNS1_19radix_merge_compareILb0ELb1EiNS0_19identity_decomposerEEEEE10hipError_tT0_T1_T2_jT3_P12ihipStream_tbPNSt15iterator_traitsISI_E10value_typeEPNSO_ISJ_E10value_typeEPSK_NS1_7vsmem_tEENKUlT_SI_SJ_SK_E_clIPiSD_S10_SD_EESH_SX_SI_SJ_SK_EUlSX_E_NS1_11comp_targetILNS1_3genE9ELNS1_11target_archE1100ELNS1_3gpuE3ELNS1_3repE0EEENS1_48merge_mergepath_partition_config_static_selectorELNS0_4arch9wavefront6targetE1EEEvSJ_.has_recursion, 0
	.set _ZN7rocprim17ROCPRIM_400000_NS6detail17trampoline_kernelINS0_14default_configENS1_38merge_sort_block_merge_config_selectorIiiEEZZNS1_27merge_sort_block_merge_implIS3_N6thrust23THRUST_200600_302600_NS6detail15normal_iteratorINS8_10device_ptrIiEEEESD_jNS1_19radix_merge_compareILb0ELb1EiNS0_19identity_decomposerEEEEE10hipError_tT0_T1_T2_jT3_P12ihipStream_tbPNSt15iterator_traitsISI_E10value_typeEPNSO_ISJ_E10value_typeEPSK_NS1_7vsmem_tEENKUlT_SI_SJ_SK_E_clIPiSD_S10_SD_EESH_SX_SI_SJ_SK_EUlSX_E_NS1_11comp_targetILNS1_3genE9ELNS1_11target_archE1100ELNS1_3gpuE3ELNS1_3repE0EEENS1_48merge_mergepath_partition_config_static_selectorELNS0_4arch9wavefront6targetE1EEEvSJ_.has_indirect_call, 0
	.section	.AMDGPU.csdata,"",@progbits
; Kernel info:
; codeLenInByte = 0
; TotalNumSgprs: 6
; NumVgprs: 0
; NumAgprs: 0
; TotalNumVgprs: 0
; ScratchSize: 0
; MemoryBound: 0
; FloatMode: 240
; IeeeMode: 1
; LDSByteSize: 0 bytes/workgroup (compile time only)
; SGPRBlocks: 0
; VGPRBlocks: 0
; NumSGPRsForWavesPerEU: 6
; NumVGPRsForWavesPerEU: 1
; AccumOffset: 4
; Occupancy: 8
; WaveLimiterHint : 0
; COMPUTE_PGM_RSRC2:SCRATCH_EN: 0
; COMPUTE_PGM_RSRC2:USER_SGPR: 2
; COMPUTE_PGM_RSRC2:TRAP_HANDLER: 0
; COMPUTE_PGM_RSRC2:TGID_X_EN: 1
; COMPUTE_PGM_RSRC2:TGID_Y_EN: 0
; COMPUTE_PGM_RSRC2:TGID_Z_EN: 0
; COMPUTE_PGM_RSRC2:TIDIG_COMP_CNT: 0
; COMPUTE_PGM_RSRC3_GFX90A:ACCUM_OFFSET: 0
; COMPUTE_PGM_RSRC3_GFX90A:TG_SPLIT: 0
	.section	.text._ZN7rocprim17ROCPRIM_400000_NS6detail17trampoline_kernelINS0_14default_configENS1_38merge_sort_block_merge_config_selectorIiiEEZZNS1_27merge_sort_block_merge_implIS3_N6thrust23THRUST_200600_302600_NS6detail15normal_iteratorINS8_10device_ptrIiEEEESD_jNS1_19radix_merge_compareILb0ELb1EiNS0_19identity_decomposerEEEEE10hipError_tT0_T1_T2_jT3_P12ihipStream_tbPNSt15iterator_traitsISI_E10value_typeEPNSO_ISJ_E10value_typeEPSK_NS1_7vsmem_tEENKUlT_SI_SJ_SK_E_clIPiSD_S10_SD_EESH_SX_SI_SJ_SK_EUlSX_E_NS1_11comp_targetILNS1_3genE8ELNS1_11target_archE1030ELNS1_3gpuE2ELNS1_3repE0EEENS1_48merge_mergepath_partition_config_static_selectorELNS0_4arch9wavefront6targetE1EEEvSJ_,"axG",@progbits,_ZN7rocprim17ROCPRIM_400000_NS6detail17trampoline_kernelINS0_14default_configENS1_38merge_sort_block_merge_config_selectorIiiEEZZNS1_27merge_sort_block_merge_implIS3_N6thrust23THRUST_200600_302600_NS6detail15normal_iteratorINS8_10device_ptrIiEEEESD_jNS1_19radix_merge_compareILb0ELb1EiNS0_19identity_decomposerEEEEE10hipError_tT0_T1_T2_jT3_P12ihipStream_tbPNSt15iterator_traitsISI_E10value_typeEPNSO_ISJ_E10value_typeEPSK_NS1_7vsmem_tEENKUlT_SI_SJ_SK_E_clIPiSD_S10_SD_EESH_SX_SI_SJ_SK_EUlSX_E_NS1_11comp_targetILNS1_3genE8ELNS1_11target_archE1030ELNS1_3gpuE2ELNS1_3repE0EEENS1_48merge_mergepath_partition_config_static_selectorELNS0_4arch9wavefront6targetE1EEEvSJ_,comdat
	.protected	_ZN7rocprim17ROCPRIM_400000_NS6detail17trampoline_kernelINS0_14default_configENS1_38merge_sort_block_merge_config_selectorIiiEEZZNS1_27merge_sort_block_merge_implIS3_N6thrust23THRUST_200600_302600_NS6detail15normal_iteratorINS8_10device_ptrIiEEEESD_jNS1_19radix_merge_compareILb0ELb1EiNS0_19identity_decomposerEEEEE10hipError_tT0_T1_T2_jT3_P12ihipStream_tbPNSt15iterator_traitsISI_E10value_typeEPNSO_ISJ_E10value_typeEPSK_NS1_7vsmem_tEENKUlT_SI_SJ_SK_E_clIPiSD_S10_SD_EESH_SX_SI_SJ_SK_EUlSX_E_NS1_11comp_targetILNS1_3genE8ELNS1_11target_archE1030ELNS1_3gpuE2ELNS1_3repE0EEENS1_48merge_mergepath_partition_config_static_selectorELNS0_4arch9wavefront6targetE1EEEvSJ_ ; -- Begin function _ZN7rocprim17ROCPRIM_400000_NS6detail17trampoline_kernelINS0_14default_configENS1_38merge_sort_block_merge_config_selectorIiiEEZZNS1_27merge_sort_block_merge_implIS3_N6thrust23THRUST_200600_302600_NS6detail15normal_iteratorINS8_10device_ptrIiEEEESD_jNS1_19radix_merge_compareILb0ELb1EiNS0_19identity_decomposerEEEEE10hipError_tT0_T1_T2_jT3_P12ihipStream_tbPNSt15iterator_traitsISI_E10value_typeEPNSO_ISJ_E10value_typeEPSK_NS1_7vsmem_tEENKUlT_SI_SJ_SK_E_clIPiSD_S10_SD_EESH_SX_SI_SJ_SK_EUlSX_E_NS1_11comp_targetILNS1_3genE8ELNS1_11target_archE1030ELNS1_3gpuE2ELNS1_3repE0EEENS1_48merge_mergepath_partition_config_static_selectorELNS0_4arch9wavefront6targetE1EEEvSJ_
	.globl	_ZN7rocprim17ROCPRIM_400000_NS6detail17trampoline_kernelINS0_14default_configENS1_38merge_sort_block_merge_config_selectorIiiEEZZNS1_27merge_sort_block_merge_implIS3_N6thrust23THRUST_200600_302600_NS6detail15normal_iteratorINS8_10device_ptrIiEEEESD_jNS1_19radix_merge_compareILb0ELb1EiNS0_19identity_decomposerEEEEE10hipError_tT0_T1_T2_jT3_P12ihipStream_tbPNSt15iterator_traitsISI_E10value_typeEPNSO_ISJ_E10value_typeEPSK_NS1_7vsmem_tEENKUlT_SI_SJ_SK_E_clIPiSD_S10_SD_EESH_SX_SI_SJ_SK_EUlSX_E_NS1_11comp_targetILNS1_3genE8ELNS1_11target_archE1030ELNS1_3gpuE2ELNS1_3repE0EEENS1_48merge_mergepath_partition_config_static_selectorELNS0_4arch9wavefront6targetE1EEEvSJ_
	.p2align	8
	.type	_ZN7rocprim17ROCPRIM_400000_NS6detail17trampoline_kernelINS0_14default_configENS1_38merge_sort_block_merge_config_selectorIiiEEZZNS1_27merge_sort_block_merge_implIS3_N6thrust23THRUST_200600_302600_NS6detail15normal_iteratorINS8_10device_ptrIiEEEESD_jNS1_19radix_merge_compareILb0ELb1EiNS0_19identity_decomposerEEEEE10hipError_tT0_T1_T2_jT3_P12ihipStream_tbPNSt15iterator_traitsISI_E10value_typeEPNSO_ISJ_E10value_typeEPSK_NS1_7vsmem_tEENKUlT_SI_SJ_SK_E_clIPiSD_S10_SD_EESH_SX_SI_SJ_SK_EUlSX_E_NS1_11comp_targetILNS1_3genE8ELNS1_11target_archE1030ELNS1_3gpuE2ELNS1_3repE0EEENS1_48merge_mergepath_partition_config_static_selectorELNS0_4arch9wavefront6targetE1EEEvSJ_,@function
_ZN7rocprim17ROCPRIM_400000_NS6detail17trampoline_kernelINS0_14default_configENS1_38merge_sort_block_merge_config_selectorIiiEEZZNS1_27merge_sort_block_merge_implIS3_N6thrust23THRUST_200600_302600_NS6detail15normal_iteratorINS8_10device_ptrIiEEEESD_jNS1_19radix_merge_compareILb0ELb1EiNS0_19identity_decomposerEEEEE10hipError_tT0_T1_T2_jT3_P12ihipStream_tbPNSt15iterator_traitsISI_E10value_typeEPNSO_ISJ_E10value_typeEPSK_NS1_7vsmem_tEENKUlT_SI_SJ_SK_E_clIPiSD_S10_SD_EESH_SX_SI_SJ_SK_EUlSX_E_NS1_11comp_targetILNS1_3genE8ELNS1_11target_archE1030ELNS1_3gpuE2ELNS1_3repE0EEENS1_48merge_mergepath_partition_config_static_selectorELNS0_4arch9wavefront6targetE1EEEvSJ_: ; @_ZN7rocprim17ROCPRIM_400000_NS6detail17trampoline_kernelINS0_14default_configENS1_38merge_sort_block_merge_config_selectorIiiEEZZNS1_27merge_sort_block_merge_implIS3_N6thrust23THRUST_200600_302600_NS6detail15normal_iteratorINS8_10device_ptrIiEEEESD_jNS1_19radix_merge_compareILb0ELb1EiNS0_19identity_decomposerEEEEE10hipError_tT0_T1_T2_jT3_P12ihipStream_tbPNSt15iterator_traitsISI_E10value_typeEPNSO_ISJ_E10value_typeEPSK_NS1_7vsmem_tEENKUlT_SI_SJ_SK_E_clIPiSD_S10_SD_EESH_SX_SI_SJ_SK_EUlSX_E_NS1_11comp_targetILNS1_3genE8ELNS1_11target_archE1030ELNS1_3gpuE2ELNS1_3repE0EEENS1_48merge_mergepath_partition_config_static_selectorELNS0_4arch9wavefront6targetE1EEEvSJ_
; %bb.0:
	.section	.rodata,"a",@progbits
	.p2align	6, 0x0
	.amdhsa_kernel _ZN7rocprim17ROCPRIM_400000_NS6detail17trampoline_kernelINS0_14default_configENS1_38merge_sort_block_merge_config_selectorIiiEEZZNS1_27merge_sort_block_merge_implIS3_N6thrust23THRUST_200600_302600_NS6detail15normal_iteratorINS8_10device_ptrIiEEEESD_jNS1_19radix_merge_compareILb0ELb1EiNS0_19identity_decomposerEEEEE10hipError_tT0_T1_T2_jT3_P12ihipStream_tbPNSt15iterator_traitsISI_E10value_typeEPNSO_ISJ_E10value_typeEPSK_NS1_7vsmem_tEENKUlT_SI_SJ_SK_E_clIPiSD_S10_SD_EESH_SX_SI_SJ_SK_EUlSX_E_NS1_11comp_targetILNS1_3genE8ELNS1_11target_archE1030ELNS1_3gpuE2ELNS1_3repE0EEENS1_48merge_mergepath_partition_config_static_selectorELNS0_4arch9wavefront6targetE1EEEvSJ_
		.amdhsa_group_segment_fixed_size 0
		.amdhsa_private_segment_fixed_size 0
		.amdhsa_kernarg_size 40
		.amdhsa_user_sgpr_count 2
		.amdhsa_user_sgpr_dispatch_ptr 0
		.amdhsa_user_sgpr_queue_ptr 0
		.amdhsa_user_sgpr_kernarg_segment_ptr 1
		.amdhsa_user_sgpr_dispatch_id 0
		.amdhsa_user_sgpr_kernarg_preload_length 0
		.amdhsa_user_sgpr_kernarg_preload_offset 0
		.amdhsa_user_sgpr_private_segment_size 0
		.amdhsa_uses_dynamic_stack 0
		.amdhsa_enable_private_segment 0
		.amdhsa_system_sgpr_workgroup_id_x 1
		.amdhsa_system_sgpr_workgroup_id_y 0
		.amdhsa_system_sgpr_workgroup_id_z 0
		.amdhsa_system_sgpr_workgroup_info 0
		.amdhsa_system_vgpr_workitem_id 0
		.amdhsa_next_free_vgpr 1
		.amdhsa_next_free_sgpr 0
		.amdhsa_accum_offset 4
		.amdhsa_reserve_vcc 0
		.amdhsa_float_round_mode_32 0
		.amdhsa_float_round_mode_16_64 0
		.amdhsa_float_denorm_mode_32 3
		.amdhsa_float_denorm_mode_16_64 3
		.amdhsa_dx10_clamp 1
		.amdhsa_ieee_mode 1
		.amdhsa_fp16_overflow 0
		.amdhsa_tg_split 0
		.amdhsa_exception_fp_ieee_invalid_op 0
		.amdhsa_exception_fp_denorm_src 0
		.amdhsa_exception_fp_ieee_div_zero 0
		.amdhsa_exception_fp_ieee_overflow 0
		.amdhsa_exception_fp_ieee_underflow 0
		.amdhsa_exception_fp_ieee_inexact 0
		.amdhsa_exception_int_div_zero 0
	.end_amdhsa_kernel
	.section	.text._ZN7rocprim17ROCPRIM_400000_NS6detail17trampoline_kernelINS0_14default_configENS1_38merge_sort_block_merge_config_selectorIiiEEZZNS1_27merge_sort_block_merge_implIS3_N6thrust23THRUST_200600_302600_NS6detail15normal_iteratorINS8_10device_ptrIiEEEESD_jNS1_19radix_merge_compareILb0ELb1EiNS0_19identity_decomposerEEEEE10hipError_tT0_T1_T2_jT3_P12ihipStream_tbPNSt15iterator_traitsISI_E10value_typeEPNSO_ISJ_E10value_typeEPSK_NS1_7vsmem_tEENKUlT_SI_SJ_SK_E_clIPiSD_S10_SD_EESH_SX_SI_SJ_SK_EUlSX_E_NS1_11comp_targetILNS1_3genE8ELNS1_11target_archE1030ELNS1_3gpuE2ELNS1_3repE0EEENS1_48merge_mergepath_partition_config_static_selectorELNS0_4arch9wavefront6targetE1EEEvSJ_,"axG",@progbits,_ZN7rocprim17ROCPRIM_400000_NS6detail17trampoline_kernelINS0_14default_configENS1_38merge_sort_block_merge_config_selectorIiiEEZZNS1_27merge_sort_block_merge_implIS3_N6thrust23THRUST_200600_302600_NS6detail15normal_iteratorINS8_10device_ptrIiEEEESD_jNS1_19radix_merge_compareILb0ELb1EiNS0_19identity_decomposerEEEEE10hipError_tT0_T1_T2_jT3_P12ihipStream_tbPNSt15iterator_traitsISI_E10value_typeEPNSO_ISJ_E10value_typeEPSK_NS1_7vsmem_tEENKUlT_SI_SJ_SK_E_clIPiSD_S10_SD_EESH_SX_SI_SJ_SK_EUlSX_E_NS1_11comp_targetILNS1_3genE8ELNS1_11target_archE1030ELNS1_3gpuE2ELNS1_3repE0EEENS1_48merge_mergepath_partition_config_static_selectorELNS0_4arch9wavefront6targetE1EEEvSJ_,comdat
.Lfunc_end763:
	.size	_ZN7rocprim17ROCPRIM_400000_NS6detail17trampoline_kernelINS0_14default_configENS1_38merge_sort_block_merge_config_selectorIiiEEZZNS1_27merge_sort_block_merge_implIS3_N6thrust23THRUST_200600_302600_NS6detail15normal_iteratorINS8_10device_ptrIiEEEESD_jNS1_19radix_merge_compareILb0ELb1EiNS0_19identity_decomposerEEEEE10hipError_tT0_T1_T2_jT3_P12ihipStream_tbPNSt15iterator_traitsISI_E10value_typeEPNSO_ISJ_E10value_typeEPSK_NS1_7vsmem_tEENKUlT_SI_SJ_SK_E_clIPiSD_S10_SD_EESH_SX_SI_SJ_SK_EUlSX_E_NS1_11comp_targetILNS1_3genE8ELNS1_11target_archE1030ELNS1_3gpuE2ELNS1_3repE0EEENS1_48merge_mergepath_partition_config_static_selectorELNS0_4arch9wavefront6targetE1EEEvSJ_, .Lfunc_end763-_ZN7rocprim17ROCPRIM_400000_NS6detail17trampoline_kernelINS0_14default_configENS1_38merge_sort_block_merge_config_selectorIiiEEZZNS1_27merge_sort_block_merge_implIS3_N6thrust23THRUST_200600_302600_NS6detail15normal_iteratorINS8_10device_ptrIiEEEESD_jNS1_19radix_merge_compareILb0ELb1EiNS0_19identity_decomposerEEEEE10hipError_tT0_T1_T2_jT3_P12ihipStream_tbPNSt15iterator_traitsISI_E10value_typeEPNSO_ISJ_E10value_typeEPSK_NS1_7vsmem_tEENKUlT_SI_SJ_SK_E_clIPiSD_S10_SD_EESH_SX_SI_SJ_SK_EUlSX_E_NS1_11comp_targetILNS1_3genE8ELNS1_11target_archE1030ELNS1_3gpuE2ELNS1_3repE0EEENS1_48merge_mergepath_partition_config_static_selectorELNS0_4arch9wavefront6targetE1EEEvSJ_
                                        ; -- End function
	.set _ZN7rocprim17ROCPRIM_400000_NS6detail17trampoline_kernelINS0_14default_configENS1_38merge_sort_block_merge_config_selectorIiiEEZZNS1_27merge_sort_block_merge_implIS3_N6thrust23THRUST_200600_302600_NS6detail15normal_iteratorINS8_10device_ptrIiEEEESD_jNS1_19radix_merge_compareILb0ELb1EiNS0_19identity_decomposerEEEEE10hipError_tT0_T1_T2_jT3_P12ihipStream_tbPNSt15iterator_traitsISI_E10value_typeEPNSO_ISJ_E10value_typeEPSK_NS1_7vsmem_tEENKUlT_SI_SJ_SK_E_clIPiSD_S10_SD_EESH_SX_SI_SJ_SK_EUlSX_E_NS1_11comp_targetILNS1_3genE8ELNS1_11target_archE1030ELNS1_3gpuE2ELNS1_3repE0EEENS1_48merge_mergepath_partition_config_static_selectorELNS0_4arch9wavefront6targetE1EEEvSJ_.num_vgpr, 0
	.set _ZN7rocprim17ROCPRIM_400000_NS6detail17trampoline_kernelINS0_14default_configENS1_38merge_sort_block_merge_config_selectorIiiEEZZNS1_27merge_sort_block_merge_implIS3_N6thrust23THRUST_200600_302600_NS6detail15normal_iteratorINS8_10device_ptrIiEEEESD_jNS1_19radix_merge_compareILb0ELb1EiNS0_19identity_decomposerEEEEE10hipError_tT0_T1_T2_jT3_P12ihipStream_tbPNSt15iterator_traitsISI_E10value_typeEPNSO_ISJ_E10value_typeEPSK_NS1_7vsmem_tEENKUlT_SI_SJ_SK_E_clIPiSD_S10_SD_EESH_SX_SI_SJ_SK_EUlSX_E_NS1_11comp_targetILNS1_3genE8ELNS1_11target_archE1030ELNS1_3gpuE2ELNS1_3repE0EEENS1_48merge_mergepath_partition_config_static_selectorELNS0_4arch9wavefront6targetE1EEEvSJ_.num_agpr, 0
	.set _ZN7rocprim17ROCPRIM_400000_NS6detail17trampoline_kernelINS0_14default_configENS1_38merge_sort_block_merge_config_selectorIiiEEZZNS1_27merge_sort_block_merge_implIS3_N6thrust23THRUST_200600_302600_NS6detail15normal_iteratorINS8_10device_ptrIiEEEESD_jNS1_19radix_merge_compareILb0ELb1EiNS0_19identity_decomposerEEEEE10hipError_tT0_T1_T2_jT3_P12ihipStream_tbPNSt15iterator_traitsISI_E10value_typeEPNSO_ISJ_E10value_typeEPSK_NS1_7vsmem_tEENKUlT_SI_SJ_SK_E_clIPiSD_S10_SD_EESH_SX_SI_SJ_SK_EUlSX_E_NS1_11comp_targetILNS1_3genE8ELNS1_11target_archE1030ELNS1_3gpuE2ELNS1_3repE0EEENS1_48merge_mergepath_partition_config_static_selectorELNS0_4arch9wavefront6targetE1EEEvSJ_.numbered_sgpr, 0
	.set _ZN7rocprim17ROCPRIM_400000_NS6detail17trampoline_kernelINS0_14default_configENS1_38merge_sort_block_merge_config_selectorIiiEEZZNS1_27merge_sort_block_merge_implIS3_N6thrust23THRUST_200600_302600_NS6detail15normal_iteratorINS8_10device_ptrIiEEEESD_jNS1_19radix_merge_compareILb0ELb1EiNS0_19identity_decomposerEEEEE10hipError_tT0_T1_T2_jT3_P12ihipStream_tbPNSt15iterator_traitsISI_E10value_typeEPNSO_ISJ_E10value_typeEPSK_NS1_7vsmem_tEENKUlT_SI_SJ_SK_E_clIPiSD_S10_SD_EESH_SX_SI_SJ_SK_EUlSX_E_NS1_11comp_targetILNS1_3genE8ELNS1_11target_archE1030ELNS1_3gpuE2ELNS1_3repE0EEENS1_48merge_mergepath_partition_config_static_selectorELNS0_4arch9wavefront6targetE1EEEvSJ_.num_named_barrier, 0
	.set _ZN7rocprim17ROCPRIM_400000_NS6detail17trampoline_kernelINS0_14default_configENS1_38merge_sort_block_merge_config_selectorIiiEEZZNS1_27merge_sort_block_merge_implIS3_N6thrust23THRUST_200600_302600_NS6detail15normal_iteratorINS8_10device_ptrIiEEEESD_jNS1_19radix_merge_compareILb0ELb1EiNS0_19identity_decomposerEEEEE10hipError_tT0_T1_T2_jT3_P12ihipStream_tbPNSt15iterator_traitsISI_E10value_typeEPNSO_ISJ_E10value_typeEPSK_NS1_7vsmem_tEENKUlT_SI_SJ_SK_E_clIPiSD_S10_SD_EESH_SX_SI_SJ_SK_EUlSX_E_NS1_11comp_targetILNS1_3genE8ELNS1_11target_archE1030ELNS1_3gpuE2ELNS1_3repE0EEENS1_48merge_mergepath_partition_config_static_selectorELNS0_4arch9wavefront6targetE1EEEvSJ_.private_seg_size, 0
	.set _ZN7rocprim17ROCPRIM_400000_NS6detail17trampoline_kernelINS0_14default_configENS1_38merge_sort_block_merge_config_selectorIiiEEZZNS1_27merge_sort_block_merge_implIS3_N6thrust23THRUST_200600_302600_NS6detail15normal_iteratorINS8_10device_ptrIiEEEESD_jNS1_19radix_merge_compareILb0ELb1EiNS0_19identity_decomposerEEEEE10hipError_tT0_T1_T2_jT3_P12ihipStream_tbPNSt15iterator_traitsISI_E10value_typeEPNSO_ISJ_E10value_typeEPSK_NS1_7vsmem_tEENKUlT_SI_SJ_SK_E_clIPiSD_S10_SD_EESH_SX_SI_SJ_SK_EUlSX_E_NS1_11comp_targetILNS1_3genE8ELNS1_11target_archE1030ELNS1_3gpuE2ELNS1_3repE0EEENS1_48merge_mergepath_partition_config_static_selectorELNS0_4arch9wavefront6targetE1EEEvSJ_.uses_vcc, 0
	.set _ZN7rocprim17ROCPRIM_400000_NS6detail17trampoline_kernelINS0_14default_configENS1_38merge_sort_block_merge_config_selectorIiiEEZZNS1_27merge_sort_block_merge_implIS3_N6thrust23THRUST_200600_302600_NS6detail15normal_iteratorINS8_10device_ptrIiEEEESD_jNS1_19radix_merge_compareILb0ELb1EiNS0_19identity_decomposerEEEEE10hipError_tT0_T1_T2_jT3_P12ihipStream_tbPNSt15iterator_traitsISI_E10value_typeEPNSO_ISJ_E10value_typeEPSK_NS1_7vsmem_tEENKUlT_SI_SJ_SK_E_clIPiSD_S10_SD_EESH_SX_SI_SJ_SK_EUlSX_E_NS1_11comp_targetILNS1_3genE8ELNS1_11target_archE1030ELNS1_3gpuE2ELNS1_3repE0EEENS1_48merge_mergepath_partition_config_static_selectorELNS0_4arch9wavefront6targetE1EEEvSJ_.uses_flat_scratch, 0
	.set _ZN7rocprim17ROCPRIM_400000_NS6detail17trampoline_kernelINS0_14default_configENS1_38merge_sort_block_merge_config_selectorIiiEEZZNS1_27merge_sort_block_merge_implIS3_N6thrust23THRUST_200600_302600_NS6detail15normal_iteratorINS8_10device_ptrIiEEEESD_jNS1_19radix_merge_compareILb0ELb1EiNS0_19identity_decomposerEEEEE10hipError_tT0_T1_T2_jT3_P12ihipStream_tbPNSt15iterator_traitsISI_E10value_typeEPNSO_ISJ_E10value_typeEPSK_NS1_7vsmem_tEENKUlT_SI_SJ_SK_E_clIPiSD_S10_SD_EESH_SX_SI_SJ_SK_EUlSX_E_NS1_11comp_targetILNS1_3genE8ELNS1_11target_archE1030ELNS1_3gpuE2ELNS1_3repE0EEENS1_48merge_mergepath_partition_config_static_selectorELNS0_4arch9wavefront6targetE1EEEvSJ_.has_dyn_sized_stack, 0
	.set _ZN7rocprim17ROCPRIM_400000_NS6detail17trampoline_kernelINS0_14default_configENS1_38merge_sort_block_merge_config_selectorIiiEEZZNS1_27merge_sort_block_merge_implIS3_N6thrust23THRUST_200600_302600_NS6detail15normal_iteratorINS8_10device_ptrIiEEEESD_jNS1_19radix_merge_compareILb0ELb1EiNS0_19identity_decomposerEEEEE10hipError_tT0_T1_T2_jT3_P12ihipStream_tbPNSt15iterator_traitsISI_E10value_typeEPNSO_ISJ_E10value_typeEPSK_NS1_7vsmem_tEENKUlT_SI_SJ_SK_E_clIPiSD_S10_SD_EESH_SX_SI_SJ_SK_EUlSX_E_NS1_11comp_targetILNS1_3genE8ELNS1_11target_archE1030ELNS1_3gpuE2ELNS1_3repE0EEENS1_48merge_mergepath_partition_config_static_selectorELNS0_4arch9wavefront6targetE1EEEvSJ_.has_recursion, 0
	.set _ZN7rocprim17ROCPRIM_400000_NS6detail17trampoline_kernelINS0_14default_configENS1_38merge_sort_block_merge_config_selectorIiiEEZZNS1_27merge_sort_block_merge_implIS3_N6thrust23THRUST_200600_302600_NS6detail15normal_iteratorINS8_10device_ptrIiEEEESD_jNS1_19radix_merge_compareILb0ELb1EiNS0_19identity_decomposerEEEEE10hipError_tT0_T1_T2_jT3_P12ihipStream_tbPNSt15iterator_traitsISI_E10value_typeEPNSO_ISJ_E10value_typeEPSK_NS1_7vsmem_tEENKUlT_SI_SJ_SK_E_clIPiSD_S10_SD_EESH_SX_SI_SJ_SK_EUlSX_E_NS1_11comp_targetILNS1_3genE8ELNS1_11target_archE1030ELNS1_3gpuE2ELNS1_3repE0EEENS1_48merge_mergepath_partition_config_static_selectorELNS0_4arch9wavefront6targetE1EEEvSJ_.has_indirect_call, 0
	.section	.AMDGPU.csdata,"",@progbits
; Kernel info:
; codeLenInByte = 0
; TotalNumSgprs: 6
; NumVgprs: 0
; NumAgprs: 0
; TotalNumVgprs: 0
; ScratchSize: 0
; MemoryBound: 0
; FloatMode: 240
; IeeeMode: 1
; LDSByteSize: 0 bytes/workgroup (compile time only)
; SGPRBlocks: 0
; VGPRBlocks: 0
; NumSGPRsForWavesPerEU: 6
; NumVGPRsForWavesPerEU: 1
; AccumOffset: 4
; Occupancy: 8
; WaveLimiterHint : 0
; COMPUTE_PGM_RSRC2:SCRATCH_EN: 0
; COMPUTE_PGM_RSRC2:USER_SGPR: 2
; COMPUTE_PGM_RSRC2:TRAP_HANDLER: 0
; COMPUTE_PGM_RSRC2:TGID_X_EN: 1
; COMPUTE_PGM_RSRC2:TGID_Y_EN: 0
; COMPUTE_PGM_RSRC2:TGID_Z_EN: 0
; COMPUTE_PGM_RSRC2:TIDIG_COMP_CNT: 0
; COMPUTE_PGM_RSRC3_GFX90A:ACCUM_OFFSET: 0
; COMPUTE_PGM_RSRC3_GFX90A:TG_SPLIT: 0
	.section	.text._ZN7rocprim17ROCPRIM_400000_NS6detail17trampoline_kernelINS0_14default_configENS1_38merge_sort_block_merge_config_selectorIiiEEZZNS1_27merge_sort_block_merge_implIS3_N6thrust23THRUST_200600_302600_NS6detail15normal_iteratorINS8_10device_ptrIiEEEESD_jNS1_19radix_merge_compareILb0ELb1EiNS0_19identity_decomposerEEEEE10hipError_tT0_T1_T2_jT3_P12ihipStream_tbPNSt15iterator_traitsISI_E10value_typeEPNSO_ISJ_E10value_typeEPSK_NS1_7vsmem_tEENKUlT_SI_SJ_SK_E_clIPiSD_S10_SD_EESH_SX_SI_SJ_SK_EUlSX_E0_NS1_11comp_targetILNS1_3genE0ELNS1_11target_archE4294967295ELNS1_3gpuE0ELNS1_3repE0EEENS1_38merge_mergepath_config_static_selectorELNS0_4arch9wavefront6targetE1EEEvSJ_,"axG",@progbits,_ZN7rocprim17ROCPRIM_400000_NS6detail17trampoline_kernelINS0_14default_configENS1_38merge_sort_block_merge_config_selectorIiiEEZZNS1_27merge_sort_block_merge_implIS3_N6thrust23THRUST_200600_302600_NS6detail15normal_iteratorINS8_10device_ptrIiEEEESD_jNS1_19radix_merge_compareILb0ELb1EiNS0_19identity_decomposerEEEEE10hipError_tT0_T1_T2_jT3_P12ihipStream_tbPNSt15iterator_traitsISI_E10value_typeEPNSO_ISJ_E10value_typeEPSK_NS1_7vsmem_tEENKUlT_SI_SJ_SK_E_clIPiSD_S10_SD_EESH_SX_SI_SJ_SK_EUlSX_E0_NS1_11comp_targetILNS1_3genE0ELNS1_11target_archE4294967295ELNS1_3gpuE0ELNS1_3repE0EEENS1_38merge_mergepath_config_static_selectorELNS0_4arch9wavefront6targetE1EEEvSJ_,comdat
	.protected	_ZN7rocprim17ROCPRIM_400000_NS6detail17trampoline_kernelINS0_14default_configENS1_38merge_sort_block_merge_config_selectorIiiEEZZNS1_27merge_sort_block_merge_implIS3_N6thrust23THRUST_200600_302600_NS6detail15normal_iteratorINS8_10device_ptrIiEEEESD_jNS1_19radix_merge_compareILb0ELb1EiNS0_19identity_decomposerEEEEE10hipError_tT0_T1_T2_jT3_P12ihipStream_tbPNSt15iterator_traitsISI_E10value_typeEPNSO_ISJ_E10value_typeEPSK_NS1_7vsmem_tEENKUlT_SI_SJ_SK_E_clIPiSD_S10_SD_EESH_SX_SI_SJ_SK_EUlSX_E0_NS1_11comp_targetILNS1_3genE0ELNS1_11target_archE4294967295ELNS1_3gpuE0ELNS1_3repE0EEENS1_38merge_mergepath_config_static_selectorELNS0_4arch9wavefront6targetE1EEEvSJ_ ; -- Begin function _ZN7rocprim17ROCPRIM_400000_NS6detail17trampoline_kernelINS0_14default_configENS1_38merge_sort_block_merge_config_selectorIiiEEZZNS1_27merge_sort_block_merge_implIS3_N6thrust23THRUST_200600_302600_NS6detail15normal_iteratorINS8_10device_ptrIiEEEESD_jNS1_19radix_merge_compareILb0ELb1EiNS0_19identity_decomposerEEEEE10hipError_tT0_T1_T2_jT3_P12ihipStream_tbPNSt15iterator_traitsISI_E10value_typeEPNSO_ISJ_E10value_typeEPSK_NS1_7vsmem_tEENKUlT_SI_SJ_SK_E_clIPiSD_S10_SD_EESH_SX_SI_SJ_SK_EUlSX_E0_NS1_11comp_targetILNS1_3genE0ELNS1_11target_archE4294967295ELNS1_3gpuE0ELNS1_3repE0EEENS1_38merge_mergepath_config_static_selectorELNS0_4arch9wavefront6targetE1EEEvSJ_
	.globl	_ZN7rocprim17ROCPRIM_400000_NS6detail17trampoline_kernelINS0_14default_configENS1_38merge_sort_block_merge_config_selectorIiiEEZZNS1_27merge_sort_block_merge_implIS3_N6thrust23THRUST_200600_302600_NS6detail15normal_iteratorINS8_10device_ptrIiEEEESD_jNS1_19radix_merge_compareILb0ELb1EiNS0_19identity_decomposerEEEEE10hipError_tT0_T1_T2_jT3_P12ihipStream_tbPNSt15iterator_traitsISI_E10value_typeEPNSO_ISJ_E10value_typeEPSK_NS1_7vsmem_tEENKUlT_SI_SJ_SK_E_clIPiSD_S10_SD_EESH_SX_SI_SJ_SK_EUlSX_E0_NS1_11comp_targetILNS1_3genE0ELNS1_11target_archE4294967295ELNS1_3gpuE0ELNS1_3repE0EEENS1_38merge_mergepath_config_static_selectorELNS0_4arch9wavefront6targetE1EEEvSJ_
	.p2align	8
	.type	_ZN7rocprim17ROCPRIM_400000_NS6detail17trampoline_kernelINS0_14default_configENS1_38merge_sort_block_merge_config_selectorIiiEEZZNS1_27merge_sort_block_merge_implIS3_N6thrust23THRUST_200600_302600_NS6detail15normal_iteratorINS8_10device_ptrIiEEEESD_jNS1_19radix_merge_compareILb0ELb1EiNS0_19identity_decomposerEEEEE10hipError_tT0_T1_T2_jT3_P12ihipStream_tbPNSt15iterator_traitsISI_E10value_typeEPNSO_ISJ_E10value_typeEPSK_NS1_7vsmem_tEENKUlT_SI_SJ_SK_E_clIPiSD_S10_SD_EESH_SX_SI_SJ_SK_EUlSX_E0_NS1_11comp_targetILNS1_3genE0ELNS1_11target_archE4294967295ELNS1_3gpuE0ELNS1_3repE0EEENS1_38merge_mergepath_config_static_selectorELNS0_4arch9wavefront6targetE1EEEvSJ_,@function
_ZN7rocprim17ROCPRIM_400000_NS6detail17trampoline_kernelINS0_14default_configENS1_38merge_sort_block_merge_config_selectorIiiEEZZNS1_27merge_sort_block_merge_implIS3_N6thrust23THRUST_200600_302600_NS6detail15normal_iteratorINS8_10device_ptrIiEEEESD_jNS1_19radix_merge_compareILb0ELb1EiNS0_19identity_decomposerEEEEE10hipError_tT0_T1_T2_jT3_P12ihipStream_tbPNSt15iterator_traitsISI_E10value_typeEPNSO_ISJ_E10value_typeEPSK_NS1_7vsmem_tEENKUlT_SI_SJ_SK_E_clIPiSD_S10_SD_EESH_SX_SI_SJ_SK_EUlSX_E0_NS1_11comp_targetILNS1_3genE0ELNS1_11target_archE4294967295ELNS1_3gpuE0ELNS1_3repE0EEENS1_38merge_mergepath_config_static_selectorELNS0_4arch9wavefront6targetE1EEEvSJ_: ; @_ZN7rocprim17ROCPRIM_400000_NS6detail17trampoline_kernelINS0_14default_configENS1_38merge_sort_block_merge_config_selectorIiiEEZZNS1_27merge_sort_block_merge_implIS3_N6thrust23THRUST_200600_302600_NS6detail15normal_iteratorINS8_10device_ptrIiEEEESD_jNS1_19radix_merge_compareILb0ELb1EiNS0_19identity_decomposerEEEEE10hipError_tT0_T1_T2_jT3_P12ihipStream_tbPNSt15iterator_traitsISI_E10value_typeEPNSO_ISJ_E10value_typeEPSK_NS1_7vsmem_tEENKUlT_SI_SJ_SK_E_clIPiSD_S10_SD_EESH_SX_SI_SJ_SK_EUlSX_E0_NS1_11comp_targetILNS1_3genE0ELNS1_11target_archE4294967295ELNS1_3gpuE0ELNS1_3repE0EEENS1_38merge_mergepath_config_static_selectorELNS0_4arch9wavefront6targetE1EEEvSJ_
; %bb.0:
	s_load_dwordx2 s[28:29], s[0:1], 0x40
	s_load_dwordx2 s[16:17], s[0:1], 0x30
	s_add_u32 s24, s0, 64
	s_addc_u32 s25, s1, 0
	s_waitcnt lgkmcnt(0)
	s_mul_i32 s4, s29, s4
	s_add_i32 s3, s4, s3
	s_mul_i32 s3, s3, s28
	s_add_i32 s26, s3, s2
	s_cmp_ge_u32 s26, s16
	s_cbranch_scc1 .LBB764_46
; %bb.1:
	s_load_dwordx8 s[8:15], s[0:1], 0x10
	s_load_dwordx2 s[20:21], s[0:1], 0x8
	s_load_dwordx2 s[4:5], s[0:1], 0x38
	s_mov_b32 s27, 0
	s_mov_b32 s23, s27
	s_waitcnt lgkmcnt(0)
	s_lshr_b32 s30, s14, 10
	s_cmp_lg_u32 s26, s30
	s_cselect_b64 s[18:19], -1, 0
	s_lshl_b64 s[0:1], s[26:27], 2
	s_add_u32 s0, s4, s0
	s_addc_u32 s1, s5, s1
	s_load_dwordx2 s[4:5], s[0:1], 0x0
	s_lshr_b32 s0, s15, 9
	s_and_b32 s0, s0, 0x7ffffe
	s_sub_i32 s0, 0, s0
	s_and_b32 s1, s26, s0
	s_lshl_b32 s3, s1, 10
	s_lshl_b32 s16, s26, 10
	;; [unrolled: 1-line block ×3, first 2 shown]
	s_sub_i32 s6, s16, s3
	s_add_i32 s1, s1, s15
	s_add_i32 s6, s1, s6
	s_waitcnt lgkmcnt(0)
	s_sub_i32 s7, s6, s4
	s_sub_i32 s6, s6, s5
	;; [unrolled: 1-line block ×3, first 2 shown]
	s_min_u32 s22, s14, s7
	s_addk_i32 s6, 0x400
	s_or_b32 s0, s26, s0
	s_min_u32 s3, s14, s1
	s_add_i32 s1, s1, s15
	s_cmp_eq_u32 s0, -1
	s_cselect_b32 s0, s1, s6
	s_cselect_b32 s1, s3, s5
	s_mov_b32 s5, s27
	s_min_u32 s29, s0, s14
	s_sub_i32 s15, s1, s4
	s_lshl_b64 s[0:1], s[4:5], 2
	s_add_u32 s6, s20, s0
	s_addc_u32 s7, s21, s1
	s_lshl_b64 s[4:5], s[22:23], 2
	s_add_u32 s20, s20, s4
	s_addc_u32 s21, s21, s5
	s_cmp_lt_u32 s2, s28
	v_mov_b32_e32 v11, 0
	s_cselect_b32 s2, 12, 18
	global_load_dword v1, v11, s[24:25] offset:14
	s_add_u32 s2, s24, s2
	s_addc_u32 s3, s25, 0
	global_load_ushort v2, v11, s[2:3]
	s_cmp_eq_u32 s26, s30
	v_lshlrev_b32_e32 v10, 2, v0
	s_waitcnt vmcnt(1)
	v_lshrrev_b32_e32 v3, 16, v1
	v_and_b32_e32 v1, 0xffff, v1
	v_mul_lo_u32 v1, v1, v3
	s_waitcnt vmcnt(0)
	v_mul_lo_u32 v1, v1, v2
	v_add_u32_e32 v14, v1, v0
	v_add_u32_e32 v12, v14, v1
	s_cbranch_scc1 .LBB764_3
; %bb.2:
	v_subrev_co_u32_e32 v4, vcc, s15, v0
	v_mov_b32_e32 v5, v11
	v_lshl_add_u64 v[2:3], s[6:7], 0, v[10:11]
	v_lshl_add_u64 v[4:5], v[4:5], 2, s[20:21]
	v_cndmask_b32_e32 v3, v5, v3, vcc
	v_cndmask_b32_e32 v2, v4, v2, vcc
	global_load_dword v2, v[2:3], off
	v_mov_b32_e32 v15, v11
	v_subrev_co_u32_e32 v6, vcc, s15, v14
	v_mov_b32_e32 v7, v11
	v_lshl_add_u64 v[4:5], v[14:15], 2, s[6:7]
	v_lshl_add_u64 v[6:7], v[6:7], 2, s[20:21]
	v_cndmask_b32_e32 v5, v7, v5, vcc
	v_cndmask_b32_e32 v4, v6, v4, vcc
	v_mov_b32_e32 v13, v11
	v_subrev_co_u32_e32 v6, vcc, s15, v12
	v_mov_b32_e32 v7, v11
	global_load_dword v3, v[4:5], off
	v_lshl_add_u64 v[4:5], v[12:13], 2, s[6:7]
	v_lshl_add_u64 v[6:7], v[6:7], 2, s[20:21]
	v_cndmask_b32_e32 v5, v7, v5, vcc
	v_cndmask_b32_e32 v4, v6, v4, vcc
	global_load_dword v4, v[4:5], off
	v_add_u32_e32 v6, v12, v1
	s_mov_b64 s[2:3], -1
	s_sub_i32 s24, s29, s22
	s_cbranch_execz .LBB764_4
	s_branch .LBB764_9
.LBB764_3:
	s_mov_b64 s[2:3], 0
                                        ; implicit-def: $vgpr6
                                        ; implicit-def: $vgpr2_vgpr3_vgpr4_vgpr5
	s_sub_i32 s24, s29, s22
.LBB764_4:
	s_add_i32 s22, s24, s15
	s_waitcnt vmcnt(2)
	v_mov_b32_e32 v2, 0
	v_cmp_gt_u32_e32 vcc, s22, v0
	s_waitcnt vmcnt(1)
	v_mov_b32_e32 v3, v2
	s_waitcnt vmcnt(0)
	v_mov_b32_e32 v4, v2
	v_mov_b32_e32 v5, v2
	s_and_saveexec_b64 s[2:3], vcc
	s_cbranch_execnz .LBB764_47
; %bb.5:
	s_or_b64 exec, exec, s[2:3]
	v_cmp_gt_u32_e32 vcc, s22, v14
	s_and_saveexec_b64 s[2:3], vcc
	s_cbranch_execnz .LBB764_48
.LBB764_6:
	s_or_b64 exec, exec, s[2:3]
	v_cmp_gt_u32_e32 vcc, s22, v12
	s_and_saveexec_b64 s[2:3], vcc
	s_cbranch_execz .LBB764_8
.LBB764_7:
	v_mov_b32_e32 v13, 0
	v_subrev_co_u32_e32 v8, vcc, s15, v12
	v_mov_b32_e32 v9, v13
	v_lshl_add_u64 v[6:7], v[12:13], 2, s[6:7]
	v_lshl_add_u64 v[8:9], v[8:9], 2, s[20:21]
	v_cndmask_b32_e32 v7, v9, v7, vcc
	v_cndmask_b32_e32 v6, v8, v6, vcc
	global_load_dword v4, v[6:7], off
.LBB764_8:
	s_or_b64 exec, exec, s[2:3]
	v_add_u32_e32 v6, v12, v1
	v_cmp_gt_u32_e64 s[2:3], s22, v6
.LBB764_9:
	s_and_saveexec_b64 s[22:23], s[2:3]
	s_cbranch_execz .LBB764_11
; %bb.10:
	v_mov_b32_e32 v7, 0
	v_lshl_add_u64 v[8:9], v[6:7], 2, s[6:7]
	v_subrev_co_u32_e32 v6, vcc, s15, v6
	v_lshl_add_u64 v[6:7], v[6:7], 2, s[20:21]
	s_nop 0
	v_cndmask_b32_e32 v7, v7, v9, vcc
	v_cndmask_b32_e32 v6, v6, v8, vcc
	global_load_dword v5, v[6:7], off
.LBB764_11:
	s_or_b64 exec, exec, s[22:23]
	s_add_u32 s0, s10, s0
	s_addc_u32 s1, s11, s1
	s_add_u32 s2, s10, s4
	v_mov_b32_e32 v11, 0
	s_addc_u32 s3, s11, s5
	s_andn2_b64 vcc, exec, s[18:19]
	s_waitcnt vmcnt(0)
	ds_write2st64_b32 v10, v2, v3 offset1:4
	ds_write2st64_b32 v10, v4, v5 offset0:8 offset1:12
	s_cbranch_vccnz .LBB764_13
; %bb.12:
	v_subrev_co_u32_e32 v8, vcc, s15, v0
	v_mov_b32_e32 v9, v11
	v_lshl_add_u64 v[6:7], s[0:1], 0, v[10:11]
	v_lshl_add_u64 v[8:9], v[8:9], 2, s[2:3]
	v_cndmask_b32_e32 v7, v9, v7, vcc
	v_cndmask_b32_e32 v6, v8, v6, vcc
	v_mov_b32_e32 v15, v11
	v_subrev_co_u32_e32 v16, vcc, s15, v14
	v_mov_b32_e32 v17, v11
	v_lshl_add_u64 v[8:9], v[14:15], 2, s[0:1]
	v_lshl_add_u64 v[16:17], v[16:17], 2, s[2:3]
	v_cndmask_b32_e32 v9, v17, v9, vcc
	v_cndmask_b32_e32 v8, v16, v8, vcc
	v_mov_b32_e32 v13, v11
	v_subrev_co_u32_e32 v16, vcc, s15, v12
	v_mov_b32_e32 v17, v11
	global_load_dword v6, v[6:7], off
	v_lshl_add_u64 v[16:17], v[16:17], 2, s[2:3]
	global_load_dword v7, v[8:9], off
	v_lshl_add_u64 v[8:9], v[12:13], 2, s[0:1]
	v_cndmask_b32_e32 v9, v17, v9, vcc
	v_cndmask_b32_e32 v8, v16, v8, vcc
	v_add_u32_e32 v16, v12, v1
	v_mov_b32_e32 v17, v11
	v_lshl_add_u64 v[18:19], v[16:17], 2, s[0:1]
	v_subrev_co_u32_e32 v16, vcc, s15, v16
	v_lshl_add_u64 v[16:17], v[16:17], 2, s[2:3]
	s_nop 0
	v_cndmask_b32_e32 v17, v17, v19, vcc
	v_cndmask_b32_e32 v16, v16, v18, vcc
	global_load_dword v8, v[8:9], off
	s_add_i32 s20, s24, s15
	global_load_dword v9, v[16:17], off
	s_cbranch_execz .LBB764_14
	s_branch .LBB764_21
.LBB764_13:
                                        ; implicit-def: $vgpr6_vgpr7_vgpr8_vgpr9
                                        ; implicit-def: $sgpr20
.LBB764_14:
	s_add_i32 s20, s24, s15
	s_waitcnt vmcnt(3)
	v_mov_b32_e32 v6, 0
	v_cmp_gt_u32_e32 vcc, s20, v0
	s_waitcnt vmcnt(2)
	v_mov_b32_e32 v7, v6
	s_waitcnt vmcnt(1)
	v_mov_b32_e32 v8, v6
	;; [unrolled: 2-line block ×3, first 2 shown]
	s_and_saveexec_b64 s[4:5], vcc
	s_cbranch_execnz .LBB764_49
; %bb.15:
	s_or_b64 exec, exec, s[4:5]
	v_cmp_gt_u32_e32 vcc, s20, v14
	s_and_saveexec_b64 s[4:5], vcc
	s_cbranch_execnz .LBB764_50
.LBB764_16:
	s_or_b64 exec, exec, s[4:5]
	v_cmp_gt_u32_e32 vcc, s20, v12
	s_and_saveexec_b64 s[4:5], vcc
	s_cbranch_execz .LBB764_18
.LBB764_17:
	v_mov_b32_e32 v13, 0
	v_subrev_co_u32_e32 v16, vcc, s15, v12
	v_mov_b32_e32 v17, v13
	v_lshl_add_u64 v[14:15], v[12:13], 2, s[0:1]
	v_lshl_add_u64 v[16:17], v[16:17], 2, s[2:3]
	v_cndmask_b32_e32 v15, v17, v15, vcc
	v_cndmask_b32_e32 v14, v16, v14, vcc
	global_load_dword v8, v[14:15], off
.LBB764_18:
	s_or_b64 exec, exec, s[4:5]
	v_add_u32_e32 v12, v12, v1
	v_cmp_gt_u32_e32 vcc, s20, v12
	s_and_saveexec_b64 s[4:5], vcc
	s_cbranch_execz .LBB764_20
; %bb.19:
	v_mov_b32_e32 v13, 0
	v_lshl_add_u64 v[14:15], v[12:13], 2, s[0:1]
	v_subrev_co_u32_e32 v12, vcc, s15, v12
	v_lshl_add_u64 v[12:13], v[12:13], 2, s[2:3]
	s_nop 0
	v_cndmask_b32_e32 v13, v13, v15, vcc
	v_cndmask_b32_e32 v12, v12, v14, vcc
	global_load_dword v9, v[12:13], off
.LBB764_20:
	s_or_b64 exec, exec, s[4:5]
.LBB764_21:
	v_min_u32_e32 v11, s20, v10
	v_sub_u32_e64 v1, v11, s24 clamp
	v_min_u32_e32 v12, s15, v11
	v_cmp_lt_u32_e32 vcc, v1, v12
	s_waitcnt lgkmcnt(0)
	s_barrier
	s_and_saveexec_b64 s[0:1], vcc
	s_cbranch_execz .LBB764_25
; %bb.22:
	v_lshlrev_b32_e32 v13, 2, v11
	v_lshl_add_u32 v13, s15, 2, v13
	s_mov_b64 s[2:3], 0
.LBB764_23:                             ; =>This Inner Loop Header: Depth=1
	v_add_u32_e32 v14, v12, v1
	v_lshrrev_b32_e32 v14, 1, v14
	v_not_b32_e32 v15, v14
	v_lshlrev_b32_e32 v16, 2, v14
	v_lshl_add_u32 v15, v15, 2, v13
	ds_read_b32 v16, v16
	ds_read_b32 v15, v15
	v_add_u32_e32 v17, 1, v14
	s_waitcnt lgkmcnt(1)
	v_and_b32_e32 v16, s17, v16
	s_waitcnt lgkmcnt(0)
	v_and_b32_e32 v15, s17, v15
	v_cmp_gt_i32_e32 vcc, v16, v15
	s_nop 1
	v_cndmask_b32_e32 v12, v12, v14, vcc
	v_cndmask_b32_e32 v1, v17, v1, vcc
	v_cmp_ge_u32_e32 vcc, v1, v12
	s_or_b64 s[2:3], vcc, s[2:3]
	s_andn2_b64 exec, exec, s[2:3]
	s_cbranch_execnz .LBB764_23
; %bb.24:
	s_or_b64 exec, exec, s[2:3]
.LBB764_25:
	s_or_b64 exec, exec, s[0:1]
	v_sub_u32_e32 v11, v11, v1
	v_add_u32_e32 v14, s15, v11
	v_cmp_ge_u32_e32 vcc, s15, v1
	v_cmp_ge_u32_e64 s[0:1], s20, v14
	s_or_b64 s[0:1], vcc, s[0:1]
	v_mov_b32_e32 v15, 0
	v_mov_b32_e32 v13, 0
	;; [unrolled: 1-line block ×4, first 2 shown]
	s_and_saveexec_b64 s[10:11], s[0:1]
	s_cbranch_execz .LBB764_31
; %bb.26:
	v_cmp_gt_u32_e32 vcc, s15, v1
                                        ; implicit-def: $vgpr2
	s_and_saveexec_b64 s[0:1], vcc
; %bb.27:
	v_lshlrev_b32_e32 v2, 2, v1
	ds_read_b32 v2, v2
; %bb.28:
	s_or_b64 exec, exec, s[0:1]
	v_cmp_le_u32_e64 s[0:1], s20, v14
	v_cmp_gt_u32_e64 s[2:3], s20, v14
                                        ; implicit-def: $vgpr3
	s_and_saveexec_b64 s[4:5], s[2:3]
; %bb.29:
	v_lshlrev_b32_e32 v3, 2, v14
	ds_read_b32 v3, v3
; %bb.30:
	s_or_b64 exec, exec, s[4:5]
	s_waitcnt lgkmcnt(0)
	v_and_b32_e32 v4, s17, v3
	v_and_b32_e32 v5, s17, v2
	v_cmp_le_i32_e64 s[2:3], v5, v4
	s_and_b64 s[2:3], vcc, s[2:3]
	s_or_b64 vcc, s[0:1], s[2:3]
	v_mov_b32_e32 v4, s20
	v_mov_b32_e32 v5, s15
	v_cndmask_b32_e32 v11, v14, v1, vcc
	v_cndmask_b32_e32 v12, v4, v5, vcc
	v_add_u32_e32 v13, 1, v11
	v_add_u32_e32 v12, -1, v12
	v_min_u32_e32 v12, v13, v12
	v_lshlrev_b32_e32 v12, 2, v12
	ds_read_b32 v12, v12
	v_cndmask_b32_e32 v14, v13, v14, vcc
	v_cndmask_b32_e32 v1, v1, v13, vcc
	v_cmp_gt_u32_e64 s[2:3], s15, v1
	v_cmp_le_u32_e64 s[0:1], s20, v14
	s_waitcnt lgkmcnt(0)
	v_cndmask_b32_e32 v15, v12, v3, vcc
	v_cndmask_b32_e32 v16, v2, v12, vcc
	v_and_b32_e32 v12, s17, v15
	v_and_b32_e32 v13, s17, v16
	v_cmp_le_i32_e64 s[4:5], v13, v12
	s_and_b64 s[2:3], s[2:3], s[4:5]
	s_or_b64 s[0:1], s[0:1], s[2:3]
	v_cndmask_b32_e64 v12, v14, v1, s[0:1]
	v_cndmask_b32_e64 v13, v4, v5, s[0:1]
	v_add_u32_e32 v17, 1, v12
	v_add_u32_e32 v13, -1, v13
	v_min_u32_e32 v13, v17, v13
	v_lshlrev_b32_e32 v13, 2, v13
	ds_read_b32 v13, v13
	v_cndmask_b32_e64 v14, v17, v14, s[0:1]
	v_cndmask_b32_e64 v1, v1, v17, s[0:1]
	v_cmp_gt_u32_e64 s[4:5], s15, v1
	v_cmp_le_u32_e64 s[2:3], s20, v14
	s_waitcnt lgkmcnt(0)
	v_cndmask_b32_e64 v18, v13, v15, s[0:1]
	v_cndmask_b32_e64 v19, v16, v13, s[0:1]
	v_and_b32_e32 v13, s17, v18
	v_and_b32_e32 v17, s17, v19
	v_cmp_le_i32_e64 s[6:7], v17, v13
	s_and_b64 s[4:5], s[4:5], s[6:7]
	s_or_b64 s[2:3], s[2:3], s[4:5]
	v_cndmask_b32_e64 v13, v14, v1, s[2:3]
	v_cndmask_b32_e64 v4, v4, v5, s[2:3]
	v_add_u32_e32 v5, 1, v13
	v_add_u32_e32 v4, -1, v4
	v_min_u32_e32 v4, v5, v4
	v_lshlrev_b32_e32 v4, 2, v4
	ds_read_b32 v17, v4
	v_cndmask_b32_e32 v2, v3, v2, vcc
	v_cndmask_b32_e64 v3, v15, v16, s[0:1]
	v_cndmask_b32_e64 v14, v5, v14, s[2:3]
	;; [unrolled: 1-line block ×3, first 2 shown]
	s_waitcnt lgkmcnt(0)
	v_cndmask_b32_e64 v16, v17, v18, s[2:3]
	v_cndmask_b32_e64 v17, v19, v17, s[2:3]
	v_and_b32_e32 v5, s17, v16
	v_and_b32_e32 v15, s17, v17
	v_cndmask_b32_e64 v4, v18, v19, s[2:3]
	v_cmp_gt_u32_e64 s[0:1], s15, v1
	v_cmp_le_i32_e64 s[2:3], v15, v5
	v_cmp_le_u32_e32 vcc, s20, v14
	s_and_b64 s[0:1], s[0:1], s[2:3]
	s_or_b64 vcc, vcc, s[0:1]
	v_cndmask_b32_e32 v15, v14, v1, vcc
	v_cndmask_b32_e32 v5, v16, v17, vcc
.LBB764_31:
	s_or_b64 exec, exec, s[10:11]
	s_barrier
	s_waitcnt vmcnt(0)
	ds_write2st64_b32 v10, v6, v7 offset1:4
	ds_write2st64_b32 v10, v8, v9 offset0:8 offset1:12
	v_lshlrev_b32_e32 v1, 2, v11
	v_lshrrev_b32_e32 v11, 3, v0
	v_lshlrev_b32_e32 v9, 2, v10
	v_lshlrev_b32_e32 v6, 2, v12
	;; [unrolled: 1-line block ×4, first 2 shown]
	v_lshl_add_u32 v9, v11, 2, v9
	s_waitcnt lgkmcnt(0)
	s_barrier
	ds_read_b32 v1, v1
	ds_read_b32 v6, v6
	;; [unrolled: 1-line block ×4, first 2 shown]
	s_waitcnt lgkmcnt(0)
	s_barrier
	s_barrier
	ds_write2_b32 v9, v2, v3 offset1:1
	ds_write2_b32 v9, v4, v5 offset0:2 offset1:3
	v_and_b32_e32 v2, 28, v11
	v_or_b32_e32 v16, 0x100, v0
	v_add_u32_e32 v4, v2, v10
	v_lshrrev_b32_e32 v2, 3, v16
	v_and_b32_e32 v2, 60, v2
	v_or_b32_e32 v15, 0x200, v0
	s_mov_b32 s17, 0
	v_add_u32_e32 v5, v2, v10
	v_lshrrev_b32_e32 v2, 3, v15
	s_lshl_b64 s[4:5], s[16:17], 2
	v_and_b32_e32 v2, 0x5c, v2
	v_or_b32_e32 v14, 0x300, v0
	s_add_u32 s0, s8, s4
	v_add_u32_e32 v12, v2, v10
	v_lshrrev_b32_e32 v2, 3, v14
	s_addc_u32 s1, s9, s5
	v_and_b32_e32 v2, 0x7c, v2
	v_mov_b32_e32 v11, 0
	v_add_u32_e32 v13, v2, v10
	v_lshl_add_u64 v[2:3], s[0:1], 0, v[10:11]
	s_and_b64 vcc, exec, s[18:19]
	s_waitcnt lgkmcnt(0)
	s_cbranch_vccz .LBB764_33
; %bb.32:
	s_barrier
	ds_read_b32 v11, v4
	ds_read_b32 v17, v5 offset:1024
	ds_read_b32 v18, v12 offset:2048
	;; [unrolled: 1-line block ×3, first 2 shown]
	s_add_u32 s0, s12, s4
	s_addc_u32 s1, s13, s5
	s_waitcnt lgkmcnt(3)
	global_store_dword v[2:3], v11, off
	s_waitcnt lgkmcnt(2)
	global_store_dword v[2:3], v17, off offset:1024
	s_waitcnt lgkmcnt(1)
	global_store_dword v[2:3], v18, off offset:2048
	;; [unrolled: 2-line block ×3, first 2 shown]
	s_barrier
	ds_write2_b32 v9, v1, v6 offset1:1
	ds_write2_b32 v9, v7, v8 offset0:2 offset1:3
	s_waitcnt lgkmcnt(0)
	s_barrier
	ds_read_b32 v11, v4
	ds_read_b32 v18, v5 offset:1024
	ds_read_b32 v19, v12 offset:2048
	;; [unrolled: 1-line block ×3, first 2 shown]
	s_waitcnt lgkmcnt(3)
	global_store_dword v10, v11, s[0:1]
	s_waitcnt lgkmcnt(2)
	global_store_dword v10, v18, s[0:1] offset:1024
	s_waitcnt lgkmcnt(1)
	global_store_dword v10, v19, s[0:1] offset:2048
	s_mov_b64 s[6:7], -1
	s_cbranch_execz .LBB764_34
	s_branch .LBB764_44
.LBB764_33:
	s_mov_b64 s[6:7], 0
                                        ; implicit-def: $vgpr17
.LBB764_34:
	s_barrier
	s_waitcnt lgkmcnt(0)
	ds_read_b32 v18, v5 offset:1024
	ds_read_b32 v17, v12 offset:2048
	;; [unrolled: 1-line block ×3, first 2 shown]
	s_sub_i32 s8, s14, s16
	v_cmp_gt_u32_e32 vcc, s8, v0
	s_and_saveexec_b64 s[0:1], vcc
	s_cbranch_execnz .LBB764_51
; %bb.35:
	s_or_b64 exec, exec, s[0:1]
	v_cmp_gt_u32_e64 s[0:1], s8, v16
	s_and_saveexec_b64 s[2:3], s[0:1]
	s_cbranch_execnz .LBB764_52
.LBB764_36:
	s_or_b64 exec, exec, s[2:3]
	v_cmp_gt_u32_e64 s[2:3], s8, v15
	s_and_saveexec_b64 s[6:7], s[2:3]
	s_cbranch_execnz .LBB764_53
.LBB764_37:
	s_or_b64 exec, exec, s[6:7]
	v_cmp_gt_u32_e64 s[6:7], s8, v14
	s_and_saveexec_b64 s[8:9], s[6:7]
	s_cbranch_execz .LBB764_39
.LBB764_38:
	s_waitcnt lgkmcnt(0)
	global_store_dword v[2:3], v11, off offset:3072
.LBB764_39:
	s_or_b64 exec, exec, s[8:9]
	s_waitcnt lgkmcnt(0)
	s_barrier
	ds_write2_b32 v9, v1, v6 offset1:1
	ds_write2_b32 v9, v7, v8 offset0:2 offset1:3
	s_waitcnt lgkmcnt(0)
	s_barrier
	ds_read_b32 v3, v5 offset:1024
	ds_read_b32 v2, v12 offset:2048
	;; [unrolled: 1-line block ×3, first 2 shown]
	s_add_u32 s8, s12, s4
	s_addc_u32 s9, s13, s5
	v_mov_b32_e32 v11, 0
	v_lshl_add_u64 v[0:1], s[8:9], 0, v[10:11]
	s_and_saveexec_b64 s[8:9], vcc
	s_cbranch_execnz .LBB764_54
; %bb.40:
	s_or_b64 exec, exec, s[8:9]
	s_and_saveexec_b64 s[8:9], s[0:1]
	s_cbranch_execnz .LBB764_55
.LBB764_41:
	s_or_b64 exec, exec, s[8:9]
	s_and_saveexec_b64 s[0:1], s[2:3]
	s_cbranch_execz .LBB764_43
.LBB764_42:
	s_waitcnt lgkmcnt(1)
	global_store_dword v[0:1], v2, off offset:2048
.LBB764_43:
	s_or_b64 exec, exec, s[0:1]
.LBB764_44:
	s_and_saveexec_b64 s[0:1], s[6:7]
	s_cbranch_execz .LBB764_46
; %bb.45:
	s_add_u32 s0, s12, s4
	s_addc_u32 s1, s13, s5
	s_waitcnt lgkmcnt(0)
	global_store_dword v10, v17, s[0:1] offset:3072
.LBB764_46:
	s_endpgm
.LBB764_47:
	v_mov_b32_e32 v11, v2
	v_subrev_co_u32_e32 v6, vcc, s15, v0
	v_mov_b32_e32 v7, v2
	v_lshl_add_u64 v[4:5], s[6:7], 0, v[10:11]
	v_lshl_add_u64 v[6:7], v[6:7], 2, s[20:21]
	v_cndmask_b32_e32 v5, v7, v5, vcc
	v_cndmask_b32_e32 v4, v6, v4, vcc
	global_load_dword v4, v[4:5], off
	v_mov_b32_e32 v5, v2
	v_mov_b32_e32 v6, v2
	;; [unrolled: 1-line block ×3, first 2 shown]
	s_waitcnt vmcnt(0)
	v_mov_b64_e32 v[2:3], v[4:5]
	v_mov_b64_e32 v[4:5], v[6:7]
	s_or_b64 exec, exec, s[2:3]
	v_cmp_gt_u32_e32 vcc, s22, v14
	s_and_saveexec_b64 s[2:3], vcc
	s_cbranch_execz .LBB764_6
.LBB764_48:
	v_mov_b32_e32 v15, 0
	v_subrev_co_u32_e32 v8, vcc, s15, v14
	v_mov_b32_e32 v9, v15
	v_lshl_add_u64 v[6:7], v[14:15], 2, s[6:7]
	v_lshl_add_u64 v[8:9], v[8:9], 2, s[20:21]
	v_cndmask_b32_e32 v7, v9, v7, vcc
	v_cndmask_b32_e32 v6, v8, v6, vcc
	global_load_dword v3, v[6:7], off
	s_or_b64 exec, exec, s[2:3]
	v_cmp_gt_u32_e32 vcc, s22, v12
	s_and_saveexec_b64 s[2:3], vcc
	s_cbranch_execnz .LBB764_7
	s_branch .LBB764_8
.LBB764_49:
	v_mov_b32_e32 v11, v6
	v_subrev_co_u32_e32 v16, vcc, s15, v0
	v_mov_b32_e32 v17, v6
	v_lshl_add_u64 v[8:9], s[0:1], 0, v[10:11]
	v_lshl_add_u64 v[16:17], v[16:17], 2, s[2:3]
	v_cndmask_b32_e32 v9, v17, v9, vcc
	v_cndmask_b32_e32 v8, v16, v8, vcc
	global_load_dword v16, v[8:9], off
	v_mov_b32_e32 v17, v6
	v_mov_b32_e32 v18, v6
	;; [unrolled: 1-line block ×3, first 2 shown]
	s_waitcnt vmcnt(0)
	v_mov_b64_e32 v[6:7], v[16:17]
	v_mov_b64_e32 v[8:9], v[18:19]
	s_or_b64 exec, exec, s[4:5]
	v_cmp_gt_u32_e32 vcc, s20, v14
	s_and_saveexec_b64 s[4:5], vcc
	s_cbranch_execz .LBB764_16
.LBB764_50:
	v_mov_b32_e32 v15, 0
	v_lshl_add_u64 v[16:17], v[14:15], 2, s[0:1]
	v_subrev_co_u32_e32 v14, vcc, s15, v14
	v_lshl_add_u64 v[14:15], v[14:15], 2, s[2:3]
	s_nop 0
	v_cndmask_b32_e32 v15, v15, v17, vcc
	v_cndmask_b32_e32 v14, v14, v16, vcc
	global_load_dword v7, v[14:15], off
	s_or_b64 exec, exec, s[4:5]
	v_cmp_gt_u32_e32 vcc, s20, v12
	s_and_saveexec_b64 s[4:5], vcc
	s_cbranch_execnz .LBB764_17
	s_branch .LBB764_18
.LBB764_51:
	ds_read_b32 v0, v4
	s_waitcnt lgkmcnt(0)
	global_store_dword v[2:3], v0, off
	s_or_b64 exec, exec, s[0:1]
	v_cmp_gt_u32_e64 s[0:1], s8, v16
	s_and_saveexec_b64 s[2:3], s[0:1]
	s_cbranch_execz .LBB764_36
.LBB764_52:
	s_waitcnt lgkmcnt(2)
	global_store_dword v[2:3], v18, off offset:1024
	s_or_b64 exec, exec, s[2:3]
	v_cmp_gt_u32_e64 s[2:3], s8, v15
	s_and_saveexec_b64 s[6:7], s[2:3]
	s_cbranch_execz .LBB764_37
.LBB764_53:
	s_waitcnt lgkmcnt(1)
	global_store_dword v[2:3], v17, off offset:2048
	s_or_b64 exec, exec, s[6:7]
	v_cmp_gt_u32_e64 s[6:7], s8, v14
	s_and_saveexec_b64 s[8:9], s[6:7]
	s_cbranch_execnz .LBB764_38
	s_branch .LBB764_39
.LBB764_54:
	ds_read_b32 v4, v4
	s_waitcnt lgkmcnt(0)
	global_store_dword v[0:1], v4, off
	s_or_b64 exec, exec, s[8:9]
	s_and_saveexec_b64 s[8:9], s[0:1]
	s_cbranch_execz .LBB764_41
.LBB764_55:
	s_waitcnt lgkmcnt(2)
	global_store_dword v[0:1], v3, off offset:1024
	s_or_b64 exec, exec, s[8:9]
	s_and_saveexec_b64 s[0:1], s[2:3]
	s_cbranch_execnz .LBB764_42
	s_branch .LBB764_43
	.section	.rodata,"a",@progbits
	.p2align	6, 0x0
	.amdhsa_kernel _ZN7rocprim17ROCPRIM_400000_NS6detail17trampoline_kernelINS0_14default_configENS1_38merge_sort_block_merge_config_selectorIiiEEZZNS1_27merge_sort_block_merge_implIS3_N6thrust23THRUST_200600_302600_NS6detail15normal_iteratorINS8_10device_ptrIiEEEESD_jNS1_19radix_merge_compareILb0ELb1EiNS0_19identity_decomposerEEEEE10hipError_tT0_T1_T2_jT3_P12ihipStream_tbPNSt15iterator_traitsISI_E10value_typeEPNSO_ISJ_E10value_typeEPSK_NS1_7vsmem_tEENKUlT_SI_SJ_SK_E_clIPiSD_S10_SD_EESH_SX_SI_SJ_SK_EUlSX_E0_NS1_11comp_targetILNS1_3genE0ELNS1_11target_archE4294967295ELNS1_3gpuE0ELNS1_3repE0EEENS1_38merge_mergepath_config_static_selectorELNS0_4arch9wavefront6targetE1EEEvSJ_
		.amdhsa_group_segment_fixed_size 4224
		.amdhsa_private_segment_fixed_size 0
		.amdhsa_kernarg_size 320
		.amdhsa_user_sgpr_count 2
		.amdhsa_user_sgpr_dispatch_ptr 0
		.amdhsa_user_sgpr_queue_ptr 0
		.amdhsa_user_sgpr_kernarg_segment_ptr 1
		.amdhsa_user_sgpr_dispatch_id 0
		.amdhsa_user_sgpr_kernarg_preload_length 0
		.amdhsa_user_sgpr_kernarg_preload_offset 0
		.amdhsa_user_sgpr_private_segment_size 0
		.amdhsa_uses_dynamic_stack 0
		.amdhsa_enable_private_segment 0
		.amdhsa_system_sgpr_workgroup_id_x 1
		.amdhsa_system_sgpr_workgroup_id_y 1
		.amdhsa_system_sgpr_workgroup_id_z 1
		.amdhsa_system_sgpr_workgroup_info 0
		.amdhsa_system_vgpr_workitem_id 0
		.amdhsa_next_free_vgpr 20
		.amdhsa_next_free_sgpr 31
		.amdhsa_accum_offset 20
		.amdhsa_reserve_vcc 1
		.amdhsa_float_round_mode_32 0
		.amdhsa_float_round_mode_16_64 0
		.amdhsa_float_denorm_mode_32 3
		.amdhsa_float_denorm_mode_16_64 3
		.amdhsa_dx10_clamp 1
		.amdhsa_ieee_mode 1
		.amdhsa_fp16_overflow 0
		.amdhsa_tg_split 0
		.amdhsa_exception_fp_ieee_invalid_op 0
		.amdhsa_exception_fp_denorm_src 0
		.amdhsa_exception_fp_ieee_div_zero 0
		.amdhsa_exception_fp_ieee_overflow 0
		.amdhsa_exception_fp_ieee_underflow 0
		.amdhsa_exception_fp_ieee_inexact 0
		.amdhsa_exception_int_div_zero 0
	.end_amdhsa_kernel
	.section	.text._ZN7rocprim17ROCPRIM_400000_NS6detail17trampoline_kernelINS0_14default_configENS1_38merge_sort_block_merge_config_selectorIiiEEZZNS1_27merge_sort_block_merge_implIS3_N6thrust23THRUST_200600_302600_NS6detail15normal_iteratorINS8_10device_ptrIiEEEESD_jNS1_19radix_merge_compareILb0ELb1EiNS0_19identity_decomposerEEEEE10hipError_tT0_T1_T2_jT3_P12ihipStream_tbPNSt15iterator_traitsISI_E10value_typeEPNSO_ISJ_E10value_typeEPSK_NS1_7vsmem_tEENKUlT_SI_SJ_SK_E_clIPiSD_S10_SD_EESH_SX_SI_SJ_SK_EUlSX_E0_NS1_11comp_targetILNS1_3genE0ELNS1_11target_archE4294967295ELNS1_3gpuE0ELNS1_3repE0EEENS1_38merge_mergepath_config_static_selectorELNS0_4arch9wavefront6targetE1EEEvSJ_,"axG",@progbits,_ZN7rocprim17ROCPRIM_400000_NS6detail17trampoline_kernelINS0_14default_configENS1_38merge_sort_block_merge_config_selectorIiiEEZZNS1_27merge_sort_block_merge_implIS3_N6thrust23THRUST_200600_302600_NS6detail15normal_iteratorINS8_10device_ptrIiEEEESD_jNS1_19radix_merge_compareILb0ELb1EiNS0_19identity_decomposerEEEEE10hipError_tT0_T1_T2_jT3_P12ihipStream_tbPNSt15iterator_traitsISI_E10value_typeEPNSO_ISJ_E10value_typeEPSK_NS1_7vsmem_tEENKUlT_SI_SJ_SK_E_clIPiSD_S10_SD_EESH_SX_SI_SJ_SK_EUlSX_E0_NS1_11comp_targetILNS1_3genE0ELNS1_11target_archE4294967295ELNS1_3gpuE0ELNS1_3repE0EEENS1_38merge_mergepath_config_static_selectorELNS0_4arch9wavefront6targetE1EEEvSJ_,comdat
.Lfunc_end764:
	.size	_ZN7rocprim17ROCPRIM_400000_NS6detail17trampoline_kernelINS0_14default_configENS1_38merge_sort_block_merge_config_selectorIiiEEZZNS1_27merge_sort_block_merge_implIS3_N6thrust23THRUST_200600_302600_NS6detail15normal_iteratorINS8_10device_ptrIiEEEESD_jNS1_19radix_merge_compareILb0ELb1EiNS0_19identity_decomposerEEEEE10hipError_tT0_T1_T2_jT3_P12ihipStream_tbPNSt15iterator_traitsISI_E10value_typeEPNSO_ISJ_E10value_typeEPSK_NS1_7vsmem_tEENKUlT_SI_SJ_SK_E_clIPiSD_S10_SD_EESH_SX_SI_SJ_SK_EUlSX_E0_NS1_11comp_targetILNS1_3genE0ELNS1_11target_archE4294967295ELNS1_3gpuE0ELNS1_3repE0EEENS1_38merge_mergepath_config_static_selectorELNS0_4arch9wavefront6targetE1EEEvSJ_, .Lfunc_end764-_ZN7rocprim17ROCPRIM_400000_NS6detail17trampoline_kernelINS0_14default_configENS1_38merge_sort_block_merge_config_selectorIiiEEZZNS1_27merge_sort_block_merge_implIS3_N6thrust23THRUST_200600_302600_NS6detail15normal_iteratorINS8_10device_ptrIiEEEESD_jNS1_19radix_merge_compareILb0ELb1EiNS0_19identity_decomposerEEEEE10hipError_tT0_T1_T2_jT3_P12ihipStream_tbPNSt15iterator_traitsISI_E10value_typeEPNSO_ISJ_E10value_typeEPSK_NS1_7vsmem_tEENKUlT_SI_SJ_SK_E_clIPiSD_S10_SD_EESH_SX_SI_SJ_SK_EUlSX_E0_NS1_11comp_targetILNS1_3genE0ELNS1_11target_archE4294967295ELNS1_3gpuE0ELNS1_3repE0EEENS1_38merge_mergepath_config_static_selectorELNS0_4arch9wavefront6targetE1EEEvSJ_
                                        ; -- End function
	.set _ZN7rocprim17ROCPRIM_400000_NS6detail17trampoline_kernelINS0_14default_configENS1_38merge_sort_block_merge_config_selectorIiiEEZZNS1_27merge_sort_block_merge_implIS3_N6thrust23THRUST_200600_302600_NS6detail15normal_iteratorINS8_10device_ptrIiEEEESD_jNS1_19radix_merge_compareILb0ELb1EiNS0_19identity_decomposerEEEEE10hipError_tT0_T1_T2_jT3_P12ihipStream_tbPNSt15iterator_traitsISI_E10value_typeEPNSO_ISJ_E10value_typeEPSK_NS1_7vsmem_tEENKUlT_SI_SJ_SK_E_clIPiSD_S10_SD_EESH_SX_SI_SJ_SK_EUlSX_E0_NS1_11comp_targetILNS1_3genE0ELNS1_11target_archE4294967295ELNS1_3gpuE0ELNS1_3repE0EEENS1_38merge_mergepath_config_static_selectorELNS0_4arch9wavefront6targetE1EEEvSJ_.num_vgpr, 20
	.set _ZN7rocprim17ROCPRIM_400000_NS6detail17trampoline_kernelINS0_14default_configENS1_38merge_sort_block_merge_config_selectorIiiEEZZNS1_27merge_sort_block_merge_implIS3_N6thrust23THRUST_200600_302600_NS6detail15normal_iteratorINS8_10device_ptrIiEEEESD_jNS1_19radix_merge_compareILb0ELb1EiNS0_19identity_decomposerEEEEE10hipError_tT0_T1_T2_jT3_P12ihipStream_tbPNSt15iterator_traitsISI_E10value_typeEPNSO_ISJ_E10value_typeEPSK_NS1_7vsmem_tEENKUlT_SI_SJ_SK_E_clIPiSD_S10_SD_EESH_SX_SI_SJ_SK_EUlSX_E0_NS1_11comp_targetILNS1_3genE0ELNS1_11target_archE4294967295ELNS1_3gpuE0ELNS1_3repE0EEENS1_38merge_mergepath_config_static_selectorELNS0_4arch9wavefront6targetE1EEEvSJ_.num_agpr, 0
	.set _ZN7rocprim17ROCPRIM_400000_NS6detail17trampoline_kernelINS0_14default_configENS1_38merge_sort_block_merge_config_selectorIiiEEZZNS1_27merge_sort_block_merge_implIS3_N6thrust23THRUST_200600_302600_NS6detail15normal_iteratorINS8_10device_ptrIiEEEESD_jNS1_19radix_merge_compareILb0ELb1EiNS0_19identity_decomposerEEEEE10hipError_tT0_T1_T2_jT3_P12ihipStream_tbPNSt15iterator_traitsISI_E10value_typeEPNSO_ISJ_E10value_typeEPSK_NS1_7vsmem_tEENKUlT_SI_SJ_SK_E_clIPiSD_S10_SD_EESH_SX_SI_SJ_SK_EUlSX_E0_NS1_11comp_targetILNS1_3genE0ELNS1_11target_archE4294967295ELNS1_3gpuE0ELNS1_3repE0EEENS1_38merge_mergepath_config_static_selectorELNS0_4arch9wavefront6targetE1EEEvSJ_.numbered_sgpr, 31
	.set _ZN7rocprim17ROCPRIM_400000_NS6detail17trampoline_kernelINS0_14default_configENS1_38merge_sort_block_merge_config_selectorIiiEEZZNS1_27merge_sort_block_merge_implIS3_N6thrust23THRUST_200600_302600_NS6detail15normal_iteratorINS8_10device_ptrIiEEEESD_jNS1_19radix_merge_compareILb0ELb1EiNS0_19identity_decomposerEEEEE10hipError_tT0_T1_T2_jT3_P12ihipStream_tbPNSt15iterator_traitsISI_E10value_typeEPNSO_ISJ_E10value_typeEPSK_NS1_7vsmem_tEENKUlT_SI_SJ_SK_E_clIPiSD_S10_SD_EESH_SX_SI_SJ_SK_EUlSX_E0_NS1_11comp_targetILNS1_3genE0ELNS1_11target_archE4294967295ELNS1_3gpuE0ELNS1_3repE0EEENS1_38merge_mergepath_config_static_selectorELNS0_4arch9wavefront6targetE1EEEvSJ_.num_named_barrier, 0
	.set _ZN7rocprim17ROCPRIM_400000_NS6detail17trampoline_kernelINS0_14default_configENS1_38merge_sort_block_merge_config_selectorIiiEEZZNS1_27merge_sort_block_merge_implIS3_N6thrust23THRUST_200600_302600_NS6detail15normal_iteratorINS8_10device_ptrIiEEEESD_jNS1_19radix_merge_compareILb0ELb1EiNS0_19identity_decomposerEEEEE10hipError_tT0_T1_T2_jT3_P12ihipStream_tbPNSt15iterator_traitsISI_E10value_typeEPNSO_ISJ_E10value_typeEPSK_NS1_7vsmem_tEENKUlT_SI_SJ_SK_E_clIPiSD_S10_SD_EESH_SX_SI_SJ_SK_EUlSX_E0_NS1_11comp_targetILNS1_3genE0ELNS1_11target_archE4294967295ELNS1_3gpuE0ELNS1_3repE0EEENS1_38merge_mergepath_config_static_selectorELNS0_4arch9wavefront6targetE1EEEvSJ_.private_seg_size, 0
	.set _ZN7rocprim17ROCPRIM_400000_NS6detail17trampoline_kernelINS0_14default_configENS1_38merge_sort_block_merge_config_selectorIiiEEZZNS1_27merge_sort_block_merge_implIS3_N6thrust23THRUST_200600_302600_NS6detail15normal_iteratorINS8_10device_ptrIiEEEESD_jNS1_19radix_merge_compareILb0ELb1EiNS0_19identity_decomposerEEEEE10hipError_tT0_T1_T2_jT3_P12ihipStream_tbPNSt15iterator_traitsISI_E10value_typeEPNSO_ISJ_E10value_typeEPSK_NS1_7vsmem_tEENKUlT_SI_SJ_SK_E_clIPiSD_S10_SD_EESH_SX_SI_SJ_SK_EUlSX_E0_NS1_11comp_targetILNS1_3genE0ELNS1_11target_archE4294967295ELNS1_3gpuE0ELNS1_3repE0EEENS1_38merge_mergepath_config_static_selectorELNS0_4arch9wavefront6targetE1EEEvSJ_.uses_vcc, 1
	.set _ZN7rocprim17ROCPRIM_400000_NS6detail17trampoline_kernelINS0_14default_configENS1_38merge_sort_block_merge_config_selectorIiiEEZZNS1_27merge_sort_block_merge_implIS3_N6thrust23THRUST_200600_302600_NS6detail15normal_iteratorINS8_10device_ptrIiEEEESD_jNS1_19radix_merge_compareILb0ELb1EiNS0_19identity_decomposerEEEEE10hipError_tT0_T1_T2_jT3_P12ihipStream_tbPNSt15iterator_traitsISI_E10value_typeEPNSO_ISJ_E10value_typeEPSK_NS1_7vsmem_tEENKUlT_SI_SJ_SK_E_clIPiSD_S10_SD_EESH_SX_SI_SJ_SK_EUlSX_E0_NS1_11comp_targetILNS1_3genE0ELNS1_11target_archE4294967295ELNS1_3gpuE0ELNS1_3repE0EEENS1_38merge_mergepath_config_static_selectorELNS0_4arch9wavefront6targetE1EEEvSJ_.uses_flat_scratch, 0
	.set _ZN7rocprim17ROCPRIM_400000_NS6detail17trampoline_kernelINS0_14default_configENS1_38merge_sort_block_merge_config_selectorIiiEEZZNS1_27merge_sort_block_merge_implIS3_N6thrust23THRUST_200600_302600_NS6detail15normal_iteratorINS8_10device_ptrIiEEEESD_jNS1_19radix_merge_compareILb0ELb1EiNS0_19identity_decomposerEEEEE10hipError_tT0_T1_T2_jT3_P12ihipStream_tbPNSt15iterator_traitsISI_E10value_typeEPNSO_ISJ_E10value_typeEPSK_NS1_7vsmem_tEENKUlT_SI_SJ_SK_E_clIPiSD_S10_SD_EESH_SX_SI_SJ_SK_EUlSX_E0_NS1_11comp_targetILNS1_3genE0ELNS1_11target_archE4294967295ELNS1_3gpuE0ELNS1_3repE0EEENS1_38merge_mergepath_config_static_selectorELNS0_4arch9wavefront6targetE1EEEvSJ_.has_dyn_sized_stack, 0
	.set _ZN7rocprim17ROCPRIM_400000_NS6detail17trampoline_kernelINS0_14default_configENS1_38merge_sort_block_merge_config_selectorIiiEEZZNS1_27merge_sort_block_merge_implIS3_N6thrust23THRUST_200600_302600_NS6detail15normal_iteratorINS8_10device_ptrIiEEEESD_jNS1_19radix_merge_compareILb0ELb1EiNS0_19identity_decomposerEEEEE10hipError_tT0_T1_T2_jT3_P12ihipStream_tbPNSt15iterator_traitsISI_E10value_typeEPNSO_ISJ_E10value_typeEPSK_NS1_7vsmem_tEENKUlT_SI_SJ_SK_E_clIPiSD_S10_SD_EESH_SX_SI_SJ_SK_EUlSX_E0_NS1_11comp_targetILNS1_3genE0ELNS1_11target_archE4294967295ELNS1_3gpuE0ELNS1_3repE0EEENS1_38merge_mergepath_config_static_selectorELNS0_4arch9wavefront6targetE1EEEvSJ_.has_recursion, 0
	.set _ZN7rocprim17ROCPRIM_400000_NS6detail17trampoline_kernelINS0_14default_configENS1_38merge_sort_block_merge_config_selectorIiiEEZZNS1_27merge_sort_block_merge_implIS3_N6thrust23THRUST_200600_302600_NS6detail15normal_iteratorINS8_10device_ptrIiEEEESD_jNS1_19radix_merge_compareILb0ELb1EiNS0_19identity_decomposerEEEEE10hipError_tT0_T1_T2_jT3_P12ihipStream_tbPNSt15iterator_traitsISI_E10value_typeEPNSO_ISJ_E10value_typeEPSK_NS1_7vsmem_tEENKUlT_SI_SJ_SK_E_clIPiSD_S10_SD_EESH_SX_SI_SJ_SK_EUlSX_E0_NS1_11comp_targetILNS1_3genE0ELNS1_11target_archE4294967295ELNS1_3gpuE0ELNS1_3repE0EEENS1_38merge_mergepath_config_static_selectorELNS0_4arch9wavefront6targetE1EEEvSJ_.has_indirect_call, 0
	.section	.AMDGPU.csdata,"",@progbits
; Kernel info:
; codeLenInByte = 2952
; TotalNumSgprs: 37
; NumVgprs: 20
; NumAgprs: 0
; TotalNumVgprs: 20
; ScratchSize: 0
; MemoryBound: 0
; FloatMode: 240
; IeeeMode: 1
; LDSByteSize: 4224 bytes/workgroup (compile time only)
; SGPRBlocks: 4
; VGPRBlocks: 2
; NumSGPRsForWavesPerEU: 37
; NumVGPRsForWavesPerEU: 20
; AccumOffset: 20
; Occupancy: 8
; WaveLimiterHint : 1
; COMPUTE_PGM_RSRC2:SCRATCH_EN: 0
; COMPUTE_PGM_RSRC2:USER_SGPR: 2
; COMPUTE_PGM_RSRC2:TRAP_HANDLER: 0
; COMPUTE_PGM_RSRC2:TGID_X_EN: 1
; COMPUTE_PGM_RSRC2:TGID_Y_EN: 1
; COMPUTE_PGM_RSRC2:TGID_Z_EN: 1
; COMPUTE_PGM_RSRC2:TIDIG_COMP_CNT: 0
; COMPUTE_PGM_RSRC3_GFX90A:ACCUM_OFFSET: 4
; COMPUTE_PGM_RSRC3_GFX90A:TG_SPLIT: 0
	.section	.text._ZN7rocprim17ROCPRIM_400000_NS6detail17trampoline_kernelINS0_14default_configENS1_38merge_sort_block_merge_config_selectorIiiEEZZNS1_27merge_sort_block_merge_implIS3_N6thrust23THRUST_200600_302600_NS6detail15normal_iteratorINS8_10device_ptrIiEEEESD_jNS1_19radix_merge_compareILb0ELb1EiNS0_19identity_decomposerEEEEE10hipError_tT0_T1_T2_jT3_P12ihipStream_tbPNSt15iterator_traitsISI_E10value_typeEPNSO_ISJ_E10value_typeEPSK_NS1_7vsmem_tEENKUlT_SI_SJ_SK_E_clIPiSD_S10_SD_EESH_SX_SI_SJ_SK_EUlSX_E0_NS1_11comp_targetILNS1_3genE10ELNS1_11target_archE1201ELNS1_3gpuE5ELNS1_3repE0EEENS1_38merge_mergepath_config_static_selectorELNS0_4arch9wavefront6targetE1EEEvSJ_,"axG",@progbits,_ZN7rocprim17ROCPRIM_400000_NS6detail17trampoline_kernelINS0_14default_configENS1_38merge_sort_block_merge_config_selectorIiiEEZZNS1_27merge_sort_block_merge_implIS3_N6thrust23THRUST_200600_302600_NS6detail15normal_iteratorINS8_10device_ptrIiEEEESD_jNS1_19radix_merge_compareILb0ELb1EiNS0_19identity_decomposerEEEEE10hipError_tT0_T1_T2_jT3_P12ihipStream_tbPNSt15iterator_traitsISI_E10value_typeEPNSO_ISJ_E10value_typeEPSK_NS1_7vsmem_tEENKUlT_SI_SJ_SK_E_clIPiSD_S10_SD_EESH_SX_SI_SJ_SK_EUlSX_E0_NS1_11comp_targetILNS1_3genE10ELNS1_11target_archE1201ELNS1_3gpuE5ELNS1_3repE0EEENS1_38merge_mergepath_config_static_selectorELNS0_4arch9wavefront6targetE1EEEvSJ_,comdat
	.protected	_ZN7rocprim17ROCPRIM_400000_NS6detail17trampoline_kernelINS0_14default_configENS1_38merge_sort_block_merge_config_selectorIiiEEZZNS1_27merge_sort_block_merge_implIS3_N6thrust23THRUST_200600_302600_NS6detail15normal_iteratorINS8_10device_ptrIiEEEESD_jNS1_19radix_merge_compareILb0ELb1EiNS0_19identity_decomposerEEEEE10hipError_tT0_T1_T2_jT3_P12ihipStream_tbPNSt15iterator_traitsISI_E10value_typeEPNSO_ISJ_E10value_typeEPSK_NS1_7vsmem_tEENKUlT_SI_SJ_SK_E_clIPiSD_S10_SD_EESH_SX_SI_SJ_SK_EUlSX_E0_NS1_11comp_targetILNS1_3genE10ELNS1_11target_archE1201ELNS1_3gpuE5ELNS1_3repE0EEENS1_38merge_mergepath_config_static_selectorELNS0_4arch9wavefront6targetE1EEEvSJ_ ; -- Begin function _ZN7rocprim17ROCPRIM_400000_NS6detail17trampoline_kernelINS0_14default_configENS1_38merge_sort_block_merge_config_selectorIiiEEZZNS1_27merge_sort_block_merge_implIS3_N6thrust23THRUST_200600_302600_NS6detail15normal_iteratorINS8_10device_ptrIiEEEESD_jNS1_19radix_merge_compareILb0ELb1EiNS0_19identity_decomposerEEEEE10hipError_tT0_T1_T2_jT3_P12ihipStream_tbPNSt15iterator_traitsISI_E10value_typeEPNSO_ISJ_E10value_typeEPSK_NS1_7vsmem_tEENKUlT_SI_SJ_SK_E_clIPiSD_S10_SD_EESH_SX_SI_SJ_SK_EUlSX_E0_NS1_11comp_targetILNS1_3genE10ELNS1_11target_archE1201ELNS1_3gpuE5ELNS1_3repE0EEENS1_38merge_mergepath_config_static_selectorELNS0_4arch9wavefront6targetE1EEEvSJ_
	.globl	_ZN7rocprim17ROCPRIM_400000_NS6detail17trampoline_kernelINS0_14default_configENS1_38merge_sort_block_merge_config_selectorIiiEEZZNS1_27merge_sort_block_merge_implIS3_N6thrust23THRUST_200600_302600_NS6detail15normal_iteratorINS8_10device_ptrIiEEEESD_jNS1_19radix_merge_compareILb0ELb1EiNS0_19identity_decomposerEEEEE10hipError_tT0_T1_T2_jT3_P12ihipStream_tbPNSt15iterator_traitsISI_E10value_typeEPNSO_ISJ_E10value_typeEPSK_NS1_7vsmem_tEENKUlT_SI_SJ_SK_E_clIPiSD_S10_SD_EESH_SX_SI_SJ_SK_EUlSX_E0_NS1_11comp_targetILNS1_3genE10ELNS1_11target_archE1201ELNS1_3gpuE5ELNS1_3repE0EEENS1_38merge_mergepath_config_static_selectorELNS0_4arch9wavefront6targetE1EEEvSJ_
	.p2align	8
	.type	_ZN7rocprim17ROCPRIM_400000_NS6detail17trampoline_kernelINS0_14default_configENS1_38merge_sort_block_merge_config_selectorIiiEEZZNS1_27merge_sort_block_merge_implIS3_N6thrust23THRUST_200600_302600_NS6detail15normal_iteratorINS8_10device_ptrIiEEEESD_jNS1_19radix_merge_compareILb0ELb1EiNS0_19identity_decomposerEEEEE10hipError_tT0_T1_T2_jT3_P12ihipStream_tbPNSt15iterator_traitsISI_E10value_typeEPNSO_ISJ_E10value_typeEPSK_NS1_7vsmem_tEENKUlT_SI_SJ_SK_E_clIPiSD_S10_SD_EESH_SX_SI_SJ_SK_EUlSX_E0_NS1_11comp_targetILNS1_3genE10ELNS1_11target_archE1201ELNS1_3gpuE5ELNS1_3repE0EEENS1_38merge_mergepath_config_static_selectorELNS0_4arch9wavefront6targetE1EEEvSJ_,@function
_ZN7rocprim17ROCPRIM_400000_NS6detail17trampoline_kernelINS0_14default_configENS1_38merge_sort_block_merge_config_selectorIiiEEZZNS1_27merge_sort_block_merge_implIS3_N6thrust23THRUST_200600_302600_NS6detail15normal_iteratorINS8_10device_ptrIiEEEESD_jNS1_19radix_merge_compareILb0ELb1EiNS0_19identity_decomposerEEEEE10hipError_tT0_T1_T2_jT3_P12ihipStream_tbPNSt15iterator_traitsISI_E10value_typeEPNSO_ISJ_E10value_typeEPSK_NS1_7vsmem_tEENKUlT_SI_SJ_SK_E_clIPiSD_S10_SD_EESH_SX_SI_SJ_SK_EUlSX_E0_NS1_11comp_targetILNS1_3genE10ELNS1_11target_archE1201ELNS1_3gpuE5ELNS1_3repE0EEENS1_38merge_mergepath_config_static_selectorELNS0_4arch9wavefront6targetE1EEEvSJ_: ; @_ZN7rocprim17ROCPRIM_400000_NS6detail17trampoline_kernelINS0_14default_configENS1_38merge_sort_block_merge_config_selectorIiiEEZZNS1_27merge_sort_block_merge_implIS3_N6thrust23THRUST_200600_302600_NS6detail15normal_iteratorINS8_10device_ptrIiEEEESD_jNS1_19radix_merge_compareILb0ELb1EiNS0_19identity_decomposerEEEEE10hipError_tT0_T1_T2_jT3_P12ihipStream_tbPNSt15iterator_traitsISI_E10value_typeEPNSO_ISJ_E10value_typeEPSK_NS1_7vsmem_tEENKUlT_SI_SJ_SK_E_clIPiSD_S10_SD_EESH_SX_SI_SJ_SK_EUlSX_E0_NS1_11comp_targetILNS1_3genE10ELNS1_11target_archE1201ELNS1_3gpuE5ELNS1_3repE0EEENS1_38merge_mergepath_config_static_selectorELNS0_4arch9wavefront6targetE1EEEvSJ_
; %bb.0:
	.section	.rodata,"a",@progbits
	.p2align	6, 0x0
	.amdhsa_kernel _ZN7rocprim17ROCPRIM_400000_NS6detail17trampoline_kernelINS0_14default_configENS1_38merge_sort_block_merge_config_selectorIiiEEZZNS1_27merge_sort_block_merge_implIS3_N6thrust23THRUST_200600_302600_NS6detail15normal_iteratorINS8_10device_ptrIiEEEESD_jNS1_19radix_merge_compareILb0ELb1EiNS0_19identity_decomposerEEEEE10hipError_tT0_T1_T2_jT3_P12ihipStream_tbPNSt15iterator_traitsISI_E10value_typeEPNSO_ISJ_E10value_typeEPSK_NS1_7vsmem_tEENKUlT_SI_SJ_SK_E_clIPiSD_S10_SD_EESH_SX_SI_SJ_SK_EUlSX_E0_NS1_11comp_targetILNS1_3genE10ELNS1_11target_archE1201ELNS1_3gpuE5ELNS1_3repE0EEENS1_38merge_mergepath_config_static_selectorELNS0_4arch9wavefront6targetE1EEEvSJ_
		.amdhsa_group_segment_fixed_size 0
		.amdhsa_private_segment_fixed_size 0
		.amdhsa_kernarg_size 64
		.amdhsa_user_sgpr_count 2
		.amdhsa_user_sgpr_dispatch_ptr 0
		.amdhsa_user_sgpr_queue_ptr 0
		.amdhsa_user_sgpr_kernarg_segment_ptr 1
		.amdhsa_user_sgpr_dispatch_id 0
		.amdhsa_user_sgpr_kernarg_preload_length 0
		.amdhsa_user_sgpr_kernarg_preload_offset 0
		.amdhsa_user_sgpr_private_segment_size 0
		.amdhsa_uses_dynamic_stack 0
		.amdhsa_enable_private_segment 0
		.amdhsa_system_sgpr_workgroup_id_x 1
		.amdhsa_system_sgpr_workgroup_id_y 0
		.amdhsa_system_sgpr_workgroup_id_z 0
		.amdhsa_system_sgpr_workgroup_info 0
		.amdhsa_system_vgpr_workitem_id 0
		.amdhsa_next_free_vgpr 1
		.amdhsa_next_free_sgpr 0
		.amdhsa_accum_offset 4
		.amdhsa_reserve_vcc 0
		.amdhsa_float_round_mode_32 0
		.amdhsa_float_round_mode_16_64 0
		.amdhsa_float_denorm_mode_32 3
		.amdhsa_float_denorm_mode_16_64 3
		.amdhsa_dx10_clamp 1
		.amdhsa_ieee_mode 1
		.amdhsa_fp16_overflow 0
		.amdhsa_tg_split 0
		.amdhsa_exception_fp_ieee_invalid_op 0
		.amdhsa_exception_fp_denorm_src 0
		.amdhsa_exception_fp_ieee_div_zero 0
		.amdhsa_exception_fp_ieee_overflow 0
		.amdhsa_exception_fp_ieee_underflow 0
		.amdhsa_exception_fp_ieee_inexact 0
		.amdhsa_exception_int_div_zero 0
	.end_amdhsa_kernel
	.section	.text._ZN7rocprim17ROCPRIM_400000_NS6detail17trampoline_kernelINS0_14default_configENS1_38merge_sort_block_merge_config_selectorIiiEEZZNS1_27merge_sort_block_merge_implIS3_N6thrust23THRUST_200600_302600_NS6detail15normal_iteratorINS8_10device_ptrIiEEEESD_jNS1_19radix_merge_compareILb0ELb1EiNS0_19identity_decomposerEEEEE10hipError_tT0_T1_T2_jT3_P12ihipStream_tbPNSt15iterator_traitsISI_E10value_typeEPNSO_ISJ_E10value_typeEPSK_NS1_7vsmem_tEENKUlT_SI_SJ_SK_E_clIPiSD_S10_SD_EESH_SX_SI_SJ_SK_EUlSX_E0_NS1_11comp_targetILNS1_3genE10ELNS1_11target_archE1201ELNS1_3gpuE5ELNS1_3repE0EEENS1_38merge_mergepath_config_static_selectorELNS0_4arch9wavefront6targetE1EEEvSJ_,"axG",@progbits,_ZN7rocprim17ROCPRIM_400000_NS6detail17trampoline_kernelINS0_14default_configENS1_38merge_sort_block_merge_config_selectorIiiEEZZNS1_27merge_sort_block_merge_implIS3_N6thrust23THRUST_200600_302600_NS6detail15normal_iteratorINS8_10device_ptrIiEEEESD_jNS1_19radix_merge_compareILb0ELb1EiNS0_19identity_decomposerEEEEE10hipError_tT0_T1_T2_jT3_P12ihipStream_tbPNSt15iterator_traitsISI_E10value_typeEPNSO_ISJ_E10value_typeEPSK_NS1_7vsmem_tEENKUlT_SI_SJ_SK_E_clIPiSD_S10_SD_EESH_SX_SI_SJ_SK_EUlSX_E0_NS1_11comp_targetILNS1_3genE10ELNS1_11target_archE1201ELNS1_3gpuE5ELNS1_3repE0EEENS1_38merge_mergepath_config_static_selectorELNS0_4arch9wavefront6targetE1EEEvSJ_,comdat
.Lfunc_end765:
	.size	_ZN7rocprim17ROCPRIM_400000_NS6detail17trampoline_kernelINS0_14default_configENS1_38merge_sort_block_merge_config_selectorIiiEEZZNS1_27merge_sort_block_merge_implIS3_N6thrust23THRUST_200600_302600_NS6detail15normal_iteratorINS8_10device_ptrIiEEEESD_jNS1_19radix_merge_compareILb0ELb1EiNS0_19identity_decomposerEEEEE10hipError_tT0_T1_T2_jT3_P12ihipStream_tbPNSt15iterator_traitsISI_E10value_typeEPNSO_ISJ_E10value_typeEPSK_NS1_7vsmem_tEENKUlT_SI_SJ_SK_E_clIPiSD_S10_SD_EESH_SX_SI_SJ_SK_EUlSX_E0_NS1_11comp_targetILNS1_3genE10ELNS1_11target_archE1201ELNS1_3gpuE5ELNS1_3repE0EEENS1_38merge_mergepath_config_static_selectorELNS0_4arch9wavefront6targetE1EEEvSJ_, .Lfunc_end765-_ZN7rocprim17ROCPRIM_400000_NS6detail17trampoline_kernelINS0_14default_configENS1_38merge_sort_block_merge_config_selectorIiiEEZZNS1_27merge_sort_block_merge_implIS3_N6thrust23THRUST_200600_302600_NS6detail15normal_iteratorINS8_10device_ptrIiEEEESD_jNS1_19radix_merge_compareILb0ELb1EiNS0_19identity_decomposerEEEEE10hipError_tT0_T1_T2_jT3_P12ihipStream_tbPNSt15iterator_traitsISI_E10value_typeEPNSO_ISJ_E10value_typeEPSK_NS1_7vsmem_tEENKUlT_SI_SJ_SK_E_clIPiSD_S10_SD_EESH_SX_SI_SJ_SK_EUlSX_E0_NS1_11comp_targetILNS1_3genE10ELNS1_11target_archE1201ELNS1_3gpuE5ELNS1_3repE0EEENS1_38merge_mergepath_config_static_selectorELNS0_4arch9wavefront6targetE1EEEvSJ_
                                        ; -- End function
	.set _ZN7rocprim17ROCPRIM_400000_NS6detail17trampoline_kernelINS0_14default_configENS1_38merge_sort_block_merge_config_selectorIiiEEZZNS1_27merge_sort_block_merge_implIS3_N6thrust23THRUST_200600_302600_NS6detail15normal_iteratorINS8_10device_ptrIiEEEESD_jNS1_19radix_merge_compareILb0ELb1EiNS0_19identity_decomposerEEEEE10hipError_tT0_T1_T2_jT3_P12ihipStream_tbPNSt15iterator_traitsISI_E10value_typeEPNSO_ISJ_E10value_typeEPSK_NS1_7vsmem_tEENKUlT_SI_SJ_SK_E_clIPiSD_S10_SD_EESH_SX_SI_SJ_SK_EUlSX_E0_NS1_11comp_targetILNS1_3genE10ELNS1_11target_archE1201ELNS1_3gpuE5ELNS1_3repE0EEENS1_38merge_mergepath_config_static_selectorELNS0_4arch9wavefront6targetE1EEEvSJ_.num_vgpr, 0
	.set _ZN7rocprim17ROCPRIM_400000_NS6detail17trampoline_kernelINS0_14default_configENS1_38merge_sort_block_merge_config_selectorIiiEEZZNS1_27merge_sort_block_merge_implIS3_N6thrust23THRUST_200600_302600_NS6detail15normal_iteratorINS8_10device_ptrIiEEEESD_jNS1_19radix_merge_compareILb0ELb1EiNS0_19identity_decomposerEEEEE10hipError_tT0_T1_T2_jT3_P12ihipStream_tbPNSt15iterator_traitsISI_E10value_typeEPNSO_ISJ_E10value_typeEPSK_NS1_7vsmem_tEENKUlT_SI_SJ_SK_E_clIPiSD_S10_SD_EESH_SX_SI_SJ_SK_EUlSX_E0_NS1_11comp_targetILNS1_3genE10ELNS1_11target_archE1201ELNS1_3gpuE5ELNS1_3repE0EEENS1_38merge_mergepath_config_static_selectorELNS0_4arch9wavefront6targetE1EEEvSJ_.num_agpr, 0
	.set _ZN7rocprim17ROCPRIM_400000_NS6detail17trampoline_kernelINS0_14default_configENS1_38merge_sort_block_merge_config_selectorIiiEEZZNS1_27merge_sort_block_merge_implIS3_N6thrust23THRUST_200600_302600_NS6detail15normal_iteratorINS8_10device_ptrIiEEEESD_jNS1_19radix_merge_compareILb0ELb1EiNS0_19identity_decomposerEEEEE10hipError_tT0_T1_T2_jT3_P12ihipStream_tbPNSt15iterator_traitsISI_E10value_typeEPNSO_ISJ_E10value_typeEPSK_NS1_7vsmem_tEENKUlT_SI_SJ_SK_E_clIPiSD_S10_SD_EESH_SX_SI_SJ_SK_EUlSX_E0_NS1_11comp_targetILNS1_3genE10ELNS1_11target_archE1201ELNS1_3gpuE5ELNS1_3repE0EEENS1_38merge_mergepath_config_static_selectorELNS0_4arch9wavefront6targetE1EEEvSJ_.numbered_sgpr, 0
	.set _ZN7rocprim17ROCPRIM_400000_NS6detail17trampoline_kernelINS0_14default_configENS1_38merge_sort_block_merge_config_selectorIiiEEZZNS1_27merge_sort_block_merge_implIS3_N6thrust23THRUST_200600_302600_NS6detail15normal_iteratorINS8_10device_ptrIiEEEESD_jNS1_19radix_merge_compareILb0ELb1EiNS0_19identity_decomposerEEEEE10hipError_tT0_T1_T2_jT3_P12ihipStream_tbPNSt15iterator_traitsISI_E10value_typeEPNSO_ISJ_E10value_typeEPSK_NS1_7vsmem_tEENKUlT_SI_SJ_SK_E_clIPiSD_S10_SD_EESH_SX_SI_SJ_SK_EUlSX_E0_NS1_11comp_targetILNS1_3genE10ELNS1_11target_archE1201ELNS1_3gpuE5ELNS1_3repE0EEENS1_38merge_mergepath_config_static_selectorELNS0_4arch9wavefront6targetE1EEEvSJ_.num_named_barrier, 0
	.set _ZN7rocprim17ROCPRIM_400000_NS6detail17trampoline_kernelINS0_14default_configENS1_38merge_sort_block_merge_config_selectorIiiEEZZNS1_27merge_sort_block_merge_implIS3_N6thrust23THRUST_200600_302600_NS6detail15normal_iteratorINS8_10device_ptrIiEEEESD_jNS1_19radix_merge_compareILb0ELb1EiNS0_19identity_decomposerEEEEE10hipError_tT0_T1_T2_jT3_P12ihipStream_tbPNSt15iterator_traitsISI_E10value_typeEPNSO_ISJ_E10value_typeEPSK_NS1_7vsmem_tEENKUlT_SI_SJ_SK_E_clIPiSD_S10_SD_EESH_SX_SI_SJ_SK_EUlSX_E0_NS1_11comp_targetILNS1_3genE10ELNS1_11target_archE1201ELNS1_3gpuE5ELNS1_3repE0EEENS1_38merge_mergepath_config_static_selectorELNS0_4arch9wavefront6targetE1EEEvSJ_.private_seg_size, 0
	.set _ZN7rocprim17ROCPRIM_400000_NS6detail17trampoline_kernelINS0_14default_configENS1_38merge_sort_block_merge_config_selectorIiiEEZZNS1_27merge_sort_block_merge_implIS3_N6thrust23THRUST_200600_302600_NS6detail15normal_iteratorINS8_10device_ptrIiEEEESD_jNS1_19radix_merge_compareILb0ELb1EiNS0_19identity_decomposerEEEEE10hipError_tT0_T1_T2_jT3_P12ihipStream_tbPNSt15iterator_traitsISI_E10value_typeEPNSO_ISJ_E10value_typeEPSK_NS1_7vsmem_tEENKUlT_SI_SJ_SK_E_clIPiSD_S10_SD_EESH_SX_SI_SJ_SK_EUlSX_E0_NS1_11comp_targetILNS1_3genE10ELNS1_11target_archE1201ELNS1_3gpuE5ELNS1_3repE0EEENS1_38merge_mergepath_config_static_selectorELNS0_4arch9wavefront6targetE1EEEvSJ_.uses_vcc, 0
	.set _ZN7rocprim17ROCPRIM_400000_NS6detail17trampoline_kernelINS0_14default_configENS1_38merge_sort_block_merge_config_selectorIiiEEZZNS1_27merge_sort_block_merge_implIS3_N6thrust23THRUST_200600_302600_NS6detail15normal_iteratorINS8_10device_ptrIiEEEESD_jNS1_19radix_merge_compareILb0ELb1EiNS0_19identity_decomposerEEEEE10hipError_tT0_T1_T2_jT3_P12ihipStream_tbPNSt15iterator_traitsISI_E10value_typeEPNSO_ISJ_E10value_typeEPSK_NS1_7vsmem_tEENKUlT_SI_SJ_SK_E_clIPiSD_S10_SD_EESH_SX_SI_SJ_SK_EUlSX_E0_NS1_11comp_targetILNS1_3genE10ELNS1_11target_archE1201ELNS1_3gpuE5ELNS1_3repE0EEENS1_38merge_mergepath_config_static_selectorELNS0_4arch9wavefront6targetE1EEEvSJ_.uses_flat_scratch, 0
	.set _ZN7rocprim17ROCPRIM_400000_NS6detail17trampoline_kernelINS0_14default_configENS1_38merge_sort_block_merge_config_selectorIiiEEZZNS1_27merge_sort_block_merge_implIS3_N6thrust23THRUST_200600_302600_NS6detail15normal_iteratorINS8_10device_ptrIiEEEESD_jNS1_19radix_merge_compareILb0ELb1EiNS0_19identity_decomposerEEEEE10hipError_tT0_T1_T2_jT3_P12ihipStream_tbPNSt15iterator_traitsISI_E10value_typeEPNSO_ISJ_E10value_typeEPSK_NS1_7vsmem_tEENKUlT_SI_SJ_SK_E_clIPiSD_S10_SD_EESH_SX_SI_SJ_SK_EUlSX_E0_NS1_11comp_targetILNS1_3genE10ELNS1_11target_archE1201ELNS1_3gpuE5ELNS1_3repE0EEENS1_38merge_mergepath_config_static_selectorELNS0_4arch9wavefront6targetE1EEEvSJ_.has_dyn_sized_stack, 0
	.set _ZN7rocprim17ROCPRIM_400000_NS6detail17trampoline_kernelINS0_14default_configENS1_38merge_sort_block_merge_config_selectorIiiEEZZNS1_27merge_sort_block_merge_implIS3_N6thrust23THRUST_200600_302600_NS6detail15normal_iteratorINS8_10device_ptrIiEEEESD_jNS1_19radix_merge_compareILb0ELb1EiNS0_19identity_decomposerEEEEE10hipError_tT0_T1_T2_jT3_P12ihipStream_tbPNSt15iterator_traitsISI_E10value_typeEPNSO_ISJ_E10value_typeEPSK_NS1_7vsmem_tEENKUlT_SI_SJ_SK_E_clIPiSD_S10_SD_EESH_SX_SI_SJ_SK_EUlSX_E0_NS1_11comp_targetILNS1_3genE10ELNS1_11target_archE1201ELNS1_3gpuE5ELNS1_3repE0EEENS1_38merge_mergepath_config_static_selectorELNS0_4arch9wavefront6targetE1EEEvSJ_.has_recursion, 0
	.set _ZN7rocprim17ROCPRIM_400000_NS6detail17trampoline_kernelINS0_14default_configENS1_38merge_sort_block_merge_config_selectorIiiEEZZNS1_27merge_sort_block_merge_implIS3_N6thrust23THRUST_200600_302600_NS6detail15normal_iteratorINS8_10device_ptrIiEEEESD_jNS1_19radix_merge_compareILb0ELb1EiNS0_19identity_decomposerEEEEE10hipError_tT0_T1_T2_jT3_P12ihipStream_tbPNSt15iterator_traitsISI_E10value_typeEPNSO_ISJ_E10value_typeEPSK_NS1_7vsmem_tEENKUlT_SI_SJ_SK_E_clIPiSD_S10_SD_EESH_SX_SI_SJ_SK_EUlSX_E0_NS1_11comp_targetILNS1_3genE10ELNS1_11target_archE1201ELNS1_3gpuE5ELNS1_3repE0EEENS1_38merge_mergepath_config_static_selectorELNS0_4arch9wavefront6targetE1EEEvSJ_.has_indirect_call, 0
	.section	.AMDGPU.csdata,"",@progbits
; Kernel info:
; codeLenInByte = 0
; TotalNumSgprs: 6
; NumVgprs: 0
; NumAgprs: 0
; TotalNumVgprs: 0
; ScratchSize: 0
; MemoryBound: 0
; FloatMode: 240
; IeeeMode: 1
; LDSByteSize: 0 bytes/workgroup (compile time only)
; SGPRBlocks: 0
; VGPRBlocks: 0
; NumSGPRsForWavesPerEU: 6
; NumVGPRsForWavesPerEU: 1
; AccumOffset: 4
; Occupancy: 8
; WaveLimiterHint : 0
; COMPUTE_PGM_RSRC2:SCRATCH_EN: 0
; COMPUTE_PGM_RSRC2:USER_SGPR: 2
; COMPUTE_PGM_RSRC2:TRAP_HANDLER: 0
; COMPUTE_PGM_RSRC2:TGID_X_EN: 1
; COMPUTE_PGM_RSRC2:TGID_Y_EN: 0
; COMPUTE_PGM_RSRC2:TGID_Z_EN: 0
; COMPUTE_PGM_RSRC2:TIDIG_COMP_CNT: 0
; COMPUTE_PGM_RSRC3_GFX90A:ACCUM_OFFSET: 0
; COMPUTE_PGM_RSRC3_GFX90A:TG_SPLIT: 0
	.section	.text._ZN7rocprim17ROCPRIM_400000_NS6detail17trampoline_kernelINS0_14default_configENS1_38merge_sort_block_merge_config_selectorIiiEEZZNS1_27merge_sort_block_merge_implIS3_N6thrust23THRUST_200600_302600_NS6detail15normal_iteratorINS8_10device_ptrIiEEEESD_jNS1_19radix_merge_compareILb0ELb1EiNS0_19identity_decomposerEEEEE10hipError_tT0_T1_T2_jT3_P12ihipStream_tbPNSt15iterator_traitsISI_E10value_typeEPNSO_ISJ_E10value_typeEPSK_NS1_7vsmem_tEENKUlT_SI_SJ_SK_E_clIPiSD_S10_SD_EESH_SX_SI_SJ_SK_EUlSX_E0_NS1_11comp_targetILNS1_3genE5ELNS1_11target_archE942ELNS1_3gpuE9ELNS1_3repE0EEENS1_38merge_mergepath_config_static_selectorELNS0_4arch9wavefront6targetE1EEEvSJ_,"axG",@progbits,_ZN7rocprim17ROCPRIM_400000_NS6detail17trampoline_kernelINS0_14default_configENS1_38merge_sort_block_merge_config_selectorIiiEEZZNS1_27merge_sort_block_merge_implIS3_N6thrust23THRUST_200600_302600_NS6detail15normal_iteratorINS8_10device_ptrIiEEEESD_jNS1_19radix_merge_compareILb0ELb1EiNS0_19identity_decomposerEEEEE10hipError_tT0_T1_T2_jT3_P12ihipStream_tbPNSt15iterator_traitsISI_E10value_typeEPNSO_ISJ_E10value_typeEPSK_NS1_7vsmem_tEENKUlT_SI_SJ_SK_E_clIPiSD_S10_SD_EESH_SX_SI_SJ_SK_EUlSX_E0_NS1_11comp_targetILNS1_3genE5ELNS1_11target_archE942ELNS1_3gpuE9ELNS1_3repE0EEENS1_38merge_mergepath_config_static_selectorELNS0_4arch9wavefront6targetE1EEEvSJ_,comdat
	.protected	_ZN7rocprim17ROCPRIM_400000_NS6detail17trampoline_kernelINS0_14default_configENS1_38merge_sort_block_merge_config_selectorIiiEEZZNS1_27merge_sort_block_merge_implIS3_N6thrust23THRUST_200600_302600_NS6detail15normal_iteratorINS8_10device_ptrIiEEEESD_jNS1_19radix_merge_compareILb0ELb1EiNS0_19identity_decomposerEEEEE10hipError_tT0_T1_T2_jT3_P12ihipStream_tbPNSt15iterator_traitsISI_E10value_typeEPNSO_ISJ_E10value_typeEPSK_NS1_7vsmem_tEENKUlT_SI_SJ_SK_E_clIPiSD_S10_SD_EESH_SX_SI_SJ_SK_EUlSX_E0_NS1_11comp_targetILNS1_3genE5ELNS1_11target_archE942ELNS1_3gpuE9ELNS1_3repE0EEENS1_38merge_mergepath_config_static_selectorELNS0_4arch9wavefront6targetE1EEEvSJ_ ; -- Begin function _ZN7rocprim17ROCPRIM_400000_NS6detail17trampoline_kernelINS0_14default_configENS1_38merge_sort_block_merge_config_selectorIiiEEZZNS1_27merge_sort_block_merge_implIS3_N6thrust23THRUST_200600_302600_NS6detail15normal_iteratorINS8_10device_ptrIiEEEESD_jNS1_19radix_merge_compareILb0ELb1EiNS0_19identity_decomposerEEEEE10hipError_tT0_T1_T2_jT3_P12ihipStream_tbPNSt15iterator_traitsISI_E10value_typeEPNSO_ISJ_E10value_typeEPSK_NS1_7vsmem_tEENKUlT_SI_SJ_SK_E_clIPiSD_S10_SD_EESH_SX_SI_SJ_SK_EUlSX_E0_NS1_11comp_targetILNS1_3genE5ELNS1_11target_archE942ELNS1_3gpuE9ELNS1_3repE0EEENS1_38merge_mergepath_config_static_selectorELNS0_4arch9wavefront6targetE1EEEvSJ_
	.globl	_ZN7rocprim17ROCPRIM_400000_NS6detail17trampoline_kernelINS0_14default_configENS1_38merge_sort_block_merge_config_selectorIiiEEZZNS1_27merge_sort_block_merge_implIS3_N6thrust23THRUST_200600_302600_NS6detail15normal_iteratorINS8_10device_ptrIiEEEESD_jNS1_19radix_merge_compareILb0ELb1EiNS0_19identity_decomposerEEEEE10hipError_tT0_T1_T2_jT3_P12ihipStream_tbPNSt15iterator_traitsISI_E10value_typeEPNSO_ISJ_E10value_typeEPSK_NS1_7vsmem_tEENKUlT_SI_SJ_SK_E_clIPiSD_S10_SD_EESH_SX_SI_SJ_SK_EUlSX_E0_NS1_11comp_targetILNS1_3genE5ELNS1_11target_archE942ELNS1_3gpuE9ELNS1_3repE0EEENS1_38merge_mergepath_config_static_selectorELNS0_4arch9wavefront6targetE1EEEvSJ_
	.p2align	8
	.type	_ZN7rocprim17ROCPRIM_400000_NS6detail17trampoline_kernelINS0_14default_configENS1_38merge_sort_block_merge_config_selectorIiiEEZZNS1_27merge_sort_block_merge_implIS3_N6thrust23THRUST_200600_302600_NS6detail15normal_iteratorINS8_10device_ptrIiEEEESD_jNS1_19radix_merge_compareILb0ELb1EiNS0_19identity_decomposerEEEEE10hipError_tT0_T1_T2_jT3_P12ihipStream_tbPNSt15iterator_traitsISI_E10value_typeEPNSO_ISJ_E10value_typeEPSK_NS1_7vsmem_tEENKUlT_SI_SJ_SK_E_clIPiSD_S10_SD_EESH_SX_SI_SJ_SK_EUlSX_E0_NS1_11comp_targetILNS1_3genE5ELNS1_11target_archE942ELNS1_3gpuE9ELNS1_3repE0EEENS1_38merge_mergepath_config_static_selectorELNS0_4arch9wavefront6targetE1EEEvSJ_,@function
_ZN7rocprim17ROCPRIM_400000_NS6detail17trampoline_kernelINS0_14default_configENS1_38merge_sort_block_merge_config_selectorIiiEEZZNS1_27merge_sort_block_merge_implIS3_N6thrust23THRUST_200600_302600_NS6detail15normal_iteratorINS8_10device_ptrIiEEEESD_jNS1_19radix_merge_compareILb0ELb1EiNS0_19identity_decomposerEEEEE10hipError_tT0_T1_T2_jT3_P12ihipStream_tbPNSt15iterator_traitsISI_E10value_typeEPNSO_ISJ_E10value_typeEPSK_NS1_7vsmem_tEENKUlT_SI_SJ_SK_E_clIPiSD_S10_SD_EESH_SX_SI_SJ_SK_EUlSX_E0_NS1_11comp_targetILNS1_3genE5ELNS1_11target_archE942ELNS1_3gpuE9ELNS1_3repE0EEENS1_38merge_mergepath_config_static_selectorELNS0_4arch9wavefront6targetE1EEEvSJ_: ; @_ZN7rocprim17ROCPRIM_400000_NS6detail17trampoline_kernelINS0_14default_configENS1_38merge_sort_block_merge_config_selectorIiiEEZZNS1_27merge_sort_block_merge_implIS3_N6thrust23THRUST_200600_302600_NS6detail15normal_iteratorINS8_10device_ptrIiEEEESD_jNS1_19radix_merge_compareILb0ELb1EiNS0_19identity_decomposerEEEEE10hipError_tT0_T1_T2_jT3_P12ihipStream_tbPNSt15iterator_traitsISI_E10value_typeEPNSO_ISJ_E10value_typeEPSK_NS1_7vsmem_tEENKUlT_SI_SJ_SK_E_clIPiSD_S10_SD_EESH_SX_SI_SJ_SK_EUlSX_E0_NS1_11comp_targetILNS1_3genE5ELNS1_11target_archE942ELNS1_3gpuE9ELNS1_3repE0EEENS1_38merge_mergepath_config_static_selectorELNS0_4arch9wavefront6targetE1EEEvSJ_
; %bb.0:
	.section	.rodata,"a",@progbits
	.p2align	6, 0x0
	.amdhsa_kernel _ZN7rocprim17ROCPRIM_400000_NS6detail17trampoline_kernelINS0_14default_configENS1_38merge_sort_block_merge_config_selectorIiiEEZZNS1_27merge_sort_block_merge_implIS3_N6thrust23THRUST_200600_302600_NS6detail15normal_iteratorINS8_10device_ptrIiEEEESD_jNS1_19radix_merge_compareILb0ELb1EiNS0_19identity_decomposerEEEEE10hipError_tT0_T1_T2_jT3_P12ihipStream_tbPNSt15iterator_traitsISI_E10value_typeEPNSO_ISJ_E10value_typeEPSK_NS1_7vsmem_tEENKUlT_SI_SJ_SK_E_clIPiSD_S10_SD_EESH_SX_SI_SJ_SK_EUlSX_E0_NS1_11comp_targetILNS1_3genE5ELNS1_11target_archE942ELNS1_3gpuE9ELNS1_3repE0EEENS1_38merge_mergepath_config_static_selectorELNS0_4arch9wavefront6targetE1EEEvSJ_
		.amdhsa_group_segment_fixed_size 0
		.amdhsa_private_segment_fixed_size 0
		.amdhsa_kernarg_size 64
		.amdhsa_user_sgpr_count 2
		.amdhsa_user_sgpr_dispatch_ptr 0
		.amdhsa_user_sgpr_queue_ptr 0
		.amdhsa_user_sgpr_kernarg_segment_ptr 1
		.amdhsa_user_sgpr_dispatch_id 0
		.amdhsa_user_sgpr_kernarg_preload_length 0
		.amdhsa_user_sgpr_kernarg_preload_offset 0
		.amdhsa_user_sgpr_private_segment_size 0
		.amdhsa_uses_dynamic_stack 0
		.amdhsa_enable_private_segment 0
		.amdhsa_system_sgpr_workgroup_id_x 1
		.amdhsa_system_sgpr_workgroup_id_y 0
		.amdhsa_system_sgpr_workgroup_id_z 0
		.amdhsa_system_sgpr_workgroup_info 0
		.amdhsa_system_vgpr_workitem_id 0
		.amdhsa_next_free_vgpr 1
		.amdhsa_next_free_sgpr 0
		.amdhsa_accum_offset 4
		.amdhsa_reserve_vcc 0
		.amdhsa_float_round_mode_32 0
		.amdhsa_float_round_mode_16_64 0
		.amdhsa_float_denorm_mode_32 3
		.amdhsa_float_denorm_mode_16_64 3
		.amdhsa_dx10_clamp 1
		.amdhsa_ieee_mode 1
		.amdhsa_fp16_overflow 0
		.amdhsa_tg_split 0
		.amdhsa_exception_fp_ieee_invalid_op 0
		.amdhsa_exception_fp_denorm_src 0
		.amdhsa_exception_fp_ieee_div_zero 0
		.amdhsa_exception_fp_ieee_overflow 0
		.amdhsa_exception_fp_ieee_underflow 0
		.amdhsa_exception_fp_ieee_inexact 0
		.amdhsa_exception_int_div_zero 0
	.end_amdhsa_kernel
	.section	.text._ZN7rocprim17ROCPRIM_400000_NS6detail17trampoline_kernelINS0_14default_configENS1_38merge_sort_block_merge_config_selectorIiiEEZZNS1_27merge_sort_block_merge_implIS3_N6thrust23THRUST_200600_302600_NS6detail15normal_iteratorINS8_10device_ptrIiEEEESD_jNS1_19radix_merge_compareILb0ELb1EiNS0_19identity_decomposerEEEEE10hipError_tT0_T1_T2_jT3_P12ihipStream_tbPNSt15iterator_traitsISI_E10value_typeEPNSO_ISJ_E10value_typeEPSK_NS1_7vsmem_tEENKUlT_SI_SJ_SK_E_clIPiSD_S10_SD_EESH_SX_SI_SJ_SK_EUlSX_E0_NS1_11comp_targetILNS1_3genE5ELNS1_11target_archE942ELNS1_3gpuE9ELNS1_3repE0EEENS1_38merge_mergepath_config_static_selectorELNS0_4arch9wavefront6targetE1EEEvSJ_,"axG",@progbits,_ZN7rocprim17ROCPRIM_400000_NS6detail17trampoline_kernelINS0_14default_configENS1_38merge_sort_block_merge_config_selectorIiiEEZZNS1_27merge_sort_block_merge_implIS3_N6thrust23THRUST_200600_302600_NS6detail15normal_iteratorINS8_10device_ptrIiEEEESD_jNS1_19radix_merge_compareILb0ELb1EiNS0_19identity_decomposerEEEEE10hipError_tT0_T1_T2_jT3_P12ihipStream_tbPNSt15iterator_traitsISI_E10value_typeEPNSO_ISJ_E10value_typeEPSK_NS1_7vsmem_tEENKUlT_SI_SJ_SK_E_clIPiSD_S10_SD_EESH_SX_SI_SJ_SK_EUlSX_E0_NS1_11comp_targetILNS1_3genE5ELNS1_11target_archE942ELNS1_3gpuE9ELNS1_3repE0EEENS1_38merge_mergepath_config_static_selectorELNS0_4arch9wavefront6targetE1EEEvSJ_,comdat
.Lfunc_end766:
	.size	_ZN7rocprim17ROCPRIM_400000_NS6detail17trampoline_kernelINS0_14default_configENS1_38merge_sort_block_merge_config_selectorIiiEEZZNS1_27merge_sort_block_merge_implIS3_N6thrust23THRUST_200600_302600_NS6detail15normal_iteratorINS8_10device_ptrIiEEEESD_jNS1_19radix_merge_compareILb0ELb1EiNS0_19identity_decomposerEEEEE10hipError_tT0_T1_T2_jT3_P12ihipStream_tbPNSt15iterator_traitsISI_E10value_typeEPNSO_ISJ_E10value_typeEPSK_NS1_7vsmem_tEENKUlT_SI_SJ_SK_E_clIPiSD_S10_SD_EESH_SX_SI_SJ_SK_EUlSX_E0_NS1_11comp_targetILNS1_3genE5ELNS1_11target_archE942ELNS1_3gpuE9ELNS1_3repE0EEENS1_38merge_mergepath_config_static_selectorELNS0_4arch9wavefront6targetE1EEEvSJ_, .Lfunc_end766-_ZN7rocprim17ROCPRIM_400000_NS6detail17trampoline_kernelINS0_14default_configENS1_38merge_sort_block_merge_config_selectorIiiEEZZNS1_27merge_sort_block_merge_implIS3_N6thrust23THRUST_200600_302600_NS6detail15normal_iteratorINS8_10device_ptrIiEEEESD_jNS1_19radix_merge_compareILb0ELb1EiNS0_19identity_decomposerEEEEE10hipError_tT0_T1_T2_jT3_P12ihipStream_tbPNSt15iterator_traitsISI_E10value_typeEPNSO_ISJ_E10value_typeEPSK_NS1_7vsmem_tEENKUlT_SI_SJ_SK_E_clIPiSD_S10_SD_EESH_SX_SI_SJ_SK_EUlSX_E0_NS1_11comp_targetILNS1_3genE5ELNS1_11target_archE942ELNS1_3gpuE9ELNS1_3repE0EEENS1_38merge_mergepath_config_static_selectorELNS0_4arch9wavefront6targetE1EEEvSJ_
                                        ; -- End function
	.set _ZN7rocprim17ROCPRIM_400000_NS6detail17trampoline_kernelINS0_14default_configENS1_38merge_sort_block_merge_config_selectorIiiEEZZNS1_27merge_sort_block_merge_implIS3_N6thrust23THRUST_200600_302600_NS6detail15normal_iteratorINS8_10device_ptrIiEEEESD_jNS1_19radix_merge_compareILb0ELb1EiNS0_19identity_decomposerEEEEE10hipError_tT0_T1_T2_jT3_P12ihipStream_tbPNSt15iterator_traitsISI_E10value_typeEPNSO_ISJ_E10value_typeEPSK_NS1_7vsmem_tEENKUlT_SI_SJ_SK_E_clIPiSD_S10_SD_EESH_SX_SI_SJ_SK_EUlSX_E0_NS1_11comp_targetILNS1_3genE5ELNS1_11target_archE942ELNS1_3gpuE9ELNS1_3repE0EEENS1_38merge_mergepath_config_static_selectorELNS0_4arch9wavefront6targetE1EEEvSJ_.num_vgpr, 0
	.set _ZN7rocprim17ROCPRIM_400000_NS6detail17trampoline_kernelINS0_14default_configENS1_38merge_sort_block_merge_config_selectorIiiEEZZNS1_27merge_sort_block_merge_implIS3_N6thrust23THRUST_200600_302600_NS6detail15normal_iteratorINS8_10device_ptrIiEEEESD_jNS1_19radix_merge_compareILb0ELb1EiNS0_19identity_decomposerEEEEE10hipError_tT0_T1_T2_jT3_P12ihipStream_tbPNSt15iterator_traitsISI_E10value_typeEPNSO_ISJ_E10value_typeEPSK_NS1_7vsmem_tEENKUlT_SI_SJ_SK_E_clIPiSD_S10_SD_EESH_SX_SI_SJ_SK_EUlSX_E0_NS1_11comp_targetILNS1_3genE5ELNS1_11target_archE942ELNS1_3gpuE9ELNS1_3repE0EEENS1_38merge_mergepath_config_static_selectorELNS0_4arch9wavefront6targetE1EEEvSJ_.num_agpr, 0
	.set _ZN7rocprim17ROCPRIM_400000_NS6detail17trampoline_kernelINS0_14default_configENS1_38merge_sort_block_merge_config_selectorIiiEEZZNS1_27merge_sort_block_merge_implIS3_N6thrust23THRUST_200600_302600_NS6detail15normal_iteratorINS8_10device_ptrIiEEEESD_jNS1_19radix_merge_compareILb0ELb1EiNS0_19identity_decomposerEEEEE10hipError_tT0_T1_T2_jT3_P12ihipStream_tbPNSt15iterator_traitsISI_E10value_typeEPNSO_ISJ_E10value_typeEPSK_NS1_7vsmem_tEENKUlT_SI_SJ_SK_E_clIPiSD_S10_SD_EESH_SX_SI_SJ_SK_EUlSX_E0_NS1_11comp_targetILNS1_3genE5ELNS1_11target_archE942ELNS1_3gpuE9ELNS1_3repE0EEENS1_38merge_mergepath_config_static_selectorELNS0_4arch9wavefront6targetE1EEEvSJ_.numbered_sgpr, 0
	.set _ZN7rocprim17ROCPRIM_400000_NS6detail17trampoline_kernelINS0_14default_configENS1_38merge_sort_block_merge_config_selectorIiiEEZZNS1_27merge_sort_block_merge_implIS3_N6thrust23THRUST_200600_302600_NS6detail15normal_iteratorINS8_10device_ptrIiEEEESD_jNS1_19radix_merge_compareILb0ELb1EiNS0_19identity_decomposerEEEEE10hipError_tT0_T1_T2_jT3_P12ihipStream_tbPNSt15iterator_traitsISI_E10value_typeEPNSO_ISJ_E10value_typeEPSK_NS1_7vsmem_tEENKUlT_SI_SJ_SK_E_clIPiSD_S10_SD_EESH_SX_SI_SJ_SK_EUlSX_E0_NS1_11comp_targetILNS1_3genE5ELNS1_11target_archE942ELNS1_3gpuE9ELNS1_3repE0EEENS1_38merge_mergepath_config_static_selectorELNS0_4arch9wavefront6targetE1EEEvSJ_.num_named_barrier, 0
	.set _ZN7rocprim17ROCPRIM_400000_NS6detail17trampoline_kernelINS0_14default_configENS1_38merge_sort_block_merge_config_selectorIiiEEZZNS1_27merge_sort_block_merge_implIS3_N6thrust23THRUST_200600_302600_NS6detail15normal_iteratorINS8_10device_ptrIiEEEESD_jNS1_19radix_merge_compareILb0ELb1EiNS0_19identity_decomposerEEEEE10hipError_tT0_T1_T2_jT3_P12ihipStream_tbPNSt15iterator_traitsISI_E10value_typeEPNSO_ISJ_E10value_typeEPSK_NS1_7vsmem_tEENKUlT_SI_SJ_SK_E_clIPiSD_S10_SD_EESH_SX_SI_SJ_SK_EUlSX_E0_NS1_11comp_targetILNS1_3genE5ELNS1_11target_archE942ELNS1_3gpuE9ELNS1_3repE0EEENS1_38merge_mergepath_config_static_selectorELNS0_4arch9wavefront6targetE1EEEvSJ_.private_seg_size, 0
	.set _ZN7rocprim17ROCPRIM_400000_NS6detail17trampoline_kernelINS0_14default_configENS1_38merge_sort_block_merge_config_selectorIiiEEZZNS1_27merge_sort_block_merge_implIS3_N6thrust23THRUST_200600_302600_NS6detail15normal_iteratorINS8_10device_ptrIiEEEESD_jNS1_19radix_merge_compareILb0ELb1EiNS0_19identity_decomposerEEEEE10hipError_tT0_T1_T2_jT3_P12ihipStream_tbPNSt15iterator_traitsISI_E10value_typeEPNSO_ISJ_E10value_typeEPSK_NS1_7vsmem_tEENKUlT_SI_SJ_SK_E_clIPiSD_S10_SD_EESH_SX_SI_SJ_SK_EUlSX_E0_NS1_11comp_targetILNS1_3genE5ELNS1_11target_archE942ELNS1_3gpuE9ELNS1_3repE0EEENS1_38merge_mergepath_config_static_selectorELNS0_4arch9wavefront6targetE1EEEvSJ_.uses_vcc, 0
	.set _ZN7rocprim17ROCPRIM_400000_NS6detail17trampoline_kernelINS0_14default_configENS1_38merge_sort_block_merge_config_selectorIiiEEZZNS1_27merge_sort_block_merge_implIS3_N6thrust23THRUST_200600_302600_NS6detail15normal_iteratorINS8_10device_ptrIiEEEESD_jNS1_19radix_merge_compareILb0ELb1EiNS0_19identity_decomposerEEEEE10hipError_tT0_T1_T2_jT3_P12ihipStream_tbPNSt15iterator_traitsISI_E10value_typeEPNSO_ISJ_E10value_typeEPSK_NS1_7vsmem_tEENKUlT_SI_SJ_SK_E_clIPiSD_S10_SD_EESH_SX_SI_SJ_SK_EUlSX_E0_NS1_11comp_targetILNS1_3genE5ELNS1_11target_archE942ELNS1_3gpuE9ELNS1_3repE0EEENS1_38merge_mergepath_config_static_selectorELNS0_4arch9wavefront6targetE1EEEvSJ_.uses_flat_scratch, 0
	.set _ZN7rocprim17ROCPRIM_400000_NS6detail17trampoline_kernelINS0_14default_configENS1_38merge_sort_block_merge_config_selectorIiiEEZZNS1_27merge_sort_block_merge_implIS3_N6thrust23THRUST_200600_302600_NS6detail15normal_iteratorINS8_10device_ptrIiEEEESD_jNS1_19radix_merge_compareILb0ELb1EiNS0_19identity_decomposerEEEEE10hipError_tT0_T1_T2_jT3_P12ihipStream_tbPNSt15iterator_traitsISI_E10value_typeEPNSO_ISJ_E10value_typeEPSK_NS1_7vsmem_tEENKUlT_SI_SJ_SK_E_clIPiSD_S10_SD_EESH_SX_SI_SJ_SK_EUlSX_E0_NS1_11comp_targetILNS1_3genE5ELNS1_11target_archE942ELNS1_3gpuE9ELNS1_3repE0EEENS1_38merge_mergepath_config_static_selectorELNS0_4arch9wavefront6targetE1EEEvSJ_.has_dyn_sized_stack, 0
	.set _ZN7rocprim17ROCPRIM_400000_NS6detail17trampoline_kernelINS0_14default_configENS1_38merge_sort_block_merge_config_selectorIiiEEZZNS1_27merge_sort_block_merge_implIS3_N6thrust23THRUST_200600_302600_NS6detail15normal_iteratorINS8_10device_ptrIiEEEESD_jNS1_19radix_merge_compareILb0ELb1EiNS0_19identity_decomposerEEEEE10hipError_tT0_T1_T2_jT3_P12ihipStream_tbPNSt15iterator_traitsISI_E10value_typeEPNSO_ISJ_E10value_typeEPSK_NS1_7vsmem_tEENKUlT_SI_SJ_SK_E_clIPiSD_S10_SD_EESH_SX_SI_SJ_SK_EUlSX_E0_NS1_11comp_targetILNS1_3genE5ELNS1_11target_archE942ELNS1_3gpuE9ELNS1_3repE0EEENS1_38merge_mergepath_config_static_selectorELNS0_4arch9wavefront6targetE1EEEvSJ_.has_recursion, 0
	.set _ZN7rocprim17ROCPRIM_400000_NS6detail17trampoline_kernelINS0_14default_configENS1_38merge_sort_block_merge_config_selectorIiiEEZZNS1_27merge_sort_block_merge_implIS3_N6thrust23THRUST_200600_302600_NS6detail15normal_iteratorINS8_10device_ptrIiEEEESD_jNS1_19radix_merge_compareILb0ELb1EiNS0_19identity_decomposerEEEEE10hipError_tT0_T1_T2_jT3_P12ihipStream_tbPNSt15iterator_traitsISI_E10value_typeEPNSO_ISJ_E10value_typeEPSK_NS1_7vsmem_tEENKUlT_SI_SJ_SK_E_clIPiSD_S10_SD_EESH_SX_SI_SJ_SK_EUlSX_E0_NS1_11comp_targetILNS1_3genE5ELNS1_11target_archE942ELNS1_3gpuE9ELNS1_3repE0EEENS1_38merge_mergepath_config_static_selectorELNS0_4arch9wavefront6targetE1EEEvSJ_.has_indirect_call, 0
	.section	.AMDGPU.csdata,"",@progbits
; Kernel info:
; codeLenInByte = 0
; TotalNumSgprs: 6
; NumVgprs: 0
; NumAgprs: 0
; TotalNumVgprs: 0
; ScratchSize: 0
; MemoryBound: 0
; FloatMode: 240
; IeeeMode: 1
; LDSByteSize: 0 bytes/workgroup (compile time only)
; SGPRBlocks: 0
; VGPRBlocks: 0
; NumSGPRsForWavesPerEU: 6
; NumVGPRsForWavesPerEU: 1
; AccumOffset: 4
; Occupancy: 8
; WaveLimiterHint : 0
; COMPUTE_PGM_RSRC2:SCRATCH_EN: 0
; COMPUTE_PGM_RSRC2:USER_SGPR: 2
; COMPUTE_PGM_RSRC2:TRAP_HANDLER: 0
; COMPUTE_PGM_RSRC2:TGID_X_EN: 1
; COMPUTE_PGM_RSRC2:TGID_Y_EN: 0
; COMPUTE_PGM_RSRC2:TGID_Z_EN: 0
; COMPUTE_PGM_RSRC2:TIDIG_COMP_CNT: 0
; COMPUTE_PGM_RSRC3_GFX90A:ACCUM_OFFSET: 0
; COMPUTE_PGM_RSRC3_GFX90A:TG_SPLIT: 0
	.section	.text._ZN7rocprim17ROCPRIM_400000_NS6detail17trampoline_kernelINS0_14default_configENS1_38merge_sort_block_merge_config_selectorIiiEEZZNS1_27merge_sort_block_merge_implIS3_N6thrust23THRUST_200600_302600_NS6detail15normal_iteratorINS8_10device_ptrIiEEEESD_jNS1_19radix_merge_compareILb0ELb1EiNS0_19identity_decomposerEEEEE10hipError_tT0_T1_T2_jT3_P12ihipStream_tbPNSt15iterator_traitsISI_E10value_typeEPNSO_ISJ_E10value_typeEPSK_NS1_7vsmem_tEENKUlT_SI_SJ_SK_E_clIPiSD_S10_SD_EESH_SX_SI_SJ_SK_EUlSX_E0_NS1_11comp_targetILNS1_3genE4ELNS1_11target_archE910ELNS1_3gpuE8ELNS1_3repE0EEENS1_38merge_mergepath_config_static_selectorELNS0_4arch9wavefront6targetE1EEEvSJ_,"axG",@progbits,_ZN7rocprim17ROCPRIM_400000_NS6detail17trampoline_kernelINS0_14default_configENS1_38merge_sort_block_merge_config_selectorIiiEEZZNS1_27merge_sort_block_merge_implIS3_N6thrust23THRUST_200600_302600_NS6detail15normal_iteratorINS8_10device_ptrIiEEEESD_jNS1_19radix_merge_compareILb0ELb1EiNS0_19identity_decomposerEEEEE10hipError_tT0_T1_T2_jT3_P12ihipStream_tbPNSt15iterator_traitsISI_E10value_typeEPNSO_ISJ_E10value_typeEPSK_NS1_7vsmem_tEENKUlT_SI_SJ_SK_E_clIPiSD_S10_SD_EESH_SX_SI_SJ_SK_EUlSX_E0_NS1_11comp_targetILNS1_3genE4ELNS1_11target_archE910ELNS1_3gpuE8ELNS1_3repE0EEENS1_38merge_mergepath_config_static_selectorELNS0_4arch9wavefront6targetE1EEEvSJ_,comdat
	.protected	_ZN7rocprim17ROCPRIM_400000_NS6detail17trampoline_kernelINS0_14default_configENS1_38merge_sort_block_merge_config_selectorIiiEEZZNS1_27merge_sort_block_merge_implIS3_N6thrust23THRUST_200600_302600_NS6detail15normal_iteratorINS8_10device_ptrIiEEEESD_jNS1_19radix_merge_compareILb0ELb1EiNS0_19identity_decomposerEEEEE10hipError_tT0_T1_T2_jT3_P12ihipStream_tbPNSt15iterator_traitsISI_E10value_typeEPNSO_ISJ_E10value_typeEPSK_NS1_7vsmem_tEENKUlT_SI_SJ_SK_E_clIPiSD_S10_SD_EESH_SX_SI_SJ_SK_EUlSX_E0_NS1_11comp_targetILNS1_3genE4ELNS1_11target_archE910ELNS1_3gpuE8ELNS1_3repE0EEENS1_38merge_mergepath_config_static_selectorELNS0_4arch9wavefront6targetE1EEEvSJ_ ; -- Begin function _ZN7rocprim17ROCPRIM_400000_NS6detail17trampoline_kernelINS0_14default_configENS1_38merge_sort_block_merge_config_selectorIiiEEZZNS1_27merge_sort_block_merge_implIS3_N6thrust23THRUST_200600_302600_NS6detail15normal_iteratorINS8_10device_ptrIiEEEESD_jNS1_19radix_merge_compareILb0ELb1EiNS0_19identity_decomposerEEEEE10hipError_tT0_T1_T2_jT3_P12ihipStream_tbPNSt15iterator_traitsISI_E10value_typeEPNSO_ISJ_E10value_typeEPSK_NS1_7vsmem_tEENKUlT_SI_SJ_SK_E_clIPiSD_S10_SD_EESH_SX_SI_SJ_SK_EUlSX_E0_NS1_11comp_targetILNS1_3genE4ELNS1_11target_archE910ELNS1_3gpuE8ELNS1_3repE0EEENS1_38merge_mergepath_config_static_selectorELNS0_4arch9wavefront6targetE1EEEvSJ_
	.globl	_ZN7rocprim17ROCPRIM_400000_NS6detail17trampoline_kernelINS0_14default_configENS1_38merge_sort_block_merge_config_selectorIiiEEZZNS1_27merge_sort_block_merge_implIS3_N6thrust23THRUST_200600_302600_NS6detail15normal_iteratorINS8_10device_ptrIiEEEESD_jNS1_19radix_merge_compareILb0ELb1EiNS0_19identity_decomposerEEEEE10hipError_tT0_T1_T2_jT3_P12ihipStream_tbPNSt15iterator_traitsISI_E10value_typeEPNSO_ISJ_E10value_typeEPSK_NS1_7vsmem_tEENKUlT_SI_SJ_SK_E_clIPiSD_S10_SD_EESH_SX_SI_SJ_SK_EUlSX_E0_NS1_11comp_targetILNS1_3genE4ELNS1_11target_archE910ELNS1_3gpuE8ELNS1_3repE0EEENS1_38merge_mergepath_config_static_selectorELNS0_4arch9wavefront6targetE1EEEvSJ_
	.p2align	8
	.type	_ZN7rocprim17ROCPRIM_400000_NS6detail17trampoline_kernelINS0_14default_configENS1_38merge_sort_block_merge_config_selectorIiiEEZZNS1_27merge_sort_block_merge_implIS3_N6thrust23THRUST_200600_302600_NS6detail15normal_iteratorINS8_10device_ptrIiEEEESD_jNS1_19radix_merge_compareILb0ELb1EiNS0_19identity_decomposerEEEEE10hipError_tT0_T1_T2_jT3_P12ihipStream_tbPNSt15iterator_traitsISI_E10value_typeEPNSO_ISJ_E10value_typeEPSK_NS1_7vsmem_tEENKUlT_SI_SJ_SK_E_clIPiSD_S10_SD_EESH_SX_SI_SJ_SK_EUlSX_E0_NS1_11comp_targetILNS1_3genE4ELNS1_11target_archE910ELNS1_3gpuE8ELNS1_3repE0EEENS1_38merge_mergepath_config_static_selectorELNS0_4arch9wavefront6targetE1EEEvSJ_,@function
_ZN7rocprim17ROCPRIM_400000_NS6detail17trampoline_kernelINS0_14default_configENS1_38merge_sort_block_merge_config_selectorIiiEEZZNS1_27merge_sort_block_merge_implIS3_N6thrust23THRUST_200600_302600_NS6detail15normal_iteratorINS8_10device_ptrIiEEEESD_jNS1_19radix_merge_compareILb0ELb1EiNS0_19identity_decomposerEEEEE10hipError_tT0_T1_T2_jT3_P12ihipStream_tbPNSt15iterator_traitsISI_E10value_typeEPNSO_ISJ_E10value_typeEPSK_NS1_7vsmem_tEENKUlT_SI_SJ_SK_E_clIPiSD_S10_SD_EESH_SX_SI_SJ_SK_EUlSX_E0_NS1_11comp_targetILNS1_3genE4ELNS1_11target_archE910ELNS1_3gpuE8ELNS1_3repE0EEENS1_38merge_mergepath_config_static_selectorELNS0_4arch9wavefront6targetE1EEEvSJ_: ; @_ZN7rocprim17ROCPRIM_400000_NS6detail17trampoline_kernelINS0_14default_configENS1_38merge_sort_block_merge_config_selectorIiiEEZZNS1_27merge_sort_block_merge_implIS3_N6thrust23THRUST_200600_302600_NS6detail15normal_iteratorINS8_10device_ptrIiEEEESD_jNS1_19radix_merge_compareILb0ELb1EiNS0_19identity_decomposerEEEEE10hipError_tT0_T1_T2_jT3_P12ihipStream_tbPNSt15iterator_traitsISI_E10value_typeEPNSO_ISJ_E10value_typeEPSK_NS1_7vsmem_tEENKUlT_SI_SJ_SK_E_clIPiSD_S10_SD_EESH_SX_SI_SJ_SK_EUlSX_E0_NS1_11comp_targetILNS1_3genE4ELNS1_11target_archE910ELNS1_3gpuE8ELNS1_3repE0EEENS1_38merge_mergepath_config_static_selectorELNS0_4arch9wavefront6targetE1EEEvSJ_
; %bb.0:
	.section	.rodata,"a",@progbits
	.p2align	6, 0x0
	.amdhsa_kernel _ZN7rocprim17ROCPRIM_400000_NS6detail17trampoline_kernelINS0_14default_configENS1_38merge_sort_block_merge_config_selectorIiiEEZZNS1_27merge_sort_block_merge_implIS3_N6thrust23THRUST_200600_302600_NS6detail15normal_iteratorINS8_10device_ptrIiEEEESD_jNS1_19radix_merge_compareILb0ELb1EiNS0_19identity_decomposerEEEEE10hipError_tT0_T1_T2_jT3_P12ihipStream_tbPNSt15iterator_traitsISI_E10value_typeEPNSO_ISJ_E10value_typeEPSK_NS1_7vsmem_tEENKUlT_SI_SJ_SK_E_clIPiSD_S10_SD_EESH_SX_SI_SJ_SK_EUlSX_E0_NS1_11comp_targetILNS1_3genE4ELNS1_11target_archE910ELNS1_3gpuE8ELNS1_3repE0EEENS1_38merge_mergepath_config_static_selectorELNS0_4arch9wavefront6targetE1EEEvSJ_
		.amdhsa_group_segment_fixed_size 0
		.amdhsa_private_segment_fixed_size 0
		.amdhsa_kernarg_size 64
		.amdhsa_user_sgpr_count 2
		.amdhsa_user_sgpr_dispatch_ptr 0
		.amdhsa_user_sgpr_queue_ptr 0
		.amdhsa_user_sgpr_kernarg_segment_ptr 1
		.amdhsa_user_sgpr_dispatch_id 0
		.amdhsa_user_sgpr_kernarg_preload_length 0
		.amdhsa_user_sgpr_kernarg_preload_offset 0
		.amdhsa_user_sgpr_private_segment_size 0
		.amdhsa_uses_dynamic_stack 0
		.amdhsa_enable_private_segment 0
		.amdhsa_system_sgpr_workgroup_id_x 1
		.amdhsa_system_sgpr_workgroup_id_y 0
		.amdhsa_system_sgpr_workgroup_id_z 0
		.amdhsa_system_sgpr_workgroup_info 0
		.amdhsa_system_vgpr_workitem_id 0
		.amdhsa_next_free_vgpr 1
		.amdhsa_next_free_sgpr 0
		.amdhsa_accum_offset 4
		.amdhsa_reserve_vcc 0
		.amdhsa_float_round_mode_32 0
		.amdhsa_float_round_mode_16_64 0
		.amdhsa_float_denorm_mode_32 3
		.amdhsa_float_denorm_mode_16_64 3
		.amdhsa_dx10_clamp 1
		.amdhsa_ieee_mode 1
		.amdhsa_fp16_overflow 0
		.amdhsa_tg_split 0
		.amdhsa_exception_fp_ieee_invalid_op 0
		.amdhsa_exception_fp_denorm_src 0
		.amdhsa_exception_fp_ieee_div_zero 0
		.amdhsa_exception_fp_ieee_overflow 0
		.amdhsa_exception_fp_ieee_underflow 0
		.amdhsa_exception_fp_ieee_inexact 0
		.amdhsa_exception_int_div_zero 0
	.end_amdhsa_kernel
	.section	.text._ZN7rocprim17ROCPRIM_400000_NS6detail17trampoline_kernelINS0_14default_configENS1_38merge_sort_block_merge_config_selectorIiiEEZZNS1_27merge_sort_block_merge_implIS3_N6thrust23THRUST_200600_302600_NS6detail15normal_iteratorINS8_10device_ptrIiEEEESD_jNS1_19radix_merge_compareILb0ELb1EiNS0_19identity_decomposerEEEEE10hipError_tT0_T1_T2_jT3_P12ihipStream_tbPNSt15iterator_traitsISI_E10value_typeEPNSO_ISJ_E10value_typeEPSK_NS1_7vsmem_tEENKUlT_SI_SJ_SK_E_clIPiSD_S10_SD_EESH_SX_SI_SJ_SK_EUlSX_E0_NS1_11comp_targetILNS1_3genE4ELNS1_11target_archE910ELNS1_3gpuE8ELNS1_3repE0EEENS1_38merge_mergepath_config_static_selectorELNS0_4arch9wavefront6targetE1EEEvSJ_,"axG",@progbits,_ZN7rocprim17ROCPRIM_400000_NS6detail17trampoline_kernelINS0_14default_configENS1_38merge_sort_block_merge_config_selectorIiiEEZZNS1_27merge_sort_block_merge_implIS3_N6thrust23THRUST_200600_302600_NS6detail15normal_iteratorINS8_10device_ptrIiEEEESD_jNS1_19radix_merge_compareILb0ELb1EiNS0_19identity_decomposerEEEEE10hipError_tT0_T1_T2_jT3_P12ihipStream_tbPNSt15iterator_traitsISI_E10value_typeEPNSO_ISJ_E10value_typeEPSK_NS1_7vsmem_tEENKUlT_SI_SJ_SK_E_clIPiSD_S10_SD_EESH_SX_SI_SJ_SK_EUlSX_E0_NS1_11comp_targetILNS1_3genE4ELNS1_11target_archE910ELNS1_3gpuE8ELNS1_3repE0EEENS1_38merge_mergepath_config_static_selectorELNS0_4arch9wavefront6targetE1EEEvSJ_,comdat
.Lfunc_end767:
	.size	_ZN7rocprim17ROCPRIM_400000_NS6detail17trampoline_kernelINS0_14default_configENS1_38merge_sort_block_merge_config_selectorIiiEEZZNS1_27merge_sort_block_merge_implIS3_N6thrust23THRUST_200600_302600_NS6detail15normal_iteratorINS8_10device_ptrIiEEEESD_jNS1_19radix_merge_compareILb0ELb1EiNS0_19identity_decomposerEEEEE10hipError_tT0_T1_T2_jT3_P12ihipStream_tbPNSt15iterator_traitsISI_E10value_typeEPNSO_ISJ_E10value_typeEPSK_NS1_7vsmem_tEENKUlT_SI_SJ_SK_E_clIPiSD_S10_SD_EESH_SX_SI_SJ_SK_EUlSX_E0_NS1_11comp_targetILNS1_3genE4ELNS1_11target_archE910ELNS1_3gpuE8ELNS1_3repE0EEENS1_38merge_mergepath_config_static_selectorELNS0_4arch9wavefront6targetE1EEEvSJ_, .Lfunc_end767-_ZN7rocprim17ROCPRIM_400000_NS6detail17trampoline_kernelINS0_14default_configENS1_38merge_sort_block_merge_config_selectorIiiEEZZNS1_27merge_sort_block_merge_implIS3_N6thrust23THRUST_200600_302600_NS6detail15normal_iteratorINS8_10device_ptrIiEEEESD_jNS1_19radix_merge_compareILb0ELb1EiNS0_19identity_decomposerEEEEE10hipError_tT0_T1_T2_jT3_P12ihipStream_tbPNSt15iterator_traitsISI_E10value_typeEPNSO_ISJ_E10value_typeEPSK_NS1_7vsmem_tEENKUlT_SI_SJ_SK_E_clIPiSD_S10_SD_EESH_SX_SI_SJ_SK_EUlSX_E0_NS1_11comp_targetILNS1_3genE4ELNS1_11target_archE910ELNS1_3gpuE8ELNS1_3repE0EEENS1_38merge_mergepath_config_static_selectorELNS0_4arch9wavefront6targetE1EEEvSJ_
                                        ; -- End function
	.set _ZN7rocprim17ROCPRIM_400000_NS6detail17trampoline_kernelINS0_14default_configENS1_38merge_sort_block_merge_config_selectorIiiEEZZNS1_27merge_sort_block_merge_implIS3_N6thrust23THRUST_200600_302600_NS6detail15normal_iteratorINS8_10device_ptrIiEEEESD_jNS1_19radix_merge_compareILb0ELb1EiNS0_19identity_decomposerEEEEE10hipError_tT0_T1_T2_jT3_P12ihipStream_tbPNSt15iterator_traitsISI_E10value_typeEPNSO_ISJ_E10value_typeEPSK_NS1_7vsmem_tEENKUlT_SI_SJ_SK_E_clIPiSD_S10_SD_EESH_SX_SI_SJ_SK_EUlSX_E0_NS1_11comp_targetILNS1_3genE4ELNS1_11target_archE910ELNS1_3gpuE8ELNS1_3repE0EEENS1_38merge_mergepath_config_static_selectorELNS0_4arch9wavefront6targetE1EEEvSJ_.num_vgpr, 0
	.set _ZN7rocprim17ROCPRIM_400000_NS6detail17trampoline_kernelINS0_14default_configENS1_38merge_sort_block_merge_config_selectorIiiEEZZNS1_27merge_sort_block_merge_implIS3_N6thrust23THRUST_200600_302600_NS6detail15normal_iteratorINS8_10device_ptrIiEEEESD_jNS1_19radix_merge_compareILb0ELb1EiNS0_19identity_decomposerEEEEE10hipError_tT0_T1_T2_jT3_P12ihipStream_tbPNSt15iterator_traitsISI_E10value_typeEPNSO_ISJ_E10value_typeEPSK_NS1_7vsmem_tEENKUlT_SI_SJ_SK_E_clIPiSD_S10_SD_EESH_SX_SI_SJ_SK_EUlSX_E0_NS1_11comp_targetILNS1_3genE4ELNS1_11target_archE910ELNS1_3gpuE8ELNS1_3repE0EEENS1_38merge_mergepath_config_static_selectorELNS0_4arch9wavefront6targetE1EEEvSJ_.num_agpr, 0
	.set _ZN7rocprim17ROCPRIM_400000_NS6detail17trampoline_kernelINS0_14default_configENS1_38merge_sort_block_merge_config_selectorIiiEEZZNS1_27merge_sort_block_merge_implIS3_N6thrust23THRUST_200600_302600_NS6detail15normal_iteratorINS8_10device_ptrIiEEEESD_jNS1_19radix_merge_compareILb0ELb1EiNS0_19identity_decomposerEEEEE10hipError_tT0_T1_T2_jT3_P12ihipStream_tbPNSt15iterator_traitsISI_E10value_typeEPNSO_ISJ_E10value_typeEPSK_NS1_7vsmem_tEENKUlT_SI_SJ_SK_E_clIPiSD_S10_SD_EESH_SX_SI_SJ_SK_EUlSX_E0_NS1_11comp_targetILNS1_3genE4ELNS1_11target_archE910ELNS1_3gpuE8ELNS1_3repE0EEENS1_38merge_mergepath_config_static_selectorELNS0_4arch9wavefront6targetE1EEEvSJ_.numbered_sgpr, 0
	.set _ZN7rocprim17ROCPRIM_400000_NS6detail17trampoline_kernelINS0_14default_configENS1_38merge_sort_block_merge_config_selectorIiiEEZZNS1_27merge_sort_block_merge_implIS3_N6thrust23THRUST_200600_302600_NS6detail15normal_iteratorINS8_10device_ptrIiEEEESD_jNS1_19radix_merge_compareILb0ELb1EiNS0_19identity_decomposerEEEEE10hipError_tT0_T1_T2_jT3_P12ihipStream_tbPNSt15iterator_traitsISI_E10value_typeEPNSO_ISJ_E10value_typeEPSK_NS1_7vsmem_tEENKUlT_SI_SJ_SK_E_clIPiSD_S10_SD_EESH_SX_SI_SJ_SK_EUlSX_E0_NS1_11comp_targetILNS1_3genE4ELNS1_11target_archE910ELNS1_3gpuE8ELNS1_3repE0EEENS1_38merge_mergepath_config_static_selectorELNS0_4arch9wavefront6targetE1EEEvSJ_.num_named_barrier, 0
	.set _ZN7rocprim17ROCPRIM_400000_NS6detail17trampoline_kernelINS0_14default_configENS1_38merge_sort_block_merge_config_selectorIiiEEZZNS1_27merge_sort_block_merge_implIS3_N6thrust23THRUST_200600_302600_NS6detail15normal_iteratorINS8_10device_ptrIiEEEESD_jNS1_19radix_merge_compareILb0ELb1EiNS0_19identity_decomposerEEEEE10hipError_tT0_T1_T2_jT3_P12ihipStream_tbPNSt15iterator_traitsISI_E10value_typeEPNSO_ISJ_E10value_typeEPSK_NS1_7vsmem_tEENKUlT_SI_SJ_SK_E_clIPiSD_S10_SD_EESH_SX_SI_SJ_SK_EUlSX_E0_NS1_11comp_targetILNS1_3genE4ELNS1_11target_archE910ELNS1_3gpuE8ELNS1_3repE0EEENS1_38merge_mergepath_config_static_selectorELNS0_4arch9wavefront6targetE1EEEvSJ_.private_seg_size, 0
	.set _ZN7rocprim17ROCPRIM_400000_NS6detail17trampoline_kernelINS0_14default_configENS1_38merge_sort_block_merge_config_selectorIiiEEZZNS1_27merge_sort_block_merge_implIS3_N6thrust23THRUST_200600_302600_NS6detail15normal_iteratorINS8_10device_ptrIiEEEESD_jNS1_19radix_merge_compareILb0ELb1EiNS0_19identity_decomposerEEEEE10hipError_tT0_T1_T2_jT3_P12ihipStream_tbPNSt15iterator_traitsISI_E10value_typeEPNSO_ISJ_E10value_typeEPSK_NS1_7vsmem_tEENKUlT_SI_SJ_SK_E_clIPiSD_S10_SD_EESH_SX_SI_SJ_SK_EUlSX_E0_NS1_11comp_targetILNS1_3genE4ELNS1_11target_archE910ELNS1_3gpuE8ELNS1_3repE0EEENS1_38merge_mergepath_config_static_selectorELNS0_4arch9wavefront6targetE1EEEvSJ_.uses_vcc, 0
	.set _ZN7rocprim17ROCPRIM_400000_NS6detail17trampoline_kernelINS0_14default_configENS1_38merge_sort_block_merge_config_selectorIiiEEZZNS1_27merge_sort_block_merge_implIS3_N6thrust23THRUST_200600_302600_NS6detail15normal_iteratorINS8_10device_ptrIiEEEESD_jNS1_19radix_merge_compareILb0ELb1EiNS0_19identity_decomposerEEEEE10hipError_tT0_T1_T2_jT3_P12ihipStream_tbPNSt15iterator_traitsISI_E10value_typeEPNSO_ISJ_E10value_typeEPSK_NS1_7vsmem_tEENKUlT_SI_SJ_SK_E_clIPiSD_S10_SD_EESH_SX_SI_SJ_SK_EUlSX_E0_NS1_11comp_targetILNS1_3genE4ELNS1_11target_archE910ELNS1_3gpuE8ELNS1_3repE0EEENS1_38merge_mergepath_config_static_selectorELNS0_4arch9wavefront6targetE1EEEvSJ_.uses_flat_scratch, 0
	.set _ZN7rocprim17ROCPRIM_400000_NS6detail17trampoline_kernelINS0_14default_configENS1_38merge_sort_block_merge_config_selectorIiiEEZZNS1_27merge_sort_block_merge_implIS3_N6thrust23THRUST_200600_302600_NS6detail15normal_iteratorINS8_10device_ptrIiEEEESD_jNS1_19radix_merge_compareILb0ELb1EiNS0_19identity_decomposerEEEEE10hipError_tT0_T1_T2_jT3_P12ihipStream_tbPNSt15iterator_traitsISI_E10value_typeEPNSO_ISJ_E10value_typeEPSK_NS1_7vsmem_tEENKUlT_SI_SJ_SK_E_clIPiSD_S10_SD_EESH_SX_SI_SJ_SK_EUlSX_E0_NS1_11comp_targetILNS1_3genE4ELNS1_11target_archE910ELNS1_3gpuE8ELNS1_3repE0EEENS1_38merge_mergepath_config_static_selectorELNS0_4arch9wavefront6targetE1EEEvSJ_.has_dyn_sized_stack, 0
	.set _ZN7rocprim17ROCPRIM_400000_NS6detail17trampoline_kernelINS0_14default_configENS1_38merge_sort_block_merge_config_selectorIiiEEZZNS1_27merge_sort_block_merge_implIS3_N6thrust23THRUST_200600_302600_NS6detail15normal_iteratorINS8_10device_ptrIiEEEESD_jNS1_19radix_merge_compareILb0ELb1EiNS0_19identity_decomposerEEEEE10hipError_tT0_T1_T2_jT3_P12ihipStream_tbPNSt15iterator_traitsISI_E10value_typeEPNSO_ISJ_E10value_typeEPSK_NS1_7vsmem_tEENKUlT_SI_SJ_SK_E_clIPiSD_S10_SD_EESH_SX_SI_SJ_SK_EUlSX_E0_NS1_11comp_targetILNS1_3genE4ELNS1_11target_archE910ELNS1_3gpuE8ELNS1_3repE0EEENS1_38merge_mergepath_config_static_selectorELNS0_4arch9wavefront6targetE1EEEvSJ_.has_recursion, 0
	.set _ZN7rocprim17ROCPRIM_400000_NS6detail17trampoline_kernelINS0_14default_configENS1_38merge_sort_block_merge_config_selectorIiiEEZZNS1_27merge_sort_block_merge_implIS3_N6thrust23THRUST_200600_302600_NS6detail15normal_iteratorINS8_10device_ptrIiEEEESD_jNS1_19radix_merge_compareILb0ELb1EiNS0_19identity_decomposerEEEEE10hipError_tT0_T1_T2_jT3_P12ihipStream_tbPNSt15iterator_traitsISI_E10value_typeEPNSO_ISJ_E10value_typeEPSK_NS1_7vsmem_tEENKUlT_SI_SJ_SK_E_clIPiSD_S10_SD_EESH_SX_SI_SJ_SK_EUlSX_E0_NS1_11comp_targetILNS1_3genE4ELNS1_11target_archE910ELNS1_3gpuE8ELNS1_3repE0EEENS1_38merge_mergepath_config_static_selectorELNS0_4arch9wavefront6targetE1EEEvSJ_.has_indirect_call, 0
	.section	.AMDGPU.csdata,"",@progbits
; Kernel info:
; codeLenInByte = 0
; TotalNumSgprs: 6
; NumVgprs: 0
; NumAgprs: 0
; TotalNumVgprs: 0
; ScratchSize: 0
; MemoryBound: 0
; FloatMode: 240
; IeeeMode: 1
; LDSByteSize: 0 bytes/workgroup (compile time only)
; SGPRBlocks: 0
; VGPRBlocks: 0
; NumSGPRsForWavesPerEU: 6
; NumVGPRsForWavesPerEU: 1
; AccumOffset: 4
; Occupancy: 8
; WaveLimiterHint : 0
; COMPUTE_PGM_RSRC2:SCRATCH_EN: 0
; COMPUTE_PGM_RSRC2:USER_SGPR: 2
; COMPUTE_PGM_RSRC2:TRAP_HANDLER: 0
; COMPUTE_PGM_RSRC2:TGID_X_EN: 1
; COMPUTE_PGM_RSRC2:TGID_Y_EN: 0
; COMPUTE_PGM_RSRC2:TGID_Z_EN: 0
; COMPUTE_PGM_RSRC2:TIDIG_COMP_CNT: 0
; COMPUTE_PGM_RSRC3_GFX90A:ACCUM_OFFSET: 0
; COMPUTE_PGM_RSRC3_GFX90A:TG_SPLIT: 0
	.section	.text._ZN7rocprim17ROCPRIM_400000_NS6detail17trampoline_kernelINS0_14default_configENS1_38merge_sort_block_merge_config_selectorIiiEEZZNS1_27merge_sort_block_merge_implIS3_N6thrust23THRUST_200600_302600_NS6detail15normal_iteratorINS8_10device_ptrIiEEEESD_jNS1_19radix_merge_compareILb0ELb1EiNS0_19identity_decomposerEEEEE10hipError_tT0_T1_T2_jT3_P12ihipStream_tbPNSt15iterator_traitsISI_E10value_typeEPNSO_ISJ_E10value_typeEPSK_NS1_7vsmem_tEENKUlT_SI_SJ_SK_E_clIPiSD_S10_SD_EESH_SX_SI_SJ_SK_EUlSX_E0_NS1_11comp_targetILNS1_3genE3ELNS1_11target_archE908ELNS1_3gpuE7ELNS1_3repE0EEENS1_38merge_mergepath_config_static_selectorELNS0_4arch9wavefront6targetE1EEEvSJ_,"axG",@progbits,_ZN7rocprim17ROCPRIM_400000_NS6detail17trampoline_kernelINS0_14default_configENS1_38merge_sort_block_merge_config_selectorIiiEEZZNS1_27merge_sort_block_merge_implIS3_N6thrust23THRUST_200600_302600_NS6detail15normal_iteratorINS8_10device_ptrIiEEEESD_jNS1_19radix_merge_compareILb0ELb1EiNS0_19identity_decomposerEEEEE10hipError_tT0_T1_T2_jT3_P12ihipStream_tbPNSt15iterator_traitsISI_E10value_typeEPNSO_ISJ_E10value_typeEPSK_NS1_7vsmem_tEENKUlT_SI_SJ_SK_E_clIPiSD_S10_SD_EESH_SX_SI_SJ_SK_EUlSX_E0_NS1_11comp_targetILNS1_3genE3ELNS1_11target_archE908ELNS1_3gpuE7ELNS1_3repE0EEENS1_38merge_mergepath_config_static_selectorELNS0_4arch9wavefront6targetE1EEEvSJ_,comdat
	.protected	_ZN7rocprim17ROCPRIM_400000_NS6detail17trampoline_kernelINS0_14default_configENS1_38merge_sort_block_merge_config_selectorIiiEEZZNS1_27merge_sort_block_merge_implIS3_N6thrust23THRUST_200600_302600_NS6detail15normal_iteratorINS8_10device_ptrIiEEEESD_jNS1_19radix_merge_compareILb0ELb1EiNS0_19identity_decomposerEEEEE10hipError_tT0_T1_T2_jT3_P12ihipStream_tbPNSt15iterator_traitsISI_E10value_typeEPNSO_ISJ_E10value_typeEPSK_NS1_7vsmem_tEENKUlT_SI_SJ_SK_E_clIPiSD_S10_SD_EESH_SX_SI_SJ_SK_EUlSX_E0_NS1_11comp_targetILNS1_3genE3ELNS1_11target_archE908ELNS1_3gpuE7ELNS1_3repE0EEENS1_38merge_mergepath_config_static_selectorELNS0_4arch9wavefront6targetE1EEEvSJ_ ; -- Begin function _ZN7rocprim17ROCPRIM_400000_NS6detail17trampoline_kernelINS0_14default_configENS1_38merge_sort_block_merge_config_selectorIiiEEZZNS1_27merge_sort_block_merge_implIS3_N6thrust23THRUST_200600_302600_NS6detail15normal_iteratorINS8_10device_ptrIiEEEESD_jNS1_19radix_merge_compareILb0ELb1EiNS0_19identity_decomposerEEEEE10hipError_tT0_T1_T2_jT3_P12ihipStream_tbPNSt15iterator_traitsISI_E10value_typeEPNSO_ISJ_E10value_typeEPSK_NS1_7vsmem_tEENKUlT_SI_SJ_SK_E_clIPiSD_S10_SD_EESH_SX_SI_SJ_SK_EUlSX_E0_NS1_11comp_targetILNS1_3genE3ELNS1_11target_archE908ELNS1_3gpuE7ELNS1_3repE0EEENS1_38merge_mergepath_config_static_selectorELNS0_4arch9wavefront6targetE1EEEvSJ_
	.globl	_ZN7rocprim17ROCPRIM_400000_NS6detail17trampoline_kernelINS0_14default_configENS1_38merge_sort_block_merge_config_selectorIiiEEZZNS1_27merge_sort_block_merge_implIS3_N6thrust23THRUST_200600_302600_NS6detail15normal_iteratorINS8_10device_ptrIiEEEESD_jNS1_19radix_merge_compareILb0ELb1EiNS0_19identity_decomposerEEEEE10hipError_tT0_T1_T2_jT3_P12ihipStream_tbPNSt15iterator_traitsISI_E10value_typeEPNSO_ISJ_E10value_typeEPSK_NS1_7vsmem_tEENKUlT_SI_SJ_SK_E_clIPiSD_S10_SD_EESH_SX_SI_SJ_SK_EUlSX_E0_NS1_11comp_targetILNS1_3genE3ELNS1_11target_archE908ELNS1_3gpuE7ELNS1_3repE0EEENS1_38merge_mergepath_config_static_selectorELNS0_4arch9wavefront6targetE1EEEvSJ_
	.p2align	8
	.type	_ZN7rocprim17ROCPRIM_400000_NS6detail17trampoline_kernelINS0_14default_configENS1_38merge_sort_block_merge_config_selectorIiiEEZZNS1_27merge_sort_block_merge_implIS3_N6thrust23THRUST_200600_302600_NS6detail15normal_iteratorINS8_10device_ptrIiEEEESD_jNS1_19radix_merge_compareILb0ELb1EiNS0_19identity_decomposerEEEEE10hipError_tT0_T1_T2_jT3_P12ihipStream_tbPNSt15iterator_traitsISI_E10value_typeEPNSO_ISJ_E10value_typeEPSK_NS1_7vsmem_tEENKUlT_SI_SJ_SK_E_clIPiSD_S10_SD_EESH_SX_SI_SJ_SK_EUlSX_E0_NS1_11comp_targetILNS1_3genE3ELNS1_11target_archE908ELNS1_3gpuE7ELNS1_3repE0EEENS1_38merge_mergepath_config_static_selectorELNS0_4arch9wavefront6targetE1EEEvSJ_,@function
_ZN7rocprim17ROCPRIM_400000_NS6detail17trampoline_kernelINS0_14default_configENS1_38merge_sort_block_merge_config_selectorIiiEEZZNS1_27merge_sort_block_merge_implIS3_N6thrust23THRUST_200600_302600_NS6detail15normal_iteratorINS8_10device_ptrIiEEEESD_jNS1_19radix_merge_compareILb0ELb1EiNS0_19identity_decomposerEEEEE10hipError_tT0_T1_T2_jT3_P12ihipStream_tbPNSt15iterator_traitsISI_E10value_typeEPNSO_ISJ_E10value_typeEPSK_NS1_7vsmem_tEENKUlT_SI_SJ_SK_E_clIPiSD_S10_SD_EESH_SX_SI_SJ_SK_EUlSX_E0_NS1_11comp_targetILNS1_3genE3ELNS1_11target_archE908ELNS1_3gpuE7ELNS1_3repE0EEENS1_38merge_mergepath_config_static_selectorELNS0_4arch9wavefront6targetE1EEEvSJ_: ; @_ZN7rocprim17ROCPRIM_400000_NS6detail17trampoline_kernelINS0_14default_configENS1_38merge_sort_block_merge_config_selectorIiiEEZZNS1_27merge_sort_block_merge_implIS3_N6thrust23THRUST_200600_302600_NS6detail15normal_iteratorINS8_10device_ptrIiEEEESD_jNS1_19radix_merge_compareILb0ELb1EiNS0_19identity_decomposerEEEEE10hipError_tT0_T1_T2_jT3_P12ihipStream_tbPNSt15iterator_traitsISI_E10value_typeEPNSO_ISJ_E10value_typeEPSK_NS1_7vsmem_tEENKUlT_SI_SJ_SK_E_clIPiSD_S10_SD_EESH_SX_SI_SJ_SK_EUlSX_E0_NS1_11comp_targetILNS1_3genE3ELNS1_11target_archE908ELNS1_3gpuE7ELNS1_3repE0EEENS1_38merge_mergepath_config_static_selectorELNS0_4arch9wavefront6targetE1EEEvSJ_
; %bb.0:
	.section	.rodata,"a",@progbits
	.p2align	6, 0x0
	.amdhsa_kernel _ZN7rocprim17ROCPRIM_400000_NS6detail17trampoline_kernelINS0_14default_configENS1_38merge_sort_block_merge_config_selectorIiiEEZZNS1_27merge_sort_block_merge_implIS3_N6thrust23THRUST_200600_302600_NS6detail15normal_iteratorINS8_10device_ptrIiEEEESD_jNS1_19radix_merge_compareILb0ELb1EiNS0_19identity_decomposerEEEEE10hipError_tT0_T1_T2_jT3_P12ihipStream_tbPNSt15iterator_traitsISI_E10value_typeEPNSO_ISJ_E10value_typeEPSK_NS1_7vsmem_tEENKUlT_SI_SJ_SK_E_clIPiSD_S10_SD_EESH_SX_SI_SJ_SK_EUlSX_E0_NS1_11comp_targetILNS1_3genE3ELNS1_11target_archE908ELNS1_3gpuE7ELNS1_3repE0EEENS1_38merge_mergepath_config_static_selectorELNS0_4arch9wavefront6targetE1EEEvSJ_
		.amdhsa_group_segment_fixed_size 0
		.amdhsa_private_segment_fixed_size 0
		.amdhsa_kernarg_size 64
		.amdhsa_user_sgpr_count 2
		.amdhsa_user_sgpr_dispatch_ptr 0
		.amdhsa_user_sgpr_queue_ptr 0
		.amdhsa_user_sgpr_kernarg_segment_ptr 1
		.amdhsa_user_sgpr_dispatch_id 0
		.amdhsa_user_sgpr_kernarg_preload_length 0
		.amdhsa_user_sgpr_kernarg_preload_offset 0
		.amdhsa_user_sgpr_private_segment_size 0
		.amdhsa_uses_dynamic_stack 0
		.amdhsa_enable_private_segment 0
		.amdhsa_system_sgpr_workgroup_id_x 1
		.amdhsa_system_sgpr_workgroup_id_y 0
		.amdhsa_system_sgpr_workgroup_id_z 0
		.amdhsa_system_sgpr_workgroup_info 0
		.amdhsa_system_vgpr_workitem_id 0
		.amdhsa_next_free_vgpr 1
		.amdhsa_next_free_sgpr 0
		.amdhsa_accum_offset 4
		.amdhsa_reserve_vcc 0
		.amdhsa_float_round_mode_32 0
		.amdhsa_float_round_mode_16_64 0
		.amdhsa_float_denorm_mode_32 3
		.amdhsa_float_denorm_mode_16_64 3
		.amdhsa_dx10_clamp 1
		.amdhsa_ieee_mode 1
		.amdhsa_fp16_overflow 0
		.amdhsa_tg_split 0
		.amdhsa_exception_fp_ieee_invalid_op 0
		.amdhsa_exception_fp_denorm_src 0
		.amdhsa_exception_fp_ieee_div_zero 0
		.amdhsa_exception_fp_ieee_overflow 0
		.amdhsa_exception_fp_ieee_underflow 0
		.amdhsa_exception_fp_ieee_inexact 0
		.amdhsa_exception_int_div_zero 0
	.end_amdhsa_kernel
	.section	.text._ZN7rocprim17ROCPRIM_400000_NS6detail17trampoline_kernelINS0_14default_configENS1_38merge_sort_block_merge_config_selectorIiiEEZZNS1_27merge_sort_block_merge_implIS3_N6thrust23THRUST_200600_302600_NS6detail15normal_iteratorINS8_10device_ptrIiEEEESD_jNS1_19radix_merge_compareILb0ELb1EiNS0_19identity_decomposerEEEEE10hipError_tT0_T1_T2_jT3_P12ihipStream_tbPNSt15iterator_traitsISI_E10value_typeEPNSO_ISJ_E10value_typeEPSK_NS1_7vsmem_tEENKUlT_SI_SJ_SK_E_clIPiSD_S10_SD_EESH_SX_SI_SJ_SK_EUlSX_E0_NS1_11comp_targetILNS1_3genE3ELNS1_11target_archE908ELNS1_3gpuE7ELNS1_3repE0EEENS1_38merge_mergepath_config_static_selectorELNS0_4arch9wavefront6targetE1EEEvSJ_,"axG",@progbits,_ZN7rocprim17ROCPRIM_400000_NS6detail17trampoline_kernelINS0_14default_configENS1_38merge_sort_block_merge_config_selectorIiiEEZZNS1_27merge_sort_block_merge_implIS3_N6thrust23THRUST_200600_302600_NS6detail15normal_iteratorINS8_10device_ptrIiEEEESD_jNS1_19radix_merge_compareILb0ELb1EiNS0_19identity_decomposerEEEEE10hipError_tT0_T1_T2_jT3_P12ihipStream_tbPNSt15iterator_traitsISI_E10value_typeEPNSO_ISJ_E10value_typeEPSK_NS1_7vsmem_tEENKUlT_SI_SJ_SK_E_clIPiSD_S10_SD_EESH_SX_SI_SJ_SK_EUlSX_E0_NS1_11comp_targetILNS1_3genE3ELNS1_11target_archE908ELNS1_3gpuE7ELNS1_3repE0EEENS1_38merge_mergepath_config_static_selectorELNS0_4arch9wavefront6targetE1EEEvSJ_,comdat
.Lfunc_end768:
	.size	_ZN7rocprim17ROCPRIM_400000_NS6detail17trampoline_kernelINS0_14default_configENS1_38merge_sort_block_merge_config_selectorIiiEEZZNS1_27merge_sort_block_merge_implIS3_N6thrust23THRUST_200600_302600_NS6detail15normal_iteratorINS8_10device_ptrIiEEEESD_jNS1_19radix_merge_compareILb0ELb1EiNS0_19identity_decomposerEEEEE10hipError_tT0_T1_T2_jT3_P12ihipStream_tbPNSt15iterator_traitsISI_E10value_typeEPNSO_ISJ_E10value_typeEPSK_NS1_7vsmem_tEENKUlT_SI_SJ_SK_E_clIPiSD_S10_SD_EESH_SX_SI_SJ_SK_EUlSX_E0_NS1_11comp_targetILNS1_3genE3ELNS1_11target_archE908ELNS1_3gpuE7ELNS1_3repE0EEENS1_38merge_mergepath_config_static_selectorELNS0_4arch9wavefront6targetE1EEEvSJ_, .Lfunc_end768-_ZN7rocprim17ROCPRIM_400000_NS6detail17trampoline_kernelINS0_14default_configENS1_38merge_sort_block_merge_config_selectorIiiEEZZNS1_27merge_sort_block_merge_implIS3_N6thrust23THRUST_200600_302600_NS6detail15normal_iteratorINS8_10device_ptrIiEEEESD_jNS1_19radix_merge_compareILb0ELb1EiNS0_19identity_decomposerEEEEE10hipError_tT0_T1_T2_jT3_P12ihipStream_tbPNSt15iterator_traitsISI_E10value_typeEPNSO_ISJ_E10value_typeEPSK_NS1_7vsmem_tEENKUlT_SI_SJ_SK_E_clIPiSD_S10_SD_EESH_SX_SI_SJ_SK_EUlSX_E0_NS1_11comp_targetILNS1_3genE3ELNS1_11target_archE908ELNS1_3gpuE7ELNS1_3repE0EEENS1_38merge_mergepath_config_static_selectorELNS0_4arch9wavefront6targetE1EEEvSJ_
                                        ; -- End function
	.set _ZN7rocprim17ROCPRIM_400000_NS6detail17trampoline_kernelINS0_14default_configENS1_38merge_sort_block_merge_config_selectorIiiEEZZNS1_27merge_sort_block_merge_implIS3_N6thrust23THRUST_200600_302600_NS6detail15normal_iteratorINS8_10device_ptrIiEEEESD_jNS1_19radix_merge_compareILb0ELb1EiNS0_19identity_decomposerEEEEE10hipError_tT0_T1_T2_jT3_P12ihipStream_tbPNSt15iterator_traitsISI_E10value_typeEPNSO_ISJ_E10value_typeEPSK_NS1_7vsmem_tEENKUlT_SI_SJ_SK_E_clIPiSD_S10_SD_EESH_SX_SI_SJ_SK_EUlSX_E0_NS1_11comp_targetILNS1_3genE3ELNS1_11target_archE908ELNS1_3gpuE7ELNS1_3repE0EEENS1_38merge_mergepath_config_static_selectorELNS0_4arch9wavefront6targetE1EEEvSJ_.num_vgpr, 0
	.set _ZN7rocprim17ROCPRIM_400000_NS6detail17trampoline_kernelINS0_14default_configENS1_38merge_sort_block_merge_config_selectorIiiEEZZNS1_27merge_sort_block_merge_implIS3_N6thrust23THRUST_200600_302600_NS6detail15normal_iteratorINS8_10device_ptrIiEEEESD_jNS1_19radix_merge_compareILb0ELb1EiNS0_19identity_decomposerEEEEE10hipError_tT0_T1_T2_jT3_P12ihipStream_tbPNSt15iterator_traitsISI_E10value_typeEPNSO_ISJ_E10value_typeEPSK_NS1_7vsmem_tEENKUlT_SI_SJ_SK_E_clIPiSD_S10_SD_EESH_SX_SI_SJ_SK_EUlSX_E0_NS1_11comp_targetILNS1_3genE3ELNS1_11target_archE908ELNS1_3gpuE7ELNS1_3repE0EEENS1_38merge_mergepath_config_static_selectorELNS0_4arch9wavefront6targetE1EEEvSJ_.num_agpr, 0
	.set _ZN7rocprim17ROCPRIM_400000_NS6detail17trampoline_kernelINS0_14default_configENS1_38merge_sort_block_merge_config_selectorIiiEEZZNS1_27merge_sort_block_merge_implIS3_N6thrust23THRUST_200600_302600_NS6detail15normal_iteratorINS8_10device_ptrIiEEEESD_jNS1_19radix_merge_compareILb0ELb1EiNS0_19identity_decomposerEEEEE10hipError_tT0_T1_T2_jT3_P12ihipStream_tbPNSt15iterator_traitsISI_E10value_typeEPNSO_ISJ_E10value_typeEPSK_NS1_7vsmem_tEENKUlT_SI_SJ_SK_E_clIPiSD_S10_SD_EESH_SX_SI_SJ_SK_EUlSX_E0_NS1_11comp_targetILNS1_3genE3ELNS1_11target_archE908ELNS1_3gpuE7ELNS1_3repE0EEENS1_38merge_mergepath_config_static_selectorELNS0_4arch9wavefront6targetE1EEEvSJ_.numbered_sgpr, 0
	.set _ZN7rocprim17ROCPRIM_400000_NS6detail17trampoline_kernelINS0_14default_configENS1_38merge_sort_block_merge_config_selectorIiiEEZZNS1_27merge_sort_block_merge_implIS3_N6thrust23THRUST_200600_302600_NS6detail15normal_iteratorINS8_10device_ptrIiEEEESD_jNS1_19radix_merge_compareILb0ELb1EiNS0_19identity_decomposerEEEEE10hipError_tT0_T1_T2_jT3_P12ihipStream_tbPNSt15iterator_traitsISI_E10value_typeEPNSO_ISJ_E10value_typeEPSK_NS1_7vsmem_tEENKUlT_SI_SJ_SK_E_clIPiSD_S10_SD_EESH_SX_SI_SJ_SK_EUlSX_E0_NS1_11comp_targetILNS1_3genE3ELNS1_11target_archE908ELNS1_3gpuE7ELNS1_3repE0EEENS1_38merge_mergepath_config_static_selectorELNS0_4arch9wavefront6targetE1EEEvSJ_.num_named_barrier, 0
	.set _ZN7rocprim17ROCPRIM_400000_NS6detail17trampoline_kernelINS0_14default_configENS1_38merge_sort_block_merge_config_selectorIiiEEZZNS1_27merge_sort_block_merge_implIS3_N6thrust23THRUST_200600_302600_NS6detail15normal_iteratorINS8_10device_ptrIiEEEESD_jNS1_19radix_merge_compareILb0ELb1EiNS0_19identity_decomposerEEEEE10hipError_tT0_T1_T2_jT3_P12ihipStream_tbPNSt15iterator_traitsISI_E10value_typeEPNSO_ISJ_E10value_typeEPSK_NS1_7vsmem_tEENKUlT_SI_SJ_SK_E_clIPiSD_S10_SD_EESH_SX_SI_SJ_SK_EUlSX_E0_NS1_11comp_targetILNS1_3genE3ELNS1_11target_archE908ELNS1_3gpuE7ELNS1_3repE0EEENS1_38merge_mergepath_config_static_selectorELNS0_4arch9wavefront6targetE1EEEvSJ_.private_seg_size, 0
	.set _ZN7rocprim17ROCPRIM_400000_NS6detail17trampoline_kernelINS0_14default_configENS1_38merge_sort_block_merge_config_selectorIiiEEZZNS1_27merge_sort_block_merge_implIS3_N6thrust23THRUST_200600_302600_NS6detail15normal_iteratorINS8_10device_ptrIiEEEESD_jNS1_19radix_merge_compareILb0ELb1EiNS0_19identity_decomposerEEEEE10hipError_tT0_T1_T2_jT3_P12ihipStream_tbPNSt15iterator_traitsISI_E10value_typeEPNSO_ISJ_E10value_typeEPSK_NS1_7vsmem_tEENKUlT_SI_SJ_SK_E_clIPiSD_S10_SD_EESH_SX_SI_SJ_SK_EUlSX_E0_NS1_11comp_targetILNS1_3genE3ELNS1_11target_archE908ELNS1_3gpuE7ELNS1_3repE0EEENS1_38merge_mergepath_config_static_selectorELNS0_4arch9wavefront6targetE1EEEvSJ_.uses_vcc, 0
	.set _ZN7rocprim17ROCPRIM_400000_NS6detail17trampoline_kernelINS0_14default_configENS1_38merge_sort_block_merge_config_selectorIiiEEZZNS1_27merge_sort_block_merge_implIS3_N6thrust23THRUST_200600_302600_NS6detail15normal_iteratorINS8_10device_ptrIiEEEESD_jNS1_19radix_merge_compareILb0ELb1EiNS0_19identity_decomposerEEEEE10hipError_tT0_T1_T2_jT3_P12ihipStream_tbPNSt15iterator_traitsISI_E10value_typeEPNSO_ISJ_E10value_typeEPSK_NS1_7vsmem_tEENKUlT_SI_SJ_SK_E_clIPiSD_S10_SD_EESH_SX_SI_SJ_SK_EUlSX_E0_NS1_11comp_targetILNS1_3genE3ELNS1_11target_archE908ELNS1_3gpuE7ELNS1_3repE0EEENS1_38merge_mergepath_config_static_selectorELNS0_4arch9wavefront6targetE1EEEvSJ_.uses_flat_scratch, 0
	.set _ZN7rocprim17ROCPRIM_400000_NS6detail17trampoline_kernelINS0_14default_configENS1_38merge_sort_block_merge_config_selectorIiiEEZZNS1_27merge_sort_block_merge_implIS3_N6thrust23THRUST_200600_302600_NS6detail15normal_iteratorINS8_10device_ptrIiEEEESD_jNS1_19radix_merge_compareILb0ELb1EiNS0_19identity_decomposerEEEEE10hipError_tT0_T1_T2_jT3_P12ihipStream_tbPNSt15iterator_traitsISI_E10value_typeEPNSO_ISJ_E10value_typeEPSK_NS1_7vsmem_tEENKUlT_SI_SJ_SK_E_clIPiSD_S10_SD_EESH_SX_SI_SJ_SK_EUlSX_E0_NS1_11comp_targetILNS1_3genE3ELNS1_11target_archE908ELNS1_3gpuE7ELNS1_3repE0EEENS1_38merge_mergepath_config_static_selectorELNS0_4arch9wavefront6targetE1EEEvSJ_.has_dyn_sized_stack, 0
	.set _ZN7rocprim17ROCPRIM_400000_NS6detail17trampoline_kernelINS0_14default_configENS1_38merge_sort_block_merge_config_selectorIiiEEZZNS1_27merge_sort_block_merge_implIS3_N6thrust23THRUST_200600_302600_NS6detail15normal_iteratorINS8_10device_ptrIiEEEESD_jNS1_19radix_merge_compareILb0ELb1EiNS0_19identity_decomposerEEEEE10hipError_tT0_T1_T2_jT3_P12ihipStream_tbPNSt15iterator_traitsISI_E10value_typeEPNSO_ISJ_E10value_typeEPSK_NS1_7vsmem_tEENKUlT_SI_SJ_SK_E_clIPiSD_S10_SD_EESH_SX_SI_SJ_SK_EUlSX_E0_NS1_11comp_targetILNS1_3genE3ELNS1_11target_archE908ELNS1_3gpuE7ELNS1_3repE0EEENS1_38merge_mergepath_config_static_selectorELNS0_4arch9wavefront6targetE1EEEvSJ_.has_recursion, 0
	.set _ZN7rocprim17ROCPRIM_400000_NS6detail17trampoline_kernelINS0_14default_configENS1_38merge_sort_block_merge_config_selectorIiiEEZZNS1_27merge_sort_block_merge_implIS3_N6thrust23THRUST_200600_302600_NS6detail15normal_iteratorINS8_10device_ptrIiEEEESD_jNS1_19radix_merge_compareILb0ELb1EiNS0_19identity_decomposerEEEEE10hipError_tT0_T1_T2_jT3_P12ihipStream_tbPNSt15iterator_traitsISI_E10value_typeEPNSO_ISJ_E10value_typeEPSK_NS1_7vsmem_tEENKUlT_SI_SJ_SK_E_clIPiSD_S10_SD_EESH_SX_SI_SJ_SK_EUlSX_E0_NS1_11comp_targetILNS1_3genE3ELNS1_11target_archE908ELNS1_3gpuE7ELNS1_3repE0EEENS1_38merge_mergepath_config_static_selectorELNS0_4arch9wavefront6targetE1EEEvSJ_.has_indirect_call, 0
	.section	.AMDGPU.csdata,"",@progbits
; Kernel info:
; codeLenInByte = 0
; TotalNumSgprs: 6
; NumVgprs: 0
; NumAgprs: 0
; TotalNumVgprs: 0
; ScratchSize: 0
; MemoryBound: 0
; FloatMode: 240
; IeeeMode: 1
; LDSByteSize: 0 bytes/workgroup (compile time only)
; SGPRBlocks: 0
; VGPRBlocks: 0
; NumSGPRsForWavesPerEU: 6
; NumVGPRsForWavesPerEU: 1
; AccumOffset: 4
; Occupancy: 8
; WaveLimiterHint : 0
; COMPUTE_PGM_RSRC2:SCRATCH_EN: 0
; COMPUTE_PGM_RSRC2:USER_SGPR: 2
; COMPUTE_PGM_RSRC2:TRAP_HANDLER: 0
; COMPUTE_PGM_RSRC2:TGID_X_EN: 1
; COMPUTE_PGM_RSRC2:TGID_Y_EN: 0
; COMPUTE_PGM_RSRC2:TGID_Z_EN: 0
; COMPUTE_PGM_RSRC2:TIDIG_COMP_CNT: 0
; COMPUTE_PGM_RSRC3_GFX90A:ACCUM_OFFSET: 0
; COMPUTE_PGM_RSRC3_GFX90A:TG_SPLIT: 0
	.section	.text._ZN7rocprim17ROCPRIM_400000_NS6detail17trampoline_kernelINS0_14default_configENS1_38merge_sort_block_merge_config_selectorIiiEEZZNS1_27merge_sort_block_merge_implIS3_N6thrust23THRUST_200600_302600_NS6detail15normal_iteratorINS8_10device_ptrIiEEEESD_jNS1_19radix_merge_compareILb0ELb1EiNS0_19identity_decomposerEEEEE10hipError_tT0_T1_T2_jT3_P12ihipStream_tbPNSt15iterator_traitsISI_E10value_typeEPNSO_ISJ_E10value_typeEPSK_NS1_7vsmem_tEENKUlT_SI_SJ_SK_E_clIPiSD_S10_SD_EESH_SX_SI_SJ_SK_EUlSX_E0_NS1_11comp_targetILNS1_3genE2ELNS1_11target_archE906ELNS1_3gpuE6ELNS1_3repE0EEENS1_38merge_mergepath_config_static_selectorELNS0_4arch9wavefront6targetE1EEEvSJ_,"axG",@progbits,_ZN7rocprim17ROCPRIM_400000_NS6detail17trampoline_kernelINS0_14default_configENS1_38merge_sort_block_merge_config_selectorIiiEEZZNS1_27merge_sort_block_merge_implIS3_N6thrust23THRUST_200600_302600_NS6detail15normal_iteratorINS8_10device_ptrIiEEEESD_jNS1_19radix_merge_compareILb0ELb1EiNS0_19identity_decomposerEEEEE10hipError_tT0_T1_T2_jT3_P12ihipStream_tbPNSt15iterator_traitsISI_E10value_typeEPNSO_ISJ_E10value_typeEPSK_NS1_7vsmem_tEENKUlT_SI_SJ_SK_E_clIPiSD_S10_SD_EESH_SX_SI_SJ_SK_EUlSX_E0_NS1_11comp_targetILNS1_3genE2ELNS1_11target_archE906ELNS1_3gpuE6ELNS1_3repE0EEENS1_38merge_mergepath_config_static_selectorELNS0_4arch9wavefront6targetE1EEEvSJ_,comdat
	.protected	_ZN7rocprim17ROCPRIM_400000_NS6detail17trampoline_kernelINS0_14default_configENS1_38merge_sort_block_merge_config_selectorIiiEEZZNS1_27merge_sort_block_merge_implIS3_N6thrust23THRUST_200600_302600_NS6detail15normal_iteratorINS8_10device_ptrIiEEEESD_jNS1_19radix_merge_compareILb0ELb1EiNS0_19identity_decomposerEEEEE10hipError_tT0_T1_T2_jT3_P12ihipStream_tbPNSt15iterator_traitsISI_E10value_typeEPNSO_ISJ_E10value_typeEPSK_NS1_7vsmem_tEENKUlT_SI_SJ_SK_E_clIPiSD_S10_SD_EESH_SX_SI_SJ_SK_EUlSX_E0_NS1_11comp_targetILNS1_3genE2ELNS1_11target_archE906ELNS1_3gpuE6ELNS1_3repE0EEENS1_38merge_mergepath_config_static_selectorELNS0_4arch9wavefront6targetE1EEEvSJ_ ; -- Begin function _ZN7rocprim17ROCPRIM_400000_NS6detail17trampoline_kernelINS0_14default_configENS1_38merge_sort_block_merge_config_selectorIiiEEZZNS1_27merge_sort_block_merge_implIS3_N6thrust23THRUST_200600_302600_NS6detail15normal_iteratorINS8_10device_ptrIiEEEESD_jNS1_19radix_merge_compareILb0ELb1EiNS0_19identity_decomposerEEEEE10hipError_tT0_T1_T2_jT3_P12ihipStream_tbPNSt15iterator_traitsISI_E10value_typeEPNSO_ISJ_E10value_typeEPSK_NS1_7vsmem_tEENKUlT_SI_SJ_SK_E_clIPiSD_S10_SD_EESH_SX_SI_SJ_SK_EUlSX_E0_NS1_11comp_targetILNS1_3genE2ELNS1_11target_archE906ELNS1_3gpuE6ELNS1_3repE0EEENS1_38merge_mergepath_config_static_selectorELNS0_4arch9wavefront6targetE1EEEvSJ_
	.globl	_ZN7rocprim17ROCPRIM_400000_NS6detail17trampoline_kernelINS0_14default_configENS1_38merge_sort_block_merge_config_selectorIiiEEZZNS1_27merge_sort_block_merge_implIS3_N6thrust23THRUST_200600_302600_NS6detail15normal_iteratorINS8_10device_ptrIiEEEESD_jNS1_19radix_merge_compareILb0ELb1EiNS0_19identity_decomposerEEEEE10hipError_tT0_T1_T2_jT3_P12ihipStream_tbPNSt15iterator_traitsISI_E10value_typeEPNSO_ISJ_E10value_typeEPSK_NS1_7vsmem_tEENKUlT_SI_SJ_SK_E_clIPiSD_S10_SD_EESH_SX_SI_SJ_SK_EUlSX_E0_NS1_11comp_targetILNS1_3genE2ELNS1_11target_archE906ELNS1_3gpuE6ELNS1_3repE0EEENS1_38merge_mergepath_config_static_selectorELNS0_4arch9wavefront6targetE1EEEvSJ_
	.p2align	8
	.type	_ZN7rocprim17ROCPRIM_400000_NS6detail17trampoline_kernelINS0_14default_configENS1_38merge_sort_block_merge_config_selectorIiiEEZZNS1_27merge_sort_block_merge_implIS3_N6thrust23THRUST_200600_302600_NS6detail15normal_iteratorINS8_10device_ptrIiEEEESD_jNS1_19radix_merge_compareILb0ELb1EiNS0_19identity_decomposerEEEEE10hipError_tT0_T1_T2_jT3_P12ihipStream_tbPNSt15iterator_traitsISI_E10value_typeEPNSO_ISJ_E10value_typeEPSK_NS1_7vsmem_tEENKUlT_SI_SJ_SK_E_clIPiSD_S10_SD_EESH_SX_SI_SJ_SK_EUlSX_E0_NS1_11comp_targetILNS1_3genE2ELNS1_11target_archE906ELNS1_3gpuE6ELNS1_3repE0EEENS1_38merge_mergepath_config_static_selectorELNS0_4arch9wavefront6targetE1EEEvSJ_,@function
_ZN7rocprim17ROCPRIM_400000_NS6detail17trampoline_kernelINS0_14default_configENS1_38merge_sort_block_merge_config_selectorIiiEEZZNS1_27merge_sort_block_merge_implIS3_N6thrust23THRUST_200600_302600_NS6detail15normal_iteratorINS8_10device_ptrIiEEEESD_jNS1_19radix_merge_compareILb0ELb1EiNS0_19identity_decomposerEEEEE10hipError_tT0_T1_T2_jT3_P12ihipStream_tbPNSt15iterator_traitsISI_E10value_typeEPNSO_ISJ_E10value_typeEPSK_NS1_7vsmem_tEENKUlT_SI_SJ_SK_E_clIPiSD_S10_SD_EESH_SX_SI_SJ_SK_EUlSX_E0_NS1_11comp_targetILNS1_3genE2ELNS1_11target_archE906ELNS1_3gpuE6ELNS1_3repE0EEENS1_38merge_mergepath_config_static_selectorELNS0_4arch9wavefront6targetE1EEEvSJ_: ; @_ZN7rocprim17ROCPRIM_400000_NS6detail17trampoline_kernelINS0_14default_configENS1_38merge_sort_block_merge_config_selectorIiiEEZZNS1_27merge_sort_block_merge_implIS3_N6thrust23THRUST_200600_302600_NS6detail15normal_iteratorINS8_10device_ptrIiEEEESD_jNS1_19radix_merge_compareILb0ELb1EiNS0_19identity_decomposerEEEEE10hipError_tT0_T1_T2_jT3_P12ihipStream_tbPNSt15iterator_traitsISI_E10value_typeEPNSO_ISJ_E10value_typeEPSK_NS1_7vsmem_tEENKUlT_SI_SJ_SK_E_clIPiSD_S10_SD_EESH_SX_SI_SJ_SK_EUlSX_E0_NS1_11comp_targetILNS1_3genE2ELNS1_11target_archE906ELNS1_3gpuE6ELNS1_3repE0EEENS1_38merge_mergepath_config_static_selectorELNS0_4arch9wavefront6targetE1EEEvSJ_
; %bb.0:
	.section	.rodata,"a",@progbits
	.p2align	6, 0x0
	.amdhsa_kernel _ZN7rocprim17ROCPRIM_400000_NS6detail17trampoline_kernelINS0_14default_configENS1_38merge_sort_block_merge_config_selectorIiiEEZZNS1_27merge_sort_block_merge_implIS3_N6thrust23THRUST_200600_302600_NS6detail15normal_iteratorINS8_10device_ptrIiEEEESD_jNS1_19radix_merge_compareILb0ELb1EiNS0_19identity_decomposerEEEEE10hipError_tT0_T1_T2_jT3_P12ihipStream_tbPNSt15iterator_traitsISI_E10value_typeEPNSO_ISJ_E10value_typeEPSK_NS1_7vsmem_tEENKUlT_SI_SJ_SK_E_clIPiSD_S10_SD_EESH_SX_SI_SJ_SK_EUlSX_E0_NS1_11comp_targetILNS1_3genE2ELNS1_11target_archE906ELNS1_3gpuE6ELNS1_3repE0EEENS1_38merge_mergepath_config_static_selectorELNS0_4arch9wavefront6targetE1EEEvSJ_
		.amdhsa_group_segment_fixed_size 0
		.amdhsa_private_segment_fixed_size 0
		.amdhsa_kernarg_size 64
		.amdhsa_user_sgpr_count 2
		.amdhsa_user_sgpr_dispatch_ptr 0
		.amdhsa_user_sgpr_queue_ptr 0
		.amdhsa_user_sgpr_kernarg_segment_ptr 1
		.amdhsa_user_sgpr_dispatch_id 0
		.amdhsa_user_sgpr_kernarg_preload_length 0
		.amdhsa_user_sgpr_kernarg_preload_offset 0
		.amdhsa_user_sgpr_private_segment_size 0
		.amdhsa_uses_dynamic_stack 0
		.amdhsa_enable_private_segment 0
		.amdhsa_system_sgpr_workgroup_id_x 1
		.amdhsa_system_sgpr_workgroup_id_y 0
		.amdhsa_system_sgpr_workgroup_id_z 0
		.amdhsa_system_sgpr_workgroup_info 0
		.amdhsa_system_vgpr_workitem_id 0
		.amdhsa_next_free_vgpr 1
		.amdhsa_next_free_sgpr 0
		.amdhsa_accum_offset 4
		.amdhsa_reserve_vcc 0
		.amdhsa_float_round_mode_32 0
		.amdhsa_float_round_mode_16_64 0
		.amdhsa_float_denorm_mode_32 3
		.amdhsa_float_denorm_mode_16_64 3
		.amdhsa_dx10_clamp 1
		.amdhsa_ieee_mode 1
		.amdhsa_fp16_overflow 0
		.amdhsa_tg_split 0
		.amdhsa_exception_fp_ieee_invalid_op 0
		.amdhsa_exception_fp_denorm_src 0
		.amdhsa_exception_fp_ieee_div_zero 0
		.amdhsa_exception_fp_ieee_overflow 0
		.amdhsa_exception_fp_ieee_underflow 0
		.amdhsa_exception_fp_ieee_inexact 0
		.amdhsa_exception_int_div_zero 0
	.end_amdhsa_kernel
	.section	.text._ZN7rocprim17ROCPRIM_400000_NS6detail17trampoline_kernelINS0_14default_configENS1_38merge_sort_block_merge_config_selectorIiiEEZZNS1_27merge_sort_block_merge_implIS3_N6thrust23THRUST_200600_302600_NS6detail15normal_iteratorINS8_10device_ptrIiEEEESD_jNS1_19radix_merge_compareILb0ELb1EiNS0_19identity_decomposerEEEEE10hipError_tT0_T1_T2_jT3_P12ihipStream_tbPNSt15iterator_traitsISI_E10value_typeEPNSO_ISJ_E10value_typeEPSK_NS1_7vsmem_tEENKUlT_SI_SJ_SK_E_clIPiSD_S10_SD_EESH_SX_SI_SJ_SK_EUlSX_E0_NS1_11comp_targetILNS1_3genE2ELNS1_11target_archE906ELNS1_3gpuE6ELNS1_3repE0EEENS1_38merge_mergepath_config_static_selectorELNS0_4arch9wavefront6targetE1EEEvSJ_,"axG",@progbits,_ZN7rocprim17ROCPRIM_400000_NS6detail17trampoline_kernelINS0_14default_configENS1_38merge_sort_block_merge_config_selectorIiiEEZZNS1_27merge_sort_block_merge_implIS3_N6thrust23THRUST_200600_302600_NS6detail15normal_iteratorINS8_10device_ptrIiEEEESD_jNS1_19radix_merge_compareILb0ELb1EiNS0_19identity_decomposerEEEEE10hipError_tT0_T1_T2_jT3_P12ihipStream_tbPNSt15iterator_traitsISI_E10value_typeEPNSO_ISJ_E10value_typeEPSK_NS1_7vsmem_tEENKUlT_SI_SJ_SK_E_clIPiSD_S10_SD_EESH_SX_SI_SJ_SK_EUlSX_E0_NS1_11comp_targetILNS1_3genE2ELNS1_11target_archE906ELNS1_3gpuE6ELNS1_3repE0EEENS1_38merge_mergepath_config_static_selectorELNS0_4arch9wavefront6targetE1EEEvSJ_,comdat
.Lfunc_end769:
	.size	_ZN7rocprim17ROCPRIM_400000_NS6detail17trampoline_kernelINS0_14default_configENS1_38merge_sort_block_merge_config_selectorIiiEEZZNS1_27merge_sort_block_merge_implIS3_N6thrust23THRUST_200600_302600_NS6detail15normal_iteratorINS8_10device_ptrIiEEEESD_jNS1_19radix_merge_compareILb0ELb1EiNS0_19identity_decomposerEEEEE10hipError_tT0_T1_T2_jT3_P12ihipStream_tbPNSt15iterator_traitsISI_E10value_typeEPNSO_ISJ_E10value_typeEPSK_NS1_7vsmem_tEENKUlT_SI_SJ_SK_E_clIPiSD_S10_SD_EESH_SX_SI_SJ_SK_EUlSX_E0_NS1_11comp_targetILNS1_3genE2ELNS1_11target_archE906ELNS1_3gpuE6ELNS1_3repE0EEENS1_38merge_mergepath_config_static_selectorELNS0_4arch9wavefront6targetE1EEEvSJ_, .Lfunc_end769-_ZN7rocprim17ROCPRIM_400000_NS6detail17trampoline_kernelINS0_14default_configENS1_38merge_sort_block_merge_config_selectorIiiEEZZNS1_27merge_sort_block_merge_implIS3_N6thrust23THRUST_200600_302600_NS6detail15normal_iteratorINS8_10device_ptrIiEEEESD_jNS1_19radix_merge_compareILb0ELb1EiNS0_19identity_decomposerEEEEE10hipError_tT0_T1_T2_jT3_P12ihipStream_tbPNSt15iterator_traitsISI_E10value_typeEPNSO_ISJ_E10value_typeEPSK_NS1_7vsmem_tEENKUlT_SI_SJ_SK_E_clIPiSD_S10_SD_EESH_SX_SI_SJ_SK_EUlSX_E0_NS1_11comp_targetILNS1_3genE2ELNS1_11target_archE906ELNS1_3gpuE6ELNS1_3repE0EEENS1_38merge_mergepath_config_static_selectorELNS0_4arch9wavefront6targetE1EEEvSJ_
                                        ; -- End function
	.set _ZN7rocprim17ROCPRIM_400000_NS6detail17trampoline_kernelINS0_14default_configENS1_38merge_sort_block_merge_config_selectorIiiEEZZNS1_27merge_sort_block_merge_implIS3_N6thrust23THRUST_200600_302600_NS6detail15normal_iteratorINS8_10device_ptrIiEEEESD_jNS1_19radix_merge_compareILb0ELb1EiNS0_19identity_decomposerEEEEE10hipError_tT0_T1_T2_jT3_P12ihipStream_tbPNSt15iterator_traitsISI_E10value_typeEPNSO_ISJ_E10value_typeEPSK_NS1_7vsmem_tEENKUlT_SI_SJ_SK_E_clIPiSD_S10_SD_EESH_SX_SI_SJ_SK_EUlSX_E0_NS1_11comp_targetILNS1_3genE2ELNS1_11target_archE906ELNS1_3gpuE6ELNS1_3repE0EEENS1_38merge_mergepath_config_static_selectorELNS0_4arch9wavefront6targetE1EEEvSJ_.num_vgpr, 0
	.set _ZN7rocprim17ROCPRIM_400000_NS6detail17trampoline_kernelINS0_14default_configENS1_38merge_sort_block_merge_config_selectorIiiEEZZNS1_27merge_sort_block_merge_implIS3_N6thrust23THRUST_200600_302600_NS6detail15normal_iteratorINS8_10device_ptrIiEEEESD_jNS1_19radix_merge_compareILb0ELb1EiNS0_19identity_decomposerEEEEE10hipError_tT0_T1_T2_jT3_P12ihipStream_tbPNSt15iterator_traitsISI_E10value_typeEPNSO_ISJ_E10value_typeEPSK_NS1_7vsmem_tEENKUlT_SI_SJ_SK_E_clIPiSD_S10_SD_EESH_SX_SI_SJ_SK_EUlSX_E0_NS1_11comp_targetILNS1_3genE2ELNS1_11target_archE906ELNS1_3gpuE6ELNS1_3repE0EEENS1_38merge_mergepath_config_static_selectorELNS0_4arch9wavefront6targetE1EEEvSJ_.num_agpr, 0
	.set _ZN7rocprim17ROCPRIM_400000_NS6detail17trampoline_kernelINS0_14default_configENS1_38merge_sort_block_merge_config_selectorIiiEEZZNS1_27merge_sort_block_merge_implIS3_N6thrust23THRUST_200600_302600_NS6detail15normal_iteratorINS8_10device_ptrIiEEEESD_jNS1_19radix_merge_compareILb0ELb1EiNS0_19identity_decomposerEEEEE10hipError_tT0_T1_T2_jT3_P12ihipStream_tbPNSt15iterator_traitsISI_E10value_typeEPNSO_ISJ_E10value_typeEPSK_NS1_7vsmem_tEENKUlT_SI_SJ_SK_E_clIPiSD_S10_SD_EESH_SX_SI_SJ_SK_EUlSX_E0_NS1_11comp_targetILNS1_3genE2ELNS1_11target_archE906ELNS1_3gpuE6ELNS1_3repE0EEENS1_38merge_mergepath_config_static_selectorELNS0_4arch9wavefront6targetE1EEEvSJ_.numbered_sgpr, 0
	.set _ZN7rocprim17ROCPRIM_400000_NS6detail17trampoline_kernelINS0_14default_configENS1_38merge_sort_block_merge_config_selectorIiiEEZZNS1_27merge_sort_block_merge_implIS3_N6thrust23THRUST_200600_302600_NS6detail15normal_iteratorINS8_10device_ptrIiEEEESD_jNS1_19radix_merge_compareILb0ELb1EiNS0_19identity_decomposerEEEEE10hipError_tT0_T1_T2_jT3_P12ihipStream_tbPNSt15iterator_traitsISI_E10value_typeEPNSO_ISJ_E10value_typeEPSK_NS1_7vsmem_tEENKUlT_SI_SJ_SK_E_clIPiSD_S10_SD_EESH_SX_SI_SJ_SK_EUlSX_E0_NS1_11comp_targetILNS1_3genE2ELNS1_11target_archE906ELNS1_3gpuE6ELNS1_3repE0EEENS1_38merge_mergepath_config_static_selectorELNS0_4arch9wavefront6targetE1EEEvSJ_.num_named_barrier, 0
	.set _ZN7rocprim17ROCPRIM_400000_NS6detail17trampoline_kernelINS0_14default_configENS1_38merge_sort_block_merge_config_selectorIiiEEZZNS1_27merge_sort_block_merge_implIS3_N6thrust23THRUST_200600_302600_NS6detail15normal_iteratorINS8_10device_ptrIiEEEESD_jNS1_19radix_merge_compareILb0ELb1EiNS0_19identity_decomposerEEEEE10hipError_tT0_T1_T2_jT3_P12ihipStream_tbPNSt15iterator_traitsISI_E10value_typeEPNSO_ISJ_E10value_typeEPSK_NS1_7vsmem_tEENKUlT_SI_SJ_SK_E_clIPiSD_S10_SD_EESH_SX_SI_SJ_SK_EUlSX_E0_NS1_11comp_targetILNS1_3genE2ELNS1_11target_archE906ELNS1_3gpuE6ELNS1_3repE0EEENS1_38merge_mergepath_config_static_selectorELNS0_4arch9wavefront6targetE1EEEvSJ_.private_seg_size, 0
	.set _ZN7rocprim17ROCPRIM_400000_NS6detail17trampoline_kernelINS0_14default_configENS1_38merge_sort_block_merge_config_selectorIiiEEZZNS1_27merge_sort_block_merge_implIS3_N6thrust23THRUST_200600_302600_NS6detail15normal_iteratorINS8_10device_ptrIiEEEESD_jNS1_19radix_merge_compareILb0ELb1EiNS0_19identity_decomposerEEEEE10hipError_tT0_T1_T2_jT3_P12ihipStream_tbPNSt15iterator_traitsISI_E10value_typeEPNSO_ISJ_E10value_typeEPSK_NS1_7vsmem_tEENKUlT_SI_SJ_SK_E_clIPiSD_S10_SD_EESH_SX_SI_SJ_SK_EUlSX_E0_NS1_11comp_targetILNS1_3genE2ELNS1_11target_archE906ELNS1_3gpuE6ELNS1_3repE0EEENS1_38merge_mergepath_config_static_selectorELNS0_4arch9wavefront6targetE1EEEvSJ_.uses_vcc, 0
	.set _ZN7rocprim17ROCPRIM_400000_NS6detail17trampoline_kernelINS0_14default_configENS1_38merge_sort_block_merge_config_selectorIiiEEZZNS1_27merge_sort_block_merge_implIS3_N6thrust23THRUST_200600_302600_NS6detail15normal_iteratorINS8_10device_ptrIiEEEESD_jNS1_19radix_merge_compareILb0ELb1EiNS0_19identity_decomposerEEEEE10hipError_tT0_T1_T2_jT3_P12ihipStream_tbPNSt15iterator_traitsISI_E10value_typeEPNSO_ISJ_E10value_typeEPSK_NS1_7vsmem_tEENKUlT_SI_SJ_SK_E_clIPiSD_S10_SD_EESH_SX_SI_SJ_SK_EUlSX_E0_NS1_11comp_targetILNS1_3genE2ELNS1_11target_archE906ELNS1_3gpuE6ELNS1_3repE0EEENS1_38merge_mergepath_config_static_selectorELNS0_4arch9wavefront6targetE1EEEvSJ_.uses_flat_scratch, 0
	.set _ZN7rocprim17ROCPRIM_400000_NS6detail17trampoline_kernelINS0_14default_configENS1_38merge_sort_block_merge_config_selectorIiiEEZZNS1_27merge_sort_block_merge_implIS3_N6thrust23THRUST_200600_302600_NS6detail15normal_iteratorINS8_10device_ptrIiEEEESD_jNS1_19radix_merge_compareILb0ELb1EiNS0_19identity_decomposerEEEEE10hipError_tT0_T1_T2_jT3_P12ihipStream_tbPNSt15iterator_traitsISI_E10value_typeEPNSO_ISJ_E10value_typeEPSK_NS1_7vsmem_tEENKUlT_SI_SJ_SK_E_clIPiSD_S10_SD_EESH_SX_SI_SJ_SK_EUlSX_E0_NS1_11comp_targetILNS1_3genE2ELNS1_11target_archE906ELNS1_3gpuE6ELNS1_3repE0EEENS1_38merge_mergepath_config_static_selectorELNS0_4arch9wavefront6targetE1EEEvSJ_.has_dyn_sized_stack, 0
	.set _ZN7rocprim17ROCPRIM_400000_NS6detail17trampoline_kernelINS0_14default_configENS1_38merge_sort_block_merge_config_selectorIiiEEZZNS1_27merge_sort_block_merge_implIS3_N6thrust23THRUST_200600_302600_NS6detail15normal_iteratorINS8_10device_ptrIiEEEESD_jNS1_19radix_merge_compareILb0ELb1EiNS0_19identity_decomposerEEEEE10hipError_tT0_T1_T2_jT3_P12ihipStream_tbPNSt15iterator_traitsISI_E10value_typeEPNSO_ISJ_E10value_typeEPSK_NS1_7vsmem_tEENKUlT_SI_SJ_SK_E_clIPiSD_S10_SD_EESH_SX_SI_SJ_SK_EUlSX_E0_NS1_11comp_targetILNS1_3genE2ELNS1_11target_archE906ELNS1_3gpuE6ELNS1_3repE0EEENS1_38merge_mergepath_config_static_selectorELNS0_4arch9wavefront6targetE1EEEvSJ_.has_recursion, 0
	.set _ZN7rocprim17ROCPRIM_400000_NS6detail17trampoline_kernelINS0_14default_configENS1_38merge_sort_block_merge_config_selectorIiiEEZZNS1_27merge_sort_block_merge_implIS3_N6thrust23THRUST_200600_302600_NS6detail15normal_iteratorINS8_10device_ptrIiEEEESD_jNS1_19radix_merge_compareILb0ELb1EiNS0_19identity_decomposerEEEEE10hipError_tT0_T1_T2_jT3_P12ihipStream_tbPNSt15iterator_traitsISI_E10value_typeEPNSO_ISJ_E10value_typeEPSK_NS1_7vsmem_tEENKUlT_SI_SJ_SK_E_clIPiSD_S10_SD_EESH_SX_SI_SJ_SK_EUlSX_E0_NS1_11comp_targetILNS1_3genE2ELNS1_11target_archE906ELNS1_3gpuE6ELNS1_3repE0EEENS1_38merge_mergepath_config_static_selectorELNS0_4arch9wavefront6targetE1EEEvSJ_.has_indirect_call, 0
	.section	.AMDGPU.csdata,"",@progbits
; Kernel info:
; codeLenInByte = 0
; TotalNumSgprs: 6
; NumVgprs: 0
; NumAgprs: 0
; TotalNumVgprs: 0
; ScratchSize: 0
; MemoryBound: 0
; FloatMode: 240
; IeeeMode: 1
; LDSByteSize: 0 bytes/workgroup (compile time only)
; SGPRBlocks: 0
; VGPRBlocks: 0
; NumSGPRsForWavesPerEU: 6
; NumVGPRsForWavesPerEU: 1
; AccumOffset: 4
; Occupancy: 8
; WaveLimiterHint : 0
; COMPUTE_PGM_RSRC2:SCRATCH_EN: 0
; COMPUTE_PGM_RSRC2:USER_SGPR: 2
; COMPUTE_PGM_RSRC2:TRAP_HANDLER: 0
; COMPUTE_PGM_RSRC2:TGID_X_EN: 1
; COMPUTE_PGM_RSRC2:TGID_Y_EN: 0
; COMPUTE_PGM_RSRC2:TGID_Z_EN: 0
; COMPUTE_PGM_RSRC2:TIDIG_COMP_CNT: 0
; COMPUTE_PGM_RSRC3_GFX90A:ACCUM_OFFSET: 0
; COMPUTE_PGM_RSRC3_GFX90A:TG_SPLIT: 0
	.section	.text._ZN7rocprim17ROCPRIM_400000_NS6detail17trampoline_kernelINS0_14default_configENS1_38merge_sort_block_merge_config_selectorIiiEEZZNS1_27merge_sort_block_merge_implIS3_N6thrust23THRUST_200600_302600_NS6detail15normal_iteratorINS8_10device_ptrIiEEEESD_jNS1_19radix_merge_compareILb0ELb1EiNS0_19identity_decomposerEEEEE10hipError_tT0_T1_T2_jT3_P12ihipStream_tbPNSt15iterator_traitsISI_E10value_typeEPNSO_ISJ_E10value_typeEPSK_NS1_7vsmem_tEENKUlT_SI_SJ_SK_E_clIPiSD_S10_SD_EESH_SX_SI_SJ_SK_EUlSX_E0_NS1_11comp_targetILNS1_3genE9ELNS1_11target_archE1100ELNS1_3gpuE3ELNS1_3repE0EEENS1_38merge_mergepath_config_static_selectorELNS0_4arch9wavefront6targetE1EEEvSJ_,"axG",@progbits,_ZN7rocprim17ROCPRIM_400000_NS6detail17trampoline_kernelINS0_14default_configENS1_38merge_sort_block_merge_config_selectorIiiEEZZNS1_27merge_sort_block_merge_implIS3_N6thrust23THRUST_200600_302600_NS6detail15normal_iteratorINS8_10device_ptrIiEEEESD_jNS1_19radix_merge_compareILb0ELb1EiNS0_19identity_decomposerEEEEE10hipError_tT0_T1_T2_jT3_P12ihipStream_tbPNSt15iterator_traitsISI_E10value_typeEPNSO_ISJ_E10value_typeEPSK_NS1_7vsmem_tEENKUlT_SI_SJ_SK_E_clIPiSD_S10_SD_EESH_SX_SI_SJ_SK_EUlSX_E0_NS1_11comp_targetILNS1_3genE9ELNS1_11target_archE1100ELNS1_3gpuE3ELNS1_3repE0EEENS1_38merge_mergepath_config_static_selectorELNS0_4arch9wavefront6targetE1EEEvSJ_,comdat
	.protected	_ZN7rocprim17ROCPRIM_400000_NS6detail17trampoline_kernelINS0_14default_configENS1_38merge_sort_block_merge_config_selectorIiiEEZZNS1_27merge_sort_block_merge_implIS3_N6thrust23THRUST_200600_302600_NS6detail15normal_iteratorINS8_10device_ptrIiEEEESD_jNS1_19radix_merge_compareILb0ELb1EiNS0_19identity_decomposerEEEEE10hipError_tT0_T1_T2_jT3_P12ihipStream_tbPNSt15iterator_traitsISI_E10value_typeEPNSO_ISJ_E10value_typeEPSK_NS1_7vsmem_tEENKUlT_SI_SJ_SK_E_clIPiSD_S10_SD_EESH_SX_SI_SJ_SK_EUlSX_E0_NS1_11comp_targetILNS1_3genE9ELNS1_11target_archE1100ELNS1_3gpuE3ELNS1_3repE0EEENS1_38merge_mergepath_config_static_selectorELNS0_4arch9wavefront6targetE1EEEvSJ_ ; -- Begin function _ZN7rocprim17ROCPRIM_400000_NS6detail17trampoline_kernelINS0_14default_configENS1_38merge_sort_block_merge_config_selectorIiiEEZZNS1_27merge_sort_block_merge_implIS3_N6thrust23THRUST_200600_302600_NS6detail15normal_iteratorINS8_10device_ptrIiEEEESD_jNS1_19radix_merge_compareILb0ELb1EiNS0_19identity_decomposerEEEEE10hipError_tT0_T1_T2_jT3_P12ihipStream_tbPNSt15iterator_traitsISI_E10value_typeEPNSO_ISJ_E10value_typeEPSK_NS1_7vsmem_tEENKUlT_SI_SJ_SK_E_clIPiSD_S10_SD_EESH_SX_SI_SJ_SK_EUlSX_E0_NS1_11comp_targetILNS1_3genE9ELNS1_11target_archE1100ELNS1_3gpuE3ELNS1_3repE0EEENS1_38merge_mergepath_config_static_selectorELNS0_4arch9wavefront6targetE1EEEvSJ_
	.globl	_ZN7rocprim17ROCPRIM_400000_NS6detail17trampoline_kernelINS0_14default_configENS1_38merge_sort_block_merge_config_selectorIiiEEZZNS1_27merge_sort_block_merge_implIS3_N6thrust23THRUST_200600_302600_NS6detail15normal_iteratorINS8_10device_ptrIiEEEESD_jNS1_19radix_merge_compareILb0ELb1EiNS0_19identity_decomposerEEEEE10hipError_tT0_T1_T2_jT3_P12ihipStream_tbPNSt15iterator_traitsISI_E10value_typeEPNSO_ISJ_E10value_typeEPSK_NS1_7vsmem_tEENKUlT_SI_SJ_SK_E_clIPiSD_S10_SD_EESH_SX_SI_SJ_SK_EUlSX_E0_NS1_11comp_targetILNS1_3genE9ELNS1_11target_archE1100ELNS1_3gpuE3ELNS1_3repE0EEENS1_38merge_mergepath_config_static_selectorELNS0_4arch9wavefront6targetE1EEEvSJ_
	.p2align	8
	.type	_ZN7rocprim17ROCPRIM_400000_NS6detail17trampoline_kernelINS0_14default_configENS1_38merge_sort_block_merge_config_selectorIiiEEZZNS1_27merge_sort_block_merge_implIS3_N6thrust23THRUST_200600_302600_NS6detail15normal_iteratorINS8_10device_ptrIiEEEESD_jNS1_19radix_merge_compareILb0ELb1EiNS0_19identity_decomposerEEEEE10hipError_tT0_T1_T2_jT3_P12ihipStream_tbPNSt15iterator_traitsISI_E10value_typeEPNSO_ISJ_E10value_typeEPSK_NS1_7vsmem_tEENKUlT_SI_SJ_SK_E_clIPiSD_S10_SD_EESH_SX_SI_SJ_SK_EUlSX_E0_NS1_11comp_targetILNS1_3genE9ELNS1_11target_archE1100ELNS1_3gpuE3ELNS1_3repE0EEENS1_38merge_mergepath_config_static_selectorELNS0_4arch9wavefront6targetE1EEEvSJ_,@function
_ZN7rocprim17ROCPRIM_400000_NS6detail17trampoline_kernelINS0_14default_configENS1_38merge_sort_block_merge_config_selectorIiiEEZZNS1_27merge_sort_block_merge_implIS3_N6thrust23THRUST_200600_302600_NS6detail15normal_iteratorINS8_10device_ptrIiEEEESD_jNS1_19radix_merge_compareILb0ELb1EiNS0_19identity_decomposerEEEEE10hipError_tT0_T1_T2_jT3_P12ihipStream_tbPNSt15iterator_traitsISI_E10value_typeEPNSO_ISJ_E10value_typeEPSK_NS1_7vsmem_tEENKUlT_SI_SJ_SK_E_clIPiSD_S10_SD_EESH_SX_SI_SJ_SK_EUlSX_E0_NS1_11comp_targetILNS1_3genE9ELNS1_11target_archE1100ELNS1_3gpuE3ELNS1_3repE0EEENS1_38merge_mergepath_config_static_selectorELNS0_4arch9wavefront6targetE1EEEvSJ_: ; @_ZN7rocprim17ROCPRIM_400000_NS6detail17trampoline_kernelINS0_14default_configENS1_38merge_sort_block_merge_config_selectorIiiEEZZNS1_27merge_sort_block_merge_implIS3_N6thrust23THRUST_200600_302600_NS6detail15normal_iteratorINS8_10device_ptrIiEEEESD_jNS1_19radix_merge_compareILb0ELb1EiNS0_19identity_decomposerEEEEE10hipError_tT0_T1_T2_jT3_P12ihipStream_tbPNSt15iterator_traitsISI_E10value_typeEPNSO_ISJ_E10value_typeEPSK_NS1_7vsmem_tEENKUlT_SI_SJ_SK_E_clIPiSD_S10_SD_EESH_SX_SI_SJ_SK_EUlSX_E0_NS1_11comp_targetILNS1_3genE9ELNS1_11target_archE1100ELNS1_3gpuE3ELNS1_3repE0EEENS1_38merge_mergepath_config_static_selectorELNS0_4arch9wavefront6targetE1EEEvSJ_
; %bb.0:
	.section	.rodata,"a",@progbits
	.p2align	6, 0x0
	.amdhsa_kernel _ZN7rocprim17ROCPRIM_400000_NS6detail17trampoline_kernelINS0_14default_configENS1_38merge_sort_block_merge_config_selectorIiiEEZZNS1_27merge_sort_block_merge_implIS3_N6thrust23THRUST_200600_302600_NS6detail15normal_iteratorINS8_10device_ptrIiEEEESD_jNS1_19radix_merge_compareILb0ELb1EiNS0_19identity_decomposerEEEEE10hipError_tT0_T1_T2_jT3_P12ihipStream_tbPNSt15iterator_traitsISI_E10value_typeEPNSO_ISJ_E10value_typeEPSK_NS1_7vsmem_tEENKUlT_SI_SJ_SK_E_clIPiSD_S10_SD_EESH_SX_SI_SJ_SK_EUlSX_E0_NS1_11comp_targetILNS1_3genE9ELNS1_11target_archE1100ELNS1_3gpuE3ELNS1_3repE0EEENS1_38merge_mergepath_config_static_selectorELNS0_4arch9wavefront6targetE1EEEvSJ_
		.amdhsa_group_segment_fixed_size 0
		.amdhsa_private_segment_fixed_size 0
		.amdhsa_kernarg_size 64
		.amdhsa_user_sgpr_count 2
		.amdhsa_user_sgpr_dispatch_ptr 0
		.amdhsa_user_sgpr_queue_ptr 0
		.amdhsa_user_sgpr_kernarg_segment_ptr 1
		.amdhsa_user_sgpr_dispatch_id 0
		.amdhsa_user_sgpr_kernarg_preload_length 0
		.amdhsa_user_sgpr_kernarg_preload_offset 0
		.amdhsa_user_sgpr_private_segment_size 0
		.amdhsa_uses_dynamic_stack 0
		.amdhsa_enable_private_segment 0
		.amdhsa_system_sgpr_workgroup_id_x 1
		.amdhsa_system_sgpr_workgroup_id_y 0
		.amdhsa_system_sgpr_workgroup_id_z 0
		.amdhsa_system_sgpr_workgroup_info 0
		.amdhsa_system_vgpr_workitem_id 0
		.amdhsa_next_free_vgpr 1
		.amdhsa_next_free_sgpr 0
		.amdhsa_accum_offset 4
		.amdhsa_reserve_vcc 0
		.amdhsa_float_round_mode_32 0
		.amdhsa_float_round_mode_16_64 0
		.amdhsa_float_denorm_mode_32 3
		.amdhsa_float_denorm_mode_16_64 3
		.amdhsa_dx10_clamp 1
		.amdhsa_ieee_mode 1
		.amdhsa_fp16_overflow 0
		.amdhsa_tg_split 0
		.amdhsa_exception_fp_ieee_invalid_op 0
		.amdhsa_exception_fp_denorm_src 0
		.amdhsa_exception_fp_ieee_div_zero 0
		.amdhsa_exception_fp_ieee_overflow 0
		.amdhsa_exception_fp_ieee_underflow 0
		.amdhsa_exception_fp_ieee_inexact 0
		.amdhsa_exception_int_div_zero 0
	.end_amdhsa_kernel
	.section	.text._ZN7rocprim17ROCPRIM_400000_NS6detail17trampoline_kernelINS0_14default_configENS1_38merge_sort_block_merge_config_selectorIiiEEZZNS1_27merge_sort_block_merge_implIS3_N6thrust23THRUST_200600_302600_NS6detail15normal_iteratorINS8_10device_ptrIiEEEESD_jNS1_19radix_merge_compareILb0ELb1EiNS0_19identity_decomposerEEEEE10hipError_tT0_T1_T2_jT3_P12ihipStream_tbPNSt15iterator_traitsISI_E10value_typeEPNSO_ISJ_E10value_typeEPSK_NS1_7vsmem_tEENKUlT_SI_SJ_SK_E_clIPiSD_S10_SD_EESH_SX_SI_SJ_SK_EUlSX_E0_NS1_11comp_targetILNS1_3genE9ELNS1_11target_archE1100ELNS1_3gpuE3ELNS1_3repE0EEENS1_38merge_mergepath_config_static_selectorELNS0_4arch9wavefront6targetE1EEEvSJ_,"axG",@progbits,_ZN7rocprim17ROCPRIM_400000_NS6detail17trampoline_kernelINS0_14default_configENS1_38merge_sort_block_merge_config_selectorIiiEEZZNS1_27merge_sort_block_merge_implIS3_N6thrust23THRUST_200600_302600_NS6detail15normal_iteratorINS8_10device_ptrIiEEEESD_jNS1_19radix_merge_compareILb0ELb1EiNS0_19identity_decomposerEEEEE10hipError_tT0_T1_T2_jT3_P12ihipStream_tbPNSt15iterator_traitsISI_E10value_typeEPNSO_ISJ_E10value_typeEPSK_NS1_7vsmem_tEENKUlT_SI_SJ_SK_E_clIPiSD_S10_SD_EESH_SX_SI_SJ_SK_EUlSX_E0_NS1_11comp_targetILNS1_3genE9ELNS1_11target_archE1100ELNS1_3gpuE3ELNS1_3repE0EEENS1_38merge_mergepath_config_static_selectorELNS0_4arch9wavefront6targetE1EEEvSJ_,comdat
.Lfunc_end770:
	.size	_ZN7rocprim17ROCPRIM_400000_NS6detail17trampoline_kernelINS0_14default_configENS1_38merge_sort_block_merge_config_selectorIiiEEZZNS1_27merge_sort_block_merge_implIS3_N6thrust23THRUST_200600_302600_NS6detail15normal_iteratorINS8_10device_ptrIiEEEESD_jNS1_19radix_merge_compareILb0ELb1EiNS0_19identity_decomposerEEEEE10hipError_tT0_T1_T2_jT3_P12ihipStream_tbPNSt15iterator_traitsISI_E10value_typeEPNSO_ISJ_E10value_typeEPSK_NS1_7vsmem_tEENKUlT_SI_SJ_SK_E_clIPiSD_S10_SD_EESH_SX_SI_SJ_SK_EUlSX_E0_NS1_11comp_targetILNS1_3genE9ELNS1_11target_archE1100ELNS1_3gpuE3ELNS1_3repE0EEENS1_38merge_mergepath_config_static_selectorELNS0_4arch9wavefront6targetE1EEEvSJ_, .Lfunc_end770-_ZN7rocprim17ROCPRIM_400000_NS6detail17trampoline_kernelINS0_14default_configENS1_38merge_sort_block_merge_config_selectorIiiEEZZNS1_27merge_sort_block_merge_implIS3_N6thrust23THRUST_200600_302600_NS6detail15normal_iteratorINS8_10device_ptrIiEEEESD_jNS1_19radix_merge_compareILb0ELb1EiNS0_19identity_decomposerEEEEE10hipError_tT0_T1_T2_jT3_P12ihipStream_tbPNSt15iterator_traitsISI_E10value_typeEPNSO_ISJ_E10value_typeEPSK_NS1_7vsmem_tEENKUlT_SI_SJ_SK_E_clIPiSD_S10_SD_EESH_SX_SI_SJ_SK_EUlSX_E0_NS1_11comp_targetILNS1_3genE9ELNS1_11target_archE1100ELNS1_3gpuE3ELNS1_3repE0EEENS1_38merge_mergepath_config_static_selectorELNS0_4arch9wavefront6targetE1EEEvSJ_
                                        ; -- End function
	.set _ZN7rocprim17ROCPRIM_400000_NS6detail17trampoline_kernelINS0_14default_configENS1_38merge_sort_block_merge_config_selectorIiiEEZZNS1_27merge_sort_block_merge_implIS3_N6thrust23THRUST_200600_302600_NS6detail15normal_iteratorINS8_10device_ptrIiEEEESD_jNS1_19radix_merge_compareILb0ELb1EiNS0_19identity_decomposerEEEEE10hipError_tT0_T1_T2_jT3_P12ihipStream_tbPNSt15iterator_traitsISI_E10value_typeEPNSO_ISJ_E10value_typeEPSK_NS1_7vsmem_tEENKUlT_SI_SJ_SK_E_clIPiSD_S10_SD_EESH_SX_SI_SJ_SK_EUlSX_E0_NS1_11comp_targetILNS1_3genE9ELNS1_11target_archE1100ELNS1_3gpuE3ELNS1_3repE0EEENS1_38merge_mergepath_config_static_selectorELNS0_4arch9wavefront6targetE1EEEvSJ_.num_vgpr, 0
	.set _ZN7rocprim17ROCPRIM_400000_NS6detail17trampoline_kernelINS0_14default_configENS1_38merge_sort_block_merge_config_selectorIiiEEZZNS1_27merge_sort_block_merge_implIS3_N6thrust23THRUST_200600_302600_NS6detail15normal_iteratorINS8_10device_ptrIiEEEESD_jNS1_19radix_merge_compareILb0ELb1EiNS0_19identity_decomposerEEEEE10hipError_tT0_T1_T2_jT3_P12ihipStream_tbPNSt15iterator_traitsISI_E10value_typeEPNSO_ISJ_E10value_typeEPSK_NS1_7vsmem_tEENKUlT_SI_SJ_SK_E_clIPiSD_S10_SD_EESH_SX_SI_SJ_SK_EUlSX_E0_NS1_11comp_targetILNS1_3genE9ELNS1_11target_archE1100ELNS1_3gpuE3ELNS1_3repE0EEENS1_38merge_mergepath_config_static_selectorELNS0_4arch9wavefront6targetE1EEEvSJ_.num_agpr, 0
	.set _ZN7rocprim17ROCPRIM_400000_NS6detail17trampoline_kernelINS0_14default_configENS1_38merge_sort_block_merge_config_selectorIiiEEZZNS1_27merge_sort_block_merge_implIS3_N6thrust23THRUST_200600_302600_NS6detail15normal_iteratorINS8_10device_ptrIiEEEESD_jNS1_19radix_merge_compareILb0ELb1EiNS0_19identity_decomposerEEEEE10hipError_tT0_T1_T2_jT3_P12ihipStream_tbPNSt15iterator_traitsISI_E10value_typeEPNSO_ISJ_E10value_typeEPSK_NS1_7vsmem_tEENKUlT_SI_SJ_SK_E_clIPiSD_S10_SD_EESH_SX_SI_SJ_SK_EUlSX_E0_NS1_11comp_targetILNS1_3genE9ELNS1_11target_archE1100ELNS1_3gpuE3ELNS1_3repE0EEENS1_38merge_mergepath_config_static_selectorELNS0_4arch9wavefront6targetE1EEEvSJ_.numbered_sgpr, 0
	.set _ZN7rocprim17ROCPRIM_400000_NS6detail17trampoline_kernelINS0_14default_configENS1_38merge_sort_block_merge_config_selectorIiiEEZZNS1_27merge_sort_block_merge_implIS3_N6thrust23THRUST_200600_302600_NS6detail15normal_iteratorINS8_10device_ptrIiEEEESD_jNS1_19radix_merge_compareILb0ELb1EiNS0_19identity_decomposerEEEEE10hipError_tT0_T1_T2_jT3_P12ihipStream_tbPNSt15iterator_traitsISI_E10value_typeEPNSO_ISJ_E10value_typeEPSK_NS1_7vsmem_tEENKUlT_SI_SJ_SK_E_clIPiSD_S10_SD_EESH_SX_SI_SJ_SK_EUlSX_E0_NS1_11comp_targetILNS1_3genE9ELNS1_11target_archE1100ELNS1_3gpuE3ELNS1_3repE0EEENS1_38merge_mergepath_config_static_selectorELNS0_4arch9wavefront6targetE1EEEvSJ_.num_named_barrier, 0
	.set _ZN7rocprim17ROCPRIM_400000_NS6detail17trampoline_kernelINS0_14default_configENS1_38merge_sort_block_merge_config_selectorIiiEEZZNS1_27merge_sort_block_merge_implIS3_N6thrust23THRUST_200600_302600_NS6detail15normal_iteratorINS8_10device_ptrIiEEEESD_jNS1_19radix_merge_compareILb0ELb1EiNS0_19identity_decomposerEEEEE10hipError_tT0_T1_T2_jT3_P12ihipStream_tbPNSt15iterator_traitsISI_E10value_typeEPNSO_ISJ_E10value_typeEPSK_NS1_7vsmem_tEENKUlT_SI_SJ_SK_E_clIPiSD_S10_SD_EESH_SX_SI_SJ_SK_EUlSX_E0_NS1_11comp_targetILNS1_3genE9ELNS1_11target_archE1100ELNS1_3gpuE3ELNS1_3repE0EEENS1_38merge_mergepath_config_static_selectorELNS0_4arch9wavefront6targetE1EEEvSJ_.private_seg_size, 0
	.set _ZN7rocprim17ROCPRIM_400000_NS6detail17trampoline_kernelINS0_14default_configENS1_38merge_sort_block_merge_config_selectorIiiEEZZNS1_27merge_sort_block_merge_implIS3_N6thrust23THRUST_200600_302600_NS6detail15normal_iteratorINS8_10device_ptrIiEEEESD_jNS1_19radix_merge_compareILb0ELb1EiNS0_19identity_decomposerEEEEE10hipError_tT0_T1_T2_jT3_P12ihipStream_tbPNSt15iterator_traitsISI_E10value_typeEPNSO_ISJ_E10value_typeEPSK_NS1_7vsmem_tEENKUlT_SI_SJ_SK_E_clIPiSD_S10_SD_EESH_SX_SI_SJ_SK_EUlSX_E0_NS1_11comp_targetILNS1_3genE9ELNS1_11target_archE1100ELNS1_3gpuE3ELNS1_3repE0EEENS1_38merge_mergepath_config_static_selectorELNS0_4arch9wavefront6targetE1EEEvSJ_.uses_vcc, 0
	.set _ZN7rocprim17ROCPRIM_400000_NS6detail17trampoline_kernelINS0_14default_configENS1_38merge_sort_block_merge_config_selectorIiiEEZZNS1_27merge_sort_block_merge_implIS3_N6thrust23THRUST_200600_302600_NS6detail15normal_iteratorINS8_10device_ptrIiEEEESD_jNS1_19radix_merge_compareILb0ELb1EiNS0_19identity_decomposerEEEEE10hipError_tT0_T1_T2_jT3_P12ihipStream_tbPNSt15iterator_traitsISI_E10value_typeEPNSO_ISJ_E10value_typeEPSK_NS1_7vsmem_tEENKUlT_SI_SJ_SK_E_clIPiSD_S10_SD_EESH_SX_SI_SJ_SK_EUlSX_E0_NS1_11comp_targetILNS1_3genE9ELNS1_11target_archE1100ELNS1_3gpuE3ELNS1_3repE0EEENS1_38merge_mergepath_config_static_selectorELNS0_4arch9wavefront6targetE1EEEvSJ_.uses_flat_scratch, 0
	.set _ZN7rocprim17ROCPRIM_400000_NS6detail17trampoline_kernelINS0_14default_configENS1_38merge_sort_block_merge_config_selectorIiiEEZZNS1_27merge_sort_block_merge_implIS3_N6thrust23THRUST_200600_302600_NS6detail15normal_iteratorINS8_10device_ptrIiEEEESD_jNS1_19radix_merge_compareILb0ELb1EiNS0_19identity_decomposerEEEEE10hipError_tT0_T1_T2_jT3_P12ihipStream_tbPNSt15iterator_traitsISI_E10value_typeEPNSO_ISJ_E10value_typeEPSK_NS1_7vsmem_tEENKUlT_SI_SJ_SK_E_clIPiSD_S10_SD_EESH_SX_SI_SJ_SK_EUlSX_E0_NS1_11comp_targetILNS1_3genE9ELNS1_11target_archE1100ELNS1_3gpuE3ELNS1_3repE0EEENS1_38merge_mergepath_config_static_selectorELNS0_4arch9wavefront6targetE1EEEvSJ_.has_dyn_sized_stack, 0
	.set _ZN7rocprim17ROCPRIM_400000_NS6detail17trampoline_kernelINS0_14default_configENS1_38merge_sort_block_merge_config_selectorIiiEEZZNS1_27merge_sort_block_merge_implIS3_N6thrust23THRUST_200600_302600_NS6detail15normal_iteratorINS8_10device_ptrIiEEEESD_jNS1_19radix_merge_compareILb0ELb1EiNS0_19identity_decomposerEEEEE10hipError_tT0_T1_T2_jT3_P12ihipStream_tbPNSt15iterator_traitsISI_E10value_typeEPNSO_ISJ_E10value_typeEPSK_NS1_7vsmem_tEENKUlT_SI_SJ_SK_E_clIPiSD_S10_SD_EESH_SX_SI_SJ_SK_EUlSX_E0_NS1_11comp_targetILNS1_3genE9ELNS1_11target_archE1100ELNS1_3gpuE3ELNS1_3repE0EEENS1_38merge_mergepath_config_static_selectorELNS0_4arch9wavefront6targetE1EEEvSJ_.has_recursion, 0
	.set _ZN7rocprim17ROCPRIM_400000_NS6detail17trampoline_kernelINS0_14default_configENS1_38merge_sort_block_merge_config_selectorIiiEEZZNS1_27merge_sort_block_merge_implIS3_N6thrust23THRUST_200600_302600_NS6detail15normal_iteratorINS8_10device_ptrIiEEEESD_jNS1_19radix_merge_compareILb0ELb1EiNS0_19identity_decomposerEEEEE10hipError_tT0_T1_T2_jT3_P12ihipStream_tbPNSt15iterator_traitsISI_E10value_typeEPNSO_ISJ_E10value_typeEPSK_NS1_7vsmem_tEENKUlT_SI_SJ_SK_E_clIPiSD_S10_SD_EESH_SX_SI_SJ_SK_EUlSX_E0_NS1_11comp_targetILNS1_3genE9ELNS1_11target_archE1100ELNS1_3gpuE3ELNS1_3repE0EEENS1_38merge_mergepath_config_static_selectorELNS0_4arch9wavefront6targetE1EEEvSJ_.has_indirect_call, 0
	.section	.AMDGPU.csdata,"",@progbits
; Kernel info:
; codeLenInByte = 0
; TotalNumSgprs: 6
; NumVgprs: 0
; NumAgprs: 0
; TotalNumVgprs: 0
; ScratchSize: 0
; MemoryBound: 0
; FloatMode: 240
; IeeeMode: 1
; LDSByteSize: 0 bytes/workgroup (compile time only)
; SGPRBlocks: 0
; VGPRBlocks: 0
; NumSGPRsForWavesPerEU: 6
; NumVGPRsForWavesPerEU: 1
; AccumOffset: 4
; Occupancy: 8
; WaveLimiterHint : 0
; COMPUTE_PGM_RSRC2:SCRATCH_EN: 0
; COMPUTE_PGM_RSRC2:USER_SGPR: 2
; COMPUTE_PGM_RSRC2:TRAP_HANDLER: 0
; COMPUTE_PGM_RSRC2:TGID_X_EN: 1
; COMPUTE_PGM_RSRC2:TGID_Y_EN: 0
; COMPUTE_PGM_RSRC2:TGID_Z_EN: 0
; COMPUTE_PGM_RSRC2:TIDIG_COMP_CNT: 0
; COMPUTE_PGM_RSRC3_GFX90A:ACCUM_OFFSET: 0
; COMPUTE_PGM_RSRC3_GFX90A:TG_SPLIT: 0
	.section	.text._ZN7rocprim17ROCPRIM_400000_NS6detail17trampoline_kernelINS0_14default_configENS1_38merge_sort_block_merge_config_selectorIiiEEZZNS1_27merge_sort_block_merge_implIS3_N6thrust23THRUST_200600_302600_NS6detail15normal_iteratorINS8_10device_ptrIiEEEESD_jNS1_19radix_merge_compareILb0ELb1EiNS0_19identity_decomposerEEEEE10hipError_tT0_T1_T2_jT3_P12ihipStream_tbPNSt15iterator_traitsISI_E10value_typeEPNSO_ISJ_E10value_typeEPSK_NS1_7vsmem_tEENKUlT_SI_SJ_SK_E_clIPiSD_S10_SD_EESH_SX_SI_SJ_SK_EUlSX_E0_NS1_11comp_targetILNS1_3genE8ELNS1_11target_archE1030ELNS1_3gpuE2ELNS1_3repE0EEENS1_38merge_mergepath_config_static_selectorELNS0_4arch9wavefront6targetE1EEEvSJ_,"axG",@progbits,_ZN7rocprim17ROCPRIM_400000_NS6detail17trampoline_kernelINS0_14default_configENS1_38merge_sort_block_merge_config_selectorIiiEEZZNS1_27merge_sort_block_merge_implIS3_N6thrust23THRUST_200600_302600_NS6detail15normal_iteratorINS8_10device_ptrIiEEEESD_jNS1_19radix_merge_compareILb0ELb1EiNS0_19identity_decomposerEEEEE10hipError_tT0_T1_T2_jT3_P12ihipStream_tbPNSt15iterator_traitsISI_E10value_typeEPNSO_ISJ_E10value_typeEPSK_NS1_7vsmem_tEENKUlT_SI_SJ_SK_E_clIPiSD_S10_SD_EESH_SX_SI_SJ_SK_EUlSX_E0_NS1_11comp_targetILNS1_3genE8ELNS1_11target_archE1030ELNS1_3gpuE2ELNS1_3repE0EEENS1_38merge_mergepath_config_static_selectorELNS0_4arch9wavefront6targetE1EEEvSJ_,comdat
	.protected	_ZN7rocprim17ROCPRIM_400000_NS6detail17trampoline_kernelINS0_14default_configENS1_38merge_sort_block_merge_config_selectorIiiEEZZNS1_27merge_sort_block_merge_implIS3_N6thrust23THRUST_200600_302600_NS6detail15normal_iteratorINS8_10device_ptrIiEEEESD_jNS1_19radix_merge_compareILb0ELb1EiNS0_19identity_decomposerEEEEE10hipError_tT0_T1_T2_jT3_P12ihipStream_tbPNSt15iterator_traitsISI_E10value_typeEPNSO_ISJ_E10value_typeEPSK_NS1_7vsmem_tEENKUlT_SI_SJ_SK_E_clIPiSD_S10_SD_EESH_SX_SI_SJ_SK_EUlSX_E0_NS1_11comp_targetILNS1_3genE8ELNS1_11target_archE1030ELNS1_3gpuE2ELNS1_3repE0EEENS1_38merge_mergepath_config_static_selectorELNS0_4arch9wavefront6targetE1EEEvSJ_ ; -- Begin function _ZN7rocprim17ROCPRIM_400000_NS6detail17trampoline_kernelINS0_14default_configENS1_38merge_sort_block_merge_config_selectorIiiEEZZNS1_27merge_sort_block_merge_implIS3_N6thrust23THRUST_200600_302600_NS6detail15normal_iteratorINS8_10device_ptrIiEEEESD_jNS1_19radix_merge_compareILb0ELb1EiNS0_19identity_decomposerEEEEE10hipError_tT0_T1_T2_jT3_P12ihipStream_tbPNSt15iterator_traitsISI_E10value_typeEPNSO_ISJ_E10value_typeEPSK_NS1_7vsmem_tEENKUlT_SI_SJ_SK_E_clIPiSD_S10_SD_EESH_SX_SI_SJ_SK_EUlSX_E0_NS1_11comp_targetILNS1_3genE8ELNS1_11target_archE1030ELNS1_3gpuE2ELNS1_3repE0EEENS1_38merge_mergepath_config_static_selectorELNS0_4arch9wavefront6targetE1EEEvSJ_
	.globl	_ZN7rocprim17ROCPRIM_400000_NS6detail17trampoline_kernelINS0_14default_configENS1_38merge_sort_block_merge_config_selectorIiiEEZZNS1_27merge_sort_block_merge_implIS3_N6thrust23THRUST_200600_302600_NS6detail15normal_iteratorINS8_10device_ptrIiEEEESD_jNS1_19radix_merge_compareILb0ELb1EiNS0_19identity_decomposerEEEEE10hipError_tT0_T1_T2_jT3_P12ihipStream_tbPNSt15iterator_traitsISI_E10value_typeEPNSO_ISJ_E10value_typeEPSK_NS1_7vsmem_tEENKUlT_SI_SJ_SK_E_clIPiSD_S10_SD_EESH_SX_SI_SJ_SK_EUlSX_E0_NS1_11comp_targetILNS1_3genE8ELNS1_11target_archE1030ELNS1_3gpuE2ELNS1_3repE0EEENS1_38merge_mergepath_config_static_selectorELNS0_4arch9wavefront6targetE1EEEvSJ_
	.p2align	8
	.type	_ZN7rocprim17ROCPRIM_400000_NS6detail17trampoline_kernelINS0_14default_configENS1_38merge_sort_block_merge_config_selectorIiiEEZZNS1_27merge_sort_block_merge_implIS3_N6thrust23THRUST_200600_302600_NS6detail15normal_iteratorINS8_10device_ptrIiEEEESD_jNS1_19radix_merge_compareILb0ELb1EiNS0_19identity_decomposerEEEEE10hipError_tT0_T1_T2_jT3_P12ihipStream_tbPNSt15iterator_traitsISI_E10value_typeEPNSO_ISJ_E10value_typeEPSK_NS1_7vsmem_tEENKUlT_SI_SJ_SK_E_clIPiSD_S10_SD_EESH_SX_SI_SJ_SK_EUlSX_E0_NS1_11comp_targetILNS1_3genE8ELNS1_11target_archE1030ELNS1_3gpuE2ELNS1_3repE0EEENS1_38merge_mergepath_config_static_selectorELNS0_4arch9wavefront6targetE1EEEvSJ_,@function
_ZN7rocprim17ROCPRIM_400000_NS6detail17trampoline_kernelINS0_14default_configENS1_38merge_sort_block_merge_config_selectorIiiEEZZNS1_27merge_sort_block_merge_implIS3_N6thrust23THRUST_200600_302600_NS6detail15normal_iteratorINS8_10device_ptrIiEEEESD_jNS1_19radix_merge_compareILb0ELb1EiNS0_19identity_decomposerEEEEE10hipError_tT0_T1_T2_jT3_P12ihipStream_tbPNSt15iterator_traitsISI_E10value_typeEPNSO_ISJ_E10value_typeEPSK_NS1_7vsmem_tEENKUlT_SI_SJ_SK_E_clIPiSD_S10_SD_EESH_SX_SI_SJ_SK_EUlSX_E0_NS1_11comp_targetILNS1_3genE8ELNS1_11target_archE1030ELNS1_3gpuE2ELNS1_3repE0EEENS1_38merge_mergepath_config_static_selectorELNS0_4arch9wavefront6targetE1EEEvSJ_: ; @_ZN7rocprim17ROCPRIM_400000_NS6detail17trampoline_kernelINS0_14default_configENS1_38merge_sort_block_merge_config_selectorIiiEEZZNS1_27merge_sort_block_merge_implIS3_N6thrust23THRUST_200600_302600_NS6detail15normal_iteratorINS8_10device_ptrIiEEEESD_jNS1_19radix_merge_compareILb0ELb1EiNS0_19identity_decomposerEEEEE10hipError_tT0_T1_T2_jT3_P12ihipStream_tbPNSt15iterator_traitsISI_E10value_typeEPNSO_ISJ_E10value_typeEPSK_NS1_7vsmem_tEENKUlT_SI_SJ_SK_E_clIPiSD_S10_SD_EESH_SX_SI_SJ_SK_EUlSX_E0_NS1_11comp_targetILNS1_3genE8ELNS1_11target_archE1030ELNS1_3gpuE2ELNS1_3repE0EEENS1_38merge_mergepath_config_static_selectorELNS0_4arch9wavefront6targetE1EEEvSJ_
; %bb.0:
	.section	.rodata,"a",@progbits
	.p2align	6, 0x0
	.amdhsa_kernel _ZN7rocprim17ROCPRIM_400000_NS6detail17trampoline_kernelINS0_14default_configENS1_38merge_sort_block_merge_config_selectorIiiEEZZNS1_27merge_sort_block_merge_implIS3_N6thrust23THRUST_200600_302600_NS6detail15normal_iteratorINS8_10device_ptrIiEEEESD_jNS1_19radix_merge_compareILb0ELb1EiNS0_19identity_decomposerEEEEE10hipError_tT0_T1_T2_jT3_P12ihipStream_tbPNSt15iterator_traitsISI_E10value_typeEPNSO_ISJ_E10value_typeEPSK_NS1_7vsmem_tEENKUlT_SI_SJ_SK_E_clIPiSD_S10_SD_EESH_SX_SI_SJ_SK_EUlSX_E0_NS1_11comp_targetILNS1_3genE8ELNS1_11target_archE1030ELNS1_3gpuE2ELNS1_3repE0EEENS1_38merge_mergepath_config_static_selectorELNS0_4arch9wavefront6targetE1EEEvSJ_
		.amdhsa_group_segment_fixed_size 0
		.amdhsa_private_segment_fixed_size 0
		.amdhsa_kernarg_size 64
		.amdhsa_user_sgpr_count 2
		.amdhsa_user_sgpr_dispatch_ptr 0
		.amdhsa_user_sgpr_queue_ptr 0
		.amdhsa_user_sgpr_kernarg_segment_ptr 1
		.amdhsa_user_sgpr_dispatch_id 0
		.amdhsa_user_sgpr_kernarg_preload_length 0
		.amdhsa_user_sgpr_kernarg_preload_offset 0
		.amdhsa_user_sgpr_private_segment_size 0
		.amdhsa_uses_dynamic_stack 0
		.amdhsa_enable_private_segment 0
		.amdhsa_system_sgpr_workgroup_id_x 1
		.amdhsa_system_sgpr_workgroup_id_y 0
		.amdhsa_system_sgpr_workgroup_id_z 0
		.amdhsa_system_sgpr_workgroup_info 0
		.amdhsa_system_vgpr_workitem_id 0
		.amdhsa_next_free_vgpr 1
		.amdhsa_next_free_sgpr 0
		.amdhsa_accum_offset 4
		.amdhsa_reserve_vcc 0
		.amdhsa_float_round_mode_32 0
		.amdhsa_float_round_mode_16_64 0
		.amdhsa_float_denorm_mode_32 3
		.amdhsa_float_denorm_mode_16_64 3
		.amdhsa_dx10_clamp 1
		.amdhsa_ieee_mode 1
		.amdhsa_fp16_overflow 0
		.amdhsa_tg_split 0
		.amdhsa_exception_fp_ieee_invalid_op 0
		.amdhsa_exception_fp_denorm_src 0
		.amdhsa_exception_fp_ieee_div_zero 0
		.amdhsa_exception_fp_ieee_overflow 0
		.amdhsa_exception_fp_ieee_underflow 0
		.amdhsa_exception_fp_ieee_inexact 0
		.amdhsa_exception_int_div_zero 0
	.end_amdhsa_kernel
	.section	.text._ZN7rocprim17ROCPRIM_400000_NS6detail17trampoline_kernelINS0_14default_configENS1_38merge_sort_block_merge_config_selectorIiiEEZZNS1_27merge_sort_block_merge_implIS3_N6thrust23THRUST_200600_302600_NS6detail15normal_iteratorINS8_10device_ptrIiEEEESD_jNS1_19radix_merge_compareILb0ELb1EiNS0_19identity_decomposerEEEEE10hipError_tT0_T1_T2_jT3_P12ihipStream_tbPNSt15iterator_traitsISI_E10value_typeEPNSO_ISJ_E10value_typeEPSK_NS1_7vsmem_tEENKUlT_SI_SJ_SK_E_clIPiSD_S10_SD_EESH_SX_SI_SJ_SK_EUlSX_E0_NS1_11comp_targetILNS1_3genE8ELNS1_11target_archE1030ELNS1_3gpuE2ELNS1_3repE0EEENS1_38merge_mergepath_config_static_selectorELNS0_4arch9wavefront6targetE1EEEvSJ_,"axG",@progbits,_ZN7rocprim17ROCPRIM_400000_NS6detail17trampoline_kernelINS0_14default_configENS1_38merge_sort_block_merge_config_selectorIiiEEZZNS1_27merge_sort_block_merge_implIS3_N6thrust23THRUST_200600_302600_NS6detail15normal_iteratorINS8_10device_ptrIiEEEESD_jNS1_19radix_merge_compareILb0ELb1EiNS0_19identity_decomposerEEEEE10hipError_tT0_T1_T2_jT3_P12ihipStream_tbPNSt15iterator_traitsISI_E10value_typeEPNSO_ISJ_E10value_typeEPSK_NS1_7vsmem_tEENKUlT_SI_SJ_SK_E_clIPiSD_S10_SD_EESH_SX_SI_SJ_SK_EUlSX_E0_NS1_11comp_targetILNS1_3genE8ELNS1_11target_archE1030ELNS1_3gpuE2ELNS1_3repE0EEENS1_38merge_mergepath_config_static_selectorELNS0_4arch9wavefront6targetE1EEEvSJ_,comdat
.Lfunc_end771:
	.size	_ZN7rocprim17ROCPRIM_400000_NS6detail17trampoline_kernelINS0_14default_configENS1_38merge_sort_block_merge_config_selectorIiiEEZZNS1_27merge_sort_block_merge_implIS3_N6thrust23THRUST_200600_302600_NS6detail15normal_iteratorINS8_10device_ptrIiEEEESD_jNS1_19radix_merge_compareILb0ELb1EiNS0_19identity_decomposerEEEEE10hipError_tT0_T1_T2_jT3_P12ihipStream_tbPNSt15iterator_traitsISI_E10value_typeEPNSO_ISJ_E10value_typeEPSK_NS1_7vsmem_tEENKUlT_SI_SJ_SK_E_clIPiSD_S10_SD_EESH_SX_SI_SJ_SK_EUlSX_E0_NS1_11comp_targetILNS1_3genE8ELNS1_11target_archE1030ELNS1_3gpuE2ELNS1_3repE0EEENS1_38merge_mergepath_config_static_selectorELNS0_4arch9wavefront6targetE1EEEvSJ_, .Lfunc_end771-_ZN7rocprim17ROCPRIM_400000_NS6detail17trampoline_kernelINS0_14default_configENS1_38merge_sort_block_merge_config_selectorIiiEEZZNS1_27merge_sort_block_merge_implIS3_N6thrust23THRUST_200600_302600_NS6detail15normal_iteratorINS8_10device_ptrIiEEEESD_jNS1_19radix_merge_compareILb0ELb1EiNS0_19identity_decomposerEEEEE10hipError_tT0_T1_T2_jT3_P12ihipStream_tbPNSt15iterator_traitsISI_E10value_typeEPNSO_ISJ_E10value_typeEPSK_NS1_7vsmem_tEENKUlT_SI_SJ_SK_E_clIPiSD_S10_SD_EESH_SX_SI_SJ_SK_EUlSX_E0_NS1_11comp_targetILNS1_3genE8ELNS1_11target_archE1030ELNS1_3gpuE2ELNS1_3repE0EEENS1_38merge_mergepath_config_static_selectorELNS0_4arch9wavefront6targetE1EEEvSJ_
                                        ; -- End function
	.set _ZN7rocprim17ROCPRIM_400000_NS6detail17trampoline_kernelINS0_14default_configENS1_38merge_sort_block_merge_config_selectorIiiEEZZNS1_27merge_sort_block_merge_implIS3_N6thrust23THRUST_200600_302600_NS6detail15normal_iteratorINS8_10device_ptrIiEEEESD_jNS1_19radix_merge_compareILb0ELb1EiNS0_19identity_decomposerEEEEE10hipError_tT0_T1_T2_jT3_P12ihipStream_tbPNSt15iterator_traitsISI_E10value_typeEPNSO_ISJ_E10value_typeEPSK_NS1_7vsmem_tEENKUlT_SI_SJ_SK_E_clIPiSD_S10_SD_EESH_SX_SI_SJ_SK_EUlSX_E0_NS1_11comp_targetILNS1_3genE8ELNS1_11target_archE1030ELNS1_3gpuE2ELNS1_3repE0EEENS1_38merge_mergepath_config_static_selectorELNS0_4arch9wavefront6targetE1EEEvSJ_.num_vgpr, 0
	.set _ZN7rocprim17ROCPRIM_400000_NS6detail17trampoline_kernelINS0_14default_configENS1_38merge_sort_block_merge_config_selectorIiiEEZZNS1_27merge_sort_block_merge_implIS3_N6thrust23THRUST_200600_302600_NS6detail15normal_iteratorINS8_10device_ptrIiEEEESD_jNS1_19radix_merge_compareILb0ELb1EiNS0_19identity_decomposerEEEEE10hipError_tT0_T1_T2_jT3_P12ihipStream_tbPNSt15iterator_traitsISI_E10value_typeEPNSO_ISJ_E10value_typeEPSK_NS1_7vsmem_tEENKUlT_SI_SJ_SK_E_clIPiSD_S10_SD_EESH_SX_SI_SJ_SK_EUlSX_E0_NS1_11comp_targetILNS1_3genE8ELNS1_11target_archE1030ELNS1_3gpuE2ELNS1_3repE0EEENS1_38merge_mergepath_config_static_selectorELNS0_4arch9wavefront6targetE1EEEvSJ_.num_agpr, 0
	.set _ZN7rocprim17ROCPRIM_400000_NS6detail17trampoline_kernelINS0_14default_configENS1_38merge_sort_block_merge_config_selectorIiiEEZZNS1_27merge_sort_block_merge_implIS3_N6thrust23THRUST_200600_302600_NS6detail15normal_iteratorINS8_10device_ptrIiEEEESD_jNS1_19radix_merge_compareILb0ELb1EiNS0_19identity_decomposerEEEEE10hipError_tT0_T1_T2_jT3_P12ihipStream_tbPNSt15iterator_traitsISI_E10value_typeEPNSO_ISJ_E10value_typeEPSK_NS1_7vsmem_tEENKUlT_SI_SJ_SK_E_clIPiSD_S10_SD_EESH_SX_SI_SJ_SK_EUlSX_E0_NS1_11comp_targetILNS1_3genE8ELNS1_11target_archE1030ELNS1_3gpuE2ELNS1_3repE0EEENS1_38merge_mergepath_config_static_selectorELNS0_4arch9wavefront6targetE1EEEvSJ_.numbered_sgpr, 0
	.set _ZN7rocprim17ROCPRIM_400000_NS6detail17trampoline_kernelINS0_14default_configENS1_38merge_sort_block_merge_config_selectorIiiEEZZNS1_27merge_sort_block_merge_implIS3_N6thrust23THRUST_200600_302600_NS6detail15normal_iteratorINS8_10device_ptrIiEEEESD_jNS1_19radix_merge_compareILb0ELb1EiNS0_19identity_decomposerEEEEE10hipError_tT0_T1_T2_jT3_P12ihipStream_tbPNSt15iterator_traitsISI_E10value_typeEPNSO_ISJ_E10value_typeEPSK_NS1_7vsmem_tEENKUlT_SI_SJ_SK_E_clIPiSD_S10_SD_EESH_SX_SI_SJ_SK_EUlSX_E0_NS1_11comp_targetILNS1_3genE8ELNS1_11target_archE1030ELNS1_3gpuE2ELNS1_3repE0EEENS1_38merge_mergepath_config_static_selectorELNS0_4arch9wavefront6targetE1EEEvSJ_.num_named_barrier, 0
	.set _ZN7rocprim17ROCPRIM_400000_NS6detail17trampoline_kernelINS0_14default_configENS1_38merge_sort_block_merge_config_selectorIiiEEZZNS1_27merge_sort_block_merge_implIS3_N6thrust23THRUST_200600_302600_NS6detail15normal_iteratorINS8_10device_ptrIiEEEESD_jNS1_19radix_merge_compareILb0ELb1EiNS0_19identity_decomposerEEEEE10hipError_tT0_T1_T2_jT3_P12ihipStream_tbPNSt15iterator_traitsISI_E10value_typeEPNSO_ISJ_E10value_typeEPSK_NS1_7vsmem_tEENKUlT_SI_SJ_SK_E_clIPiSD_S10_SD_EESH_SX_SI_SJ_SK_EUlSX_E0_NS1_11comp_targetILNS1_3genE8ELNS1_11target_archE1030ELNS1_3gpuE2ELNS1_3repE0EEENS1_38merge_mergepath_config_static_selectorELNS0_4arch9wavefront6targetE1EEEvSJ_.private_seg_size, 0
	.set _ZN7rocprim17ROCPRIM_400000_NS6detail17trampoline_kernelINS0_14default_configENS1_38merge_sort_block_merge_config_selectorIiiEEZZNS1_27merge_sort_block_merge_implIS3_N6thrust23THRUST_200600_302600_NS6detail15normal_iteratorINS8_10device_ptrIiEEEESD_jNS1_19radix_merge_compareILb0ELb1EiNS0_19identity_decomposerEEEEE10hipError_tT0_T1_T2_jT3_P12ihipStream_tbPNSt15iterator_traitsISI_E10value_typeEPNSO_ISJ_E10value_typeEPSK_NS1_7vsmem_tEENKUlT_SI_SJ_SK_E_clIPiSD_S10_SD_EESH_SX_SI_SJ_SK_EUlSX_E0_NS1_11comp_targetILNS1_3genE8ELNS1_11target_archE1030ELNS1_3gpuE2ELNS1_3repE0EEENS1_38merge_mergepath_config_static_selectorELNS0_4arch9wavefront6targetE1EEEvSJ_.uses_vcc, 0
	.set _ZN7rocprim17ROCPRIM_400000_NS6detail17trampoline_kernelINS0_14default_configENS1_38merge_sort_block_merge_config_selectorIiiEEZZNS1_27merge_sort_block_merge_implIS3_N6thrust23THRUST_200600_302600_NS6detail15normal_iteratorINS8_10device_ptrIiEEEESD_jNS1_19radix_merge_compareILb0ELb1EiNS0_19identity_decomposerEEEEE10hipError_tT0_T1_T2_jT3_P12ihipStream_tbPNSt15iterator_traitsISI_E10value_typeEPNSO_ISJ_E10value_typeEPSK_NS1_7vsmem_tEENKUlT_SI_SJ_SK_E_clIPiSD_S10_SD_EESH_SX_SI_SJ_SK_EUlSX_E0_NS1_11comp_targetILNS1_3genE8ELNS1_11target_archE1030ELNS1_3gpuE2ELNS1_3repE0EEENS1_38merge_mergepath_config_static_selectorELNS0_4arch9wavefront6targetE1EEEvSJ_.uses_flat_scratch, 0
	.set _ZN7rocprim17ROCPRIM_400000_NS6detail17trampoline_kernelINS0_14default_configENS1_38merge_sort_block_merge_config_selectorIiiEEZZNS1_27merge_sort_block_merge_implIS3_N6thrust23THRUST_200600_302600_NS6detail15normal_iteratorINS8_10device_ptrIiEEEESD_jNS1_19radix_merge_compareILb0ELb1EiNS0_19identity_decomposerEEEEE10hipError_tT0_T1_T2_jT3_P12ihipStream_tbPNSt15iterator_traitsISI_E10value_typeEPNSO_ISJ_E10value_typeEPSK_NS1_7vsmem_tEENKUlT_SI_SJ_SK_E_clIPiSD_S10_SD_EESH_SX_SI_SJ_SK_EUlSX_E0_NS1_11comp_targetILNS1_3genE8ELNS1_11target_archE1030ELNS1_3gpuE2ELNS1_3repE0EEENS1_38merge_mergepath_config_static_selectorELNS0_4arch9wavefront6targetE1EEEvSJ_.has_dyn_sized_stack, 0
	.set _ZN7rocprim17ROCPRIM_400000_NS6detail17trampoline_kernelINS0_14default_configENS1_38merge_sort_block_merge_config_selectorIiiEEZZNS1_27merge_sort_block_merge_implIS3_N6thrust23THRUST_200600_302600_NS6detail15normal_iteratorINS8_10device_ptrIiEEEESD_jNS1_19radix_merge_compareILb0ELb1EiNS0_19identity_decomposerEEEEE10hipError_tT0_T1_T2_jT3_P12ihipStream_tbPNSt15iterator_traitsISI_E10value_typeEPNSO_ISJ_E10value_typeEPSK_NS1_7vsmem_tEENKUlT_SI_SJ_SK_E_clIPiSD_S10_SD_EESH_SX_SI_SJ_SK_EUlSX_E0_NS1_11comp_targetILNS1_3genE8ELNS1_11target_archE1030ELNS1_3gpuE2ELNS1_3repE0EEENS1_38merge_mergepath_config_static_selectorELNS0_4arch9wavefront6targetE1EEEvSJ_.has_recursion, 0
	.set _ZN7rocprim17ROCPRIM_400000_NS6detail17trampoline_kernelINS0_14default_configENS1_38merge_sort_block_merge_config_selectorIiiEEZZNS1_27merge_sort_block_merge_implIS3_N6thrust23THRUST_200600_302600_NS6detail15normal_iteratorINS8_10device_ptrIiEEEESD_jNS1_19radix_merge_compareILb0ELb1EiNS0_19identity_decomposerEEEEE10hipError_tT0_T1_T2_jT3_P12ihipStream_tbPNSt15iterator_traitsISI_E10value_typeEPNSO_ISJ_E10value_typeEPSK_NS1_7vsmem_tEENKUlT_SI_SJ_SK_E_clIPiSD_S10_SD_EESH_SX_SI_SJ_SK_EUlSX_E0_NS1_11comp_targetILNS1_3genE8ELNS1_11target_archE1030ELNS1_3gpuE2ELNS1_3repE0EEENS1_38merge_mergepath_config_static_selectorELNS0_4arch9wavefront6targetE1EEEvSJ_.has_indirect_call, 0
	.section	.AMDGPU.csdata,"",@progbits
; Kernel info:
; codeLenInByte = 0
; TotalNumSgprs: 6
; NumVgprs: 0
; NumAgprs: 0
; TotalNumVgprs: 0
; ScratchSize: 0
; MemoryBound: 0
; FloatMode: 240
; IeeeMode: 1
; LDSByteSize: 0 bytes/workgroup (compile time only)
; SGPRBlocks: 0
; VGPRBlocks: 0
; NumSGPRsForWavesPerEU: 6
; NumVGPRsForWavesPerEU: 1
; AccumOffset: 4
; Occupancy: 8
; WaveLimiterHint : 0
; COMPUTE_PGM_RSRC2:SCRATCH_EN: 0
; COMPUTE_PGM_RSRC2:USER_SGPR: 2
; COMPUTE_PGM_RSRC2:TRAP_HANDLER: 0
; COMPUTE_PGM_RSRC2:TGID_X_EN: 1
; COMPUTE_PGM_RSRC2:TGID_Y_EN: 0
; COMPUTE_PGM_RSRC2:TGID_Z_EN: 0
; COMPUTE_PGM_RSRC2:TIDIG_COMP_CNT: 0
; COMPUTE_PGM_RSRC3_GFX90A:ACCUM_OFFSET: 0
; COMPUTE_PGM_RSRC3_GFX90A:TG_SPLIT: 0
	.section	.text._ZN7rocprim17ROCPRIM_400000_NS6detail17trampoline_kernelINS0_14default_configENS1_38merge_sort_block_merge_config_selectorIiiEEZZNS1_27merge_sort_block_merge_implIS3_N6thrust23THRUST_200600_302600_NS6detail15normal_iteratorINS8_10device_ptrIiEEEESD_jNS1_19radix_merge_compareILb0ELb1EiNS0_19identity_decomposerEEEEE10hipError_tT0_T1_T2_jT3_P12ihipStream_tbPNSt15iterator_traitsISI_E10value_typeEPNSO_ISJ_E10value_typeEPSK_NS1_7vsmem_tEENKUlT_SI_SJ_SK_E_clIPiSD_S10_SD_EESH_SX_SI_SJ_SK_EUlSX_E1_NS1_11comp_targetILNS1_3genE0ELNS1_11target_archE4294967295ELNS1_3gpuE0ELNS1_3repE0EEENS1_36merge_oddeven_config_static_selectorELNS0_4arch9wavefront6targetE1EEEvSJ_,"axG",@progbits,_ZN7rocprim17ROCPRIM_400000_NS6detail17trampoline_kernelINS0_14default_configENS1_38merge_sort_block_merge_config_selectorIiiEEZZNS1_27merge_sort_block_merge_implIS3_N6thrust23THRUST_200600_302600_NS6detail15normal_iteratorINS8_10device_ptrIiEEEESD_jNS1_19radix_merge_compareILb0ELb1EiNS0_19identity_decomposerEEEEE10hipError_tT0_T1_T2_jT3_P12ihipStream_tbPNSt15iterator_traitsISI_E10value_typeEPNSO_ISJ_E10value_typeEPSK_NS1_7vsmem_tEENKUlT_SI_SJ_SK_E_clIPiSD_S10_SD_EESH_SX_SI_SJ_SK_EUlSX_E1_NS1_11comp_targetILNS1_3genE0ELNS1_11target_archE4294967295ELNS1_3gpuE0ELNS1_3repE0EEENS1_36merge_oddeven_config_static_selectorELNS0_4arch9wavefront6targetE1EEEvSJ_,comdat
	.protected	_ZN7rocprim17ROCPRIM_400000_NS6detail17trampoline_kernelINS0_14default_configENS1_38merge_sort_block_merge_config_selectorIiiEEZZNS1_27merge_sort_block_merge_implIS3_N6thrust23THRUST_200600_302600_NS6detail15normal_iteratorINS8_10device_ptrIiEEEESD_jNS1_19radix_merge_compareILb0ELb1EiNS0_19identity_decomposerEEEEE10hipError_tT0_T1_T2_jT3_P12ihipStream_tbPNSt15iterator_traitsISI_E10value_typeEPNSO_ISJ_E10value_typeEPSK_NS1_7vsmem_tEENKUlT_SI_SJ_SK_E_clIPiSD_S10_SD_EESH_SX_SI_SJ_SK_EUlSX_E1_NS1_11comp_targetILNS1_3genE0ELNS1_11target_archE4294967295ELNS1_3gpuE0ELNS1_3repE0EEENS1_36merge_oddeven_config_static_selectorELNS0_4arch9wavefront6targetE1EEEvSJ_ ; -- Begin function _ZN7rocprim17ROCPRIM_400000_NS6detail17trampoline_kernelINS0_14default_configENS1_38merge_sort_block_merge_config_selectorIiiEEZZNS1_27merge_sort_block_merge_implIS3_N6thrust23THRUST_200600_302600_NS6detail15normal_iteratorINS8_10device_ptrIiEEEESD_jNS1_19radix_merge_compareILb0ELb1EiNS0_19identity_decomposerEEEEE10hipError_tT0_T1_T2_jT3_P12ihipStream_tbPNSt15iterator_traitsISI_E10value_typeEPNSO_ISJ_E10value_typeEPSK_NS1_7vsmem_tEENKUlT_SI_SJ_SK_E_clIPiSD_S10_SD_EESH_SX_SI_SJ_SK_EUlSX_E1_NS1_11comp_targetILNS1_3genE0ELNS1_11target_archE4294967295ELNS1_3gpuE0ELNS1_3repE0EEENS1_36merge_oddeven_config_static_selectorELNS0_4arch9wavefront6targetE1EEEvSJ_
	.globl	_ZN7rocprim17ROCPRIM_400000_NS6detail17trampoline_kernelINS0_14default_configENS1_38merge_sort_block_merge_config_selectorIiiEEZZNS1_27merge_sort_block_merge_implIS3_N6thrust23THRUST_200600_302600_NS6detail15normal_iteratorINS8_10device_ptrIiEEEESD_jNS1_19radix_merge_compareILb0ELb1EiNS0_19identity_decomposerEEEEE10hipError_tT0_T1_T2_jT3_P12ihipStream_tbPNSt15iterator_traitsISI_E10value_typeEPNSO_ISJ_E10value_typeEPSK_NS1_7vsmem_tEENKUlT_SI_SJ_SK_E_clIPiSD_S10_SD_EESH_SX_SI_SJ_SK_EUlSX_E1_NS1_11comp_targetILNS1_3genE0ELNS1_11target_archE4294967295ELNS1_3gpuE0ELNS1_3repE0EEENS1_36merge_oddeven_config_static_selectorELNS0_4arch9wavefront6targetE1EEEvSJ_
	.p2align	8
	.type	_ZN7rocprim17ROCPRIM_400000_NS6detail17trampoline_kernelINS0_14default_configENS1_38merge_sort_block_merge_config_selectorIiiEEZZNS1_27merge_sort_block_merge_implIS3_N6thrust23THRUST_200600_302600_NS6detail15normal_iteratorINS8_10device_ptrIiEEEESD_jNS1_19radix_merge_compareILb0ELb1EiNS0_19identity_decomposerEEEEE10hipError_tT0_T1_T2_jT3_P12ihipStream_tbPNSt15iterator_traitsISI_E10value_typeEPNSO_ISJ_E10value_typeEPSK_NS1_7vsmem_tEENKUlT_SI_SJ_SK_E_clIPiSD_S10_SD_EESH_SX_SI_SJ_SK_EUlSX_E1_NS1_11comp_targetILNS1_3genE0ELNS1_11target_archE4294967295ELNS1_3gpuE0ELNS1_3repE0EEENS1_36merge_oddeven_config_static_selectorELNS0_4arch9wavefront6targetE1EEEvSJ_,@function
_ZN7rocprim17ROCPRIM_400000_NS6detail17trampoline_kernelINS0_14default_configENS1_38merge_sort_block_merge_config_selectorIiiEEZZNS1_27merge_sort_block_merge_implIS3_N6thrust23THRUST_200600_302600_NS6detail15normal_iteratorINS8_10device_ptrIiEEEESD_jNS1_19radix_merge_compareILb0ELb1EiNS0_19identity_decomposerEEEEE10hipError_tT0_T1_T2_jT3_P12ihipStream_tbPNSt15iterator_traitsISI_E10value_typeEPNSO_ISJ_E10value_typeEPSK_NS1_7vsmem_tEENKUlT_SI_SJ_SK_E_clIPiSD_S10_SD_EESH_SX_SI_SJ_SK_EUlSX_E1_NS1_11comp_targetILNS1_3genE0ELNS1_11target_archE4294967295ELNS1_3gpuE0ELNS1_3repE0EEENS1_36merge_oddeven_config_static_selectorELNS0_4arch9wavefront6targetE1EEEvSJ_: ; @_ZN7rocprim17ROCPRIM_400000_NS6detail17trampoline_kernelINS0_14default_configENS1_38merge_sort_block_merge_config_selectorIiiEEZZNS1_27merge_sort_block_merge_implIS3_N6thrust23THRUST_200600_302600_NS6detail15normal_iteratorINS8_10device_ptrIiEEEESD_jNS1_19radix_merge_compareILb0ELb1EiNS0_19identity_decomposerEEEEE10hipError_tT0_T1_T2_jT3_P12ihipStream_tbPNSt15iterator_traitsISI_E10value_typeEPNSO_ISJ_E10value_typeEPSK_NS1_7vsmem_tEENKUlT_SI_SJ_SK_E_clIPiSD_S10_SD_EESH_SX_SI_SJ_SK_EUlSX_E1_NS1_11comp_targetILNS1_3genE0ELNS1_11target_archE4294967295ELNS1_3gpuE0ELNS1_3repE0EEENS1_36merge_oddeven_config_static_selectorELNS0_4arch9wavefront6targetE1EEEvSJ_
; %bb.0:
	s_load_dword s20, s[0:1], 0x20
	s_waitcnt lgkmcnt(0)
	s_lshr_b32 s3, s20, 8
	s_cmp_eq_u32 s2, s3
	s_cselect_b64 s[16:17], -1, 0
	s_cmp_lg_u32 s2, s3
	s_cselect_b64 s[4:5], -1, 0
	s_lshl_b32 s18, s2, 8
	s_sub_i32 s3, s20, s18
	v_cmp_gt_u32_e64 s[6:7], s3, v0
	s_or_b64 s[4:5], s[4:5], s[6:7]
	s_and_saveexec_b64 s[8:9], s[4:5]
	s_cbranch_execz .LBB772_24
; %bb.1:
	s_load_dwordx8 s[8:15], s[0:1], 0x0
	s_mov_b32 s19, 0
	s_lshl_b64 s[4:5], s[18:19], 2
	v_lshlrev_b32_e32 v1, 2, v0
	s_load_dword s19, s[0:1], 0x24
	s_waitcnt lgkmcnt(0)
	s_add_u32 s22, s8, s4
	s_addc_u32 s23, s9, s5
	s_add_u32 s4, s12, s4
	s_addc_u32 s5, s13, s5
	global_load_dword v2, v1, s[4:5]
	global_load_dword v3, v1, s[22:23]
	s_lshr_b32 s3, s19, 8
	s_sub_i32 s4, 0, s3
	s_and_b32 s2, s2, s4
	s_and_b32 s3, s2, s3
	s_lshl_b32 s21, s2, 8
	s_sub_i32 s12, 0, s19
	s_cmp_eq_u32 s3, 0
	s_cselect_b64 s[4:5], -1, 0
	s_and_b64 s[2:3], s[4:5], exec
	s_cselect_b32 s12, s19, s12
	s_add_i32 s12, s12, s21
	s_mov_b64 s[2:3], -1
	s_cmp_gt_u32 s20, s12
	v_add_u32_e32 v0, s18, v0
	s_cbranch_scc1 .LBB772_9
; %bb.2:
	s_and_b64 vcc, exec, s[16:17]
	s_cbranch_vccz .LBB772_6
; %bb.3:
	v_cmp_gt_u32_e32 vcc, s20, v0
	s_and_saveexec_b64 s[2:3], vcc
	s_cbranch_execz .LBB772_5
; %bb.4:
	v_mov_b32_e32 v1, 0
	v_lshlrev_b64 v[4:5], 2, v[0:1]
	v_lshl_add_u64 v[6:7], s[10:11], 0, v[4:5]
	v_lshl_add_u64 v[4:5], s[14:15], 0, v[4:5]
	s_waitcnt vmcnt(0)
	global_store_dword v[6:7], v3, off
	global_store_dword v[4:5], v2, off
.LBB772_5:
	s_or_b64 exec, exec, s[2:3]
	s_mov_b64 s[2:3], 0
.LBB772_6:
	s_andn2_b64 vcc, exec, s[2:3]
	s_cbranch_vccnz .LBB772_8
; %bb.7:
	v_mov_b32_e32 v1, 0
	v_lshlrev_b64 v[4:5], 2, v[0:1]
	v_lshl_add_u64 v[6:7], s[10:11], 0, v[4:5]
	v_lshl_add_u64 v[4:5], s[14:15], 0, v[4:5]
	s_waitcnt vmcnt(0)
	global_store_dword v[6:7], v3, off
	global_store_dword v[4:5], v2, off
.LBB772_8:
	s_mov_b64 s[2:3], 0
.LBB772_9:
	s_andn2_b64 vcc, exec, s[2:3]
	s_cbranch_vccnz .LBB772_24
; %bb.10:
	s_load_dword s13, s[0:1], 0x28
	s_min_u32 s18, s12, s20
	s_add_i32 s0, s18, s19
	s_min_u32 s19, s0, s20
	s_min_u32 s0, s21, s18
	s_add_i32 s21, s21, s18
	v_subrev_u32_e32 v0, s21, v0
	v_add_u32_e32 v4, s0, v0
	s_waitcnt vmcnt(0) lgkmcnt(0)
	v_and_b32_e32 v5, s13, v3
	s_mov_b64 s[0:1], -1
	s_and_b64 vcc, exec, s[16:17]
	s_cbranch_vccz .LBB772_18
; %bb.11:
	s_and_saveexec_b64 s[0:1], s[6:7]
	s_cbranch_execz .LBB772_17
; %bb.12:
	s_cmp_ge_u32 s12, s19
	v_mov_b32_e32 v6, s18
	s_cbranch_scc1 .LBB772_16
; %bb.13:
	s_mov_b64 s[2:3], 0
	v_mov_b32_e32 v7, s19
	v_mov_b32_e32 v6, s18
	;; [unrolled: 1-line block ×3, first 2 shown]
.LBB772_14:                             ; =>This Inner Loop Header: Depth=1
	v_add_u32_e32 v0, v6, v7
	v_lshrrev_b32_e32 v0, 1, v0
	v_lshl_add_u64 v[8:9], v[0:1], 2, s[8:9]
	global_load_dword v8, v[8:9], off
	v_add_u32_e32 v9, 1, v0
	s_waitcnt vmcnt(0)
	v_and_b32_e32 v8, s13, v8
	v_cmp_gt_i32_e32 vcc, v5, v8
	s_nop 1
	v_cndmask_b32_e64 v10, 0, 1, vcc
	v_cmp_le_i32_e32 vcc, v8, v5
	s_nop 1
	v_cndmask_b32_e64 v8, 0, 1, vcc
	v_cndmask_b32_e64 v8, v8, v10, s[4:5]
	v_and_b32_e32 v8, 1, v8
	v_cmp_eq_u32_e32 vcc, 1, v8
	s_nop 1
	v_cndmask_b32_e32 v7, v0, v7, vcc
	v_cndmask_b32_e32 v6, v6, v9, vcc
	v_cmp_ge_u32_e32 vcc, v6, v7
	s_or_b64 s[2:3], vcc, s[2:3]
	s_andn2_b64 exec, exec, s[2:3]
	s_cbranch_execnz .LBB772_14
; %bb.15:
	s_or_b64 exec, exec, s[2:3]
.LBB772_16:
	v_add_u32_e32 v0, v6, v4
	v_mov_b32_e32 v1, 0
	v_lshlrev_b64 v[0:1], 2, v[0:1]
	v_lshl_add_u64 v[6:7], s[10:11], 0, v[0:1]
	v_lshl_add_u64 v[0:1], s[14:15], 0, v[0:1]
	global_store_dword v[6:7], v3, off
	global_store_dword v[0:1], v2, off
.LBB772_17:
	s_or_b64 exec, exec, s[0:1]
	s_mov_b64 s[0:1], 0
.LBB772_18:
	s_andn2_b64 vcc, exec, s[0:1]
	s_cbranch_vccnz .LBB772_24
; %bb.19:
	s_cmp_ge_u32 s12, s19
	v_mov_b32_e32 v6, s18
	s_cbranch_scc1 .LBB772_23
; %bb.20:
	s_mov_b64 s[0:1], 0
	v_mov_b32_e32 v7, s19
	v_mov_b32_e32 v6, s18
	;; [unrolled: 1-line block ×3, first 2 shown]
.LBB772_21:                             ; =>This Inner Loop Header: Depth=1
	v_add_u32_e32 v0, v6, v7
	v_lshrrev_b32_e32 v0, 1, v0
	v_lshl_add_u64 v[8:9], v[0:1], 2, s[8:9]
	global_load_dword v8, v[8:9], off
	v_add_u32_e32 v9, 1, v0
	s_waitcnt vmcnt(0)
	v_and_b32_e32 v8, s13, v8
	v_cmp_gt_i32_e32 vcc, v5, v8
	s_nop 1
	v_cndmask_b32_e64 v10, 0, 1, vcc
	v_cmp_le_i32_e32 vcc, v8, v5
	s_nop 1
	v_cndmask_b32_e64 v8, 0, 1, vcc
	v_cndmask_b32_e64 v8, v8, v10, s[4:5]
	v_and_b32_e32 v8, 1, v8
	v_cmp_eq_u32_e32 vcc, 1, v8
	s_nop 1
	v_cndmask_b32_e32 v7, v0, v7, vcc
	v_cndmask_b32_e32 v6, v6, v9, vcc
	v_cmp_ge_u32_e32 vcc, v6, v7
	s_or_b64 s[0:1], vcc, s[0:1]
	s_andn2_b64 exec, exec, s[0:1]
	s_cbranch_execnz .LBB772_21
; %bb.22:
	s_or_b64 exec, exec, s[0:1]
.LBB772_23:
	v_add_u32_e32 v0, v6, v4
	v_mov_b32_e32 v1, 0
	v_lshlrev_b64 v[0:1], 2, v[0:1]
	v_lshl_add_u64 v[4:5], s[10:11], 0, v[0:1]
	v_lshl_add_u64 v[0:1], s[14:15], 0, v[0:1]
	global_store_dword v[4:5], v3, off
	global_store_dword v[0:1], v2, off
.LBB772_24:
	s_endpgm
	.section	.rodata,"a",@progbits
	.p2align	6, 0x0
	.amdhsa_kernel _ZN7rocprim17ROCPRIM_400000_NS6detail17trampoline_kernelINS0_14default_configENS1_38merge_sort_block_merge_config_selectorIiiEEZZNS1_27merge_sort_block_merge_implIS3_N6thrust23THRUST_200600_302600_NS6detail15normal_iteratorINS8_10device_ptrIiEEEESD_jNS1_19radix_merge_compareILb0ELb1EiNS0_19identity_decomposerEEEEE10hipError_tT0_T1_T2_jT3_P12ihipStream_tbPNSt15iterator_traitsISI_E10value_typeEPNSO_ISJ_E10value_typeEPSK_NS1_7vsmem_tEENKUlT_SI_SJ_SK_E_clIPiSD_S10_SD_EESH_SX_SI_SJ_SK_EUlSX_E1_NS1_11comp_targetILNS1_3genE0ELNS1_11target_archE4294967295ELNS1_3gpuE0ELNS1_3repE0EEENS1_36merge_oddeven_config_static_selectorELNS0_4arch9wavefront6targetE1EEEvSJ_
		.amdhsa_group_segment_fixed_size 0
		.amdhsa_private_segment_fixed_size 0
		.amdhsa_kernarg_size 48
		.amdhsa_user_sgpr_count 2
		.amdhsa_user_sgpr_dispatch_ptr 0
		.amdhsa_user_sgpr_queue_ptr 0
		.amdhsa_user_sgpr_kernarg_segment_ptr 1
		.amdhsa_user_sgpr_dispatch_id 0
		.amdhsa_user_sgpr_kernarg_preload_length 0
		.amdhsa_user_sgpr_kernarg_preload_offset 0
		.amdhsa_user_sgpr_private_segment_size 0
		.amdhsa_uses_dynamic_stack 0
		.amdhsa_enable_private_segment 0
		.amdhsa_system_sgpr_workgroup_id_x 1
		.amdhsa_system_sgpr_workgroup_id_y 0
		.amdhsa_system_sgpr_workgroup_id_z 0
		.amdhsa_system_sgpr_workgroup_info 0
		.amdhsa_system_vgpr_workitem_id 0
		.amdhsa_next_free_vgpr 11
		.amdhsa_next_free_sgpr 24
		.amdhsa_accum_offset 12
		.amdhsa_reserve_vcc 1
		.amdhsa_float_round_mode_32 0
		.amdhsa_float_round_mode_16_64 0
		.amdhsa_float_denorm_mode_32 3
		.amdhsa_float_denorm_mode_16_64 3
		.amdhsa_dx10_clamp 1
		.amdhsa_ieee_mode 1
		.amdhsa_fp16_overflow 0
		.amdhsa_tg_split 0
		.amdhsa_exception_fp_ieee_invalid_op 0
		.amdhsa_exception_fp_denorm_src 0
		.amdhsa_exception_fp_ieee_div_zero 0
		.amdhsa_exception_fp_ieee_overflow 0
		.amdhsa_exception_fp_ieee_underflow 0
		.amdhsa_exception_fp_ieee_inexact 0
		.amdhsa_exception_int_div_zero 0
	.end_amdhsa_kernel
	.section	.text._ZN7rocprim17ROCPRIM_400000_NS6detail17trampoline_kernelINS0_14default_configENS1_38merge_sort_block_merge_config_selectorIiiEEZZNS1_27merge_sort_block_merge_implIS3_N6thrust23THRUST_200600_302600_NS6detail15normal_iteratorINS8_10device_ptrIiEEEESD_jNS1_19radix_merge_compareILb0ELb1EiNS0_19identity_decomposerEEEEE10hipError_tT0_T1_T2_jT3_P12ihipStream_tbPNSt15iterator_traitsISI_E10value_typeEPNSO_ISJ_E10value_typeEPSK_NS1_7vsmem_tEENKUlT_SI_SJ_SK_E_clIPiSD_S10_SD_EESH_SX_SI_SJ_SK_EUlSX_E1_NS1_11comp_targetILNS1_3genE0ELNS1_11target_archE4294967295ELNS1_3gpuE0ELNS1_3repE0EEENS1_36merge_oddeven_config_static_selectorELNS0_4arch9wavefront6targetE1EEEvSJ_,"axG",@progbits,_ZN7rocprim17ROCPRIM_400000_NS6detail17trampoline_kernelINS0_14default_configENS1_38merge_sort_block_merge_config_selectorIiiEEZZNS1_27merge_sort_block_merge_implIS3_N6thrust23THRUST_200600_302600_NS6detail15normal_iteratorINS8_10device_ptrIiEEEESD_jNS1_19radix_merge_compareILb0ELb1EiNS0_19identity_decomposerEEEEE10hipError_tT0_T1_T2_jT3_P12ihipStream_tbPNSt15iterator_traitsISI_E10value_typeEPNSO_ISJ_E10value_typeEPSK_NS1_7vsmem_tEENKUlT_SI_SJ_SK_E_clIPiSD_S10_SD_EESH_SX_SI_SJ_SK_EUlSX_E1_NS1_11comp_targetILNS1_3genE0ELNS1_11target_archE4294967295ELNS1_3gpuE0ELNS1_3repE0EEENS1_36merge_oddeven_config_static_selectorELNS0_4arch9wavefront6targetE1EEEvSJ_,comdat
.Lfunc_end772:
	.size	_ZN7rocprim17ROCPRIM_400000_NS6detail17trampoline_kernelINS0_14default_configENS1_38merge_sort_block_merge_config_selectorIiiEEZZNS1_27merge_sort_block_merge_implIS3_N6thrust23THRUST_200600_302600_NS6detail15normal_iteratorINS8_10device_ptrIiEEEESD_jNS1_19radix_merge_compareILb0ELb1EiNS0_19identity_decomposerEEEEE10hipError_tT0_T1_T2_jT3_P12ihipStream_tbPNSt15iterator_traitsISI_E10value_typeEPNSO_ISJ_E10value_typeEPSK_NS1_7vsmem_tEENKUlT_SI_SJ_SK_E_clIPiSD_S10_SD_EESH_SX_SI_SJ_SK_EUlSX_E1_NS1_11comp_targetILNS1_3genE0ELNS1_11target_archE4294967295ELNS1_3gpuE0ELNS1_3repE0EEENS1_36merge_oddeven_config_static_selectorELNS0_4arch9wavefront6targetE1EEEvSJ_, .Lfunc_end772-_ZN7rocprim17ROCPRIM_400000_NS6detail17trampoline_kernelINS0_14default_configENS1_38merge_sort_block_merge_config_selectorIiiEEZZNS1_27merge_sort_block_merge_implIS3_N6thrust23THRUST_200600_302600_NS6detail15normal_iteratorINS8_10device_ptrIiEEEESD_jNS1_19radix_merge_compareILb0ELb1EiNS0_19identity_decomposerEEEEE10hipError_tT0_T1_T2_jT3_P12ihipStream_tbPNSt15iterator_traitsISI_E10value_typeEPNSO_ISJ_E10value_typeEPSK_NS1_7vsmem_tEENKUlT_SI_SJ_SK_E_clIPiSD_S10_SD_EESH_SX_SI_SJ_SK_EUlSX_E1_NS1_11comp_targetILNS1_3genE0ELNS1_11target_archE4294967295ELNS1_3gpuE0ELNS1_3repE0EEENS1_36merge_oddeven_config_static_selectorELNS0_4arch9wavefront6targetE1EEEvSJ_
                                        ; -- End function
	.set _ZN7rocprim17ROCPRIM_400000_NS6detail17trampoline_kernelINS0_14default_configENS1_38merge_sort_block_merge_config_selectorIiiEEZZNS1_27merge_sort_block_merge_implIS3_N6thrust23THRUST_200600_302600_NS6detail15normal_iteratorINS8_10device_ptrIiEEEESD_jNS1_19radix_merge_compareILb0ELb1EiNS0_19identity_decomposerEEEEE10hipError_tT0_T1_T2_jT3_P12ihipStream_tbPNSt15iterator_traitsISI_E10value_typeEPNSO_ISJ_E10value_typeEPSK_NS1_7vsmem_tEENKUlT_SI_SJ_SK_E_clIPiSD_S10_SD_EESH_SX_SI_SJ_SK_EUlSX_E1_NS1_11comp_targetILNS1_3genE0ELNS1_11target_archE4294967295ELNS1_3gpuE0ELNS1_3repE0EEENS1_36merge_oddeven_config_static_selectorELNS0_4arch9wavefront6targetE1EEEvSJ_.num_vgpr, 11
	.set _ZN7rocprim17ROCPRIM_400000_NS6detail17trampoline_kernelINS0_14default_configENS1_38merge_sort_block_merge_config_selectorIiiEEZZNS1_27merge_sort_block_merge_implIS3_N6thrust23THRUST_200600_302600_NS6detail15normal_iteratorINS8_10device_ptrIiEEEESD_jNS1_19radix_merge_compareILb0ELb1EiNS0_19identity_decomposerEEEEE10hipError_tT0_T1_T2_jT3_P12ihipStream_tbPNSt15iterator_traitsISI_E10value_typeEPNSO_ISJ_E10value_typeEPSK_NS1_7vsmem_tEENKUlT_SI_SJ_SK_E_clIPiSD_S10_SD_EESH_SX_SI_SJ_SK_EUlSX_E1_NS1_11comp_targetILNS1_3genE0ELNS1_11target_archE4294967295ELNS1_3gpuE0ELNS1_3repE0EEENS1_36merge_oddeven_config_static_selectorELNS0_4arch9wavefront6targetE1EEEvSJ_.num_agpr, 0
	.set _ZN7rocprim17ROCPRIM_400000_NS6detail17trampoline_kernelINS0_14default_configENS1_38merge_sort_block_merge_config_selectorIiiEEZZNS1_27merge_sort_block_merge_implIS3_N6thrust23THRUST_200600_302600_NS6detail15normal_iteratorINS8_10device_ptrIiEEEESD_jNS1_19radix_merge_compareILb0ELb1EiNS0_19identity_decomposerEEEEE10hipError_tT0_T1_T2_jT3_P12ihipStream_tbPNSt15iterator_traitsISI_E10value_typeEPNSO_ISJ_E10value_typeEPSK_NS1_7vsmem_tEENKUlT_SI_SJ_SK_E_clIPiSD_S10_SD_EESH_SX_SI_SJ_SK_EUlSX_E1_NS1_11comp_targetILNS1_3genE0ELNS1_11target_archE4294967295ELNS1_3gpuE0ELNS1_3repE0EEENS1_36merge_oddeven_config_static_selectorELNS0_4arch9wavefront6targetE1EEEvSJ_.numbered_sgpr, 24
	.set _ZN7rocprim17ROCPRIM_400000_NS6detail17trampoline_kernelINS0_14default_configENS1_38merge_sort_block_merge_config_selectorIiiEEZZNS1_27merge_sort_block_merge_implIS3_N6thrust23THRUST_200600_302600_NS6detail15normal_iteratorINS8_10device_ptrIiEEEESD_jNS1_19radix_merge_compareILb0ELb1EiNS0_19identity_decomposerEEEEE10hipError_tT0_T1_T2_jT3_P12ihipStream_tbPNSt15iterator_traitsISI_E10value_typeEPNSO_ISJ_E10value_typeEPSK_NS1_7vsmem_tEENKUlT_SI_SJ_SK_E_clIPiSD_S10_SD_EESH_SX_SI_SJ_SK_EUlSX_E1_NS1_11comp_targetILNS1_3genE0ELNS1_11target_archE4294967295ELNS1_3gpuE0ELNS1_3repE0EEENS1_36merge_oddeven_config_static_selectorELNS0_4arch9wavefront6targetE1EEEvSJ_.num_named_barrier, 0
	.set _ZN7rocprim17ROCPRIM_400000_NS6detail17trampoline_kernelINS0_14default_configENS1_38merge_sort_block_merge_config_selectorIiiEEZZNS1_27merge_sort_block_merge_implIS3_N6thrust23THRUST_200600_302600_NS6detail15normal_iteratorINS8_10device_ptrIiEEEESD_jNS1_19radix_merge_compareILb0ELb1EiNS0_19identity_decomposerEEEEE10hipError_tT0_T1_T2_jT3_P12ihipStream_tbPNSt15iterator_traitsISI_E10value_typeEPNSO_ISJ_E10value_typeEPSK_NS1_7vsmem_tEENKUlT_SI_SJ_SK_E_clIPiSD_S10_SD_EESH_SX_SI_SJ_SK_EUlSX_E1_NS1_11comp_targetILNS1_3genE0ELNS1_11target_archE4294967295ELNS1_3gpuE0ELNS1_3repE0EEENS1_36merge_oddeven_config_static_selectorELNS0_4arch9wavefront6targetE1EEEvSJ_.private_seg_size, 0
	.set _ZN7rocprim17ROCPRIM_400000_NS6detail17trampoline_kernelINS0_14default_configENS1_38merge_sort_block_merge_config_selectorIiiEEZZNS1_27merge_sort_block_merge_implIS3_N6thrust23THRUST_200600_302600_NS6detail15normal_iteratorINS8_10device_ptrIiEEEESD_jNS1_19radix_merge_compareILb0ELb1EiNS0_19identity_decomposerEEEEE10hipError_tT0_T1_T2_jT3_P12ihipStream_tbPNSt15iterator_traitsISI_E10value_typeEPNSO_ISJ_E10value_typeEPSK_NS1_7vsmem_tEENKUlT_SI_SJ_SK_E_clIPiSD_S10_SD_EESH_SX_SI_SJ_SK_EUlSX_E1_NS1_11comp_targetILNS1_3genE0ELNS1_11target_archE4294967295ELNS1_3gpuE0ELNS1_3repE0EEENS1_36merge_oddeven_config_static_selectorELNS0_4arch9wavefront6targetE1EEEvSJ_.uses_vcc, 1
	.set _ZN7rocprim17ROCPRIM_400000_NS6detail17trampoline_kernelINS0_14default_configENS1_38merge_sort_block_merge_config_selectorIiiEEZZNS1_27merge_sort_block_merge_implIS3_N6thrust23THRUST_200600_302600_NS6detail15normal_iteratorINS8_10device_ptrIiEEEESD_jNS1_19radix_merge_compareILb0ELb1EiNS0_19identity_decomposerEEEEE10hipError_tT0_T1_T2_jT3_P12ihipStream_tbPNSt15iterator_traitsISI_E10value_typeEPNSO_ISJ_E10value_typeEPSK_NS1_7vsmem_tEENKUlT_SI_SJ_SK_E_clIPiSD_S10_SD_EESH_SX_SI_SJ_SK_EUlSX_E1_NS1_11comp_targetILNS1_3genE0ELNS1_11target_archE4294967295ELNS1_3gpuE0ELNS1_3repE0EEENS1_36merge_oddeven_config_static_selectorELNS0_4arch9wavefront6targetE1EEEvSJ_.uses_flat_scratch, 0
	.set _ZN7rocprim17ROCPRIM_400000_NS6detail17trampoline_kernelINS0_14default_configENS1_38merge_sort_block_merge_config_selectorIiiEEZZNS1_27merge_sort_block_merge_implIS3_N6thrust23THRUST_200600_302600_NS6detail15normal_iteratorINS8_10device_ptrIiEEEESD_jNS1_19radix_merge_compareILb0ELb1EiNS0_19identity_decomposerEEEEE10hipError_tT0_T1_T2_jT3_P12ihipStream_tbPNSt15iterator_traitsISI_E10value_typeEPNSO_ISJ_E10value_typeEPSK_NS1_7vsmem_tEENKUlT_SI_SJ_SK_E_clIPiSD_S10_SD_EESH_SX_SI_SJ_SK_EUlSX_E1_NS1_11comp_targetILNS1_3genE0ELNS1_11target_archE4294967295ELNS1_3gpuE0ELNS1_3repE0EEENS1_36merge_oddeven_config_static_selectorELNS0_4arch9wavefront6targetE1EEEvSJ_.has_dyn_sized_stack, 0
	.set _ZN7rocprim17ROCPRIM_400000_NS6detail17trampoline_kernelINS0_14default_configENS1_38merge_sort_block_merge_config_selectorIiiEEZZNS1_27merge_sort_block_merge_implIS3_N6thrust23THRUST_200600_302600_NS6detail15normal_iteratorINS8_10device_ptrIiEEEESD_jNS1_19radix_merge_compareILb0ELb1EiNS0_19identity_decomposerEEEEE10hipError_tT0_T1_T2_jT3_P12ihipStream_tbPNSt15iterator_traitsISI_E10value_typeEPNSO_ISJ_E10value_typeEPSK_NS1_7vsmem_tEENKUlT_SI_SJ_SK_E_clIPiSD_S10_SD_EESH_SX_SI_SJ_SK_EUlSX_E1_NS1_11comp_targetILNS1_3genE0ELNS1_11target_archE4294967295ELNS1_3gpuE0ELNS1_3repE0EEENS1_36merge_oddeven_config_static_selectorELNS0_4arch9wavefront6targetE1EEEvSJ_.has_recursion, 0
	.set _ZN7rocprim17ROCPRIM_400000_NS6detail17trampoline_kernelINS0_14default_configENS1_38merge_sort_block_merge_config_selectorIiiEEZZNS1_27merge_sort_block_merge_implIS3_N6thrust23THRUST_200600_302600_NS6detail15normal_iteratorINS8_10device_ptrIiEEEESD_jNS1_19radix_merge_compareILb0ELb1EiNS0_19identity_decomposerEEEEE10hipError_tT0_T1_T2_jT3_P12ihipStream_tbPNSt15iterator_traitsISI_E10value_typeEPNSO_ISJ_E10value_typeEPSK_NS1_7vsmem_tEENKUlT_SI_SJ_SK_E_clIPiSD_S10_SD_EESH_SX_SI_SJ_SK_EUlSX_E1_NS1_11comp_targetILNS1_3genE0ELNS1_11target_archE4294967295ELNS1_3gpuE0ELNS1_3repE0EEENS1_36merge_oddeven_config_static_selectorELNS0_4arch9wavefront6targetE1EEEvSJ_.has_indirect_call, 0
	.section	.AMDGPU.csdata,"",@progbits
; Kernel info:
; codeLenInByte = 796
; TotalNumSgprs: 30
; NumVgprs: 11
; NumAgprs: 0
; TotalNumVgprs: 11
; ScratchSize: 0
; MemoryBound: 0
; FloatMode: 240
; IeeeMode: 1
; LDSByteSize: 0 bytes/workgroup (compile time only)
; SGPRBlocks: 3
; VGPRBlocks: 1
; NumSGPRsForWavesPerEU: 30
; NumVGPRsForWavesPerEU: 11
; AccumOffset: 12
; Occupancy: 8
; WaveLimiterHint : 0
; COMPUTE_PGM_RSRC2:SCRATCH_EN: 0
; COMPUTE_PGM_RSRC2:USER_SGPR: 2
; COMPUTE_PGM_RSRC2:TRAP_HANDLER: 0
; COMPUTE_PGM_RSRC2:TGID_X_EN: 1
; COMPUTE_PGM_RSRC2:TGID_Y_EN: 0
; COMPUTE_PGM_RSRC2:TGID_Z_EN: 0
; COMPUTE_PGM_RSRC2:TIDIG_COMP_CNT: 0
; COMPUTE_PGM_RSRC3_GFX90A:ACCUM_OFFSET: 2
; COMPUTE_PGM_RSRC3_GFX90A:TG_SPLIT: 0
	.section	.text._ZN7rocprim17ROCPRIM_400000_NS6detail17trampoline_kernelINS0_14default_configENS1_38merge_sort_block_merge_config_selectorIiiEEZZNS1_27merge_sort_block_merge_implIS3_N6thrust23THRUST_200600_302600_NS6detail15normal_iteratorINS8_10device_ptrIiEEEESD_jNS1_19radix_merge_compareILb0ELb1EiNS0_19identity_decomposerEEEEE10hipError_tT0_T1_T2_jT3_P12ihipStream_tbPNSt15iterator_traitsISI_E10value_typeEPNSO_ISJ_E10value_typeEPSK_NS1_7vsmem_tEENKUlT_SI_SJ_SK_E_clIPiSD_S10_SD_EESH_SX_SI_SJ_SK_EUlSX_E1_NS1_11comp_targetILNS1_3genE10ELNS1_11target_archE1201ELNS1_3gpuE5ELNS1_3repE0EEENS1_36merge_oddeven_config_static_selectorELNS0_4arch9wavefront6targetE1EEEvSJ_,"axG",@progbits,_ZN7rocprim17ROCPRIM_400000_NS6detail17trampoline_kernelINS0_14default_configENS1_38merge_sort_block_merge_config_selectorIiiEEZZNS1_27merge_sort_block_merge_implIS3_N6thrust23THRUST_200600_302600_NS6detail15normal_iteratorINS8_10device_ptrIiEEEESD_jNS1_19radix_merge_compareILb0ELb1EiNS0_19identity_decomposerEEEEE10hipError_tT0_T1_T2_jT3_P12ihipStream_tbPNSt15iterator_traitsISI_E10value_typeEPNSO_ISJ_E10value_typeEPSK_NS1_7vsmem_tEENKUlT_SI_SJ_SK_E_clIPiSD_S10_SD_EESH_SX_SI_SJ_SK_EUlSX_E1_NS1_11comp_targetILNS1_3genE10ELNS1_11target_archE1201ELNS1_3gpuE5ELNS1_3repE0EEENS1_36merge_oddeven_config_static_selectorELNS0_4arch9wavefront6targetE1EEEvSJ_,comdat
	.protected	_ZN7rocprim17ROCPRIM_400000_NS6detail17trampoline_kernelINS0_14default_configENS1_38merge_sort_block_merge_config_selectorIiiEEZZNS1_27merge_sort_block_merge_implIS3_N6thrust23THRUST_200600_302600_NS6detail15normal_iteratorINS8_10device_ptrIiEEEESD_jNS1_19radix_merge_compareILb0ELb1EiNS0_19identity_decomposerEEEEE10hipError_tT0_T1_T2_jT3_P12ihipStream_tbPNSt15iterator_traitsISI_E10value_typeEPNSO_ISJ_E10value_typeEPSK_NS1_7vsmem_tEENKUlT_SI_SJ_SK_E_clIPiSD_S10_SD_EESH_SX_SI_SJ_SK_EUlSX_E1_NS1_11comp_targetILNS1_3genE10ELNS1_11target_archE1201ELNS1_3gpuE5ELNS1_3repE0EEENS1_36merge_oddeven_config_static_selectorELNS0_4arch9wavefront6targetE1EEEvSJ_ ; -- Begin function _ZN7rocprim17ROCPRIM_400000_NS6detail17trampoline_kernelINS0_14default_configENS1_38merge_sort_block_merge_config_selectorIiiEEZZNS1_27merge_sort_block_merge_implIS3_N6thrust23THRUST_200600_302600_NS6detail15normal_iteratorINS8_10device_ptrIiEEEESD_jNS1_19radix_merge_compareILb0ELb1EiNS0_19identity_decomposerEEEEE10hipError_tT0_T1_T2_jT3_P12ihipStream_tbPNSt15iterator_traitsISI_E10value_typeEPNSO_ISJ_E10value_typeEPSK_NS1_7vsmem_tEENKUlT_SI_SJ_SK_E_clIPiSD_S10_SD_EESH_SX_SI_SJ_SK_EUlSX_E1_NS1_11comp_targetILNS1_3genE10ELNS1_11target_archE1201ELNS1_3gpuE5ELNS1_3repE0EEENS1_36merge_oddeven_config_static_selectorELNS0_4arch9wavefront6targetE1EEEvSJ_
	.globl	_ZN7rocprim17ROCPRIM_400000_NS6detail17trampoline_kernelINS0_14default_configENS1_38merge_sort_block_merge_config_selectorIiiEEZZNS1_27merge_sort_block_merge_implIS3_N6thrust23THRUST_200600_302600_NS6detail15normal_iteratorINS8_10device_ptrIiEEEESD_jNS1_19radix_merge_compareILb0ELb1EiNS0_19identity_decomposerEEEEE10hipError_tT0_T1_T2_jT3_P12ihipStream_tbPNSt15iterator_traitsISI_E10value_typeEPNSO_ISJ_E10value_typeEPSK_NS1_7vsmem_tEENKUlT_SI_SJ_SK_E_clIPiSD_S10_SD_EESH_SX_SI_SJ_SK_EUlSX_E1_NS1_11comp_targetILNS1_3genE10ELNS1_11target_archE1201ELNS1_3gpuE5ELNS1_3repE0EEENS1_36merge_oddeven_config_static_selectorELNS0_4arch9wavefront6targetE1EEEvSJ_
	.p2align	8
	.type	_ZN7rocprim17ROCPRIM_400000_NS6detail17trampoline_kernelINS0_14default_configENS1_38merge_sort_block_merge_config_selectorIiiEEZZNS1_27merge_sort_block_merge_implIS3_N6thrust23THRUST_200600_302600_NS6detail15normal_iteratorINS8_10device_ptrIiEEEESD_jNS1_19radix_merge_compareILb0ELb1EiNS0_19identity_decomposerEEEEE10hipError_tT0_T1_T2_jT3_P12ihipStream_tbPNSt15iterator_traitsISI_E10value_typeEPNSO_ISJ_E10value_typeEPSK_NS1_7vsmem_tEENKUlT_SI_SJ_SK_E_clIPiSD_S10_SD_EESH_SX_SI_SJ_SK_EUlSX_E1_NS1_11comp_targetILNS1_3genE10ELNS1_11target_archE1201ELNS1_3gpuE5ELNS1_3repE0EEENS1_36merge_oddeven_config_static_selectorELNS0_4arch9wavefront6targetE1EEEvSJ_,@function
_ZN7rocprim17ROCPRIM_400000_NS6detail17trampoline_kernelINS0_14default_configENS1_38merge_sort_block_merge_config_selectorIiiEEZZNS1_27merge_sort_block_merge_implIS3_N6thrust23THRUST_200600_302600_NS6detail15normal_iteratorINS8_10device_ptrIiEEEESD_jNS1_19radix_merge_compareILb0ELb1EiNS0_19identity_decomposerEEEEE10hipError_tT0_T1_T2_jT3_P12ihipStream_tbPNSt15iterator_traitsISI_E10value_typeEPNSO_ISJ_E10value_typeEPSK_NS1_7vsmem_tEENKUlT_SI_SJ_SK_E_clIPiSD_S10_SD_EESH_SX_SI_SJ_SK_EUlSX_E1_NS1_11comp_targetILNS1_3genE10ELNS1_11target_archE1201ELNS1_3gpuE5ELNS1_3repE0EEENS1_36merge_oddeven_config_static_selectorELNS0_4arch9wavefront6targetE1EEEvSJ_: ; @_ZN7rocprim17ROCPRIM_400000_NS6detail17trampoline_kernelINS0_14default_configENS1_38merge_sort_block_merge_config_selectorIiiEEZZNS1_27merge_sort_block_merge_implIS3_N6thrust23THRUST_200600_302600_NS6detail15normal_iteratorINS8_10device_ptrIiEEEESD_jNS1_19radix_merge_compareILb0ELb1EiNS0_19identity_decomposerEEEEE10hipError_tT0_T1_T2_jT3_P12ihipStream_tbPNSt15iterator_traitsISI_E10value_typeEPNSO_ISJ_E10value_typeEPSK_NS1_7vsmem_tEENKUlT_SI_SJ_SK_E_clIPiSD_S10_SD_EESH_SX_SI_SJ_SK_EUlSX_E1_NS1_11comp_targetILNS1_3genE10ELNS1_11target_archE1201ELNS1_3gpuE5ELNS1_3repE0EEENS1_36merge_oddeven_config_static_selectorELNS0_4arch9wavefront6targetE1EEEvSJ_
; %bb.0:
	.section	.rodata,"a",@progbits
	.p2align	6, 0x0
	.amdhsa_kernel _ZN7rocprim17ROCPRIM_400000_NS6detail17trampoline_kernelINS0_14default_configENS1_38merge_sort_block_merge_config_selectorIiiEEZZNS1_27merge_sort_block_merge_implIS3_N6thrust23THRUST_200600_302600_NS6detail15normal_iteratorINS8_10device_ptrIiEEEESD_jNS1_19radix_merge_compareILb0ELb1EiNS0_19identity_decomposerEEEEE10hipError_tT0_T1_T2_jT3_P12ihipStream_tbPNSt15iterator_traitsISI_E10value_typeEPNSO_ISJ_E10value_typeEPSK_NS1_7vsmem_tEENKUlT_SI_SJ_SK_E_clIPiSD_S10_SD_EESH_SX_SI_SJ_SK_EUlSX_E1_NS1_11comp_targetILNS1_3genE10ELNS1_11target_archE1201ELNS1_3gpuE5ELNS1_3repE0EEENS1_36merge_oddeven_config_static_selectorELNS0_4arch9wavefront6targetE1EEEvSJ_
		.amdhsa_group_segment_fixed_size 0
		.amdhsa_private_segment_fixed_size 0
		.amdhsa_kernarg_size 48
		.amdhsa_user_sgpr_count 2
		.amdhsa_user_sgpr_dispatch_ptr 0
		.amdhsa_user_sgpr_queue_ptr 0
		.amdhsa_user_sgpr_kernarg_segment_ptr 1
		.amdhsa_user_sgpr_dispatch_id 0
		.amdhsa_user_sgpr_kernarg_preload_length 0
		.amdhsa_user_sgpr_kernarg_preload_offset 0
		.amdhsa_user_sgpr_private_segment_size 0
		.amdhsa_uses_dynamic_stack 0
		.amdhsa_enable_private_segment 0
		.amdhsa_system_sgpr_workgroup_id_x 1
		.amdhsa_system_sgpr_workgroup_id_y 0
		.amdhsa_system_sgpr_workgroup_id_z 0
		.amdhsa_system_sgpr_workgroup_info 0
		.amdhsa_system_vgpr_workitem_id 0
		.amdhsa_next_free_vgpr 1
		.amdhsa_next_free_sgpr 0
		.amdhsa_accum_offset 4
		.amdhsa_reserve_vcc 0
		.amdhsa_float_round_mode_32 0
		.amdhsa_float_round_mode_16_64 0
		.amdhsa_float_denorm_mode_32 3
		.amdhsa_float_denorm_mode_16_64 3
		.amdhsa_dx10_clamp 1
		.amdhsa_ieee_mode 1
		.amdhsa_fp16_overflow 0
		.amdhsa_tg_split 0
		.amdhsa_exception_fp_ieee_invalid_op 0
		.amdhsa_exception_fp_denorm_src 0
		.amdhsa_exception_fp_ieee_div_zero 0
		.amdhsa_exception_fp_ieee_overflow 0
		.amdhsa_exception_fp_ieee_underflow 0
		.amdhsa_exception_fp_ieee_inexact 0
		.amdhsa_exception_int_div_zero 0
	.end_amdhsa_kernel
	.section	.text._ZN7rocprim17ROCPRIM_400000_NS6detail17trampoline_kernelINS0_14default_configENS1_38merge_sort_block_merge_config_selectorIiiEEZZNS1_27merge_sort_block_merge_implIS3_N6thrust23THRUST_200600_302600_NS6detail15normal_iteratorINS8_10device_ptrIiEEEESD_jNS1_19radix_merge_compareILb0ELb1EiNS0_19identity_decomposerEEEEE10hipError_tT0_T1_T2_jT3_P12ihipStream_tbPNSt15iterator_traitsISI_E10value_typeEPNSO_ISJ_E10value_typeEPSK_NS1_7vsmem_tEENKUlT_SI_SJ_SK_E_clIPiSD_S10_SD_EESH_SX_SI_SJ_SK_EUlSX_E1_NS1_11comp_targetILNS1_3genE10ELNS1_11target_archE1201ELNS1_3gpuE5ELNS1_3repE0EEENS1_36merge_oddeven_config_static_selectorELNS0_4arch9wavefront6targetE1EEEvSJ_,"axG",@progbits,_ZN7rocprim17ROCPRIM_400000_NS6detail17trampoline_kernelINS0_14default_configENS1_38merge_sort_block_merge_config_selectorIiiEEZZNS1_27merge_sort_block_merge_implIS3_N6thrust23THRUST_200600_302600_NS6detail15normal_iteratorINS8_10device_ptrIiEEEESD_jNS1_19radix_merge_compareILb0ELb1EiNS0_19identity_decomposerEEEEE10hipError_tT0_T1_T2_jT3_P12ihipStream_tbPNSt15iterator_traitsISI_E10value_typeEPNSO_ISJ_E10value_typeEPSK_NS1_7vsmem_tEENKUlT_SI_SJ_SK_E_clIPiSD_S10_SD_EESH_SX_SI_SJ_SK_EUlSX_E1_NS1_11comp_targetILNS1_3genE10ELNS1_11target_archE1201ELNS1_3gpuE5ELNS1_3repE0EEENS1_36merge_oddeven_config_static_selectorELNS0_4arch9wavefront6targetE1EEEvSJ_,comdat
.Lfunc_end773:
	.size	_ZN7rocprim17ROCPRIM_400000_NS6detail17trampoline_kernelINS0_14default_configENS1_38merge_sort_block_merge_config_selectorIiiEEZZNS1_27merge_sort_block_merge_implIS3_N6thrust23THRUST_200600_302600_NS6detail15normal_iteratorINS8_10device_ptrIiEEEESD_jNS1_19radix_merge_compareILb0ELb1EiNS0_19identity_decomposerEEEEE10hipError_tT0_T1_T2_jT3_P12ihipStream_tbPNSt15iterator_traitsISI_E10value_typeEPNSO_ISJ_E10value_typeEPSK_NS1_7vsmem_tEENKUlT_SI_SJ_SK_E_clIPiSD_S10_SD_EESH_SX_SI_SJ_SK_EUlSX_E1_NS1_11comp_targetILNS1_3genE10ELNS1_11target_archE1201ELNS1_3gpuE5ELNS1_3repE0EEENS1_36merge_oddeven_config_static_selectorELNS0_4arch9wavefront6targetE1EEEvSJ_, .Lfunc_end773-_ZN7rocprim17ROCPRIM_400000_NS6detail17trampoline_kernelINS0_14default_configENS1_38merge_sort_block_merge_config_selectorIiiEEZZNS1_27merge_sort_block_merge_implIS3_N6thrust23THRUST_200600_302600_NS6detail15normal_iteratorINS8_10device_ptrIiEEEESD_jNS1_19radix_merge_compareILb0ELb1EiNS0_19identity_decomposerEEEEE10hipError_tT0_T1_T2_jT3_P12ihipStream_tbPNSt15iterator_traitsISI_E10value_typeEPNSO_ISJ_E10value_typeEPSK_NS1_7vsmem_tEENKUlT_SI_SJ_SK_E_clIPiSD_S10_SD_EESH_SX_SI_SJ_SK_EUlSX_E1_NS1_11comp_targetILNS1_3genE10ELNS1_11target_archE1201ELNS1_3gpuE5ELNS1_3repE0EEENS1_36merge_oddeven_config_static_selectorELNS0_4arch9wavefront6targetE1EEEvSJ_
                                        ; -- End function
	.set _ZN7rocprim17ROCPRIM_400000_NS6detail17trampoline_kernelINS0_14default_configENS1_38merge_sort_block_merge_config_selectorIiiEEZZNS1_27merge_sort_block_merge_implIS3_N6thrust23THRUST_200600_302600_NS6detail15normal_iteratorINS8_10device_ptrIiEEEESD_jNS1_19radix_merge_compareILb0ELb1EiNS0_19identity_decomposerEEEEE10hipError_tT0_T1_T2_jT3_P12ihipStream_tbPNSt15iterator_traitsISI_E10value_typeEPNSO_ISJ_E10value_typeEPSK_NS1_7vsmem_tEENKUlT_SI_SJ_SK_E_clIPiSD_S10_SD_EESH_SX_SI_SJ_SK_EUlSX_E1_NS1_11comp_targetILNS1_3genE10ELNS1_11target_archE1201ELNS1_3gpuE5ELNS1_3repE0EEENS1_36merge_oddeven_config_static_selectorELNS0_4arch9wavefront6targetE1EEEvSJ_.num_vgpr, 0
	.set _ZN7rocprim17ROCPRIM_400000_NS6detail17trampoline_kernelINS0_14default_configENS1_38merge_sort_block_merge_config_selectorIiiEEZZNS1_27merge_sort_block_merge_implIS3_N6thrust23THRUST_200600_302600_NS6detail15normal_iteratorINS8_10device_ptrIiEEEESD_jNS1_19radix_merge_compareILb0ELb1EiNS0_19identity_decomposerEEEEE10hipError_tT0_T1_T2_jT3_P12ihipStream_tbPNSt15iterator_traitsISI_E10value_typeEPNSO_ISJ_E10value_typeEPSK_NS1_7vsmem_tEENKUlT_SI_SJ_SK_E_clIPiSD_S10_SD_EESH_SX_SI_SJ_SK_EUlSX_E1_NS1_11comp_targetILNS1_3genE10ELNS1_11target_archE1201ELNS1_3gpuE5ELNS1_3repE0EEENS1_36merge_oddeven_config_static_selectorELNS0_4arch9wavefront6targetE1EEEvSJ_.num_agpr, 0
	.set _ZN7rocprim17ROCPRIM_400000_NS6detail17trampoline_kernelINS0_14default_configENS1_38merge_sort_block_merge_config_selectorIiiEEZZNS1_27merge_sort_block_merge_implIS3_N6thrust23THRUST_200600_302600_NS6detail15normal_iteratorINS8_10device_ptrIiEEEESD_jNS1_19radix_merge_compareILb0ELb1EiNS0_19identity_decomposerEEEEE10hipError_tT0_T1_T2_jT3_P12ihipStream_tbPNSt15iterator_traitsISI_E10value_typeEPNSO_ISJ_E10value_typeEPSK_NS1_7vsmem_tEENKUlT_SI_SJ_SK_E_clIPiSD_S10_SD_EESH_SX_SI_SJ_SK_EUlSX_E1_NS1_11comp_targetILNS1_3genE10ELNS1_11target_archE1201ELNS1_3gpuE5ELNS1_3repE0EEENS1_36merge_oddeven_config_static_selectorELNS0_4arch9wavefront6targetE1EEEvSJ_.numbered_sgpr, 0
	.set _ZN7rocprim17ROCPRIM_400000_NS6detail17trampoline_kernelINS0_14default_configENS1_38merge_sort_block_merge_config_selectorIiiEEZZNS1_27merge_sort_block_merge_implIS3_N6thrust23THRUST_200600_302600_NS6detail15normal_iteratorINS8_10device_ptrIiEEEESD_jNS1_19radix_merge_compareILb0ELb1EiNS0_19identity_decomposerEEEEE10hipError_tT0_T1_T2_jT3_P12ihipStream_tbPNSt15iterator_traitsISI_E10value_typeEPNSO_ISJ_E10value_typeEPSK_NS1_7vsmem_tEENKUlT_SI_SJ_SK_E_clIPiSD_S10_SD_EESH_SX_SI_SJ_SK_EUlSX_E1_NS1_11comp_targetILNS1_3genE10ELNS1_11target_archE1201ELNS1_3gpuE5ELNS1_3repE0EEENS1_36merge_oddeven_config_static_selectorELNS0_4arch9wavefront6targetE1EEEvSJ_.num_named_barrier, 0
	.set _ZN7rocprim17ROCPRIM_400000_NS6detail17trampoline_kernelINS0_14default_configENS1_38merge_sort_block_merge_config_selectorIiiEEZZNS1_27merge_sort_block_merge_implIS3_N6thrust23THRUST_200600_302600_NS6detail15normal_iteratorINS8_10device_ptrIiEEEESD_jNS1_19radix_merge_compareILb0ELb1EiNS0_19identity_decomposerEEEEE10hipError_tT0_T1_T2_jT3_P12ihipStream_tbPNSt15iterator_traitsISI_E10value_typeEPNSO_ISJ_E10value_typeEPSK_NS1_7vsmem_tEENKUlT_SI_SJ_SK_E_clIPiSD_S10_SD_EESH_SX_SI_SJ_SK_EUlSX_E1_NS1_11comp_targetILNS1_3genE10ELNS1_11target_archE1201ELNS1_3gpuE5ELNS1_3repE0EEENS1_36merge_oddeven_config_static_selectorELNS0_4arch9wavefront6targetE1EEEvSJ_.private_seg_size, 0
	.set _ZN7rocprim17ROCPRIM_400000_NS6detail17trampoline_kernelINS0_14default_configENS1_38merge_sort_block_merge_config_selectorIiiEEZZNS1_27merge_sort_block_merge_implIS3_N6thrust23THRUST_200600_302600_NS6detail15normal_iteratorINS8_10device_ptrIiEEEESD_jNS1_19radix_merge_compareILb0ELb1EiNS0_19identity_decomposerEEEEE10hipError_tT0_T1_T2_jT3_P12ihipStream_tbPNSt15iterator_traitsISI_E10value_typeEPNSO_ISJ_E10value_typeEPSK_NS1_7vsmem_tEENKUlT_SI_SJ_SK_E_clIPiSD_S10_SD_EESH_SX_SI_SJ_SK_EUlSX_E1_NS1_11comp_targetILNS1_3genE10ELNS1_11target_archE1201ELNS1_3gpuE5ELNS1_3repE0EEENS1_36merge_oddeven_config_static_selectorELNS0_4arch9wavefront6targetE1EEEvSJ_.uses_vcc, 0
	.set _ZN7rocprim17ROCPRIM_400000_NS6detail17trampoline_kernelINS0_14default_configENS1_38merge_sort_block_merge_config_selectorIiiEEZZNS1_27merge_sort_block_merge_implIS3_N6thrust23THRUST_200600_302600_NS6detail15normal_iteratorINS8_10device_ptrIiEEEESD_jNS1_19radix_merge_compareILb0ELb1EiNS0_19identity_decomposerEEEEE10hipError_tT0_T1_T2_jT3_P12ihipStream_tbPNSt15iterator_traitsISI_E10value_typeEPNSO_ISJ_E10value_typeEPSK_NS1_7vsmem_tEENKUlT_SI_SJ_SK_E_clIPiSD_S10_SD_EESH_SX_SI_SJ_SK_EUlSX_E1_NS1_11comp_targetILNS1_3genE10ELNS1_11target_archE1201ELNS1_3gpuE5ELNS1_3repE0EEENS1_36merge_oddeven_config_static_selectorELNS0_4arch9wavefront6targetE1EEEvSJ_.uses_flat_scratch, 0
	.set _ZN7rocprim17ROCPRIM_400000_NS6detail17trampoline_kernelINS0_14default_configENS1_38merge_sort_block_merge_config_selectorIiiEEZZNS1_27merge_sort_block_merge_implIS3_N6thrust23THRUST_200600_302600_NS6detail15normal_iteratorINS8_10device_ptrIiEEEESD_jNS1_19radix_merge_compareILb0ELb1EiNS0_19identity_decomposerEEEEE10hipError_tT0_T1_T2_jT3_P12ihipStream_tbPNSt15iterator_traitsISI_E10value_typeEPNSO_ISJ_E10value_typeEPSK_NS1_7vsmem_tEENKUlT_SI_SJ_SK_E_clIPiSD_S10_SD_EESH_SX_SI_SJ_SK_EUlSX_E1_NS1_11comp_targetILNS1_3genE10ELNS1_11target_archE1201ELNS1_3gpuE5ELNS1_3repE0EEENS1_36merge_oddeven_config_static_selectorELNS0_4arch9wavefront6targetE1EEEvSJ_.has_dyn_sized_stack, 0
	.set _ZN7rocprim17ROCPRIM_400000_NS6detail17trampoline_kernelINS0_14default_configENS1_38merge_sort_block_merge_config_selectorIiiEEZZNS1_27merge_sort_block_merge_implIS3_N6thrust23THRUST_200600_302600_NS6detail15normal_iteratorINS8_10device_ptrIiEEEESD_jNS1_19radix_merge_compareILb0ELb1EiNS0_19identity_decomposerEEEEE10hipError_tT0_T1_T2_jT3_P12ihipStream_tbPNSt15iterator_traitsISI_E10value_typeEPNSO_ISJ_E10value_typeEPSK_NS1_7vsmem_tEENKUlT_SI_SJ_SK_E_clIPiSD_S10_SD_EESH_SX_SI_SJ_SK_EUlSX_E1_NS1_11comp_targetILNS1_3genE10ELNS1_11target_archE1201ELNS1_3gpuE5ELNS1_3repE0EEENS1_36merge_oddeven_config_static_selectorELNS0_4arch9wavefront6targetE1EEEvSJ_.has_recursion, 0
	.set _ZN7rocprim17ROCPRIM_400000_NS6detail17trampoline_kernelINS0_14default_configENS1_38merge_sort_block_merge_config_selectorIiiEEZZNS1_27merge_sort_block_merge_implIS3_N6thrust23THRUST_200600_302600_NS6detail15normal_iteratorINS8_10device_ptrIiEEEESD_jNS1_19radix_merge_compareILb0ELb1EiNS0_19identity_decomposerEEEEE10hipError_tT0_T1_T2_jT3_P12ihipStream_tbPNSt15iterator_traitsISI_E10value_typeEPNSO_ISJ_E10value_typeEPSK_NS1_7vsmem_tEENKUlT_SI_SJ_SK_E_clIPiSD_S10_SD_EESH_SX_SI_SJ_SK_EUlSX_E1_NS1_11comp_targetILNS1_3genE10ELNS1_11target_archE1201ELNS1_3gpuE5ELNS1_3repE0EEENS1_36merge_oddeven_config_static_selectorELNS0_4arch9wavefront6targetE1EEEvSJ_.has_indirect_call, 0
	.section	.AMDGPU.csdata,"",@progbits
; Kernel info:
; codeLenInByte = 0
; TotalNumSgprs: 6
; NumVgprs: 0
; NumAgprs: 0
; TotalNumVgprs: 0
; ScratchSize: 0
; MemoryBound: 0
; FloatMode: 240
; IeeeMode: 1
; LDSByteSize: 0 bytes/workgroup (compile time only)
; SGPRBlocks: 0
; VGPRBlocks: 0
; NumSGPRsForWavesPerEU: 6
; NumVGPRsForWavesPerEU: 1
; AccumOffset: 4
; Occupancy: 8
; WaveLimiterHint : 0
; COMPUTE_PGM_RSRC2:SCRATCH_EN: 0
; COMPUTE_PGM_RSRC2:USER_SGPR: 2
; COMPUTE_PGM_RSRC2:TRAP_HANDLER: 0
; COMPUTE_PGM_RSRC2:TGID_X_EN: 1
; COMPUTE_PGM_RSRC2:TGID_Y_EN: 0
; COMPUTE_PGM_RSRC2:TGID_Z_EN: 0
; COMPUTE_PGM_RSRC2:TIDIG_COMP_CNT: 0
; COMPUTE_PGM_RSRC3_GFX90A:ACCUM_OFFSET: 0
; COMPUTE_PGM_RSRC3_GFX90A:TG_SPLIT: 0
	.section	.text._ZN7rocprim17ROCPRIM_400000_NS6detail17trampoline_kernelINS0_14default_configENS1_38merge_sort_block_merge_config_selectorIiiEEZZNS1_27merge_sort_block_merge_implIS3_N6thrust23THRUST_200600_302600_NS6detail15normal_iteratorINS8_10device_ptrIiEEEESD_jNS1_19radix_merge_compareILb0ELb1EiNS0_19identity_decomposerEEEEE10hipError_tT0_T1_T2_jT3_P12ihipStream_tbPNSt15iterator_traitsISI_E10value_typeEPNSO_ISJ_E10value_typeEPSK_NS1_7vsmem_tEENKUlT_SI_SJ_SK_E_clIPiSD_S10_SD_EESH_SX_SI_SJ_SK_EUlSX_E1_NS1_11comp_targetILNS1_3genE5ELNS1_11target_archE942ELNS1_3gpuE9ELNS1_3repE0EEENS1_36merge_oddeven_config_static_selectorELNS0_4arch9wavefront6targetE1EEEvSJ_,"axG",@progbits,_ZN7rocprim17ROCPRIM_400000_NS6detail17trampoline_kernelINS0_14default_configENS1_38merge_sort_block_merge_config_selectorIiiEEZZNS1_27merge_sort_block_merge_implIS3_N6thrust23THRUST_200600_302600_NS6detail15normal_iteratorINS8_10device_ptrIiEEEESD_jNS1_19radix_merge_compareILb0ELb1EiNS0_19identity_decomposerEEEEE10hipError_tT0_T1_T2_jT3_P12ihipStream_tbPNSt15iterator_traitsISI_E10value_typeEPNSO_ISJ_E10value_typeEPSK_NS1_7vsmem_tEENKUlT_SI_SJ_SK_E_clIPiSD_S10_SD_EESH_SX_SI_SJ_SK_EUlSX_E1_NS1_11comp_targetILNS1_3genE5ELNS1_11target_archE942ELNS1_3gpuE9ELNS1_3repE0EEENS1_36merge_oddeven_config_static_selectorELNS0_4arch9wavefront6targetE1EEEvSJ_,comdat
	.protected	_ZN7rocprim17ROCPRIM_400000_NS6detail17trampoline_kernelINS0_14default_configENS1_38merge_sort_block_merge_config_selectorIiiEEZZNS1_27merge_sort_block_merge_implIS3_N6thrust23THRUST_200600_302600_NS6detail15normal_iteratorINS8_10device_ptrIiEEEESD_jNS1_19radix_merge_compareILb0ELb1EiNS0_19identity_decomposerEEEEE10hipError_tT0_T1_T2_jT3_P12ihipStream_tbPNSt15iterator_traitsISI_E10value_typeEPNSO_ISJ_E10value_typeEPSK_NS1_7vsmem_tEENKUlT_SI_SJ_SK_E_clIPiSD_S10_SD_EESH_SX_SI_SJ_SK_EUlSX_E1_NS1_11comp_targetILNS1_3genE5ELNS1_11target_archE942ELNS1_3gpuE9ELNS1_3repE0EEENS1_36merge_oddeven_config_static_selectorELNS0_4arch9wavefront6targetE1EEEvSJ_ ; -- Begin function _ZN7rocprim17ROCPRIM_400000_NS6detail17trampoline_kernelINS0_14default_configENS1_38merge_sort_block_merge_config_selectorIiiEEZZNS1_27merge_sort_block_merge_implIS3_N6thrust23THRUST_200600_302600_NS6detail15normal_iteratorINS8_10device_ptrIiEEEESD_jNS1_19radix_merge_compareILb0ELb1EiNS0_19identity_decomposerEEEEE10hipError_tT0_T1_T2_jT3_P12ihipStream_tbPNSt15iterator_traitsISI_E10value_typeEPNSO_ISJ_E10value_typeEPSK_NS1_7vsmem_tEENKUlT_SI_SJ_SK_E_clIPiSD_S10_SD_EESH_SX_SI_SJ_SK_EUlSX_E1_NS1_11comp_targetILNS1_3genE5ELNS1_11target_archE942ELNS1_3gpuE9ELNS1_3repE0EEENS1_36merge_oddeven_config_static_selectorELNS0_4arch9wavefront6targetE1EEEvSJ_
	.globl	_ZN7rocprim17ROCPRIM_400000_NS6detail17trampoline_kernelINS0_14default_configENS1_38merge_sort_block_merge_config_selectorIiiEEZZNS1_27merge_sort_block_merge_implIS3_N6thrust23THRUST_200600_302600_NS6detail15normal_iteratorINS8_10device_ptrIiEEEESD_jNS1_19radix_merge_compareILb0ELb1EiNS0_19identity_decomposerEEEEE10hipError_tT0_T1_T2_jT3_P12ihipStream_tbPNSt15iterator_traitsISI_E10value_typeEPNSO_ISJ_E10value_typeEPSK_NS1_7vsmem_tEENKUlT_SI_SJ_SK_E_clIPiSD_S10_SD_EESH_SX_SI_SJ_SK_EUlSX_E1_NS1_11comp_targetILNS1_3genE5ELNS1_11target_archE942ELNS1_3gpuE9ELNS1_3repE0EEENS1_36merge_oddeven_config_static_selectorELNS0_4arch9wavefront6targetE1EEEvSJ_
	.p2align	8
	.type	_ZN7rocprim17ROCPRIM_400000_NS6detail17trampoline_kernelINS0_14default_configENS1_38merge_sort_block_merge_config_selectorIiiEEZZNS1_27merge_sort_block_merge_implIS3_N6thrust23THRUST_200600_302600_NS6detail15normal_iteratorINS8_10device_ptrIiEEEESD_jNS1_19radix_merge_compareILb0ELb1EiNS0_19identity_decomposerEEEEE10hipError_tT0_T1_T2_jT3_P12ihipStream_tbPNSt15iterator_traitsISI_E10value_typeEPNSO_ISJ_E10value_typeEPSK_NS1_7vsmem_tEENKUlT_SI_SJ_SK_E_clIPiSD_S10_SD_EESH_SX_SI_SJ_SK_EUlSX_E1_NS1_11comp_targetILNS1_3genE5ELNS1_11target_archE942ELNS1_3gpuE9ELNS1_3repE0EEENS1_36merge_oddeven_config_static_selectorELNS0_4arch9wavefront6targetE1EEEvSJ_,@function
_ZN7rocprim17ROCPRIM_400000_NS6detail17trampoline_kernelINS0_14default_configENS1_38merge_sort_block_merge_config_selectorIiiEEZZNS1_27merge_sort_block_merge_implIS3_N6thrust23THRUST_200600_302600_NS6detail15normal_iteratorINS8_10device_ptrIiEEEESD_jNS1_19radix_merge_compareILb0ELb1EiNS0_19identity_decomposerEEEEE10hipError_tT0_T1_T2_jT3_P12ihipStream_tbPNSt15iterator_traitsISI_E10value_typeEPNSO_ISJ_E10value_typeEPSK_NS1_7vsmem_tEENKUlT_SI_SJ_SK_E_clIPiSD_S10_SD_EESH_SX_SI_SJ_SK_EUlSX_E1_NS1_11comp_targetILNS1_3genE5ELNS1_11target_archE942ELNS1_3gpuE9ELNS1_3repE0EEENS1_36merge_oddeven_config_static_selectorELNS0_4arch9wavefront6targetE1EEEvSJ_: ; @_ZN7rocprim17ROCPRIM_400000_NS6detail17trampoline_kernelINS0_14default_configENS1_38merge_sort_block_merge_config_selectorIiiEEZZNS1_27merge_sort_block_merge_implIS3_N6thrust23THRUST_200600_302600_NS6detail15normal_iteratorINS8_10device_ptrIiEEEESD_jNS1_19radix_merge_compareILb0ELb1EiNS0_19identity_decomposerEEEEE10hipError_tT0_T1_T2_jT3_P12ihipStream_tbPNSt15iterator_traitsISI_E10value_typeEPNSO_ISJ_E10value_typeEPSK_NS1_7vsmem_tEENKUlT_SI_SJ_SK_E_clIPiSD_S10_SD_EESH_SX_SI_SJ_SK_EUlSX_E1_NS1_11comp_targetILNS1_3genE5ELNS1_11target_archE942ELNS1_3gpuE9ELNS1_3repE0EEENS1_36merge_oddeven_config_static_selectorELNS0_4arch9wavefront6targetE1EEEvSJ_
; %bb.0:
	.section	.rodata,"a",@progbits
	.p2align	6, 0x0
	.amdhsa_kernel _ZN7rocprim17ROCPRIM_400000_NS6detail17trampoline_kernelINS0_14default_configENS1_38merge_sort_block_merge_config_selectorIiiEEZZNS1_27merge_sort_block_merge_implIS3_N6thrust23THRUST_200600_302600_NS6detail15normal_iteratorINS8_10device_ptrIiEEEESD_jNS1_19radix_merge_compareILb0ELb1EiNS0_19identity_decomposerEEEEE10hipError_tT0_T1_T2_jT3_P12ihipStream_tbPNSt15iterator_traitsISI_E10value_typeEPNSO_ISJ_E10value_typeEPSK_NS1_7vsmem_tEENKUlT_SI_SJ_SK_E_clIPiSD_S10_SD_EESH_SX_SI_SJ_SK_EUlSX_E1_NS1_11comp_targetILNS1_3genE5ELNS1_11target_archE942ELNS1_3gpuE9ELNS1_3repE0EEENS1_36merge_oddeven_config_static_selectorELNS0_4arch9wavefront6targetE1EEEvSJ_
		.amdhsa_group_segment_fixed_size 0
		.amdhsa_private_segment_fixed_size 0
		.amdhsa_kernarg_size 48
		.amdhsa_user_sgpr_count 2
		.amdhsa_user_sgpr_dispatch_ptr 0
		.amdhsa_user_sgpr_queue_ptr 0
		.amdhsa_user_sgpr_kernarg_segment_ptr 1
		.amdhsa_user_sgpr_dispatch_id 0
		.amdhsa_user_sgpr_kernarg_preload_length 0
		.amdhsa_user_sgpr_kernarg_preload_offset 0
		.amdhsa_user_sgpr_private_segment_size 0
		.amdhsa_uses_dynamic_stack 0
		.amdhsa_enable_private_segment 0
		.amdhsa_system_sgpr_workgroup_id_x 1
		.amdhsa_system_sgpr_workgroup_id_y 0
		.amdhsa_system_sgpr_workgroup_id_z 0
		.amdhsa_system_sgpr_workgroup_info 0
		.amdhsa_system_vgpr_workitem_id 0
		.amdhsa_next_free_vgpr 1
		.amdhsa_next_free_sgpr 0
		.amdhsa_accum_offset 4
		.amdhsa_reserve_vcc 0
		.amdhsa_float_round_mode_32 0
		.amdhsa_float_round_mode_16_64 0
		.amdhsa_float_denorm_mode_32 3
		.amdhsa_float_denorm_mode_16_64 3
		.amdhsa_dx10_clamp 1
		.amdhsa_ieee_mode 1
		.amdhsa_fp16_overflow 0
		.amdhsa_tg_split 0
		.amdhsa_exception_fp_ieee_invalid_op 0
		.amdhsa_exception_fp_denorm_src 0
		.amdhsa_exception_fp_ieee_div_zero 0
		.amdhsa_exception_fp_ieee_overflow 0
		.amdhsa_exception_fp_ieee_underflow 0
		.amdhsa_exception_fp_ieee_inexact 0
		.amdhsa_exception_int_div_zero 0
	.end_amdhsa_kernel
	.section	.text._ZN7rocprim17ROCPRIM_400000_NS6detail17trampoline_kernelINS0_14default_configENS1_38merge_sort_block_merge_config_selectorIiiEEZZNS1_27merge_sort_block_merge_implIS3_N6thrust23THRUST_200600_302600_NS6detail15normal_iteratorINS8_10device_ptrIiEEEESD_jNS1_19radix_merge_compareILb0ELb1EiNS0_19identity_decomposerEEEEE10hipError_tT0_T1_T2_jT3_P12ihipStream_tbPNSt15iterator_traitsISI_E10value_typeEPNSO_ISJ_E10value_typeEPSK_NS1_7vsmem_tEENKUlT_SI_SJ_SK_E_clIPiSD_S10_SD_EESH_SX_SI_SJ_SK_EUlSX_E1_NS1_11comp_targetILNS1_3genE5ELNS1_11target_archE942ELNS1_3gpuE9ELNS1_3repE0EEENS1_36merge_oddeven_config_static_selectorELNS0_4arch9wavefront6targetE1EEEvSJ_,"axG",@progbits,_ZN7rocprim17ROCPRIM_400000_NS6detail17trampoline_kernelINS0_14default_configENS1_38merge_sort_block_merge_config_selectorIiiEEZZNS1_27merge_sort_block_merge_implIS3_N6thrust23THRUST_200600_302600_NS6detail15normal_iteratorINS8_10device_ptrIiEEEESD_jNS1_19radix_merge_compareILb0ELb1EiNS0_19identity_decomposerEEEEE10hipError_tT0_T1_T2_jT3_P12ihipStream_tbPNSt15iterator_traitsISI_E10value_typeEPNSO_ISJ_E10value_typeEPSK_NS1_7vsmem_tEENKUlT_SI_SJ_SK_E_clIPiSD_S10_SD_EESH_SX_SI_SJ_SK_EUlSX_E1_NS1_11comp_targetILNS1_3genE5ELNS1_11target_archE942ELNS1_3gpuE9ELNS1_3repE0EEENS1_36merge_oddeven_config_static_selectorELNS0_4arch9wavefront6targetE1EEEvSJ_,comdat
.Lfunc_end774:
	.size	_ZN7rocprim17ROCPRIM_400000_NS6detail17trampoline_kernelINS0_14default_configENS1_38merge_sort_block_merge_config_selectorIiiEEZZNS1_27merge_sort_block_merge_implIS3_N6thrust23THRUST_200600_302600_NS6detail15normal_iteratorINS8_10device_ptrIiEEEESD_jNS1_19radix_merge_compareILb0ELb1EiNS0_19identity_decomposerEEEEE10hipError_tT0_T1_T2_jT3_P12ihipStream_tbPNSt15iterator_traitsISI_E10value_typeEPNSO_ISJ_E10value_typeEPSK_NS1_7vsmem_tEENKUlT_SI_SJ_SK_E_clIPiSD_S10_SD_EESH_SX_SI_SJ_SK_EUlSX_E1_NS1_11comp_targetILNS1_3genE5ELNS1_11target_archE942ELNS1_3gpuE9ELNS1_3repE0EEENS1_36merge_oddeven_config_static_selectorELNS0_4arch9wavefront6targetE1EEEvSJ_, .Lfunc_end774-_ZN7rocprim17ROCPRIM_400000_NS6detail17trampoline_kernelINS0_14default_configENS1_38merge_sort_block_merge_config_selectorIiiEEZZNS1_27merge_sort_block_merge_implIS3_N6thrust23THRUST_200600_302600_NS6detail15normal_iteratorINS8_10device_ptrIiEEEESD_jNS1_19radix_merge_compareILb0ELb1EiNS0_19identity_decomposerEEEEE10hipError_tT0_T1_T2_jT3_P12ihipStream_tbPNSt15iterator_traitsISI_E10value_typeEPNSO_ISJ_E10value_typeEPSK_NS1_7vsmem_tEENKUlT_SI_SJ_SK_E_clIPiSD_S10_SD_EESH_SX_SI_SJ_SK_EUlSX_E1_NS1_11comp_targetILNS1_3genE5ELNS1_11target_archE942ELNS1_3gpuE9ELNS1_3repE0EEENS1_36merge_oddeven_config_static_selectorELNS0_4arch9wavefront6targetE1EEEvSJ_
                                        ; -- End function
	.set _ZN7rocprim17ROCPRIM_400000_NS6detail17trampoline_kernelINS0_14default_configENS1_38merge_sort_block_merge_config_selectorIiiEEZZNS1_27merge_sort_block_merge_implIS3_N6thrust23THRUST_200600_302600_NS6detail15normal_iteratorINS8_10device_ptrIiEEEESD_jNS1_19radix_merge_compareILb0ELb1EiNS0_19identity_decomposerEEEEE10hipError_tT0_T1_T2_jT3_P12ihipStream_tbPNSt15iterator_traitsISI_E10value_typeEPNSO_ISJ_E10value_typeEPSK_NS1_7vsmem_tEENKUlT_SI_SJ_SK_E_clIPiSD_S10_SD_EESH_SX_SI_SJ_SK_EUlSX_E1_NS1_11comp_targetILNS1_3genE5ELNS1_11target_archE942ELNS1_3gpuE9ELNS1_3repE0EEENS1_36merge_oddeven_config_static_selectorELNS0_4arch9wavefront6targetE1EEEvSJ_.num_vgpr, 0
	.set _ZN7rocprim17ROCPRIM_400000_NS6detail17trampoline_kernelINS0_14default_configENS1_38merge_sort_block_merge_config_selectorIiiEEZZNS1_27merge_sort_block_merge_implIS3_N6thrust23THRUST_200600_302600_NS6detail15normal_iteratorINS8_10device_ptrIiEEEESD_jNS1_19radix_merge_compareILb0ELb1EiNS0_19identity_decomposerEEEEE10hipError_tT0_T1_T2_jT3_P12ihipStream_tbPNSt15iterator_traitsISI_E10value_typeEPNSO_ISJ_E10value_typeEPSK_NS1_7vsmem_tEENKUlT_SI_SJ_SK_E_clIPiSD_S10_SD_EESH_SX_SI_SJ_SK_EUlSX_E1_NS1_11comp_targetILNS1_3genE5ELNS1_11target_archE942ELNS1_3gpuE9ELNS1_3repE0EEENS1_36merge_oddeven_config_static_selectorELNS0_4arch9wavefront6targetE1EEEvSJ_.num_agpr, 0
	.set _ZN7rocprim17ROCPRIM_400000_NS6detail17trampoline_kernelINS0_14default_configENS1_38merge_sort_block_merge_config_selectorIiiEEZZNS1_27merge_sort_block_merge_implIS3_N6thrust23THRUST_200600_302600_NS6detail15normal_iteratorINS8_10device_ptrIiEEEESD_jNS1_19radix_merge_compareILb0ELb1EiNS0_19identity_decomposerEEEEE10hipError_tT0_T1_T2_jT3_P12ihipStream_tbPNSt15iterator_traitsISI_E10value_typeEPNSO_ISJ_E10value_typeEPSK_NS1_7vsmem_tEENKUlT_SI_SJ_SK_E_clIPiSD_S10_SD_EESH_SX_SI_SJ_SK_EUlSX_E1_NS1_11comp_targetILNS1_3genE5ELNS1_11target_archE942ELNS1_3gpuE9ELNS1_3repE0EEENS1_36merge_oddeven_config_static_selectorELNS0_4arch9wavefront6targetE1EEEvSJ_.numbered_sgpr, 0
	.set _ZN7rocprim17ROCPRIM_400000_NS6detail17trampoline_kernelINS0_14default_configENS1_38merge_sort_block_merge_config_selectorIiiEEZZNS1_27merge_sort_block_merge_implIS3_N6thrust23THRUST_200600_302600_NS6detail15normal_iteratorINS8_10device_ptrIiEEEESD_jNS1_19radix_merge_compareILb0ELb1EiNS0_19identity_decomposerEEEEE10hipError_tT0_T1_T2_jT3_P12ihipStream_tbPNSt15iterator_traitsISI_E10value_typeEPNSO_ISJ_E10value_typeEPSK_NS1_7vsmem_tEENKUlT_SI_SJ_SK_E_clIPiSD_S10_SD_EESH_SX_SI_SJ_SK_EUlSX_E1_NS1_11comp_targetILNS1_3genE5ELNS1_11target_archE942ELNS1_3gpuE9ELNS1_3repE0EEENS1_36merge_oddeven_config_static_selectorELNS0_4arch9wavefront6targetE1EEEvSJ_.num_named_barrier, 0
	.set _ZN7rocprim17ROCPRIM_400000_NS6detail17trampoline_kernelINS0_14default_configENS1_38merge_sort_block_merge_config_selectorIiiEEZZNS1_27merge_sort_block_merge_implIS3_N6thrust23THRUST_200600_302600_NS6detail15normal_iteratorINS8_10device_ptrIiEEEESD_jNS1_19radix_merge_compareILb0ELb1EiNS0_19identity_decomposerEEEEE10hipError_tT0_T1_T2_jT3_P12ihipStream_tbPNSt15iterator_traitsISI_E10value_typeEPNSO_ISJ_E10value_typeEPSK_NS1_7vsmem_tEENKUlT_SI_SJ_SK_E_clIPiSD_S10_SD_EESH_SX_SI_SJ_SK_EUlSX_E1_NS1_11comp_targetILNS1_3genE5ELNS1_11target_archE942ELNS1_3gpuE9ELNS1_3repE0EEENS1_36merge_oddeven_config_static_selectorELNS0_4arch9wavefront6targetE1EEEvSJ_.private_seg_size, 0
	.set _ZN7rocprim17ROCPRIM_400000_NS6detail17trampoline_kernelINS0_14default_configENS1_38merge_sort_block_merge_config_selectorIiiEEZZNS1_27merge_sort_block_merge_implIS3_N6thrust23THRUST_200600_302600_NS6detail15normal_iteratorINS8_10device_ptrIiEEEESD_jNS1_19radix_merge_compareILb0ELb1EiNS0_19identity_decomposerEEEEE10hipError_tT0_T1_T2_jT3_P12ihipStream_tbPNSt15iterator_traitsISI_E10value_typeEPNSO_ISJ_E10value_typeEPSK_NS1_7vsmem_tEENKUlT_SI_SJ_SK_E_clIPiSD_S10_SD_EESH_SX_SI_SJ_SK_EUlSX_E1_NS1_11comp_targetILNS1_3genE5ELNS1_11target_archE942ELNS1_3gpuE9ELNS1_3repE0EEENS1_36merge_oddeven_config_static_selectorELNS0_4arch9wavefront6targetE1EEEvSJ_.uses_vcc, 0
	.set _ZN7rocprim17ROCPRIM_400000_NS6detail17trampoline_kernelINS0_14default_configENS1_38merge_sort_block_merge_config_selectorIiiEEZZNS1_27merge_sort_block_merge_implIS3_N6thrust23THRUST_200600_302600_NS6detail15normal_iteratorINS8_10device_ptrIiEEEESD_jNS1_19radix_merge_compareILb0ELb1EiNS0_19identity_decomposerEEEEE10hipError_tT0_T1_T2_jT3_P12ihipStream_tbPNSt15iterator_traitsISI_E10value_typeEPNSO_ISJ_E10value_typeEPSK_NS1_7vsmem_tEENKUlT_SI_SJ_SK_E_clIPiSD_S10_SD_EESH_SX_SI_SJ_SK_EUlSX_E1_NS1_11comp_targetILNS1_3genE5ELNS1_11target_archE942ELNS1_3gpuE9ELNS1_3repE0EEENS1_36merge_oddeven_config_static_selectorELNS0_4arch9wavefront6targetE1EEEvSJ_.uses_flat_scratch, 0
	.set _ZN7rocprim17ROCPRIM_400000_NS6detail17trampoline_kernelINS0_14default_configENS1_38merge_sort_block_merge_config_selectorIiiEEZZNS1_27merge_sort_block_merge_implIS3_N6thrust23THRUST_200600_302600_NS6detail15normal_iteratorINS8_10device_ptrIiEEEESD_jNS1_19radix_merge_compareILb0ELb1EiNS0_19identity_decomposerEEEEE10hipError_tT0_T1_T2_jT3_P12ihipStream_tbPNSt15iterator_traitsISI_E10value_typeEPNSO_ISJ_E10value_typeEPSK_NS1_7vsmem_tEENKUlT_SI_SJ_SK_E_clIPiSD_S10_SD_EESH_SX_SI_SJ_SK_EUlSX_E1_NS1_11comp_targetILNS1_3genE5ELNS1_11target_archE942ELNS1_3gpuE9ELNS1_3repE0EEENS1_36merge_oddeven_config_static_selectorELNS0_4arch9wavefront6targetE1EEEvSJ_.has_dyn_sized_stack, 0
	.set _ZN7rocprim17ROCPRIM_400000_NS6detail17trampoline_kernelINS0_14default_configENS1_38merge_sort_block_merge_config_selectorIiiEEZZNS1_27merge_sort_block_merge_implIS3_N6thrust23THRUST_200600_302600_NS6detail15normal_iteratorINS8_10device_ptrIiEEEESD_jNS1_19radix_merge_compareILb0ELb1EiNS0_19identity_decomposerEEEEE10hipError_tT0_T1_T2_jT3_P12ihipStream_tbPNSt15iterator_traitsISI_E10value_typeEPNSO_ISJ_E10value_typeEPSK_NS1_7vsmem_tEENKUlT_SI_SJ_SK_E_clIPiSD_S10_SD_EESH_SX_SI_SJ_SK_EUlSX_E1_NS1_11comp_targetILNS1_3genE5ELNS1_11target_archE942ELNS1_3gpuE9ELNS1_3repE0EEENS1_36merge_oddeven_config_static_selectorELNS0_4arch9wavefront6targetE1EEEvSJ_.has_recursion, 0
	.set _ZN7rocprim17ROCPRIM_400000_NS6detail17trampoline_kernelINS0_14default_configENS1_38merge_sort_block_merge_config_selectorIiiEEZZNS1_27merge_sort_block_merge_implIS3_N6thrust23THRUST_200600_302600_NS6detail15normal_iteratorINS8_10device_ptrIiEEEESD_jNS1_19radix_merge_compareILb0ELb1EiNS0_19identity_decomposerEEEEE10hipError_tT0_T1_T2_jT3_P12ihipStream_tbPNSt15iterator_traitsISI_E10value_typeEPNSO_ISJ_E10value_typeEPSK_NS1_7vsmem_tEENKUlT_SI_SJ_SK_E_clIPiSD_S10_SD_EESH_SX_SI_SJ_SK_EUlSX_E1_NS1_11comp_targetILNS1_3genE5ELNS1_11target_archE942ELNS1_3gpuE9ELNS1_3repE0EEENS1_36merge_oddeven_config_static_selectorELNS0_4arch9wavefront6targetE1EEEvSJ_.has_indirect_call, 0
	.section	.AMDGPU.csdata,"",@progbits
; Kernel info:
; codeLenInByte = 0
; TotalNumSgprs: 6
; NumVgprs: 0
; NumAgprs: 0
; TotalNumVgprs: 0
; ScratchSize: 0
; MemoryBound: 0
; FloatMode: 240
; IeeeMode: 1
; LDSByteSize: 0 bytes/workgroup (compile time only)
; SGPRBlocks: 0
; VGPRBlocks: 0
; NumSGPRsForWavesPerEU: 6
; NumVGPRsForWavesPerEU: 1
; AccumOffset: 4
; Occupancy: 8
; WaveLimiterHint : 0
; COMPUTE_PGM_RSRC2:SCRATCH_EN: 0
; COMPUTE_PGM_RSRC2:USER_SGPR: 2
; COMPUTE_PGM_RSRC2:TRAP_HANDLER: 0
; COMPUTE_PGM_RSRC2:TGID_X_EN: 1
; COMPUTE_PGM_RSRC2:TGID_Y_EN: 0
; COMPUTE_PGM_RSRC2:TGID_Z_EN: 0
; COMPUTE_PGM_RSRC2:TIDIG_COMP_CNT: 0
; COMPUTE_PGM_RSRC3_GFX90A:ACCUM_OFFSET: 0
; COMPUTE_PGM_RSRC3_GFX90A:TG_SPLIT: 0
	.section	.text._ZN7rocprim17ROCPRIM_400000_NS6detail17trampoline_kernelINS0_14default_configENS1_38merge_sort_block_merge_config_selectorIiiEEZZNS1_27merge_sort_block_merge_implIS3_N6thrust23THRUST_200600_302600_NS6detail15normal_iteratorINS8_10device_ptrIiEEEESD_jNS1_19radix_merge_compareILb0ELb1EiNS0_19identity_decomposerEEEEE10hipError_tT0_T1_T2_jT3_P12ihipStream_tbPNSt15iterator_traitsISI_E10value_typeEPNSO_ISJ_E10value_typeEPSK_NS1_7vsmem_tEENKUlT_SI_SJ_SK_E_clIPiSD_S10_SD_EESH_SX_SI_SJ_SK_EUlSX_E1_NS1_11comp_targetILNS1_3genE4ELNS1_11target_archE910ELNS1_3gpuE8ELNS1_3repE0EEENS1_36merge_oddeven_config_static_selectorELNS0_4arch9wavefront6targetE1EEEvSJ_,"axG",@progbits,_ZN7rocprim17ROCPRIM_400000_NS6detail17trampoline_kernelINS0_14default_configENS1_38merge_sort_block_merge_config_selectorIiiEEZZNS1_27merge_sort_block_merge_implIS3_N6thrust23THRUST_200600_302600_NS6detail15normal_iteratorINS8_10device_ptrIiEEEESD_jNS1_19radix_merge_compareILb0ELb1EiNS0_19identity_decomposerEEEEE10hipError_tT0_T1_T2_jT3_P12ihipStream_tbPNSt15iterator_traitsISI_E10value_typeEPNSO_ISJ_E10value_typeEPSK_NS1_7vsmem_tEENKUlT_SI_SJ_SK_E_clIPiSD_S10_SD_EESH_SX_SI_SJ_SK_EUlSX_E1_NS1_11comp_targetILNS1_3genE4ELNS1_11target_archE910ELNS1_3gpuE8ELNS1_3repE0EEENS1_36merge_oddeven_config_static_selectorELNS0_4arch9wavefront6targetE1EEEvSJ_,comdat
	.protected	_ZN7rocprim17ROCPRIM_400000_NS6detail17trampoline_kernelINS0_14default_configENS1_38merge_sort_block_merge_config_selectorIiiEEZZNS1_27merge_sort_block_merge_implIS3_N6thrust23THRUST_200600_302600_NS6detail15normal_iteratorINS8_10device_ptrIiEEEESD_jNS1_19radix_merge_compareILb0ELb1EiNS0_19identity_decomposerEEEEE10hipError_tT0_T1_T2_jT3_P12ihipStream_tbPNSt15iterator_traitsISI_E10value_typeEPNSO_ISJ_E10value_typeEPSK_NS1_7vsmem_tEENKUlT_SI_SJ_SK_E_clIPiSD_S10_SD_EESH_SX_SI_SJ_SK_EUlSX_E1_NS1_11comp_targetILNS1_3genE4ELNS1_11target_archE910ELNS1_3gpuE8ELNS1_3repE0EEENS1_36merge_oddeven_config_static_selectorELNS0_4arch9wavefront6targetE1EEEvSJ_ ; -- Begin function _ZN7rocprim17ROCPRIM_400000_NS6detail17trampoline_kernelINS0_14default_configENS1_38merge_sort_block_merge_config_selectorIiiEEZZNS1_27merge_sort_block_merge_implIS3_N6thrust23THRUST_200600_302600_NS6detail15normal_iteratorINS8_10device_ptrIiEEEESD_jNS1_19radix_merge_compareILb0ELb1EiNS0_19identity_decomposerEEEEE10hipError_tT0_T1_T2_jT3_P12ihipStream_tbPNSt15iterator_traitsISI_E10value_typeEPNSO_ISJ_E10value_typeEPSK_NS1_7vsmem_tEENKUlT_SI_SJ_SK_E_clIPiSD_S10_SD_EESH_SX_SI_SJ_SK_EUlSX_E1_NS1_11comp_targetILNS1_3genE4ELNS1_11target_archE910ELNS1_3gpuE8ELNS1_3repE0EEENS1_36merge_oddeven_config_static_selectorELNS0_4arch9wavefront6targetE1EEEvSJ_
	.globl	_ZN7rocprim17ROCPRIM_400000_NS6detail17trampoline_kernelINS0_14default_configENS1_38merge_sort_block_merge_config_selectorIiiEEZZNS1_27merge_sort_block_merge_implIS3_N6thrust23THRUST_200600_302600_NS6detail15normal_iteratorINS8_10device_ptrIiEEEESD_jNS1_19radix_merge_compareILb0ELb1EiNS0_19identity_decomposerEEEEE10hipError_tT0_T1_T2_jT3_P12ihipStream_tbPNSt15iterator_traitsISI_E10value_typeEPNSO_ISJ_E10value_typeEPSK_NS1_7vsmem_tEENKUlT_SI_SJ_SK_E_clIPiSD_S10_SD_EESH_SX_SI_SJ_SK_EUlSX_E1_NS1_11comp_targetILNS1_3genE4ELNS1_11target_archE910ELNS1_3gpuE8ELNS1_3repE0EEENS1_36merge_oddeven_config_static_selectorELNS0_4arch9wavefront6targetE1EEEvSJ_
	.p2align	8
	.type	_ZN7rocprim17ROCPRIM_400000_NS6detail17trampoline_kernelINS0_14default_configENS1_38merge_sort_block_merge_config_selectorIiiEEZZNS1_27merge_sort_block_merge_implIS3_N6thrust23THRUST_200600_302600_NS6detail15normal_iteratorINS8_10device_ptrIiEEEESD_jNS1_19radix_merge_compareILb0ELb1EiNS0_19identity_decomposerEEEEE10hipError_tT0_T1_T2_jT3_P12ihipStream_tbPNSt15iterator_traitsISI_E10value_typeEPNSO_ISJ_E10value_typeEPSK_NS1_7vsmem_tEENKUlT_SI_SJ_SK_E_clIPiSD_S10_SD_EESH_SX_SI_SJ_SK_EUlSX_E1_NS1_11comp_targetILNS1_3genE4ELNS1_11target_archE910ELNS1_3gpuE8ELNS1_3repE0EEENS1_36merge_oddeven_config_static_selectorELNS0_4arch9wavefront6targetE1EEEvSJ_,@function
_ZN7rocprim17ROCPRIM_400000_NS6detail17trampoline_kernelINS0_14default_configENS1_38merge_sort_block_merge_config_selectorIiiEEZZNS1_27merge_sort_block_merge_implIS3_N6thrust23THRUST_200600_302600_NS6detail15normal_iteratorINS8_10device_ptrIiEEEESD_jNS1_19radix_merge_compareILb0ELb1EiNS0_19identity_decomposerEEEEE10hipError_tT0_T1_T2_jT3_P12ihipStream_tbPNSt15iterator_traitsISI_E10value_typeEPNSO_ISJ_E10value_typeEPSK_NS1_7vsmem_tEENKUlT_SI_SJ_SK_E_clIPiSD_S10_SD_EESH_SX_SI_SJ_SK_EUlSX_E1_NS1_11comp_targetILNS1_3genE4ELNS1_11target_archE910ELNS1_3gpuE8ELNS1_3repE0EEENS1_36merge_oddeven_config_static_selectorELNS0_4arch9wavefront6targetE1EEEvSJ_: ; @_ZN7rocprim17ROCPRIM_400000_NS6detail17trampoline_kernelINS0_14default_configENS1_38merge_sort_block_merge_config_selectorIiiEEZZNS1_27merge_sort_block_merge_implIS3_N6thrust23THRUST_200600_302600_NS6detail15normal_iteratorINS8_10device_ptrIiEEEESD_jNS1_19radix_merge_compareILb0ELb1EiNS0_19identity_decomposerEEEEE10hipError_tT0_T1_T2_jT3_P12ihipStream_tbPNSt15iterator_traitsISI_E10value_typeEPNSO_ISJ_E10value_typeEPSK_NS1_7vsmem_tEENKUlT_SI_SJ_SK_E_clIPiSD_S10_SD_EESH_SX_SI_SJ_SK_EUlSX_E1_NS1_11comp_targetILNS1_3genE4ELNS1_11target_archE910ELNS1_3gpuE8ELNS1_3repE0EEENS1_36merge_oddeven_config_static_selectorELNS0_4arch9wavefront6targetE1EEEvSJ_
; %bb.0:
	.section	.rodata,"a",@progbits
	.p2align	6, 0x0
	.amdhsa_kernel _ZN7rocprim17ROCPRIM_400000_NS6detail17trampoline_kernelINS0_14default_configENS1_38merge_sort_block_merge_config_selectorIiiEEZZNS1_27merge_sort_block_merge_implIS3_N6thrust23THRUST_200600_302600_NS6detail15normal_iteratorINS8_10device_ptrIiEEEESD_jNS1_19radix_merge_compareILb0ELb1EiNS0_19identity_decomposerEEEEE10hipError_tT0_T1_T2_jT3_P12ihipStream_tbPNSt15iterator_traitsISI_E10value_typeEPNSO_ISJ_E10value_typeEPSK_NS1_7vsmem_tEENKUlT_SI_SJ_SK_E_clIPiSD_S10_SD_EESH_SX_SI_SJ_SK_EUlSX_E1_NS1_11comp_targetILNS1_3genE4ELNS1_11target_archE910ELNS1_3gpuE8ELNS1_3repE0EEENS1_36merge_oddeven_config_static_selectorELNS0_4arch9wavefront6targetE1EEEvSJ_
		.amdhsa_group_segment_fixed_size 0
		.amdhsa_private_segment_fixed_size 0
		.amdhsa_kernarg_size 48
		.amdhsa_user_sgpr_count 2
		.amdhsa_user_sgpr_dispatch_ptr 0
		.amdhsa_user_sgpr_queue_ptr 0
		.amdhsa_user_sgpr_kernarg_segment_ptr 1
		.amdhsa_user_sgpr_dispatch_id 0
		.amdhsa_user_sgpr_kernarg_preload_length 0
		.amdhsa_user_sgpr_kernarg_preload_offset 0
		.amdhsa_user_sgpr_private_segment_size 0
		.amdhsa_uses_dynamic_stack 0
		.amdhsa_enable_private_segment 0
		.amdhsa_system_sgpr_workgroup_id_x 1
		.amdhsa_system_sgpr_workgroup_id_y 0
		.amdhsa_system_sgpr_workgroup_id_z 0
		.amdhsa_system_sgpr_workgroup_info 0
		.amdhsa_system_vgpr_workitem_id 0
		.amdhsa_next_free_vgpr 1
		.amdhsa_next_free_sgpr 0
		.amdhsa_accum_offset 4
		.amdhsa_reserve_vcc 0
		.amdhsa_float_round_mode_32 0
		.amdhsa_float_round_mode_16_64 0
		.amdhsa_float_denorm_mode_32 3
		.amdhsa_float_denorm_mode_16_64 3
		.amdhsa_dx10_clamp 1
		.amdhsa_ieee_mode 1
		.amdhsa_fp16_overflow 0
		.amdhsa_tg_split 0
		.amdhsa_exception_fp_ieee_invalid_op 0
		.amdhsa_exception_fp_denorm_src 0
		.amdhsa_exception_fp_ieee_div_zero 0
		.amdhsa_exception_fp_ieee_overflow 0
		.amdhsa_exception_fp_ieee_underflow 0
		.amdhsa_exception_fp_ieee_inexact 0
		.amdhsa_exception_int_div_zero 0
	.end_amdhsa_kernel
	.section	.text._ZN7rocprim17ROCPRIM_400000_NS6detail17trampoline_kernelINS0_14default_configENS1_38merge_sort_block_merge_config_selectorIiiEEZZNS1_27merge_sort_block_merge_implIS3_N6thrust23THRUST_200600_302600_NS6detail15normal_iteratorINS8_10device_ptrIiEEEESD_jNS1_19radix_merge_compareILb0ELb1EiNS0_19identity_decomposerEEEEE10hipError_tT0_T1_T2_jT3_P12ihipStream_tbPNSt15iterator_traitsISI_E10value_typeEPNSO_ISJ_E10value_typeEPSK_NS1_7vsmem_tEENKUlT_SI_SJ_SK_E_clIPiSD_S10_SD_EESH_SX_SI_SJ_SK_EUlSX_E1_NS1_11comp_targetILNS1_3genE4ELNS1_11target_archE910ELNS1_3gpuE8ELNS1_3repE0EEENS1_36merge_oddeven_config_static_selectorELNS0_4arch9wavefront6targetE1EEEvSJ_,"axG",@progbits,_ZN7rocprim17ROCPRIM_400000_NS6detail17trampoline_kernelINS0_14default_configENS1_38merge_sort_block_merge_config_selectorIiiEEZZNS1_27merge_sort_block_merge_implIS3_N6thrust23THRUST_200600_302600_NS6detail15normal_iteratorINS8_10device_ptrIiEEEESD_jNS1_19radix_merge_compareILb0ELb1EiNS0_19identity_decomposerEEEEE10hipError_tT0_T1_T2_jT3_P12ihipStream_tbPNSt15iterator_traitsISI_E10value_typeEPNSO_ISJ_E10value_typeEPSK_NS1_7vsmem_tEENKUlT_SI_SJ_SK_E_clIPiSD_S10_SD_EESH_SX_SI_SJ_SK_EUlSX_E1_NS1_11comp_targetILNS1_3genE4ELNS1_11target_archE910ELNS1_3gpuE8ELNS1_3repE0EEENS1_36merge_oddeven_config_static_selectorELNS0_4arch9wavefront6targetE1EEEvSJ_,comdat
.Lfunc_end775:
	.size	_ZN7rocprim17ROCPRIM_400000_NS6detail17trampoline_kernelINS0_14default_configENS1_38merge_sort_block_merge_config_selectorIiiEEZZNS1_27merge_sort_block_merge_implIS3_N6thrust23THRUST_200600_302600_NS6detail15normal_iteratorINS8_10device_ptrIiEEEESD_jNS1_19radix_merge_compareILb0ELb1EiNS0_19identity_decomposerEEEEE10hipError_tT0_T1_T2_jT3_P12ihipStream_tbPNSt15iterator_traitsISI_E10value_typeEPNSO_ISJ_E10value_typeEPSK_NS1_7vsmem_tEENKUlT_SI_SJ_SK_E_clIPiSD_S10_SD_EESH_SX_SI_SJ_SK_EUlSX_E1_NS1_11comp_targetILNS1_3genE4ELNS1_11target_archE910ELNS1_3gpuE8ELNS1_3repE0EEENS1_36merge_oddeven_config_static_selectorELNS0_4arch9wavefront6targetE1EEEvSJ_, .Lfunc_end775-_ZN7rocprim17ROCPRIM_400000_NS6detail17trampoline_kernelINS0_14default_configENS1_38merge_sort_block_merge_config_selectorIiiEEZZNS1_27merge_sort_block_merge_implIS3_N6thrust23THRUST_200600_302600_NS6detail15normal_iteratorINS8_10device_ptrIiEEEESD_jNS1_19radix_merge_compareILb0ELb1EiNS0_19identity_decomposerEEEEE10hipError_tT0_T1_T2_jT3_P12ihipStream_tbPNSt15iterator_traitsISI_E10value_typeEPNSO_ISJ_E10value_typeEPSK_NS1_7vsmem_tEENKUlT_SI_SJ_SK_E_clIPiSD_S10_SD_EESH_SX_SI_SJ_SK_EUlSX_E1_NS1_11comp_targetILNS1_3genE4ELNS1_11target_archE910ELNS1_3gpuE8ELNS1_3repE0EEENS1_36merge_oddeven_config_static_selectorELNS0_4arch9wavefront6targetE1EEEvSJ_
                                        ; -- End function
	.set _ZN7rocprim17ROCPRIM_400000_NS6detail17trampoline_kernelINS0_14default_configENS1_38merge_sort_block_merge_config_selectorIiiEEZZNS1_27merge_sort_block_merge_implIS3_N6thrust23THRUST_200600_302600_NS6detail15normal_iteratorINS8_10device_ptrIiEEEESD_jNS1_19radix_merge_compareILb0ELb1EiNS0_19identity_decomposerEEEEE10hipError_tT0_T1_T2_jT3_P12ihipStream_tbPNSt15iterator_traitsISI_E10value_typeEPNSO_ISJ_E10value_typeEPSK_NS1_7vsmem_tEENKUlT_SI_SJ_SK_E_clIPiSD_S10_SD_EESH_SX_SI_SJ_SK_EUlSX_E1_NS1_11comp_targetILNS1_3genE4ELNS1_11target_archE910ELNS1_3gpuE8ELNS1_3repE0EEENS1_36merge_oddeven_config_static_selectorELNS0_4arch9wavefront6targetE1EEEvSJ_.num_vgpr, 0
	.set _ZN7rocprim17ROCPRIM_400000_NS6detail17trampoline_kernelINS0_14default_configENS1_38merge_sort_block_merge_config_selectorIiiEEZZNS1_27merge_sort_block_merge_implIS3_N6thrust23THRUST_200600_302600_NS6detail15normal_iteratorINS8_10device_ptrIiEEEESD_jNS1_19radix_merge_compareILb0ELb1EiNS0_19identity_decomposerEEEEE10hipError_tT0_T1_T2_jT3_P12ihipStream_tbPNSt15iterator_traitsISI_E10value_typeEPNSO_ISJ_E10value_typeEPSK_NS1_7vsmem_tEENKUlT_SI_SJ_SK_E_clIPiSD_S10_SD_EESH_SX_SI_SJ_SK_EUlSX_E1_NS1_11comp_targetILNS1_3genE4ELNS1_11target_archE910ELNS1_3gpuE8ELNS1_3repE0EEENS1_36merge_oddeven_config_static_selectorELNS0_4arch9wavefront6targetE1EEEvSJ_.num_agpr, 0
	.set _ZN7rocprim17ROCPRIM_400000_NS6detail17trampoline_kernelINS0_14default_configENS1_38merge_sort_block_merge_config_selectorIiiEEZZNS1_27merge_sort_block_merge_implIS3_N6thrust23THRUST_200600_302600_NS6detail15normal_iteratorINS8_10device_ptrIiEEEESD_jNS1_19radix_merge_compareILb0ELb1EiNS0_19identity_decomposerEEEEE10hipError_tT0_T1_T2_jT3_P12ihipStream_tbPNSt15iterator_traitsISI_E10value_typeEPNSO_ISJ_E10value_typeEPSK_NS1_7vsmem_tEENKUlT_SI_SJ_SK_E_clIPiSD_S10_SD_EESH_SX_SI_SJ_SK_EUlSX_E1_NS1_11comp_targetILNS1_3genE4ELNS1_11target_archE910ELNS1_3gpuE8ELNS1_3repE0EEENS1_36merge_oddeven_config_static_selectorELNS0_4arch9wavefront6targetE1EEEvSJ_.numbered_sgpr, 0
	.set _ZN7rocprim17ROCPRIM_400000_NS6detail17trampoline_kernelINS0_14default_configENS1_38merge_sort_block_merge_config_selectorIiiEEZZNS1_27merge_sort_block_merge_implIS3_N6thrust23THRUST_200600_302600_NS6detail15normal_iteratorINS8_10device_ptrIiEEEESD_jNS1_19radix_merge_compareILb0ELb1EiNS0_19identity_decomposerEEEEE10hipError_tT0_T1_T2_jT3_P12ihipStream_tbPNSt15iterator_traitsISI_E10value_typeEPNSO_ISJ_E10value_typeEPSK_NS1_7vsmem_tEENKUlT_SI_SJ_SK_E_clIPiSD_S10_SD_EESH_SX_SI_SJ_SK_EUlSX_E1_NS1_11comp_targetILNS1_3genE4ELNS1_11target_archE910ELNS1_3gpuE8ELNS1_3repE0EEENS1_36merge_oddeven_config_static_selectorELNS0_4arch9wavefront6targetE1EEEvSJ_.num_named_barrier, 0
	.set _ZN7rocprim17ROCPRIM_400000_NS6detail17trampoline_kernelINS0_14default_configENS1_38merge_sort_block_merge_config_selectorIiiEEZZNS1_27merge_sort_block_merge_implIS3_N6thrust23THRUST_200600_302600_NS6detail15normal_iteratorINS8_10device_ptrIiEEEESD_jNS1_19radix_merge_compareILb0ELb1EiNS0_19identity_decomposerEEEEE10hipError_tT0_T1_T2_jT3_P12ihipStream_tbPNSt15iterator_traitsISI_E10value_typeEPNSO_ISJ_E10value_typeEPSK_NS1_7vsmem_tEENKUlT_SI_SJ_SK_E_clIPiSD_S10_SD_EESH_SX_SI_SJ_SK_EUlSX_E1_NS1_11comp_targetILNS1_3genE4ELNS1_11target_archE910ELNS1_3gpuE8ELNS1_3repE0EEENS1_36merge_oddeven_config_static_selectorELNS0_4arch9wavefront6targetE1EEEvSJ_.private_seg_size, 0
	.set _ZN7rocprim17ROCPRIM_400000_NS6detail17trampoline_kernelINS0_14default_configENS1_38merge_sort_block_merge_config_selectorIiiEEZZNS1_27merge_sort_block_merge_implIS3_N6thrust23THRUST_200600_302600_NS6detail15normal_iteratorINS8_10device_ptrIiEEEESD_jNS1_19radix_merge_compareILb0ELb1EiNS0_19identity_decomposerEEEEE10hipError_tT0_T1_T2_jT3_P12ihipStream_tbPNSt15iterator_traitsISI_E10value_typeEPNSO_ISJ_E10value_typeEPSK_NS1_7vsmem_tEENKUlT_SI_SJ_SK_E_clIPiSD_S10_SD_EESH_SX_SI_SJ_SK_EUlSX_E1_NS1_11comp_targetILNS1_3genE4ELNS1_11target_archE910ELNS1_3gpuE8ELNS1_3repE0EEENS1_36merge_oddeven_config_static_selectorELNS0_4arch9wavefront6targetE1EEEvSJ_.uses_vcc, 0
	.set _ZN7rocprim17ROCPRIM_400000_NS6detail17trampoline_kernelINS0_14default_configENS1_38merge_sort_block_merge_config_selectorIiiEEZZNS1_27merge_sort_block_merge_implIS3_N6thrust23THRUST_200600_302600_NS6detail15normal_iteratorINS8_10device_ptrIiEEEESD_jNS1_19radix_merge_compareILb0ELb1EiNS0_19identity_decomposerEEEEE10hipError_tT0_T1_T2_jT3_P12ihipStream_tbPNSt15iterator_traitsISI_E10value_typeEPNSO_ISJ_E10value_typeEPSK_NS1_7vsmem_tEENKUlT_SI_SJ_SK_E_clIPiSD_S10_SD_EESH_SX_SI_SJ_SK_EUlSX_E1_NS1_11comp_targetILNS1_3genE4ELNS1_11target_archE910ELNS1_3gpuE8ELNS1_3repE0EEENS1_36merge_oddeven_config_static_selectorELNS0_4arch9wavefront6targetE1EEEvSJ_.uses_flat_scratch, 0
	.set _ZN7rocprim17ROCPRIM_400000_NS6detail17trampoline_kernelINS0_14default_configENS1_38merge_sort_block_merge_config_selectorIiiEEZZNS1_27merge_sort_block_merge_implIS3_N6thrust23THRUST_200600_302600_NS6detail15normal_iteratorINS8_10device_ptrIiEEEESD_jNS1_19radix_merge_compareILb0ELb1EiNS0_19identity_decomposerEEEEE10hipError_tT0_T1_T2_jT3_P12ihipStream_tbPNSt15iterator_traitsISI_E10value_typeEPNSO_ISJ_E10value_typeEPSK_NS1_7vsmem_tEENKUlT_SI_SJ_SK_E_clIPiSD_S10_SD_EESH_SX_SI_SJ_SK_EUlSX_E1_NS1_11comp_targetILNS1_3genE4ELNS1_11target_archE910ELNS1_3gpuE8ELNS1_3repE0EEENS1_36merge_oddeven_config_static_selectorELNS0_4arch9wavefront6targetE1EEEvSJ_.has_dyn_sized_stack, 0
	.set _ZN7rocprim17ROCPRIM_400000_NS6detail17trampoline_kernelINS0_14default_configENS1_38merge_sort_block_merge_config_selectorIiiEEZZNS1_27merge_sort_block_merge_implIS3_N6thrust23THRUST_200600_302600_NS6detail15normal_iteratorINS8_10device_ptrIiEEEESD_jNS1_19radix_merge_compareILb0ELb1EiNS0_19identity_decomposerEEEEE10hipError_tT0_T1_T2_jT3_P12ihipStream_tbPNSt15iterator_traitsISI_E10value_typeEPNSO_ISJ_E10value_typeEPSK_NS1_7vsmem_tEENKUlT_SI_SJ_SK_E_clIPiSD_S10_SD_EESH_SX_SI_SJ_SK_EUlSX_E1_NS1_11comp_targetILNS1_3genE4ELNS1_11target_archE910ELNS1_3gpuE8ELNS1_3repE0EEENS1_36merge_oddeven_config_static_selectorELNS0_4arch9wavefront6targetE1EEEvSJ_.has_recursion, 0
	.set _ZN7rocprim17ROCPRIM_400000_NS6detail17trampoline_kernelINS0_14default_configENS1_38merge_sort_block_merge_config_selectorIiiEEZZNS1_27merge_sort_block_merge_implIS3_N6thrust23THRUST_200600_302600_NS6detail15normal_iteratorINS8_10device_ptrIiEEEESD_jNS1_19radix_merge_compareILb0ELb1EiNS0_19identity_decomposerEEEEE10hipError_tT0_T1_T2_jT3_P12ihipStream_tbPNSt15iterator_traitsISI_E10value_typeEPNSO_ISJ_E10value_typeEPSK_NS1_7vsmem_tEENKUlT_SI_SJ_SK_E_clIPiSD_S10_SD_EESH_SX_SI_SJ_SK_EUlSX_E1_NS1_11comp_targetILNS1_3genE4ELNS1_11target_archE910ELNS1_3gpuE8ELNS1_3repE0EEENS1_36merge_oddeven_config_static_selectorELNS0_4arch9wavefront6targetE1EEEvSJ_.has_indirect_call, 0
	.section	.AMDGPU.csdata,"",@progbits
; Kernel info:
; codeLenInByte = 0
; TotalNumSgprs: 6
; NumVgprs: 0
; NumAgprs: 0
; TotalNumVgprs: 0
; ScratchSize: 0
; MemoryBound: 0
; FloatMode: 240
; IeeeMode: 1
; LDSByteSize: 0 bytes/workgroup (compile time only)
; SGPRBlocks: 0
; VGPRBlocks: 0
; NumSGPRsForWavesPerEU: 6
; NumVGPRsForWavesPerEU: 1
; AccumOffset: 4
; Occupancy: 8
; WaveLimiterHint : 0
; COMPUTE_PGM_RSRC2:SCRATCH_EN: 0
; COMPUTE_PGM_RSRC2:USER_SGPR: 2
; COMPUTE_PGM_RSRC2:TRAP_HANDLER: 0
; COMPUTE_PGM_RSRC2:TGID_X_EN: 1
; COMPUTE_PGM_RSRC2:TGID_Y_EN: 0
; COMPUTE_PGM_RSRC2:TGID_Z_EN: 0
; COMPUTE_PGM_RSRC2:TIDIG_COMP_CNT: 0
; COMPUTE_PGM_RSRC3_GFX90A:ACCUM_OFFSET: 0
; COMPUTE_PGM_RSRC3_GFX90A:TG_SPLIT: 0
	.section	.text._ZN7rocprim17ROCPRIM_400000_NS6detail17trampoline_kernelINS0_14default_configENS1_38merge_sort_block_merge_config_selectorIiiEEZZNS1_27merge_sort_block_merge_implIS3_N6thrust23THRUST_200600_302600_NS6detail15normal_iteratorINS8_10device_ptrIiEEEESD_jNS1_19radix_merge_compareILb0ELb1EiNS0_19identity_decomposerEEEEE10hipError_tT0_T1_T2_jT3_P12ihipStream_tbPNSt15iterator_traitsISI_E10value_typeEPNSO_ISJ_E10value_typeEPSK_NS1_7vsmem_tEENKUlT_SI_SJ_SK_E_clIPiSD_S10_SD_EESH_SX_SI_SJ_SK_EUlSX_E1_NS1_11comp_targetILNS1_3genE3ELNS1_11target_archE908ELNS1_3gpuE7ELNS1_3repE0EEENS1_36merge_oddeven_config_static_selectorELNS0_4arch9wavefront6targetE1EEEvSJ_,"axG",@progbits,_ZN7rocprim17ROCPRIM_400000_NS6detail17trampoline_kernelINS0_14default_configENS1_38merge_sort_block_merge_config_selectorIiiEEZZNS1_27merge_sort_block_merge_implIS3_N6thrust23THRUST_200600_302600_NS6detail15normal_iteratorINS8_10device_ptrIiEEEESD_jNS1_19radix_merge_compareILb0ELb1EiNS0_19identity_decomposerEEEEE10hipError_tT0_T1_T2_jT3_P12ihipStream_tbPNSt15iterator_traitsISI_E10value_typeEPNSO_ISJ_E10value_typeEPSK_NS1_7vsmem_tEENKUlT_SI_SJ_SK_E_clIPiSD_S10_SD_EESH_SX_SI_SJ_SK_EUlSX_E1_NS1_11comp_targetILNS1_3genE3ELNS1_11target_archE908ELNS1_3gpuE7ELNS1_3repE0EEENS1_36merge_oddeven_config_static_selectorELNS0_4arch9wavefront6targetE1EEEvSJ_,comdat
	.protected	_ZN7rocprim17ROCPRIM_400000_NS6detail17trampoline_kernelINS0_14default_configENS1_38merge_sort_block_merge_config_selectorIiiEEZZNS1_27merge_sort_block_merge_implIS3_N6thrust23THRUST_200600_302600_NS6detail15normal_iteratorINS8_10device_ptrIiEEEESD_jNS1_19radix_merge_compareILb0ELb1EiNS0_19identity_decomposerEEEEE10hipError_tT0_T1_T2_jT3_P12ihipStream_tbPNSt15iterator_traitsISI_E10value_typeEPNSO_ISJ_E10value_typeEPSK_NS1_7vsmem_tEENKUlT_SI_SJ_SK_E_clIPiSD_S10_SD_EESH_SX_SI_SJ_SK_EUlSX_E1_NS1_11comp_targetILNS1_3genE3ELNS1_11target_archE908ELNS1_3gpuE7ELNS1_3repE0EEENS1_36merge_oddeven_config_static_selectorELNS0_4arch9wavefront6targetE1EEEvSJ_ ; -- Begin function _ZN7rocprim17ROCPRIM_400000_NS6detail17trampoline_kernelINS0_14default_configENS1_38merge_sort_block_merge_config_selectorIiiEEZZNS1_27merge_sort_block_merge_implIS3_N6thrust23THRUST_200600_302600_NS6detail15normal_iteratorINS8_10device_ptrIiEEEESD_jNS1_19radix_merge_compareILb0ELb1EiNS0_19identity_decomposerEEEEE10hipError_tT0_T1_T2_jT3_P12ihipStream_tbPNSt15iterator_traitsISI_E10value_typeEPNSO_ISJ_E10value_typeEPSK_NS1_7vsmem_tEENKUlT_SI_SJ_SK_E_clIPiSD_S10_SD_EESH_SX_SI_SJ_SK_EUlSX_E1_NS1_11comp_targetILNS1_3genE3ELNS1_11target_archE908ELNS1_3gpuE7ELNS1_3repE0EEENS1_36merge_oddeven_config_static_selectorELNS0_4arch9wavefront6targetE1EEEvSJ_
	.globl	_ZN7rocprim17ROCPRIM_400000_NS6detail17trampoline_kernelINS0_14default_configENS1_38merge_sort_block_merge_config_selectorIiiEEZZNS1_27merge_sort_block_merge_implIS3_N6thrust23THRUST_200600_302600_NS6detail15normal_iteratorINS8_10device_ptrIiEEEESD_jNS1_19radix_merge_compareILb0ELb1EiNS0_19identity_decomposerEEEEE10hipError_tT0_T1_T2_jT3_P12ihipStream_tbPNSt15iterator_traitsISI_E10value_typeEPNSO_ISJ_E10value_typeEPSK_NS1_7vsmem_tEENKUlT_SI_SJ_SK_E_clIPiSD_S10_SD_EESH_SX_SI_SJ_SK_EUlSX_E1_NS1_11comp_targetILNS1_3genE3ELNS1_11target_archE908ELNS1_3gpuE7ELNS1_3repE0EEENS1_36merge_oddeven_config_static_selectorELNS0_4arch9wavefront6targetE1EEEvSJ_
	.p2align	8
	.type	_ZN7rocprim17ROCPRIM_400000_NS6detail17trampoline_kernelINS0_14default_configENS1_38merge_sort_block_merge_config_selectorIiiEEZZNS1_27merge_sort_block_merge_implIS3_N6thrust23THRUST_200600_302600_NS6detail15normal_iteratorINS8_10device_ptrIiEEEESD_jNS1_19radix_merge_compareILb0ELb1EiNS0_19identity_decomposerEEEEE10hipError_tT0_T1_T2_jT3_P12ihipStream_tbPNSt15iterator_traitsISI_E10value_typeEPNSO_ISJ_E10value_typeEPSK_NS1_7vsmem_tEENKUlT_SI_SJ_SK_E_clIPiSD_S10_SD_EESH_SX_SI_SJ_SK_EUlSX_E1_NS1_11comp_targetILNS1_3genE3ELNS1_11target_archE908ELNS1_3gpuE7ELNS1_3repE0EEENS1_36merge_oddeven_config_static_selectorELNS0_4arch9wavefront6targetE1EEEvSJ_,@function
_ZN7rocprim17ROCPRIM_400000_NS6detail17trampoline_kernelINS0_14default_configENS1_38merge_sort_block_merge_config_selectorIiiEEZZNS1_27merge_sort_block_merge_implIS3_N6thrust23THRUST_200600_302600_NS6detail15normal_iteratorINS8_10device_ptrIiEEEESD_jNS1_19radix_merge_compareILb0ELb1EiNS0_19identity_decomposerEEEEE10hipError_tT0_T1_T2_jT3_P12ihipStream_tbPNSt15iterator_traitsISI_E10value_typeEPNSO_ISJ_E10value_typeEPSK_NS1_7vsmem_tEENKUlT_SI_SJ_SK_E_clIPiSD_S10_SD_EESH_SX_SI_SJ_SK_EUlSX_E1_NS1_11comp_targetILNS1_3genE3ELNS1_11target_archE908ELNS1_3gpuE7ELNS1_3repE0EEENS1_36merge_oddeven_config_static_selectorELNS0_4arch9wavefront6targetE1EEEvSJ_: ; @_ZN7rocprim17ROCPRIM_400000_NS6detail17trampoline_kernelINS0_14default_configENS1_38merge_sort_block_merge_config_selectorIiiEEZZNS1_27merge_sort_block_merge_implIS3_N6thrust23THRUST_200600_302600_NS6detail15normal_iteratorINS8_10device_ptrIiEEEESD_jNS1_19radix_merge_compareILb0ELb1EiNS0_19identity_decomposerEEEEE10hipError_tT0_T1_T2_jT3_P12ihipStream_tbPNSt15iterator_traitsISI_E10value_typeEPNSO_ISJ_E10value_typeEPSK_NS1_7vsmem_tEENKUlT_SI_SJ_SK_E_clIPiSD_S10_SD_EESH_SX_SI_SJ_SK_EUlSX_E1_NS1_11comp_targetILNS1_3genE3ELNS1_11target_archE908ELNS1_3gpuE7ELNS1_3repE0EEENS1_36merge_oddeven_config_static_selectorELNS0_4arch9wavefront6targetE1EEEvSJ_
; %bb.0:
	.section	.rodata,"a",@progbits
	.p2align	6, 0x0
	.amdhsa_kernel _ZN7rocprim17ROCPRIM_400000_NS6detail17trampoline_kernelINS0_14default_configENS1_38merge_sort_block_merge_config_selectorIiiEEZZNS1_27merge_sort_block_merge_implIS3_N6thrust23THRUST_200600_302600_NS6detail15normal_iteratorINS8_10device_ptrIiEEEESD_jNS1_19radix_merge_compareILb0ELb1EiNS0_19identity_decomposerEEEEE10hipError_tT0_T1_T2_jT3_P12ihipStream_tbPNSt15iterator_traitsISI_E10value_typeEPNSO_ISJ_E10value_typeEPSK_NS1_7vsmem_tEENKUlT_SI_SJ_SK_E_clIPiSD_S10_SD_EESH_SX_SI_SJ_SK_EUlSX_E1_NS1_11comp_targetILNS1_3genE3ELNS1_11target_archE908ELNS1_3gpuE7ELNS1_3repE0EEENS1_36merge_oddeven_config_static_selectorELNS0_4arch9wavefront6targetE1EEEvSJ_
		.amdhsa_group_segment_fixed_size 0
		.amdhsa_private_segment_fixed_size 0
		.amdhsa_kernarg_size 48
		.amdhsa_user_sgpr_count 2
		.amdhsa_user_sgpr_dispatch_ptr 0
		.amdhsa_user_sgpr_queue_ptr 0
		.amdhsa_user_sgpr_kernarg_segment_ptr 1
		.amdhsa_user_sgpr_dispatch_id 0
		.amdhsa_user_sgpr_kernarg_preload_length 0
		.amdhsa_user_sgpr_kernarg_preload_offset 0
		.amdhsa_user_sgpr_private_segment_size 0
		.amdhsa_uses_dynamic_stack 0
		.amdhsa_enable_private_segment 0
		.amdhsa_system_sgpr_workgroup_id_x 1
		.amdhsa_system_sgpr_workgroup_id_y 0
		.amdhsa_system_sgpr_workgroup_id_z 0
		.amdhsa_system_sgpr_workgroup_info 0
		.amdhsa_system_vgpr_workitem_id 0
		.amdhsa_next_free_vgpr 1
		.amdhsa_next_free_sgpr 0
		.amdhsa_accum_offset 4
		.amdhsa_reserve_vcc 0
		.amdhsa_float_round_mode_32 0
		.amdhsa_float_round_mode_16_64 0
		.amdhsa_float_denorm_mode_32 3
		.amdhsa_float_denorm_mode_16_64 3
		.amdhsa_dx10_clamp 1
		.amdhsa_ieee_mode 1
		.amdhsa_fp16_overflow 0
		.amdhsa_tg_split 0
		.amdhsa_exception_fp_ieee_invalid_op 0
		.amdhsa_exception_fp_denorm_src 0
		.amdhsa_exception_fp_ieee_div_zero 0
		.amdhsa_exception_fp_ieee_overflow 0
		.amdhsa_exception_fp_ieee_underflow 0
		.amdhsa_exception_fp_ieee_inexact 0
		.amdhsa_exception_int_div_zero 0
	.end_amdhsa_kernel
	.section	.text._ZN7rocprim17ROCPRIM_400000_NS6detail17trampoline_kernelINS0_14default_configENS1_38merge_sort_block_merge_config_selectorIiiEEZZNS1_27merge_sort_block_merge_implIS3_N6thrust23THRUST_200600_302600_NS6detail15normal_iteratorINS8_10device_ptrIiEEEESD_jNS1_19radix_merge_compareILb0ELb1EiNS0_19identity_decomposerEEEEE10hipError_tT0_T1_T2_jT3_P12ihipStream_tbPNSt15iterator_traitsISI_E10value_typeEPNSO_ISJ_E10value_typeEPSK_NS1_7vsmem_tEENKUlT_SI_SJ_SK_E_clIPiSD_S10_SD_EESH_SX_SI_SJ_SK_EUlSX_E1_NS1_11comp_targetILNS1_3genE3ELNS1_11target_archE908ELNS1_3gpuE7ELNS1_3repE0EEENS1_36merge_oddeven_config_static_selectorELNS0_4arch9wavefront6targetE1EEEvSJ_,"axG",@progbits,_ZN7rocprim17ROCPRIM_400000_NS6detail17trampoline_kernelINS0_14default_configENS1_38merge_sort_block_merge_config_selectorIiiEEZZNS1_27merge_sort_block_merge_implIS3_N6thrust23THRUST_200600_302600_NS6detail15normal_iteratorINS8_10device_ptrIiEEEESD_jNS1_19radix_merge_compareILb0ELb1EiNS0_19identity_decomposerEEEEE10hipError_tT0_T1_T2_jT3_P12ihipStream_tbPNSt15iterator_traitsISI_E10value_typeEPNSO_ISJ_E10value_typeEPSK_NS1_7vsmem_tEENKUlT_SI_SJ_SK_E_clIPiSD_S10_SD_EESH_SX_SI_SJ_SK_EUlSX_E1_NS1_11comp_targetILNS1_3genE3ELNS1_11target_archE908ELNS1_3gpuE7ELNS1_3repE0EEENS1_36merge_oddeven_config_static_selectorELNS0_4arch9wavefront6targetE1EEEvSJ_,comdat
.Lfunc_end776:
	.size	_ZN7rocprim17ROCPRIM_400000_NS6detail17trampoline_kernelINS0_14default_configENS1_38merge_sort_block_merge_config_selectorIiiEEZZNS1_27merge_sort_block_merge_implIS3_N6thrust23THRUST_200600_302600_NS6detail15normal_iteratorINS8_10device_ptrIiEEEESD_jNS1_19radix_merge_compareILb0ELb1EiNS0_19identity_decomposerEEEEE10hipError_tT0_T1_T2_jT3_P12ihipStream_tbPNSt15iterator_traitsISI_E10value_typeEPNSO_ISJ_E10value_typeEPSK_NS1_7vsmem_tEENKUlT_SI_SJ_SK_E_clIPiSD_S10_SD_EESH_SX_SI_SJ_SK_EUlSX_E1_NS1_11comp_targetILNS1_3genE3ELNS1_11target_archE908ELNS1_3gpuE7ELNS1_3repE0EEENS1_36merge_oddeven_config_static_selectorELNS0_4arch9wavefront6targetE1EEEvSJ_, .Lfunc_end776-_ZN7rocprim17ROCPRIM_400000_NS6detail17trampoline_kernelINS0_14default_configENS1_38merge_sort_block_merge_config_selectorIiiEEZZNS1_27merge_sort_block_merge_implIS3_N6thrust23THRUST_200600_302600_NS6detail15normal_iteratorINS8_10device_ptrIiEEEESD_jNS1_19radix_merge_compareILb0ELb1EiNS0_19identity_decomposerEEEEE10hipError_tT0_T1_T2_jT3_P12ihipStream_tbPNSt15iterator_traitsISI_E10value_typeEPNSO_ISJ_E10value_typeEPSK_NS1_7vsmem_tEENKUlT_SI_SJ_SK_E_clIPiSD_S10_SD_EESH_SX_SI_SJ_SK_EUlSX_E1_NS1_11comp_targetILNS1_3genE3ELNS1_11target_archE908ELNS1_3gpuE7ELNS1_3repE0EEENS1_36merge_oddeven_config_static_selectorELNS0_4arch9wavefront6targetE1EEEvSJ_
                                        ; -- End function
	.set _ZN7rocprim17ROCPRIM_400000_NS6detail17trampoline_kernelINS0_14default_configENS1_38merge_sort_block_merge_config_selectorIiiEEZZNS1_27merge_sort_block_merge_implIS3_N6thrust23THRUST_200600_302600_NS6detail15normal_iteratorINS8_10device_ptrIiEEEESD_jNS1_19radix_merge_compareILb0ELb1EiNS0_19identity_decomposerEEEEE10hipError_tT0_T1_T2_jT3_P12ihipStream_tbPNSt15iterator_traitsISI_E10value_typeEPNSO_ISJ_E10value_typeEPSK_NS1_7vsmem_tEENKUlT_SI_SJ_SK_E_clIPiSD_S10_SD_EESH_SX_SI_SJ_SK_EUlSX_E1_NS1_11comp_targetILNS1_3genE3ELNS1_11target_archE908ELNS1_3gpuE7ELNS1_3repE0EEENS1_36merge_oddeven_config_static_selectorELNS0_4arch9wavefront6targetE1EEEvSJ_.num_vgpr, 0
	.set _ZN7rocprim17ROCPRIM_400000_NS6detail17trampoline_kernelINS0_14default_configENS1_38merge_sort_block_merge_config_selectorIiiEEZZNS1_27merge_sort_block_merge_implIS3_N6thrust23THRUST_200600_302600_NS6detail15normal_iteratorINS8_10device_ptrIiEEEESD_jNS1_19radix_merge_compareILb0ELb1EiNS0_19identity_decomposerEEEEE10hipError_tT0_T1_T2_jT3_P12ihipStream_tbPNSt15iterator_traitsISI_E10value_typeEPNSO_ISJ_E10value_typeEPSK_NS1_7vsmem_tEENKUlT_SI_SJ_SK_E_clIPiSD_S10_SD_EESH_SX_SI_SJ_SK_EUlSX_E1_NS1_11comp_targetILNS1_3genE3ELNS1_11target_archE908ELNS1_3gpuE7ELNS1_3repE0EEENS1_36merge_oddeven_config_static_selectorELNS0_4arch9wavefront6targetE1EEEvSJ_.num_agpr, 0
	.set _ZN7rocprim17ROCPRIM_400000_NS6detail17trampoline_kernelINS0_14default_configENS1_38merge_sort_block_merge_config_selectorIiiEEZZNS1_27merge_sort_block_merge_implIS3_N6thrust23THRUST_200600_302600_NS6detail15normal_iteratorINS8_10device_ptrIiEEEESD_jNS1_19radix_merge_compareILb0ELb1EiNS0_19identity_decomposerEEEEE10hipError_tT0_T1_T2_jT3_P12ihipStream_tbPNSt15iterator_traitsISI_E10value_typeEPNSO_ISJ_E10value_typeEPSK_NS1_7vsmem_tEENKUlT_SI_SJ_SK_E_clIPiSD_S10_SD_EESH_SX_SI_SJ_SK_EUlSX_E1_NS1_11comp_targetILNS1_3genE3ELNS1_11target_archE908ELNS1_3gpuE7ELNS1_3repE0EEENS1_36merge_oddeven_config_static_selectorELNS0_4arch9wavefront6targetE1EEEvSJ_.numbered_sgpr, 0
	.set _ZN7rocprim17ROCPRIM_400000_NS6detail17trampoline_kernelINS0_14default_configENS1_38merge_sort_block_merge_config_selectorIiiEEZZNS1_27merge_sort_block_merge_implIS3_N6thrust23THRUST_200600_302600_NS6detail15normal_iteratorINS8_10device_ptrIiEEEESD_jNS1_19radix_merge_compareILb0ELb1EiNS0_19identity_decomposerEEEEE10hipError_tT0_T1_T2_jT3_P12ihipStream_tbPNSt15iterator_traitsISI_E10value_typeEPNSO_ISJ_E10value_typeEPSK_NS1_7vsmem_tEENKUlT_SI_SJ_SK_E_clIPiSD_S10_SD_EESH_SX_SI_SJ_SK_EUlSX_E1_NS1_11comp_targetILNS1_3genE3ELNS1_11target_archE908ELNS1_3gpuE7ELNS1_3repE0EEENS1_36merge_oddeven_config_static_selectorELNS0_4arch9wavefront6targetE1EEEvSJ_.num_named_barrier, 0
	.set _ZN7rocprim17ROCPRIM_400000_NS6detail17trampoline_kernelINS0_14default_configENS1_38merge_sort_block_merge_config_selectorIiiEEZZNS1_27merge_sort_block_merge_implIS3_N6thrust23THRUST_200600_302600_NS6detail15normal_iteratorINS8_10device_ptrIiEEEESD_jNS1_19radix_merge_compareILb0ELb1EiNS0_19identity_decomposerEEEEE10hipError_tT0_T1_T2_jT3_P12ihipStream_tbPNSt15iterator_traitsISI_E10value_typeEPNSO_ISJ_E10value_typeEPSK_NS1_7vsmem_tEENKUlT_SI_SJ_SK_E_clIPiSD_S10_SD_EESH_SX_SI_SJ_SK_EUlSX_E1_NS1_11comp_targetILNS1_3genE3ELNS1_11target_archE908ELNS1_3gpuE7ELNS1_3repE0EEENS1_36merge_oddeven_config_static_selectorELNS0_4arch9wavefront6targetE1EEEvSJ_.private_seg_size, 0
	.set _ZN7rocprim17ROCPRIM_400000_NS6detail17trampoline_kernelINS0_14default_configENS1_38merge_sort_block_merge_config_selectorIiiEEZZNS1_27merge_sort_block_merge_implIS3_N6thrust23THRUST_200600_302600_NS6detail15normal_iteratorINS8_10device_ptrIiEEEESD_jNS1_19radix_merge_compareILb0ELb1EiNS0_19identity_decomposerEEEEE10hipError_tT0_T1_T2_jT3_P12ihipStream_tbPNSt15iterator_traitsISI_E10value_typeEPNSO_ISJ_E10value_typeEPSK_NS1_7vsmem_tEENKUlT_SI_SJ_SK_E_clIPiSD_S10_SD_EESH_SX_SI_SJ_SK_EUlSX_E1_NS1_11comp_targetILNS1_3genE3ELNS1_11target_archE908ELNS1_3gpuE7ELNS1_3repE0EEENS1_36merge_oddeven_config_static_selectorELNS0_4arch9wavefront6targetE1EEEvSJ_.uses_vcc, 0
	.set _ZN7rocprim17ROCPRIM_400000_NS6detail17trampoline_kernelINS0_14default_configENS1_38merge_sort_block_merge_config_selectorIiiEEZZNS1_27merge_sort_block_merge_implIS3_N6thrust23THRUST_200600_302600_NS6detail15normal_iteratorINS8_10device_ptrIiEEEESD_jNS1_19radix_merge_compareILb0ELb1EiNS0_19identity_decomposerEEEEE10hipError_tT0_T1_T2_jT3_P12ihipStream_tbPNSt15iterator_traitsISI_E10value_typeEPNSO_ISJ_E10value_typeEPSK_NS1_7vsmem_tEENKUlT_SI_SJ_SK_E_clIPiSD_S10_SD_EESH_SX_SI_SJ_SK_EUlSX_E1_NS1_11comp_targetILNS1_3genE3ELNS1_11target_archE908ELNS1_3gpuE7ELNS1_3repE0EEENS1_36merge_oddeven_config_static_selectorELNS0_4arch9wavefront6targetE1EEEvSJ_.uses_flat_scratch, 0
	.set _ZN7rocprim17ROCPRIM_400000_NS6detail17trampoline_kernelINS0_14default_configENS1_38merge_sort_block_merge_config_selectorIiiEEZZNS1_27merge_sort_block_merge_implIS3_N6thrust23THRUST_200600_302600_NS6detail15normal_iteratorINS8_10device_ptrIiEEEESD_jNS1_19radix_merge_compareILb0ELb1EiNS0_19identity_decomposerEEEEE10hipError_tT0_T1_T2_jT3_P12ihipStream_tbPNSt15iterator_traitsISI_E10value_typeEPNSO_ISJ_E10value_typeEPSK_NS1_7vsmem_tEENKUlT_SI_SJ_SK_E_clIPiSD_S10_SD_EESH_SX_SI_SJ_SK_EUlSX_E1_NS1_11comp_targetILNS1_3genE3ELNS1_11target_archE908ELNS1_3gpuE7ELNS1_3repE0EEENS1_36merge_oddeven_config_static_selectorELNS0_4arch9wavefront6targetE1EEEvSJ_.has_dyn_sized_stack, 0
	.set _ZN7rocprim17ROCPRIM_400000_NS6detail17trampoline_kernelINS0_14default_configENS1_38merge_sort_block_merge_config_selectorIiiEEZZNS1_27merge_sort_block_merge_implIS3_N6thrust23THRUST_200600_302600_NS6detail15normal_iteratorINS8_10device_ptrIiEEEESD_jNS1_19radix_merge_compareILb0ELb1EiNS0_19identity_decomposerEEEEE10hipError_tT0_T1_T2_jT3_P12ihipStream_tbPNSt15iterator_traitsISI_E10value_typeEPNSO_ISJ_E10value_typeEPSK_NS1_7vsmem_tEENKUlT_SI_SJ_SK_E_clIPiSD_S10_SD_EESH_SX_SI_SJ_SK_EUlSX_E1_NS1_11comp_targetILNS1_3genE3ELNS1_11target_archE908ELNS1_3gpuE7ELNS1_3repE0EEENS1_36merge_oddeven_config_static_selectorELNS0_4arch9wavefront6targetE1EEEvSJ_.has_recursion, 0
	.set _ZN7rocprim17ROCPRIM_400000_NS6detail17trampoline_kernelINS0_14default_configENS1_38merge_sort_block_merge_config_selectorIiiEEZZNS1_27merge_sort_block_merge_implIS3_N6thrust23THRUST_200600_302600_NS6detail15normal_iteratorINS8_10device_ptrIiEEEESD_jNS1_19radix_merge_compareILb0ELb1EiNS0_19identity_decomposerEEEEE10hipError_tT0_T1_T2_jT3_P12ihipStream_tbPNSt15iterator_traitsISI_E10value_typeEPNSO_ISJ_E10value_typeEPSK_NS1_7vsmem_tEENKUlT_SI_SJ_SK_E_clIPiSD_S10_SD_EESH_SX_SI_SJ_SK_EUlSX_E1_NS1_11comp_targetILNS1_3genE3ELNS1_11target_archE908ELNS1_3gpuE7ELNS1_3repE0EEENS1_36merge_oddeven_config_static_selectorELNS0_4arch9wavefront6targetE1EEEvSJ_.has_indirect_call, 0
	.section	.AMDGPU.csdata,"",@progbits
; Kernel info:
; codeLenInByte = 0
; TotalNumSgprs: 6
; NumVgprs: 0
; NumAgprs: 0
; TotalNumVgprs: 0
; ScratchSize: 0
; MemoryBound: 0
; FloatMode: 240
; IeeeMode: 1
; LDSByteSize: 0 bytes/workgroup (compile time only)
; SGPRBlocks: 0
; VGPRBlocks: 0
; NumSGPRsForWavesPerEU: 6
; NumVGPRsForWavesPerEU: 1
; AccumOffset: 4
; Occupancy: 8
; WaveLimiterHint : 0
; COMPUTE_PGM_RSRC2:SCRATCH_EN: 0
; COMPUTE_PGM_RSRC2:USER_SGPR: 2
; COMPUTE_PGM_RSRC2:TRAP_HANDLER: 0
; COMPUTE_PGM_RSRC2:TGID_X_EN: 1
; COMPUTE_PGM_RSRC2:TGID_Y_EN: 0
; COMPUTE_PGM_RSRC2:TGID_Z_EN: 0
; COMPUTE_PGM_RSRC2:TIDIG_COMP_CNT: 0
; COMPUTE_PGM_RSRC3_GFX90A:ACCUM_OFFSET: 0
; COMPUTE_PGM_RSRC3_GFX90A:TG_SPLIT: 0
	.section	.text._ZN7rocprim17ROCPRIM_400000_NS6detail17trampoline_kernelINS0_14default_configENS1_38merge_sort_block_merge_config_selectorIiiEEZZNS1_27merge_sort_block_merge_implIS3_N6thrust23THRUST_200600_302600_NS6detail15normal_iteratorINS8_10device_ptrIiEEEESD_jNS1_19radix_merge_compareILb0ELb1EiNS0_19identity_decomposerEEEEE10hipError_tT0_T1_T2_jT3_P12ihipStream_tbPNSt15iterator_traitsISI_E10value_typeEPNSO_ISJ_E10value_typeEPSK_NS1_7vsmem_tEENKUlT_SI_SJ_SK_E_clIPiSD_S10_SD_EESH_SX_SI_SJ_SK_EUlSX_E1_NS1_11comp_targetILNS1_3genE2ELNS1_11target_archE906ELNS1_3gpuE6ELNS1_3repE0EEENS1_36merge_oddeven_config_static_selectorELNS0_4arch9wavefront6targetE1EEEvSJ_,"axG",@progbits,_ZN7rocprim17ROCPRIM_400000_NS6detail17trampoline_kernelINS0_14default_configENS1_38merge_sort_block_merge_config_selectorIiiEEZZNS1_27merge_sort_block_merge_implIS3_N6thrust23THRUST_200600_302600_NS6detail15normal_iteratorINS8_10device_ptrIiEEEESD_jNS1_19radix_merge_compareILb0ELb1EiNS0_19identity_decomposerEEEEE10hipError_tT0_T1_T2_jT3_P12ihipStream_tbPNSt15iterator_traitsISI_E10value_typeEPNSO_ISJ_E10value_typeEPSK_NS1_7vsmem_tEENKUlT_SI_SJ_SK_E_clIPiSD_S10_SD_EESH_SX_SI_SJ_SK_EUlSX_E1_NS1_11comp_targetILNS1_3genE2ELNS1_11target_archE906ELNS1_3gpuE6ELNS1_3repE0EEENS1_36merge_oddeven_config_static_selectorELNS0_4arch9wavefront6targetE1EEEvSJ_,comdat
	.protected	_ZN7rocprim17ROCPRIM_400000_NS6detail17trampoline_kernelINS0_14default_configENS1_38merge_sort_block_merge_config_selectorIiiEEZZNS1_27merge_sort_block_merge_implIS3_N6thrust23THRUST_200600_302600_NS6detail15normal_iteratorINS8_10device_ptrIiEEEESD_jNS1_19radix_merge_compareILb0ELb1EiNS0_19identity_decomposerEEEEE10hipError_tT0_T1_T2_jT3_P12ihipStream_tbPNSt15iterator_traitsISI_E10value_typeEPNSO_ISJ_E10value_typeEPSK_NS1_7vsmem_tEENKUlT_SI_SJ_SK_E_clIPiSD_S10_SD_EESH_SX_SI_SJ_SK_EUlSX_E1_NS1_11comp_targetILNS1_3genE2ELNS1_11target_archE906ELNS1_3gpuE6ELNS1_3repE0EEENS1_36merge_oddeven_config_static_selectorELNS0_4arch9wavefront6targetE1EEEvSJ_ ; -- Begin function _ZN7rocprim17ROCPRIM_400000_NS6detail17trampoline_kernelINS0_14default_configENS1_38merge_sort_block_merge_config_selectorIiiEEZZNS1_27merge_sort_block_merge_implIS3_N6thrust23THRUST_200600_302600_NS6detail15normal_iteratorINS8_10device_ptrIiEEEESD_jNS1_19radix_merge_compareILb0ELb1EiNS0_19identity_decomposerEEEEE10hipError_tT0_T1_T2_jT3_P12ihipStream_tbPNSt15iterator_traitsISI_E10value_typeEPNSO_ISJ_E10value_typeEPSK_NS1_7vsmem_tEENKUlT_SI_SJ_SK_E_clIPiSD_S10_SD_EESH_SX_SI_SJ_SK_EUlSX_E1_NS1_11comp_targetILNS1_3genE2ELNS1_11target_archE906ELNS1_3gpuE6ELNS1_3repE0EEENS1_36merge_oddeven_config_static_selectorELNS0_4arch9wavefront6targetE1EEEvSJ_
	.globl	_ZN7rocprim17ROCPRIM_400000_NS6detail17trampoline_kernelINS0_14default_configENS1_38merge_sort_block_merge_config_selectorIiiEEZZNS1_27merge_sort_block_merge_implIS3_N6thrust23THRUST_200600_302600_NS6detail15normal_iteratorINS8_10device_ptrIiEEEESD_jNS1_19radix_merge_compareILb0ELb1EiNS0_19identity_decomposerEEEEE10hipError_tT0_T1_T2_jT3_P12ihipStream_tbPNSt15iterator_traitsISI_E10value_typeEPNSO_ISJ_E10value_typeEPSK_NS1_7vsmem_tEENKUlT_SI_SJ_SK_E_clIPiSD_S10_SD_EESH_SX_SI_SJ_SK_EUlSX_E1_NS1_11comp_targetILNS1_3genE2ELNS1_11target_archE906ELNS1_3gpuE6ELNS1_3repE0EEENS1_36merge_oddeven_config_static_selectorELNS0_4arch9wavefront6targetE1EEEvSJ_
	.p2align	8
	.type	_ZN7rocprim17ROCPRIM_400000_NS6detail17trampoline_kernelINS0_14default_configENS1_38merge_sort_block_merge_config_selectorIiiEEZZNS1_27merge_sort_block_merge_implIS3_N6thrust23THRUST_200600_302600_NS6detail15normal_iteratorINS8_10device_ptrIiEEEESD_jNS1_19radix_merge_compareILb0ELb1EiNS0_19identity_decomposerEEEEE10hipError_tT0_T1_T2_jT3_P12ihipStream_tbPNSt15iterator_traitsISI_E10value_typeEPNSO_ISJ_E10value_typeEPSK_NS1_7vsmem_tEENKUlT_SI_SJ_SK_E_clIPiSD_S10_SD_EESH_SX_SI_SJ_SK_EUlSX_E1_NS1_11comp_targetILNS1_3genE2ELNS1_11target_archE906ELNS1_3gpuE6ELNS1_3repE0EEENS1_36merge_oddeven_config_static_selectorELNS0_4arch9wavefront6targetE1EEEvSJ_,@function
_ZN7rocprim17ROCPRIM_400000_NS6detail17trampoline_kernelINS0_14default_configENS1_38merge_sort_block_merge_config_selectorIiiEEZZNS1_27merge_sort_block_merge_implIS3_N6thrust23THRUST_200600_302600_NS6detail15normal_iteratorINS8_10device_ptrIiEEEESD_jNS1_19radix_merge_compareILb0ELb1EiNS0_19identity_decomposerEEEEE10hipError_tT0_T1_T2_jT3_P12ihipStream_tbPNSt15iterator_traitsISI_E10value_typeEPNSO_ISJ_E10value_typeEPSK_NS1_7vsmem_tEENKUlT_SI_SJ_SK_E_clIPiSD_S10_SD_EESH_SX_SI_SJ_SK_EUlSX_E1_NS1_11comp_targetILNS1_3genE2ELNS1_11target_archE906ELNS1_3gpuE6ELNS1_3repE0EEENS1_36merge_oddeven_config_static_selectorELNS0_4arch9wavefront6targetE1EEEvSJ_: ; @_ZN7rocprim17ROCPRIM_400000_NS6detail17trampoline_kernelINS0_14default_configENS1_38merge_sort_block_merge_config_selectorIiiEEZZNS1_27merge_sort_block_merge_implIS3_N6thrust23THRUST_200600_302600_NS6detail15normal_iteratorINS8_10device_ptrIiEEEESD_jNS1_19radix_merge_compareILb0ELb1EiNS0_19identity_decomposerEEEEE10hipError_tT0_T1_T2_jT3_P12ihipStream_tbPNSt15iterator_traitsISI_E10value_typeEPNSO_ISJ_E10value_typeEPSK_NS1_7vsmem_tEENKUlT_SI_SJ_SK_E_clIPiSD_S10_SD_EESH_SX_SI_SJ_SK_EUlSX_E1_NS1_11comp_targetILNS1_3genE2ELNS1_11target_archE906ELNS1_3gpuE6ELNS1_3repE0EEENS1_36merge_oddeven_config_static_selectorELNS0_4arch9wavefront6targetE1EEEvSJ_
; %bb.0:
	.section	.rodata,"a",@progbits
	.p2align	6, 0x0
	.amdhsa_kernel _ZN7rocprim17ROCPRIM_400000_NS6detail17trampoline_kernelINS0_14default_configENS1_38merge_sort_block_merge_config_selectorIiiEEZZNS1_27merge_sort_block_merge_implIS3_N6thrust23THRUST_200600_302600_NS6detail15normal_iteratorINS8_10device_ptrIiEEEESD_jNS1_19radix_merge_compareILb0ELb1EiNS0_19identity_decomposerEEEEE10hipError_tT0_T1_T2_jT3_P12ihipStream_tbPNSt15iterator_traitsISI_E10value_typeEPNSO_ISJ_E10value_typeEPSK_NS1_7vsmem_tEENKUlT_SI_SJ_SK_E_clIPiSD_S10_SD_EESH_SX_SI_SJ_SK_EUlSX_E1_NS1_11comp_targetILNS1_3genE2ELNS1_11target_archE906ELNS1_3gpuE6ELNS1_3repE0EEENS1_36merge_oddeven_config_static_selectorELNS0_4arch9wavefront6targetE1EEEvSJ_
		.amdhsa_group_segment_fixed_size 0
		.amdhsa_private_segment_fixed_size 0
		.amdhsa_kernarg_size 48
		.amdhsa_user_sgpr_count 2
		.amdhsa_user_sgpr_dispatch_ptr 0
		.amdhsa_user_sgpr_queue_ptr 0
		.amdhsa_user_sgpr_kernarg_segment_ptr 1
		.amdhsa_user_sgpr_dispatch_id 0
		.amdhsa_user_sgpr_kernarg_preload_length 0
		.amdhsa_user_sgpr_kernarg_preload_offset 0
		.amdhsa_user_sgpr_private_segment_size 0
		.amdhsa_uses_dynamic_stack 0
		.amdhsa_enable_private_segment 0
		.amdhsa_system_sgpr_workgroup_id_x 1
		.amdhsa_system_sgpr_workgroup_id_y 0
		.amdhsa_system_sgpr_workgroup_id_z 0
		.amdhsa_system_sgpr_workgroup_info 0
		.amdhsa_system_vgpr_workitem_id 0
		.amdhsa_next_free_vgpr 1
		.amdhsa_next_free_sgpr 0
		.amdhsa_accum_offset 4
		.amdhsa_reserve_vcc 0
		.amdhsa_float_round_mode_32 0
		.amdhsa_float_round_mode_16_64 0
		.amdhsa_float_denorm_mode_32 3
		.amdhsa_float_denorm_mode_16_64 3
		.amdhsa_dx10_clamp 1
		.amdhsa_ieee_mode 1
		.amdhsa_fp16_overflow 0
		.amdhsa_tg_split 0
		.amdhsa_exception_fp_ieee_invalid_op 0
		.amdhsa_exception_fp_denorm_src 0
		.amdhsa_exception_fp_ieee_div_zero 0
		.amdhsa_exception_fp_ieee_overflow 0
		.amdhsa_exception_fp_ieee_underflow 0
		.amdhsa_exception_fp_ieee_inexact 0
		.amdhsa_exception_int_div_zero 0
	.end_amdhsa_kernel
	.section	.text._ZN7rocprim17ROCPRIM_400000_NS6detail17trampoline_kernelINS0_14default_configENS1_38merge_sort_block_merge_config_selectorIiiEEZZNS1_27merge_sort_block_merge_implIS3_N6thrust23THRUST_200600_302600_NS6detail15normal_iteratorINS8_10device_ptrIiEEEESD_jNS1_19radix_merge_compareILb0ELb1EiNS0_19identity_decomposerEEEEE10hipError_tT0_T1_T2_jT3_P12ihipStream_tbPNSt15iterator_traitsISI_E10value_typeEPNSO_ISJ_E10value_typeEPSK_NS1_7vsmem_tEENKUlT_SI_SJ_SK_E_clIPiSD_S10_SD_EESH_SX_SI_SJ_SK_EUlSX_E1_NS1_11comp_targetILNS1_3genE2ELNS1_11target_archE906ELNS1_3gpuE6ELNS1_3repE0EEENS1_36merge_oddeven_config_static_selectorELNS0_4arch9wavefront6targetE1EEEvSJ_,"axG",@progbits,_ZN7rocprim17ROCPRIM_400000_NS6detail17trampoline_kernelINS0_14default_configENS1_38merge_sort_block_merge_config_selectorIiiEEZZNS1_27merge_sort_block_merge_implIS3_N6thrust23THRUST_200600_302600_NS6detail15normal_iteratorINS8_10device_ptrIiEEEESD_jNS1_19radix_merge_compareILb0ELb1EiNS0_19identity_decomposerEEEEE10hipError_tT0_T1_T2_jT3_P12ihipStream_tbPNSt15iterator_traitsISI_E10value_typeEPNSO_ISJ_E10value_typeEPSK_NS1_7vsmem_tEENKUlT_SI_SJ_SK_E_clIPiSD_S10_SD_EESH_SX_SI_SJ_SK_EUlSX_E1_NS1_11comp_targetILNS1_3genE2ELNS1_11target_archE906ELNS1_3gpuE6ELNS1_3repE0EEENS1_36merge_oddeven_config_static_selectorELNS0_4arch9wavefront6targetE1EEEvSJ_,comdat
.Lfunc_end777:
	.size	_ZN7rocprim17ROCPRIM_400000_NS6detail17trampoline_kernelINS0_14default_configENS1_38merge_sort_block_merge_config_selectorIiiEEZZNS1_27merge_sort_block_merge_implIS3_N6thrust23THRUST_200600_302600_NS6detail15normal_iteratorINS8_10device_ptrIiEEEESD_jNS1_19radix_merge_compareILb0ELb1EiNS0_19identity_decomposerEEEEE10hipError_tT0_T1_T2_jT3_P12ihipStream_tbPNSt15iterator_traitsISI_E10value_typeEPNSO_ISJ_E10value_typeEPSK_NS1_7vsmem_tEENKUlT_SI_SJ_SK_E_clIPiSD_S10_SD_EESH_SX_SI_SJ_SK_EUlSX_E1_NS1_11comp_targetILNS1_3genE2ELNS1_11target_archE906ELNS1_3gpuE6ELNS1_3repE0EEENS1_36merge_oddeven_config_static_selectorELNS0_4arch9wavefront6targetE1EEEvSJ_, .Lfunc_end777-_ZN7rocprim17ROCPRIM_400000_NS6detail17trampoline_kernelINS0_14default_configENS1_38merge_sort_block_merge_config_selectorIiiEEZZNS1_27merge_sort_block_merge_implIS3_N6thrust23THRUST_200600_302600_NS6detail15normal_iteratorINS8_10device_ptrIiEEEESD_jNS1_19radix_merge_compareILb0ELb1EiNS0_19identity_decomposerEEEEE10hipError_tT0_T1_T2_jT3_P12ihipStream_tbPNSt15iterator_traitsISI_E10value_typeEPNSO_ISJ_E10value_typeEPSK_NS1_7vsmem_tEENKUlT_SI_SJ_SK_E_clIPiSD_S10_SD_EESH_SX_SI_SJ_SK_EUlSX_E1_NS1_11comp_targetILNS1_3genE2ELNS1_11target_archE906ELNS1_3gpuE6ELNS1_3repE0EEENS1_36merge_oddeven_config_static_selectorELNS0_4arch9wavefront6targetE1EEEvSJ_
                                        ; -- End function
	.set _ZN7rocprim17ROCPRIM_400000_NS6detail17trampoline_kernelINS0_14default_configENS1_38merge_sort_block_merge_config_selectorIiiEEZZNS1_27merge_sort_block_merge_implIS3_N6thrust23THRUST_200600_302600_NS6detail15normal_iteratorINS8_10device_ptrIiEEEESD_jNS1_19radix_merge_compareILb0ELb1EiNS0_19identity_decomposerEEEEE10hipError_tT0_T1_T2_jT3_P12ihipStream_tbPNSt15iterator_traitsISI_E10value_typeEPNSO_ISJ_E10value_typeEPSK_NS1_7vsmem_tEENKUlT_SI_SJ_SK_E_clIPiSD_S10_SD_EESH_SX_SI_SJ_SK_EUlSX_E1_NS1_11comp_targetILNS1_3genE2ELNS1_11target_archE906ELNS1_3gpuE6ELNS1_3repE0EEENS1_36merge_oddeven_config_static_selectorELNS0_4arch9wavefront6targetE1EEEvSJ_.num_vgpr, 0
	.set _ZN7rocprim17ROCPRIM_400000_NS6detail17trampoline_kernelINS0_14default_configENS1_38merge_sort_block_merge_config_selectorIiiEEZZNS1_27merge_sort_block_merge_implIS3_N6thrust23THRUST_200600_302600_NS6detail15normal_iteratorINS8_10device_ptrIiEEEESD_jNS1_19radix_merge_compareILb0ELb1EiNS0_19identity_decomposerEEEEE10hipError_tT0_T1_T2_jT3_P12ihipStream_tbPNSt15iterator_traitsISI_E10value_typeEPNSO_ISJ_E10value_typeEPSK_NS1_7vsmem_tEENKUlT_SI_SJ_SK_E_clIPiSD_S10_SD_EESH_SX_SI_SJ_SK_EUlSX_E1_NS1_11comp_targetILNS1_3genE2ELNS1_11target_archE906ELNS1_3gpuE6ELNS1_3repE0EEENS1_36merge_oddeven_config_static_selectorELNS0_4arch9wavefront6targetE1EEEvSJ_.num_agpr, 0
	.set _ZN7rocprim17ROCPRIM_400000_NS6detail17trampoline_kernelINS0_14default_configENS1_38merge_sort_block_merge_config_selectorIiiEEZZNS1_27merge_sort_block_merge_implIS3_N6thrust23THRUST_200600_302600_NS6detail15normal_iteratorINS8_10device_ptrIiEEEESD_jNS1_19radix_merge_compareILb0ELb1EiNS0_19identity_decomposerEEEEE10hipError_tT0_T1_T2_jT3_P12ihipStream_tbPNSt15iterator_traitsISI_E10value_typeEPNSO_ISJ_E10value_typeEPSK_NS1_7vsmem_tEENKUlT_SI_SJ_SK_E_clIPiSD_S10_SD_EESH_SX_SI_SJ_SK_EUlSX_E1_NS1_11comp_targetILNS1_3genE2ELNS1_11target_archE906ELNS1_3gpuE6ELNS1_3repE0EEENS1_36merge_oddeven_config_static_selectorELNS0_4arch9wavefront6targetE1EEEvSJ_.numbered_sgpr, 0
	.set _ZN7rocprim17ROCPRIM_400000_NS6detail17trampoline_kernelINS0_14default_configENS1_38merge_sort_block_merge_config_selectorIiiEEZZNS1_27merge_sort_block_merge_implIS3_N6thrust23THRUST_200600_302600_NS6detail15normal_iteratorINS8_10device_ptrIiEEEESD_jNS1_19radix_merge_compareILb0ELb1EiNS0_19identity_decomposerEEEEE10hipError_tT0_T1_T2_jT3_P12ihipStream_tbPNSt15iterator_traitsISI_E10value_typeEPNSO_ISJ_E10value_typeEPSK_NS1_7vsmem_tEENKUlT_SI_SJ_SK_E_clIPiSD_S10_SD_EESH_SX_SI_SJ_SK_EUlSX_E1_NS1_11comp_targetILNS1_3genE2ELNS1_11target_archE906ELNS1_3gpuE6ELNS1_3repE0EEENS1_36merge_oddeven_config_static_selectorELNS0_4arch9wavefront6targetE1EEEvSJ_.num_named_barrier, 0
	.set _ZN7rocprim17ROCPRIM_400000_NS6detail17trampoline_kernelINS0_14default_configENS1_38merge_sort_block_merge_config_selectorIiiEEZZNS1_27merge_sort_block_merge_implIS3_N6thrust23THRUST_200600_302600_NS6detail15normal_iteratorINS8_10device_ptrIiEEEESD_jNS1_19radix_merge_compareILb0ELb1EiNS0_19identity_decomposerEEEEE10hipError_tT0_T1_T2_jT3_P12ihipStream_tbPNSt15iterator_traitsISI_E10value_typeEPNSO_ISJ_E10value_typeEPSK_NS1_7vsmem_tEENKUlT_SI_SJ_SK_E_clIPiSD_S10_SD_EESH_SX_SI_SJ_SK_EUlSX_E1_NS1_11comp_targetILNS1_3genE2ELNS1_11target_archE906ELNS1_3gpuE6ELNS1_3repE0EEENS1_36merge_oddeven_config_static_selectorELNS0_4arch9wavefront6targetE1EEEvSJ_.private_seg_size, 0
	.set _ZN7rocprim17ROCPRIM_400000_NS6detail17trampoline_kernelINS0_14default_configENS1_38merge_sort_block_merge_config_selectorIiiEEZZNS1_27merge_sort_block_merge_implIS3_N6thrust23THRUST_200600_302600_NS6detail15normal_iteratorINS8_10device_ptrIiEEEESD_jNS1_19radix_merge_compareILb0ELb1EiNS0_19identity_decomposerEEEEE10hipError_tT0_T1_T2_jT3_P12ihipStream_tbPNSt15iterator_traitsISI_E10value_typeEPNSO_ISJ_E10value_typeEPSK_NS1_7vsmem_tEENKUlT_SI_SJ_SK_E_clIPiSD_S10_SD_EESH_SX_SI_SJ_SK_EUlSX_E1_NS1_11comp_targetILNS1_3genE2ELNS1_11target_archE906ELNS1_3gpuE6ELNS1_3repE0EEENS1_36merge_oddeven_config_static_selectorELNS0_4arch9wavefront6targetE1EEEvSJ_.uses_vcc, 0
	.set _ZN7rocprim17ROCPRIM_400000_NS6detail17trampoline_kernelINS0_14default_configENS1_38merge_sort_block_merge_config_selectorIiiEEZZNS1_27merge_sort_block_merge_implIS3_N6thrust23THRUST_200600_302600_NS6detail15normal_iteratorINS8_10device_ptrIiEEEESD_jNS1_19radix_merge_compareILb0ELb1EiNS0_19identity_decomposerEEEEE10hipError_tT0_T1_T2_jT3_P12ihipStream_tbPNSt15iterator_traitsISI_E10value_typeEPNSO_ISJ_E10value_typeEPSK_NS1_7vsmem_tEENKUlT_SI_SJ_SK_E_clIPiSD_S10_SD_EESH_SX_SI_SJ_SK_EUlSX_E1_NS1_11comp_targetILNS1_3genE2ELNS1_11target_archE906ELNS1_3gpuE6ELNS1_3repE0EEENS1_36merge_oddeven_config_static_selectorELNS0_4arch9wavefront6targetE1EEEvSJ_.uses_flat_scratch, 0
	.set _ZN7rocprim17ROCPRIM_400000_NS6detail17trampoline_kernelINS0_14default_configENS1_38merge_sort_block_merge_config_selectorIiiEEZZNS1_27merge_sort_block_merge_implIS3_N6thrust23THRUST_200600_302600_NS6detail15normal_iteratorINS8_10device_ptrIiEEEESD_jNS1_19radix_merge_compareILb0ELb1EiNS0_19identity_decomposerEEEEE10hipError_tT0_T1_T2_jT3_P12ihipStream_tbPNSt15iterator_traitsISI_E10value_typeEPNSO_ISJ_E10value_typeEPSK_NS1_7vsmem_tEENKUlT_SI_SJ_SK_E_clIPiSD_S10_SD_EESH_SX_SI_SJ_SK_EUlSX_E1_NS1_11comp_targetILNS1_3genE2ELNS1_11target_archE906ELNS1_3gpuE6ELNS1_3repE0EEENS1_36merge_oddeven_config_static_selectorELNS0_4arch9wavefront6targetE1EEEvSJ_.has_dyn_sized_stack, 0
	.set _ZN7rocprim17ROCPRIM_400000_NS6detail17trampoline_kernelINS0_14default_configENS1_38merge_sort_block_merge_config_selectorIiiEEZZNS1_27merge_sort_block_merge_implIS3_N6thrust23THRUST_200600_302600_NS6detail15normal_iteratorINS8_10device_ptrIiEEEESD_jNS1_19radix_merge_compareILb0ELb1EiNS0_19identity_decomposerEEEEE10hipError_tT0_T1_T2_jT3_P12ihipStream_tbPNSt15iterator_traitsISI_E10value_typeEPNSO_ISJ_E10value_typeEPSK_NS1_7vsmem_tEENKUlT_SI_SJ_SK_E_clIPiSD_S10_SD_EESH_SX_SI_SJ_SK_EUlSX_E1_NS1_11comp_targetILNS1_3genE2ELNS1_11target_archE906ELNS1_3gpuE6ELNS1_3repE0EEENS1_36merge_oddeven_config_static_selectorELNS0_4arch9wavefront6targetE1EEEvSJ_.has_recursion, 0
	.set _ZN7rocprim17ROCPRIM_400000_NS6detail17trampoline_kernelINS0_14default_configENS1_38merge_sort_block_merge_config_selectorIiiEEZZNS1_27merge_sort_block_merge_implIS3_N6thrust23THRUST_200600_302600_NS6detail15normal_iteratorINS8_10device_ptrIiEEEESD_jNS1_19radix_merge_compareILb0ELb1EiNS0_19identity_decomposerEEEEE10hipError_tT0_T1_T2_jT3_P12ihipStream_tbPNSt15iterator_traitsISI_E10value_typeEPNSO_ISJ_E10value_typeEPSK_NS1_7vsmem_tEENKUlT_SI_SJ_SK_E_clIPiSD_S10_SD_EESH_SX_SI_SJ_SK_EUlSX_E1_NS1_11comp_targetILNS1_3genE2ELNS1_11target_archE906ELNS1_3gpuE6ELNS1_3repE0EEENS1_36merge_oddeven_config_static_selectorELNS0_4arch9wavefront6targetE1EEEvSJ_.has_indirect_call, 0
	.section	.AMDGPU.csdata,"",@progbits
; Kernel info:
; codeLenInByte = 0
; TotalNumSgprs: 6
; NumVgprs: 0
; NumAgprs: 0
; TotalNumVgprs: 0
; ScratchSize: 0
; MemoryBound: 0
; FloatMode: 240
; IeeeMode: 1
; LDSByteSize: 0 bytes/workgroup (compile time only)
; SGPRBlocks: 0
; VGPRBlocks: 0
; NumSGPRsForWavesPerEU: 6
; NumVGPRsForWavesPerEU: 1
; AccumOffset: 4
; Occupancy: 8
; WaveLimiterHint : 0
; COMPUTE_PGM_RSRC2:SCRATCH_EN: 0
; COMPUTE_PGM_RSRC2:USER_SGPR: 2
; COMPUTE_PGM_RSRC2:TRAP_HANDLER: 0
; COMPUTE_PGM_RSRC2:TGID_X_EN: 1
; COMPUTE_PGM_RSRC2:TGID_Y_EN: 0
; COMPUTE_PGM_RSRC2:TGID_Z_EN: 0
; COMPUTE_PGM_RSRC2:TIDIG_COMP_CNT: 0
; COMPUTE_PGM_RSRC3_GFX90A:ACCUM_OFFSET: 0
; COMPUTE_PGM_RSRC3_GFX90A:TG_SPLIT: 0
	.section	.text._ZN7rocprim17ROCPRIM_400000_NS6detail17trampoline_kernelINS0_14default_configENS1_38merge_sort_block_merge_config_selectorIiiEEZZNS1_27merge_sort_block_merge_implIS3_N6thrust23THRUST_200600_302600_NS6detail15normal_iteratorINS8_10device_ptrIiEEEESD_jNS1_19radix_merge_compareILb0ELb1EiNS0_19identity_decomposerEEEEE10hipError_tT0_T1_T2_jT3_P12ihipStream_tbPNSt15iterator_traitsISI_E10value_typeEPNSO_ISJ_E10value_typeEPSK_NS1_7vsmem_tEENKUlT_SI_SJ_SK_E_clIPiSD_S10_SD_EESH_SX_SI_SJ_SK_EUlSX_E1_NS1_11comp_targetILNS1_3genE9ELNS1_11target_archE1100ELNS1_3gpuE3ELNS1_3repE0EEENS1_36merge_oddeven_config_static_selectorELNS0_4arch9wavefront6targetE1EEEvSJ_,"axG",@progbits,_ZN7rocprim17ROCPRIM_400000_NS6detail17trampoline_kernelINS0_14default_configENS1_38merge_sort_block_merge_config_selectorIiiEEZZNS1_27merge_sort_block_merge_implIS3_N6thrust23THRUST_200600_302600_NS6detail15normal_iteratorINS8_10device_ptrIiEEEESD_jNS1_19radix_merge_compareILb0ELb1EiNS0_19identity_decomposerEEEEE10hipError_tT0_T1_T2_jT3_P12ihipStream_tbPNSt15iterator_traitsISI_E10value_typeEPNSO_ISJ_E10value_typeEPSK_NS1_7vsmem_tEENKUlT_SI_SJ_SK_E_clIPiSD_S10_SD_EESH_SX_SI_SJ_SK_EUlSX_E1_NS1_11comp_targetILNS1_3genE9ELNS1_11target_archE1100ELNS1_3gpuE3ELNS1_3repE0EEENS1_36merge_oddeven_config_static_selectorELNS0_4arch9wavefront6targetE1EEEvSJ_,comdat
	.protected	_ZN7rocprim17ROCPRIM_400000_NS6detail17trampoline_kernelINS0_14default_configENS1_38merge_sort_block_merge_config_selectorIiiEEZZNS1_27merge_sort_block_merge_implIS3_N6thrust23THRUST_200600_302600_NS6detail15normal_iteratorINS8_10device_ptrIiEEEESD_jNS1_19radix_merge_compareILb0ELb1EiNS0_19identity_decomposerEEEEE10hipError_tT0_T1_T2_jT3_P12ihipStream_tbPNSt15iterator_traitsISI_E10value_typeEPNSO_ISJ_E10value_typeEPSK_NS1_7vsmem_tEENKUlT_SI_SJ_SK_E_clIPiSD_S10_SD_EESH_SX_SI_SJ_SK_EUlSX_E1_NS1_11comp_targetILNS1_3genE9ELNS1_11target_archE1100ELNS1_3gpuE3ELNS1_3repE0EEENS1_36merge_oddeven_config_static_selectorELNS0_4arch9wavefront6targetE1EEEvSJ_ ; -- Begin function _ZN7rocprim17ROCPRIM_400000_NS6detail17trampoline_kernelINS0_14default_configENS1_38merge_sort_block_merge_config_selectorIiiEEZZNS1_27merge_sort_block_merge_implIS3_N6thrust23THRUST_200600_302600_NS6detail15normal_iteratorINS8_10device_ptrIiEEEESD_jNS1_19radix_merge_compareILb0ELb1EiNS0_19identity_decomposerEEEEE10hipError_tT0_T1_T2_jT3_P12ihipStream_tbPNSt15iterator_traitsISI_E10value_typeEPNSO_ISJ_E10value_typeEPSK_NS1_7vsmem_tEENKUlT_SI_SJ_SK_E_clIPiSD_S10_SD_EESH_SX_SI_SJ_SK_EUlSX_E1_NS1_11comp_targetILNS1_3genE9ELNS1_11target_archE1100ELNS1_3gpuE3ELNS1_3repE0EEENS1_36merge_oddeven_config_static_selectorELNS0_4arch9wavefront6targetE1EEEvSJ_
	.globl	_ZN7rocprim17ROCPRIM_400000_NS6detail17trampoline_kernelINS0_14default_configENS1_38merge_sort_block_merge_config_selectorIiiEEZZNS1_27merge_sort_block_merge_implIS3_N6thrust23THRUST_200600_302600_NS6detail15normal_iteratorINS8_10device_ptrIiEEEESD_jNS1_19radix_merge_compareILb0ELb1EiNS0_19identity_decomposerEEEEE10hipError_tT0_T1_T2_jT3_P12ihipStream_tbPNSt15iterator_traitsISI_E10value_typeEPNSO_ISJ_E10value_typeEPSK_NS1_7vsmem_tEENKUlT_SI_SJ_SK_E_clIPiSD_S10_SD_EESH_SX_SI_SJ_SK_EUlSX_E1_NS1_11comp_targetILNS1_3genE9ELNS1_11target_archE1100ELNS1_3gpuE3ELNS1_3repE0EEENS1_36merge_oddeven_config_static_selectorELNS0_4arch9wavefront6targetE1EEEvSJ_
	.p2align	8
	.type	_ZN7rocprim17ROCPRIM_400000_NS6detail17trampoline_kernelINS0_14default_configENS1_38merge_sort_block_merge_config_selectorIiiEEZZNS1_27merge_sort_block_merge_implIS3_N6thrust23THRUST_200600_302600_NS6detail15normal_iteratorINS8_10device_ptrIiEEEESD_jNS1_19radix_merge_compareILb0ELb1EiNS0_19identity_decomposerEEEEE10hipError_tT0_T1_T2_jT3_P12ihipStream_tbPNSt15iterator_traitsISI_E10value_typeEPNSO_ISJ_E10value_typeEPSK_NS1_7vsmem_tEENKUlT_SI_SJ_SK_E_clIPiSD_S10_SD_EESH_SX_SI_SJ_SK_EUlSX_E1_NS1_11comp_targetILNS1_3genE9ELNS1_11target_archE1100ELNS1_3gpuE3ELNS1_3repE0EEENS1_36merge_oddeven_config_static_selectorELNS0_4arch9wavefront6targetE1EEEvSJ_,@function
_ZN7rocprim17ROCPRIM_400000_NS6detail17trampoline_kernelINS0_14default_configENS1_38merge_sort_block_merge_config_selectorIiiEEZZNS1_27merge_sort_block_merge_implIS3_N6thrust23THRUST_200600_302600_NS6detail15normal_iteratorINS8_10device_ptrIiEEEESD_jNS1_19radix_merge_compareILb0ELb1EiNS0_19identity_decomposerEEEEE10hipError_tT0_T1_T2_jT3_P12ihipStream_tbPNSt15iterator_traitsISI_E10value_typeEPNSO_ISJ_E10value_typeEPSK_NS1_7vsmem_tEENKUlT_SI_SJ_SK_E_clIPiSD_S10_SD_EESH_SX_SI_SJ_SK_EUlSX_E1_NS1_11comp_targetILNS1_3genE9ELNS1_11target_archE1100ELNS1_3gpuE3ELNS1_3repE0EEENS1_36merge_oddeven_config_static_selectorELNS0_4arch9wavefront6targetE1EEEvSJ_: ; @_ZN7rocprim17ROCPRIM_400000_NS6detail17trampoline_kernelINS0_14default_configENS1_38merge_sort_block_merge_config_selectorIiiEEZZNS1_27merge_sort_block_merge_implIS3_N6thrust23THRUST_200600_302600_NS6detail15normal_iteratorINS8_10device_ptrIiEEEESD_jNS1_19radix_merge_compareILb0ELb1EiNS0_19identity_decomposerEEEEE10hipError_tT0_T1_T2_jT3_P12ihipStream_tbPNSt15iterator_traitsISI_E10value_typeEPNSO_ISJ_E10value_typeEPSK_NS1_7vsmem_tEENKUlT_SI_SJ_SK_E_clIPiSD_S10_SD_EESH_SX_SI_SJ_SK_EUlSX_E1_NS1_11comp_targetILNS1_3genE9ELNS1_11target_archE1100ELNS1_3gpuE3ELNS1_3repE0EEENS1_36merge_oddeven_config_static_selectorELNS0_4arch9wavefront6targetE1EEEvSJ_
; %bb.0:
	.section	.rodata,"a",@progbits
	.p2align	6, 0x0
	.amdhsa_kernel _ZN7rocprim17ROCPRIM_400000_NS6detail17trampoline_kernelINS0_14default_configENS1_38merge_sort_block_merge_config_selectorIiiEEZZNS1_27merge_sort_block_merge_implIS3_N6thrust23THRUST_200600_302600_NS6detail15normal_iteratorINS8_10device_ptrIiEEEESD_jNS1_19radix_merge_compareILb0ELb1EiNS0_19identity_decomposerEEEEE10hipError_tT0_T1_T2_jT3_P12ihipStream_tbPNSt15iterator_traitsISI_E10value_typeEPNSO_ISJ_E10value_typeEPSK_NS1_7vsmem_tEENKUlT_SI_SJ_SK_E_clIPiSD_S10_SD_EESH_SX_SI_SJ_SK_EUlSX_E1_NS1_11comp_targetILNS1_3genE9ELNS1_11target_archE1100ELNS1_3gpuE3ELNS1_3repE0EEENS1_36merge_oddeven_config_static_selectorELNS0_4arch9wavefront6targetE1EEEvSJ_
		.amdhsa_group_segment_fixed_size 0
		.amdhsa_private_segment_fixed_size 0
		.amdhsa_kernarg_size 48
		.amdhsa_user_sgpr_count 2
		.amdhsa_user_sgpr_dispatch_ptr 0
		.amdhsa_user_sgpr_queue_ptr 0
		.amdhsa_user_sgpr_kernarg_segment_ptr 1
		.amdhsa_user_sgpr_dispatch_id 0
		.amdhsa_user_sgpr_kernarg_preload_length 0
		.amdhsa_user_sgpr_kernarg_preload_offset 0
		.amdhsa_user_sgpr_private_segment_size 0
		.amdhsa_uses_dynamic_stack 0
		.amdhsa_enable_private_segment 0
		.amdhsa_system_sgpr_workgroup_id_x 1
		.amdhsa_system_sgpr_workgroup_id_y 0
		.amdhsa_system_sgpr_workgroup_id_z 0
		.amdhsa_system_sgpr_workgroup_info 0
		.amdhsa_system_vgpr_workitem_id 0
		.amdhsa_next_free_vgpr 1
		.amdhsa_next_free_sgpr 0
		.amdhsa_accum_offset 4
		.amdhsa_reserve_vcc 0
		.amdhsa_float_round_mode_32 0
		.amdhsa_float_round_mode_16_64 0
		.amdhsa_float_denorm_mode_32 3
		.amdhsa_float_denorm_mode_16_64 3
		.amdhsa_dx10_clamp 1
		.amdhsa_ieee_mode 1
		.amdhsa_fp16_overflow 0
		.amdhsa_tg_split 0
		.amdhsa_exception_fp_ieee_invalid_op 0
		.amdhsa_exception_fp_denorm_src 0
		.amdhsa_exception_fp_ieee_div_zero 0
		.amdhsa_exception_fp_ieee_overflow 0
		.amdhsa_exception_fp_ieee_underflow 0
		.amdhsa_exception_fp_ieee_inexact 0
		.amdhsa_exception_int_div_zero 0
	.end_amdhsa_kernel
	.section	.text._ZN7rocprim17ROCPRIM_400000_NS6detail17trampoline_kernelINS0_14default_configENS1_38merge_sort_block_merge_config_selectorIiiEEZZNS1_27merge_sort_block_merge_implIS3_N6thrust23THRUST_200600_302600_NS6detail15normal_iteratorINS8_10device_ptrIiEEEESD_jNS1_19radix_merge_compareILb0ELb1EiNS0_19identity_decomposerEEEEE10hipError_tT0_T1_T2_jT3_P12ihipStream_tbPNSt15iterator_traitsISI_E10value_typeEPNSO_ISJ_E10value_typeEPSK_NS1_7vsmem_tEENKUlT_SI_SJ_SK_E_clIPiSD_S10_SD_EESH_SX_SI_SJ_SK_EUlSX_E1_NS1_11comp_targetILNS1_3genE9ELNS1_11target_archE1100ELNS1_3gpuE3ELNS1_3repE0EEENS1_36merge_oddeven_config_static_selectorELNS0_4arch9wavefront6targetE1EEEvSJ_,"axG",@progbits,_ZN7rocprim17ROCPRIM_400000_NS6detail17trampoline_kernelINS0_14default_configENS1_38merge_sort_block_merge_config_selectorIiiEEZZNS1_27merge_sort_block_merge_implIS3_N6thrust23THRUST_200600_302600_NS6detail15normal_iteratorINS8_10device_ptrIiEEEESD_jNS1_19radix_merge_compareILb0ELb1EiNS0_19identity_decomposerEEEEE10hipError_tT0_T1_T2_jT3_P12ihipStream_tbPNSt15iterator_traitsISI_E10value_typeEPNSO_ISJ_E10value_typeEPSK_NS1_7vsmem_tEENKUlT_SI_SJ_SK_E_clIPiSD_S10_SD_EESH_SX_SI_SJ_SK_EUlSX_E1_NS1_11comp_targetILNS1_3genE9ELNS1_11target_archE1100ELNS1_3gpuE3ELNS1_3repE0EEENS1_36merge_oddeven_config_static_selectorELNS0_4arch9wavefront6targetE1EEEvSJ_,comdat
.Lfunc_end778:
	.size	_ZN7rocprim17ROCPRIM_400000_NS6detail17trampoline_kernelINS0_14default_configENS1_38merge_sort_block_merge_config_selectorIiiEEZZNS1_27merge_sort_block_merge_implIS3_N6thrust23THRUST_200600_302600_NS6detail15normal_iteratorINS8_10device_ptrIiEEEESD_jNS1_19radix_merge_compareILb0ELb1EiNS0_19identity_decomposerEEEEE10hipError_tT0_T1_T2_jT3_P12ihipStream_tbPNSt15iterator_traitsISI_E10value_typeEPNSO_ISJ_E10value_typeEPSK_NS1_7vsmem_tEENKUlT_SI_SJ_SK_E_clIPiSD_S10_SD_EESH_SX_SI_SJ_SK_EUlSX_E1_NS1_11comp_targetILNS1_3genE9ELNS1_11target_archE1100ELNS1_3gpuE3ELNS1_3repE0EEENS1_36merge_oddeven_config_static_selectorELNS0_4arch9wavefront6targetE1EEEvSJ_, .Lfunc_end778-_ZN7rocprim17ROCPRIM_400000_NS6detail17trampoline_kernelINS0_14default_configENS1_38merge_sort_block_merge_config_selectorIiiEEZZNS1_27merge_sort_block_merge_implIS3_N6thrust23THRUST_200600_302600_NS6detail15normal_iteratorINS8_10device_ptrIiEEEESD_jNS1_19radix_merge_compareILb0ELb1EiNS0_19identity_decomposerEEEEE10hipError_tT0_T1_T2_jT3_P12ihipStream_tbPNSt15iterator_traitsISI_E10value_typeEPNSO_ISJ_E10value_typeEPSK_NS1_7vsmem_tEENKUlT_SI_SJ_SK_E_clIPiSD_S10_SD_EESH_SX_SI_SJ_SK_EUlSX_E1_NS1_11comp_targetILNS1_3genE9ELNS1_11target_archE1100ELNS1_3gpuE3ELNS1_3repE0EEENS1_36merge_oddeven_config_static_selectorELNS0_4arch9wavefront6targetE1EEEvSJ_
                                        ; -- End function
	.set _ZN7rocprim17ROCPRIM_400000_NS6detail17trampoline_kernelINS0_14default_configENS1_38merge_sort_block_merge_config_selectorIiiEEZZNS1_27merge_sort_block_merge_implIS3_N6thrust23THRUST_200600_302600_NS6detail15normal_iteratorINS8_10device_ptrIiEEEESD_jNS1_19radix_merge_compareILb0ELb1EiNS0_19identity_decomposerEEEEE10hipError_tT0_T1_T2_jT3_P12ihipStream_tbPNSt15iterator_traitsISI_E10value_typeEPNSO_ISJ_E10value_typeEPSK_NS1_7vsmem_tEENKUlT_SI_SJ_SK_E_clIPiSD_S10_SD_EESH_SX_SI_SJ_SK_EUlSX_E1_NS1_11comp_targetILNS1_3genE9ELNS1_11target_archE1100ELNS1_3gpuE3ELNS1_3repE0EEENS1_36merge_oddeven_config_static_selectorELNS0_4arch9wavefront6targetE1EEEvSJ_.num_vgpr, 0
	.set _ZN7rocprim17ROCPRIM_400000_NS6detail17trampoline_kernelINS0_14default_configENS1_38merge_sort_block_merge_config_selectorIiiEEZZNS1_27merge_sort_block_merge_implIS3_N6thrust23THRUST_200600_302600_NS6detail15normal_iteratorINS8_10device_ptrIiEEEESD_jNS1_19radix_merge_compareILb0ELb1EiNS0_19identity_decomposerEEEEE10hipError_tT0_T1_T2_jT3_P12ihipStream_tbPNSt15iterator_traitsISI_E10value_typeEPNSO_ISJ_E10value_typeEPSK_NS1_7vsmem_tEENKUlT_SI_SJ_SK_E_clIPiSD_S10_SD_EESH_SX_SI_SJ_SK_EUlSX_E1_NS1_11comp_targetILNS1_3genE9ELNS1_11target_archE1100ELNS1_3gpuE3ELNS1_3repE0EEENS1_36merge_oddeven_config_static_selectorELNS0_4arch9wavefront6targetE1EEEvSJ_.num_agpr, 0
	.set _ZN7rocprim17ROCPRIM_400000_NS6detail17trampoline_kernelINS0_14default_configENS1_38merge_sort_block_merge_config_selectorIiiEEZZNS1_27merge_sort_block_merge_implIS3_N6thrust23THRUST_200600_302600_NS6detail15normal_iteratorINS8_10device_ptrIiEEEESD_jNS1_19radix_merge_compareILb0ELb1EiNS0_19identity_decomposerEEEEE10hipError_tT0_T1_T2_jT3_P12ihipStream_tbPNSt15iterator_traitsISI_E10value_typeEPNSO_ISJ_E10value_typeEPSK_NS1_7vsmem_tEENKUlT_SI_SJ_SK_E_clIPiSD_S10_SD_EESH_SX_SI_SJ_SK_EUlSX_E1_NS1_11comp_targetILNS1_3genE9ELNS1_11target_archE1100ELNS1_3gpuE3ELNS1_3repE0EEENS1_36merge_oddeven_config_static_selectorELNS0_4arch9wavefront6targetE1EEEvSJ_.numbered_sgpr, 0
	.set _ZN7rocprim17ROCPRIM_400000_NS6detail17trampoline_kernelINS0_14default_configENS1_38merge_sort_block_merge_config_selectorIiiEEZZNS1_27merge_sort_block_merge_implIS3_N6thrust23THRUST_200600_302600_NS6detail15normal_iteratorINS8_10device_ptrIiEEEESD_jNS1_19radix_merge_compareILb0ELb1EiNS0_19identity_decomposerEEEEE10hipError_tT0_T1_T2_jT3_P12ihipStream_tbPNSt15iterator_traitsISI_E10value_typeEPNSO_ISJ_E10value_typeEPSK_NS1_7vsmem_tEENKUlT_SI_SJ_SK_E_clIPiSD_S10_SD_EESH_SX_SI_SJ_SK_EUlSX_E1_NS1_11comp_targetILNS1_3genE9ELNS1_11target_archE1100ELNS1_3gpuE3ELNS1_3repE0EEENS1_36merge_oddeven_config_static_selectorELNS0_4arch9wavefront6targetE1EEEvSJ_.num_named_barrier, 0
	.set _ZN7rocprim17ROCPRIM_400000_NS6detail17trampoline_kernelINS0_14default_configENS1_38merge_sort_block_merge_config_selectorIiiEEZZNS1_27merge_sort_block_merge_implIS3_N6thrust23THRUST_200600_302600_NS6detail15normal_iteratorINS8_10device_ptrIiEEEESD_jNS1_19radix_merge_compareILb0ELb1EiNS0_19identity_decomposerEEEEE10hipError_tT0_T1_T2_jT3_P12ihipStream_tbPNSt15iterator_traitsISI_E10value_typeEPNSO_ISJ_E10value_typeEPSK_NS1_7vsmem_tEENKUlT_SI_SJ_SK_E_clIPiSD_S10_SD_EESH_SX_SI_SJ_SK_EUlSX_E1_NS1_11comp_targetILNS1_3genE9ELNS1_11target_archE1100ELNS1_3gpuE3ELNS1_3repE0EEENS1_36merge_oddeven_config_static_selectorELNS0_4arch9wavefront6targetE1EEEvSJ_.private_seg_size, 0
	.set _ZN7rocprim17ROCPRIM_400000_NS6detail17trampoline_kernelINS0_14default_configENS1_38merge_sort_block_merge_config_selectorIiiEEZZNS1_27merge_sort_block_merge_implIS3_N6thrust23THRUST_200600_302600_NS6detail15normal_iteratorINS8_10device_ptrIiEEEESD_jNS1_19radix_merge_compareILb0ELb1EiNS0_19identity_decomposerEEEEE10hipError_tT0_T1_T2_jT3_P12ihipStream_tbPNSt15iterator_traitsISI_E10value_typeEPNSO_ISJ_E10value_typeEPSK_NS1_7vsmem_tEENKUlT_SI_SJ_SK_E_clIPiSD_S10_SD_EESH_SX_SI_SJ_SK_EUlSX_E1_NS1_11comp_targetILNS1_3genE9ELNS1_11target_archE1100ELNS1_3gpuE3ELNS1_3repE0EEENS1_36merge_oddeven_config_static_selectorELNS0_4arch9wavefront6targetE1EEEvSJ_.uses_vcc, 0
	.set _ZN7rocprim17ROCPRIM_400000_NS6detail17trampoline_kernelINS0_14default_configENS1_38merge_sort_block_merge_config_selectorIiiEEZZNS1_27merge_sort_block_merge_implIS3_N6thrust23THRUST_200600_302600_NS6detail15normal_iteratorINS8_10device_ptrIiEEEESD_jNS1_19radix_merge_compareILb0ELb1EiNS0_19identity_decomposerEEEEE10hipError_tT0_T1_T2_jT3_P12ihipStream_tbPNSt15iterator_traitsISI_E10value_typeEPNSO_ISJ_E10value_typeEPSK_NS1_7vsmem_tEENKUlT_SI_SJ_SK_E_clIPiSD_S10_SD_EESH_SX_SI_SJ_SK_EUlSX_E1_NS1_11comp_targetILNS1_3genE9ELNS1_11target_archE1100ELNS1_3gpuE3ELNS1_3repE0EEENS1_36merge_oddeven_config_static_selectorELNS0_4arch9wavefront6targetE1EEEvSJ_.uses_flat_scratch, 0
	.set _ZN7rocprim17ROCPRIM_400000_NS6detail17trampoline_kernelINS0_14default_configENS1_38merge_sort_block_merge_config_selectorIiiEEZZNS1_27merge_sort_block_merge_implIS3_N6thrust23THRUST_200600_302600_NS6detail15normal_iteratorINS8_10device_ptrIiEEEESD_jNS1_19radix_merge_compareILb0ELb1EiNS0_19identity_decomposerEEEEE10hipError_tT0_T1_T2_jT3_P12ihipStream_tbPNSt15iterator_traitsISI_E10value_typeEPNSO_ISJ_E10value_typeEPSK_NS1_7vsmem_tEENKUlT_SI_SJ_SK_E_clIPiSD_S10_SD_EESH_SX_SI_SJ_SK_EUlSX_E1_NS1_11comp_targetILNS1_3genE9ELNS1_11target_archE1100ELNS1_3gpuE3ELNS1_3repE0EEENS1_36merge_oddeven_config_static_selectorELNS0_4arch9wavefront6targetE1EEEvSJ_.has_dyn_sized_stack, 0
	.set _ZN7rocprim17ROCPRIM_400000_NS6detail17trampoline_kernelINS0_14default_configENS1_38merge_sort_block_merge_config_selectorIiiEEZZNS1_27merge_sort_block_merge_implIS3_N6thrust23THRUST_200600_302600_NS6detail15normal_iteratorINS8_10device_ptrIiEEEESD_jNS1_19radix_merge_compareILb0ELb1EiNS0_19identity_decomposerEEEEE10hipError_tT0_T1_T2_jT3_P12ihipStream_tbPNSt15iterator_traitsISI_E10value_typeEPNSO_ISJ_E10value_typeEPSK_NS1_7vsmem_tEENKUlT_SI_SJ_SK_E_clIPiSD_S10_SD_EESH_SX_SI_SJ_SK_EUlSX_E1_NS1_11comp_targetILNS1_3genE9ELNS1_11target_archE1100ELNS1_3gpuE3ELNS1_3repE0EEENS1_36merge_oddeven_config_static_selectorELNS0_4arch9wavefront6targetE1EEEvSJ_.has_recursion, 0
	.set _ZN7rocprim17ROCPRIM_400000_NS6detail17trampoline_kernelINS0_14default_configENS1_38merge_sort_block_merge_config_selectorIiiEEZZNS1_27merge_sort_block_merge_implIS3_N6thrust23THRUST_200600_302600_NS6detail15normal_iteratorINS8_10device_ptrIiEEEESD_jNS1_19radix_merge_compareILb0ELb1EiNS0_19identity_decomposerEEEEE10hipError_tT0_T1_T2_jT3_P12ihipStream_tbPNSt15iterator_traitsISI_E10value_typeEPNSO_ISJ_E10value_typeEPSK_NS1_7vsmem_tEENKUlT_SI_SJ_SK_E_clIPiSD_S10_SD_EESH_SX_SI_SJ_SK_EUlSX_E1_NS1_11comp_targetILNS1_3genE9ELNS1_11target_archE1100ELNS1_3gpuE3ELNS1_3repE0EEENS1_36merge_oddeven_config_static_selectorELNS0_4arch9wavefront6targetE1EEEvSJ_.has_indirect_call, 0
	.section	.AMDGPU.csdata,"",@progbits
; Kernel info:
; codeLenInByte = 0
; TotalNumSgprs: 6
; NumVgprs: 0
; NumAgprs: 0
; TotalNumVgprs: 0
; ScratchSize: 0
; MemoryBound: 0
; FloatMode: 240
; IeeeMode: 1
; LDSByteSize: 0 bytes/workgroup (compile time only)
; SGPRBlocks: 0
; VGPRBlocks: 0
; NumSGPRsForWavesPerEU: 6
; NumVGPRsForWavesPerEU: 1
; AccumOffset: 4
; Occupancy: 8
; WaveLimiterHint : 0
; COMPUTE_PGM_RSRC2:SCRATCH_EN: 0
; COMPUTE_PGM_RSRC2:USER_SGPR: 2
; COMPUTE_PGM_RSRC2:TRAP_HANDLER: 0
; COMPUTE_PGM_RSRC2:TGID_X_EN: 1
; COMPUTE_PGM_RSRC2:TGID_Y_EN: 0
; COMPUTE_PGM_RSRC2:TGID_Z_EN: 0
; COMPUTE_PGM_RSRC2:TIDIG_COMP_CNT: 0
; COMPUTE_PGM_RSRC3_GFX90A:ACCUM_OFFSET: 0
; COMPUTE_PGM_RSRC3_GFX90A:TG_SPLIT: 0
	.section	.text._ZN7rocprim17ROCPRIM_400000_NS6detail17trampoline_kernelINS0_14default_configENS1_38merge_sort_block_merge_config_selectorIiiEEZZNS1_27merge_sort_block_merge_implIS3_N6thrust23THRUST_200600_302600_NS6detail15normal_iteratorINS8_10device_ptrIiEEEESD_jNS1_19radix_merge_compareILb0ELb1EiNS0_19identity_decomposerEEEEE10hipError_tT0_T1_T2_jT3_P12ihipStream_tbPNSt15iterator_traitsISI_E10value_typeEPNSO_ISJ_E10value_typeEPSK_NS1_7vsmem_tEENKUlT_SI_SJ_SK_E_clIPiSD_S10_SD_EESH_SX_SI_SJ_SK_EUlSX_E1_NS1_11comp_targetILNS1_3genE8ELNS1_11target_archE1030ELNS1_3gpuE2ELNS1_3repE0EEENS1_36merge_oddeven_config_static_selectorELNS0_4arch9wavefront6targetE1EEEvSJ_,"axG",@progbits,_ZN7rocprim17ROCPRIM_400000_NS6detail17trampoline_kernelINS0_14default_configENS1_38merge_sort_block_merge_config_selectorIiiEEZZNS1_27merge_sort_block_merge_implIS3_N6thrust23THRUST_200600_302600_NS6detail15normal_iteratorINS8_10device_ptrIiEEEESD_jNS1_19radix_merge_compareILb0ELb1EiNS0_19identity_decomposerEEEEE10hipError_tT0_T1_T2_jT3_P12ihipStream_tbPNSt15iterator_traitsISI_E10value_typeEPNSO_ISJ_E10value_typeEPSK_NS1_7vsmem_tEENKUlT_SI_SJ_SK_E_clIPiSD_S10_SD_EESH_SX_SI_SJ_SK_EUlSX_E1_NS1_11comp_targetILNS1_3genE8ELNS1_11target_archE1030ELNS1_3gpuE2ELNS1_3repE0EEENS1_36merge_oddeven_config_static_selectorELNS0_4arch9wavefront6targetE1EEEvSJ_,comdat
	.protected	_ZN7rocprim17ROCPRIM_400000_NS6detail17trampoline_kernelINS0_14default_configENS1_38merge_sort_block_merge_config_selectorIiiEEZZNS1_27merge_sort_block_merge_implIS3_N6thrust23THRUST_200600_302600_NS6detail15normal_iteratorINS8_10device_ptrIiEEEESD_jNS1_19radix_merge_compareILb0ELb1EiNS0_19identity_decomposerEEEEE10hipError_tT0_T1_T2_jT3_P12ihipStream_tbPNSt15iterator_traitsISI_E10value_typeEPNSO_ISJ_E10value_typeEPSK_NS1_7vsmem_tEENKUlT_SI_SJ_SK_E_clIPiSD_S10_SD_EESH_SX_SI_SJ_SK_EUlSX_E1_NS1_11comp_targetILNS1_3genE8ELNS1_11target_archE1030ELNS1_3gpuE2ELNS1_3repE0EEENS1_36merge_oddeven_config_static_selectorELNS0_4arch9wavefront6targetE1EEEvSJ_ ; -- Begin function _ZN7rocprim17ROCPRIM_400000_NS6detail17trampoline_kernelINS0_14default_configENS1_38merge_sort_block_merge_config_selectorIiiEEZZNS1_27merge_sort_block_merge_implIS3_N6thrust23THRUST_200600_302600_NS6detail15normal_iteratorINS8_10device_ptrIiEEEESD_jNS1_19radix_merge_compareILb0ELb1EiNS0_19identity_decomposerEEEEE10hipError_tT0_T1_T2_jT3_P12ihipStream_tbPNSt15iterator_traitsISI_E10value_typeEPNSO_ISJ_E10value_typeEPSK_NS1_7vsmem_tEENKUlT_SI_SJ_SK_E_clIPiSD_S10_SD_EESH_SX_SI_SJ_SK_EUlSX_E1_NS1_11comp_targetILNS1_3genE8ELNS1_11target_archE1030ELNS1_3gpuE2ELNS1_3repE0EEENS1_36merge_oddeven_config_static_selectorELNS0_4arch9wavefront6targetE1EEEvSJ_
	.globl	_ZN7rocprim17ROCPRIM_400000_NS6detail17trampoline_kernelINS0_14default_configENS1_38merge_sort_block_merge_config_selectorIiiEEZZNS1_27merge_sort_block_merge_implIS3_N6thrust23THRUST_200600_302600_NS6detail15normal_iteratorINS8_10device_ptrIiEEEESD_jNS1_19radix_merge_compareILb0ELb1EiNS0_19identity_decomposerEEEEE10hipError_tT0_T1_T2_jT3_P12ihipStream_tbPNSt15iterator_traitsISI_E10value_typeEPNSO_ISJ_E10value_typeEPSK_NS1_7vsmem_tEENKUlT_SI_SJ_SK_E_clIPiSD_S10_SD_EESH_SX_SI_SJ_SK_EUlSX_E1_NS1_11comp_targetILNS1_3genE8ELNS1_11target_archE1030ELNS1_3gpuE2ELNS1_3repE0EEENS1_36merge_oddeven_config_static_selectorELNS0_4arch9wavefront6targetE1EEEvSJ_
	.p2align	8
	.type	_ZN7rocprim17ROCPRIM_400000_NS6detail17trampoline_kernelINS0_14default_configENS1_38merge_sort_block_merge_config_selectorIiiEEZZNS1_27merge_sort_block_merge_implIS3_N6thrust23THRUST_200600_302600_NS6detail15normal_iteratorINS8_10device_ptrIiEEEESD_jNS1_19radix_merge_compareILb0ELb1EiNS0_19identity_decomposerEEEEE10hipError_tT0_T1_T2_jT3_P12ihipStream_tbPNSt15iterator_traitsISI_E10value_typeEPNSO_ISJ_E10value_typeEPSK_NS1_7vsmem_tEENKUlT_SI_SJ_SK_E_clIPiSD_S10_SD_EESH_SX_SI_SJ_SK_EUlSX_E1_NS1_11comp_targetILNS1_3genE8ELNS1_11target_archE1030ELNS1_3gpuE2ELNS1_3repE0EEENS1_36merge_oddeven_config_static_selectorELNS0_4arch9wavefront6targetE1EEEvSJ_,@function
_ZN7rocprim17ROCPRIM_400000_NS6detail17trampoline_kernelINS0_14default_configENS1_38merge_sort_block_merge_config_selectorIiiEEZZNS1_27merge_sort_block_merge_implIS3_N6thrust23THRUST_200600_302600_NS6detail15normal_iteratorINS8_10device_ptrIiEEEESD_jNS1_19radix_merge_compareILb0ELb1EiNS0_19identity_decomposerEEEEE10hipError_tT0_T1_T2_jT3_P12ihipStream_tbPNSt15iterator_traitsISI_E10value_typeEPNSO_ISJ_E10value_typeEPSK_NS1_7vsmem_tEENKUlT_SI_SJ_SK_E_clIPiSD_S10_SD_EESH_SX_SI_SJ_SK_EUlSX_E1_NS1_11comp_targetILNS1_3genE8ELNS1_11target_archE1030ELNS1_3gpuE2ELNS1_3repE0EEENS1_36merge_oddeven_config_static_selectorELNS0_4arch9wavefront6targetE1EEEvSJ_: ; @_ZN7rocprim17ROCPRIM_400000_NS6detail17trampoline_kernelINS0_14default_configENS1_38merge_sort_block_merge_config_selectorIiiEEZZNS1_27merge_sort_block_merge_implIS3_N6thrust23THRUST_200600_302600_NS6detail15normal_iteratorINS8_10device_ptrIiEEEESD_jNS1_19radix_merge_compareILb0ELb1EiNS0_19identity_decomposerEEEEE10hipError_tT0_T1_T2_jT3_P12ihipStream_tbPNSt15iterator_traitsISI_E10value_typeEPNSO_ISJ_E10value_typeEPSK_NS1_7vsmem_tEENKUlT_SI_SJ_SK_E_clIPiSD_S10_SD_EESH_SX_SI_SJ_SK_EUlSX_E1_NS1_11comp_targetILNS1_3genE8ELNS1_11target_archE1030ELNS1_3gpuE2ELNS1_3repE0EEENS1_36merge_oddeven_config_static_selectorELNS0_4arch9wavefront6targetE1EEEvSJ_
; %bb.0:
	.section	.rodata,"a",@progbits
	.p2align	6, 0x0
	.amdhsa_kernel _ZN7rocprim17ROCPRIM_400000_NS6detail17trampoline_kernelINS0_14default_configENS1_38merge_sort_block_merge_config_selectorIiiEEZZNS1_27merge_sort_block_merge_implIS3_N6thrust23THRUST_200600_302600_NS6detail15normal_iteratorINS8_10device_ptrIiEEEESD_jNS1_19radix_merge_compareILb0ELb1EiNS0_19identity_decomposerEEEEE10hipError_tT0_T1_T2_jT3_P12ihipStream_tbPNSt15iterator_traitsISI_E10value_typeEPNSO_ISJ_E10value_typeEPSK_NS1_7vsmem_tEENKUlT_SI_SJ_SK_E_clIPiSD_S10_SD_EESH_SX_SI_SJ_SK_EUlSX_E1_NS1_11comp_targetILNS1_3genE8ELNS1_11target_archE1030ELNS1_3gpuE2ELNS1_3repE0EEENS1_36merge_oddeven_config_static_selectorELNS0_4arch9wavefront6targetE1EEEvSJ_
		.amdhsa_group_segment_fixed_size 0
		.amdhsa_private_segment_fixed_size 0
		.amdhsa_kernarg_size 48
		.amdhsa_user_sgpr_count 2
		.amdhsa_user_sgpr_dispatch_ptr 0
		.amdhsa_user_sgpr_queue_ptr 0
		.amdhsa_user_sgpr_kernarg_segment_ptr 1
		.amdhsa_user_sgpr_dispatch_id 0
		.amdhsa_user_sgpr_kernarg_preload_length 0
		.amdhsa_user_sgpr_kernarg_preload_offset 0
		.amdhsa_user_sgpr_private_segment_size 0
		.amdhsa_uses_dynamic_stack 0
		.amdhsa_enable_private_segment 0
		.amdhsa_system_sgpr_workgroup_id_x 1
		.amdhsa_system_sgpr_workgroup_id_y 0
		.amdhsa_system_sgpr_workgroup_id_z 0
		.amdhsa_system_sgpr_workgroup_info 0
		.amdhsa_system_vgpr_workitem_id 0
		.amdhsa_next_free_vgpr 1
		.amdhsa_next_free_sgpr 0
		.amdhsa_accum_offset 4
		.amdhsa_reserve_vcc 0
		.amdhsa_float_round_mode_32 0
		.amdhsa_float_round_mode_16_64 0
		.amdhsa_float_denorm_mode_32 3
		.amdhsa_float_denorm_mode_16_64 3
		.amdhsa_dx10_clamp 1
		.amdhsa_ieee_mode 1
		.amdhsa_fp16_overflow 0
		.amdhsa_tg_split 0
		.amdhsa_exception_fp_ieee_invalid_op 0
		.amdhsa_exception_fp_denorm_src 0
		.amdhsa_exception_fp_ieee_div_zero 0
		.amdhsa_exception_fp_ieee_overflow 0
		.amdhsa_exception_fp_ieee_underflow 0
		.amdhsa_exception_fp_ieee_inexact 0
		.amdhsa_exception_int_div_zero 0
	.end_amdhsa_kernel
	.section	.text._ZN7rocprim17ROCPRIM_400000_NS6detail17trampoline_kernelINS0_14default_configENS1_38merge_sort_block_merge_config_selectorIiiEEZZNS1_27merge_sort_block_merge_implIS3_N6thrust23THRUST_200600_302600_NS6detail15normal_iteratorINS8_10device_ptrIiEEEESD_jNS1_19radix_merge_compareILb0ELb1EiNS0_19identity_decomposerEEEEE10hipError_tT0_T1_T2_jT3_P12ihipStream_tbPNSt15iterator_traitsISI_E10value_typeEPNSO_ISJ_E10value_typeEPSK_NS1_7vsmem_tEENKUlT_SI_SJ_SK_E_clIPiSD_S10_SD_EESH_SX_SI_SJ_SK_EUlSX_E1_NS1_11comp_targetILNS1_3genE8ELNS1_11target_archE1030ELNS1_3gpuE2ELNS1_3repE0EEENS1_36merge_oddeven_config_static_selectorELNS0_4arch9wavefront6targetE1EEEvSJ_,"axG",@progbits,_ZN7rocprim17ROCPRIM_400000_NS6detail17trampoline_kernelINS0_14default_configENS1_38merge_sort_block_merge_config_selectorIiiEEZZNS1_27merge_sort_block_merge_implIS3_N6thrust23THRUST_200600_302600_NS6detail15normal_iteratorINS8_10device_ptrIiEEEESD_jNS1_19radix_merge_compareILb0ELb1EiNS0_19identity_decomposerEEEEE10hipError_tT0_T1_T2_jT3_P12ihipStream_tbPNSt15iterator_traitsISI_E10value_typeEPNSO_ISJ_E10value_typeEPSK_NS1_7vsmem_tEENKUlT_SI_SJ_SK_E_clIPiSD_S10_SD_EESH_SX_SI_SJ_SK_EUlSX_E1_NS1_11comp_targetILNS1_3genE8ELNS1_11target_archE1030ELNS1_3gpuE2ELNS1_3repE0EEENS1_36merge_oddeven_config_static_selectorELNS0_4arch9wavefront6targetE1EEEvSJ_,comdat
.Lfunc_end779:
	.size	_ZN7rocprim17ROCPRIM_400000_NS6detail17trampoline_kernelINS0_14default_configENS1_38merge_sort_block_merge_config_selectorIiiEEZZNS1_27merge_sort_block_merge_implIS3_N6thrust23THRUST_200600_302600_NS6detail15normal_iteratorINS8_10device_ptrIiEEEESD_jNS1_19radix_merge_compareILb0ELb1EiNS0_19identity_decomposerEEEEE10hipError_tT0_T1_T2_jT3_P12ihipStream_tbPNSt15iterator_traitsISI_E10value_typeEPNSO_ISJ_E10value_typeEPSK_NS1_7vsmem_tEENKUlT_SI_SJ_SK_E_clIPiSD_S10_SD_EESH_SX_SI_SJ_SK_EUlSX_E1_NS1_11comp_targetILNS1_3genE8ELNS1_11target_archE1030ELNS1_3gpuE2ELNS1_3repE0EEENS1_36merge_oddeven_config_static_selectorELNS0_4arch9wavefront6targetE1EEEvSJ_, .Lfunc_end779-_ZN7rocprim17ROCPRIM_400000_NS6detail17trampoline_kernelINS0_14default_configENS1_38merge_sort_block_merge_config_selectorIiiEEZZNS1_27merge_sort_block_merge_implIS3_N6thrust23THRUST_200600_302600_NS6detail15normal_iteratorINS8_10device_ptrIiEEEESD_jNS1_19radix_merge_compareILb0ELb1EiNS0_19identity_decomposerEEEEE10hipError_tT0_T1_T2_jT3_P12ihipStream_tbPNSt15iterator_traitsISI_E10value_typeEPNSO_ISJ_E10value_typeEPSK_NS1_7vsmem_tEENKUlT_SI_SJ_SK_E_clIPiSD_S10_SD_EESH_SX_SI_SJ_SK_EUlSX_E1_NS1_11comp_targetILNS1_3genE8ELNS1_11target_archE1030ELNS1_3gpuE2ELNS1_3repE0EEENS1_36merge_oddeven_config_static_selectorELNS0_4arch9wavefront6targetE1EEEvSJ_
                                        ; -- End function
	.set _ZN7rocprim17ROCPRIM_400000_NS6detail17trampoline_kernelINS0_14default_configENS1_38merge_sort_block_merge_config_selectorIiiEEZZNS1_27merge_sort_block_merge_implIS3_N6thrust23THRUST_200600_302600_NS6detail15normal_iteratorINS8_10device_ptrIiEEEESD_jNS1_19radix_merge_compareILb0ELb1EiNS0_19identity_decomposerEEEEE10hipError_tT0_T1_T2_jT3_P12ihipStream_tbPNSt15iterator_traitsISI_E10value_typeEPNSO_ISJ_E10value_typeEPSK_NS1_7vsmem_tEENKUlT_SI_SJ_SK_E_clIPiSD_S10_SD_EESH_SX_SI_SJ_SK_EUlSX_E1_NS1_11comp_targetILNS1_3genE8ELNS1_11target_archE1030ELNS1_3gpuE2ELNS1_3repE0EEENS1_36merge_oddeven_config_static_selectorELNS0_4arch9wavefront6targetE1EEEvSJ_.num_vgpr, 0
	.set _ZN7rocprim17ROCPRIM_400000_NS6detail17trampoline_kernelINS0_14default_configENS1_38merge_sort_block_merge_config_selectorIiiEEZZNS1_27merge_sort_block_merge_implIS3_N6thrust23THRUST_200600_302600_NS6detail15normal_iteratorINS8_10device_ptrIiEEEESD_jNS1_19radix_merge_compareILb0ELb1EiNS0_19identity_decomposerEEEEE10hipError_tT0_T1_T2_jT3_P12ihipStream_tbPNSt15iterator_traitsISI_E10value_typeEPNSO_ISJ_E10value_typeEPSK_NS1_7vsmem_tEENKUlT_SI_SJ_SK_E_clIPiSD_S10_SD_EESH_SX_SI_SJ_SK_EUlSX_E1_NS1_11comp_targetILNS1_3genE8ELNS1_11target_archE1030ELNS1_3gpuE2ELNS1_3repE0EEENS1_36merge_oddeven_config_static_selectorELNS0_4arch9wavefront6targetE1EEEvSJ_.num_agpr, 0
	.set _ZN7rocprim17ROCPRIM_400000_NS6detail17trampoline_kernelINS0_14default_configENS1_38merge_sort_block_merge_config_selectorIiiEEZZNS1_27merge_sort_block_merge_implIS3_N6thrust23THRUST_200600_302600_NS6detail15normal_iteratorINS8_10device_ptrIiEEEESD_jNS1_19radix_merge_compareILb0ELb1EiNS0_19identity_decomposerEEEEE10hipError_tT0_T1_T2_jT3_P12ihipStream_tbPNSt15iterator_traitsISI_E10value_typeEPNSO_ISJ_E10value_typeEPSK_NS1_7vsmem_tEENKUlT_SI_SJ_SK_E_clIPiSD_S10_SD_EESH_SX_SI_SJ_SK_EUlSX_E1_NS1_11comp_targetILNS1_3genE8ELNS1_11target_archE1030ELNS1_3gpuE2ELNS1_3repE0EEENS1_36merge_oddeven_config_static_selectorELNS0_4arch9wavefront6targetE1EEEvSJ_.numbered_sgpr, 0
	.set _ZN7rocprim17ROCPRIM_400000_NS6detail17trampoline_kernelINS0_14default_configENS1_38merge_sort_block_merge_config_selectorIiiEEZZNS1_27merge_sort_block_merge_implIS3_N6thrust23THRUST_200600_302600_NS6detail15normal_iteratorINS8_10device_ptrIiEEEESD_jNS1_19radix_merge_compareILb0ELb1EiNS0_19identity_decomposerEEEEE10hipError_tT0_T1_T2_jT3_P12ihipStream_tbPNSt15iterator_traitsISI_E10value_typeEPNSO_ISJ_E10value_typeEPSK_NS1_7vsmem_tEENKUlT_SI_SJ_SK_E_clIPiSD_S10_SD_EESH_SX_SI_SJ_SK_EUlSX_E1_NS1_11comp_targetILNS1_3genE8ELNS1_11target_archE1030ELNS1_3gpuE2ELNS1_3repE0EEENS1_36merge_oddeven_config_static_selectorELNS0_4arch9wavefront6targetE1EEEvSJ_.num_named_barrier, 0
	.set _ZN7rocprim17ROCPRIM_400000_NS6detail17trampoline_kernelINS0_14default_configENS1_38merge_sort_block_merge_config_selectorIiiEEZZNS1_27merge_sort_block_merge_implIS3_N6thrust23THRUST_200600_302600_NS6detail15normal_iteratorINS8_10device_ptrIiEEEESD_jNS1_19radix_merge_compareILb0ELb1EiNS0_19identity_decomposerEEEEE10hipError_tT0_T1_T2_jT3_P12ihipStream_tbPNSt15iterator_traitsISI_E10value_typeEPNSO_ISJ_E10value_typeEPSK_NS1_7vsmem_tEENKUlT_SI_SJ_SK_E_clIPiSD_S10_SD_EESH_SX_SI_SJ_SK_EUlSX_E1_NS1_11comp_targetILNS1_3genE8ELNS1_11target_archE1030ELNS1_3gpuE2ELNS1_3repE0EEENS1_36merge_oddeven_config_static_selectorELNS0_4arch9wavefront6targetE1EEEvSJ_.private_seg_size, 0
	.set _ZN7rocprim17ROCPRIM_400000_NS6detail17trampoline_kernelINS0_14default_configENS1_38merge_sort_block_merge_config_selectorIiiEEZZNS1_27merge_sort_block_merge_implIS3_N6thrust23THRUST_200600_302600_NS6detail15normal_iteratorINS8_10device_ptrIiEEEESD_jNS1_19radix_merge_compareILb0ELb1EiNS0_19identity_decomposerEEEEE10hipError_tT0_T1_T2_jT3_P12ihipStream_tbPNSt15iterator_traitsISI_E10value_typeEPNSO_ISJ_E10value_typeEPSK_NS1_7vsmem_tEENKUlT_SI_SJ_SK_E_clIPiSD_S10_SD_EESH_SX_SI_SJ_SK_EUlSX_E1_NS1_11comp_targetILNS1_3genE8ELNS1_11target_archE1030ELNS1_3gpuE2ELNS1_3repE0EEENS1_36merge_oddeven_config_static_selectorELNS0_4arch9wavefront6targetE1EEEvSJ_.uses_vcc, 0
	.set _ZN7rocprim17ROCPRIM_400000_NS6detail17trampoline_kernelINS0_14default_configENS1_38merge_sort_block_merge_config_selectorIiiEEZZNS1_27merge_sort_block_merge_implIS3_N6thrust23THRUST_200600_302600_NS6detail15normal_iteratorINS8_10device_ptrIiEEEESD_jNS1_19radix_merge_compareILb0ELb1EiNS0_19identity_decomposerEEEEE10hipError_tT0_T1_T2_jT3_P12ihipStream_tbPNSt15iterator_traitsISI_E10value_typeEPNSO_ISJ_E10value_typeEPSK_NS1_7vsmem_tEENKUlT_SI_SJ_SK_E_clIPiSD_S10_SD_EESH_SX_SI_SJ_SK_EUlSX_E1_NS1_11comp_targetILNS1_3genE8ELNS1_11target_archE1030ELNS1_3gpuE2ELNS1_3repE0EEENS1_36merge_oddeven_config_static_selectorELNS0_4arch9wavefront6targetE1EEEvSJ_.uses_flat_scratch, 0
	.set _ZN7rocprim17ROCPRIM_400000_NS6detail17trampoline_kernelINS0_14default_configENS1_38merge_sort_block_merge_config_selectorIiiEEZZNS1_27merge_sort_block_merge_implIS3_N6thrust23THRUST_200600_302600_NS6detail15normal_iteratorINS8_10device_ptrIiEEEESD_jNS1_19radix_merge_compareILb0ELb1EiNS0_19identity_decomposerEEEEE10hipError_tT0_T1_T2_jT3_P12ihipStream_tbPNSt15iterator_traitsISI_E10value_typeEPNSO_ISJ_E10value_typeEPSK_NS1_7vsmem_tEENKUlT_SI_SJ_SK_E_clIPiSD_S10_SD_EESH_SX_SI_SJ_SK_EUlSX_E1_NS1_11comp_targetILNS1_3genE8ELNS1_11target_archE1030ELNS1_3gpuE2ELNS1_3repE0EEENS1_36merge_oddeven_config_static_selectorELNS0_4arch9wavefront6targetE1EEEvSJ_.has_dyn_sized_stack, 0
	.set _ZN7rocprim17ROCPRIM_400000_NS6detail17trampoline_kernelINS0_14default_configENS1_38merge_sort_block_merge_config_selectorIiiEEZZNS1_27merge_sort_block_merge_implIS3_N6thrust23THRUST_200600_302600_NS6detail15normal_iteratorINS8_10device_ptrIiEEEESD_jNS1_19radix_merge_compareILb0ELb1EiNS0_19identity_decomposerEEEEE10hipError_tT0_T1_T2_jT3_P12ihipStream_tbPNSt15iterator_traitsISI_E10value_typeEPNSO_ISJ_E10value_typeEPSK_NS1_7vsmem_tEENKUlT_SI_SJ_SK_E_clIPiSD_S10_SD_EESH_SX_SI_SJ_SK_EUlSX_E1_NS1_11comp_targetILNS1_3genE8ELNS1_11target_archE1030ELNS1_3gpuE2ELNS1_3repE0EEENS1_36merge_oddeven_config_static_selectorELNS0_4arch9wavefront6targetE1EEEvSJ_.has_recursion, 0
	.set _ZN7rocprim17ROCPRIM_400000_NS6detail17trampoline_kernelINS0_14default_configENS1_38merge_sort_block_merge_config_selectorIiiEEZZNS1_27merge_sort_block_merge_implIS3_N6thrust23THRUST_200600_302600_NS6detail15normal_iteratorINS8_10device_ptrIiEEEESD_jNS1_19radix_merge_compareILb0ELb1EiNS0_19identity_decomposerEEEEE10hipError_tT0_T1_T2_jT3_P12ihipStream_tbPNSt15iterator_traitsISI_E10value_typeEPNSO_ISJ_E10value_typeEPSK_NS1_7vsmem_tEENKUlT_SI_SJ_SK_E_clIPiSD_S10_SD_EESH_SX_SI_SJ_SK_EUlSX_E1_NS1_11comp_targetILNS1_3genE8ELNS1_11target_archE1030ELNS1_3gpuE2ELNS1_3repE0EEENS1_36merge_oddeven_config_static_selectorELNS0_4arch9wavefront6targetE1EEEvSJ_.has_indirect_call, 0
	.section	.AMDGPU.csdata,"",@progbits
; Kernel info:
; codeLenInByte = 0
; TotalNumSgprs: 6
; NumVgprs: 0
; NumAgprs: 0
; TotalNumVgprs: 0
; ScratchSize: 0
; MemoryBound: 0
; FloatMode: 240
; IeeeMode: 1
; LDSByteSize: 0 bytes/workgroup (compile time only)
; SGPRBlocks: 0
; VGPRBlocks: 0
; NumSGPRsForWavesPerEU: 6
; NumVGPRsForWavesPerEU: 1
; AccumOffset: 4
; Occupancy: 8
; WaveLimiterHint : 0
; COMPUTE_PGM_RSRC2:SCRATCH_EN: 0
; COMPUTE_PGM_RSRC2:USER_SGPR: 2
; COMPUTE_PGM_RSRC2:TRAP_HANDLER: 0
; COMPUTE_PGM_RSRC2:TGID_X_EN: 1
; COMPUTE_PGM_RSRC2:TGID_Y_EN: 0
; COMPUTE_PGM_RSRC2:TGID_Z_EN: 0
; COMPUTE_PGM_RSRC2:TIDIG_COMP_CNT: 0
; COMPUTE_PGM_RSRC3_GFX90A:ACCUM_OFFSET: 0
; COMPUTE_PGM_RSRC3_GFX90A:TG_SPLIT: 0
	.section	.text._ZN7rocprim17ROCPRIM_400000_NS6detail17trampoline_kernelINS0_14default_configENS1_38merge_sort_block_merge_config_selectorIiiEEZZNS1_27merge_sort_block_merge_implIS3_N6thrust23THRUST_200600_302600_NS6detail15normal_iteratorINS8_10device_ptrIiEEEESD_jNS1_19radix_merge_compareILb0ELb1EiNS0_19identity_decomposerEEEEE10hipError_tT0_T1_T2_jT3_P12ihipStream_tbPNSt15iterator_traitsISI_E10value_typeEPNSO_ISJ_E10value_typeEPSK_NS1_7vsmem_tEENKUlT_SI_SJ_SK_E_clISD_PiSD_S10_EESH_SX_SI_SJ_SK_EUlSX_E_NS1_11comp_targetILNS1_3genE0ELNS1_11target_archE4294967295ELNS1_3gpuE0ELNS1_3repE0EEENS1_48merge_mergepath_partition_config_static_selectorELNS0_4arch9wavefront6targetE1EEEvSJ_,"axG",@progbits,_ZN7rocprim17ROCPRIM_400000_NS6detail17trampoline_kernelINS0_14default_configENS1_38merge_sort_block_merge_config_selectorIiiEEZZNS1_27merge_sort_block_merge_implIS3_N6thrust23THRUST_200600_302600_NS6detail15normal_iteratorINS8_10device_ptrIiEEEESD_jNS1_19radix_merge_compareILb0ELb1EiNS0_19identity_decomposerEEEEE10hipError_tT0_T1_T2_jT3_P12ihipStream_tbPNSt15iterator_traitsISI_E10value_typeEPNSO_ISJ_E10value_typeEPSK_NS1_7vsmem_tEENKUlT_SI_SJ_SK_E_clISD_PiSD_S10_EESH_SX_SI_SJ_SK_EUlSX_E_NS1_11comp_targetILNS1_3genE0ELNS1_11target_archE4294967295ELNS1_3gpuE0ELNS1_3repE0EEENS1_48merge_mergepath_partition_config_static_selectorELNS0_4arch9wavefront6targetE1EEEvSJ_,comdat
	.protected	_ZN7rocprim17ROCPRIM_400000_NS6detail17trampoline_kernelINS0_14default_configENS1_38merge_sort_block_merge_config_selectorIiiEEZZNS1_27merge_sort_block_merge_implIS3_N6thrust23THRUST_200600_302600_NS6detail15normal_iteratorINS8_10device_ptrIiEEEESD_jNS1_19radix_merge_compareILb0ELb1EiNS0_19identity_decomposerEEEEE10hipError_tT0_T1_T2_jT3_P12ihipStream_tbPNSt15iterator_traitsISI_E10value_typeEPNSO_ISJ_E10value_typeEPSK_NS1_7vsmem_tEENKUlT_SI_SJ_SK_E_clISD_PiSD_S10_EESH_SX_SI_SJ_SK_EUlSX_E_NS1_11comp_targetILNS1_3genE0ELNS1_11target_archE4294967295ELNS1_3gpuE0ELNS1_3repE0EEENS1_48merge_mergepath_partition_config_static_selectorELNS0_4arch9wavefront6targetE1EEEvSJ_ ; -- Begin function _ZN7rocprim17ROCPRIM_400000_NS6detail17trampoline_kernelINS0_14default_configENS1_38merge_sort_block_merge_config_selectorIiiEEZZNS1_27merge_sort_block_merge_implIS3_N6thrust23THRUST_200600_302600_NS6detail15normal_iteratorINS8_10device_ptrIiEEEESD_jNS1_19radix_merge_compareILb0ELb1EiNS0_19identity_decomposerEEEEE10hipError_tT0_T1_T2_jT3_P12ihipStream_tbPNSt15iterator_traitsISI_E10value_typeEPNSO_ISJ_E10value_typeEPSK_NS1_7vsmem_tEENKUlT_SI_SJ_SK_E_clISD_PiSD_S10_EESH_SX_SI_SJ_SK_EUlSX_E_NS1_11comp_targetILNS1_3genE0ELNS1_11target_archE4294967295ELNS1_3gpuE0ELNS1_3repE0EEENS1_48merge_mergepath_partition_config_static_selectorELNS0_4arch9wavefront6targetE1EEEvSJ_
	.globl	_ZN7rocprim17ROCPRIM_400000_NS6detail17trampoline_kernelINS0_14default_configENS1_38merge_sort_block_merge_config_selectorIiiEEZZNS1_27merge_sort_block_merge_implIS3_N6thrust23THRUST_200600_302600_NS6detail15normal_iteratorINS8_10device_ptrIiEEEESD_jNS1_19radix_merge_compareILb0ELb1EiNS0_19identity_decomposerEEEEE10hipError_tT0_T1_T2_jT3_P12ihipStream_tbPNSt15iterator_traitsISI_E10value_typeEPNSO_ISJ_E10value_typeEPSK_NS1_7vsmem_tEENKUlT_SI_SJ_SK_E_clISD_PiSD_S10_EESH_SX_SI_SJ_SK_EUlSX_E_NS1_11comp_targetILNS1_3genE0ELNS1_11target_archE4294967295ELNS1_3gpuE0ELNS1_3repE0EEENS1_48merge_mergepath_partition_config_static_selectorELNS0_4arch9wavefront6targetE1EEEvSJ_
	.p2align	8
	.type	_ZN7rocprim17ROCPRIM_400000_NS6detail17trampoline_kernelINS0_14default_configENS1_38merge_sort_block_merge_config_selectorIiiEEZZNS1_27merge_sort_block_merge_implIS3_N6thrust23THRUST_200600_302600_NS6detail15normal_iteratorINS8_10device_ptrIiEEEESD_jNS1_19radix_merge_compareILb0ELb1EiNS0_19identity_decomposerEEEEE10hipError_tT0_T1_T2_jT3_P12ihipStream_tbPNSt15iterator_traitsISI_E10value_typeEPNSO_ISJ_E10value_typeEPSK_NS1_7vsmem_tEENKUlT_SI_SJ_SK_E_clISD_PiSD_S10_EESH_SX_SI_SJ_SK_EUlSX_E_NS1_11comp_targetILNS1_3genE0ELNS1_11target_archE4294967295ELNS1_3gpuE0ELNS1_3repE0EEENS1_48merge_mergepath_partition_config_static_selectorELNS0_4arch9wavefront6targetE1EEEvSJ_,@function
_ZN7rocprim17ROCPRIM_400000_NS6detail17trampoline_kernelINS0_14default_configENS1_38merge_sort_block_merge_config_selectorIiiEEZZNS1_27merge_sort_block_merge_implIS3_N6thrust23THRUST_200600_302600_NS6detail15normal_iteratorINS8_10device_ptrIiEEEESD_jNS1_19radix_merge_compareILb0ELb1EiNS0_19identity_decomposerEEEEE10hipError_tT0_T1_T2_jT3_P12ihipStream_tbPNSt15iterator_traitsISI_E10value_typeEPNSO_ISJ_E10value_typeEPSK_NS1_7vsmem_tEENKUlT_SI_SJ_SK_E_clISD_PiSD_S10_EESH_SX_SI_SJ_SK_EUlSX_E_NS1_11comp_targetILNS1_3genE0ELNS1_11target_archE4294967295ELNS1_3gpuE0ELNS1_3repE0EEENS1_48merge_mergepath_partition_config_static_selectorELNS0_4arch9wavefront6targetE1EEEvSJ_: ; @_ZN7rocprim17ROCPRIM_400000_NS6detail17trampoline_kernelINS0_14default_configENS1_38merge_sort_block_merge_config_selectorIiiEEZZNS1_27merge_sort_block_merge_implIS3_N6thrust23THRUST_200600_302600_NS6detail15normal_iteratorINS8_10device_ptrIiEEEESD_jNS1_19radix_merge_compareILb0ELb1EiNS0_19identity_decomposerEEEEE10hipError_tT0_T1_T2_jT3_P12ihipStream_tbPNSt15iterator_traitsISI_E10value_typeEPNSO_ISJ_E10value_typeEPSK_NS1_7vsmem_tEENKUlT_SI_SJ_SK_E_clISD_PiSD_S10_EESH_SX_SI_SJ_SK_EUlSX_E_NS1_11comp_targetILNS1_3genE0ELNS1_11target_archE4294967295ELNS1_3gpuE0ELNS1_3repE0EEENS1_48merge_mergepath_partition_config_static_selectorELNS0_4arch9wavefront6targetE1EEEvSJ_
; %bb.0:
	s_load_dword s3, s[0:1], 0x0
	v_lshl_or_b32 v0, s2, 7, v0
	s_waitcnt lgkmcnt(0)
	v_cmp_gt_u32_e32 vcc, s3, v0
	s_and_saveexec_b64 s[2:3], vcc
	s_cbranch_execz .LBB780_6
; %bb.1:
	s_load_dwordx2 s[4:5], s[0:1], 0x4
	s_load_dwordx2 s[2:3], s[0:1], 0x20
	s_waitcnt lgkmcnt(0)
	s_lshr_b32 s6, s4, 9
	s_and_b32 s6, s6, 0x7ffffe
	s_add_i32 s7, s6, -1
	s_sub_i32 s6, 0, s6
	v_and_b32_e32 v1, s6, v0
	v_lshlrev_b32_e32 v1, 10, v1
	v_min_u32_e32 v2, s5, v1
	v_add_u32_e32 v1, s4, v1
	v_min_u32_e32 v4, s5, v1
	v_add_u32_e32 v1, s4, v4
	v_and_b32_e32 v3, s7, v0
	v_min_u32_e32 v1, s5, v1
	v_sub_u32_e32 v5, v1, v2
	v_lshlrev_b32_e32 v3, 10, v3
	v_min_u32_e32 v10, v5, v3
	v_sub_u32_e32 v3, v4, v2
	v_sub_u32_e32 v1, v1, v4
	v_sub_u32_e64 v1, v10, v1 clamp
	v_min_u32_e32 v11, v10, v3
	v_cmp_lt_u32_e32 vcc, v1, v11
	s_and_saveexec_b64 s[4:5], vcc
	s_cbranch_execz .LBB780_5
; %bb.2:
	s_load_dwordx2 s[8:9], s[0:1], 0x10
	s_load_dword s6, s[0:1], 0x18
	v_mov_b32_e32 v5, 0
	v_mov_b32_e32 v3, v5
	s_mov_b64 s[0:1], 0
	s_waitcnt lgkmcnt(0)
	v_lshl_add_u64 v[6:7], v[2:3], 2, s[8:9]
	v_lshl_add_u64 v[8:9], v[4:5], 2, s[8:9]
.LBB780_3:                              ; =>This Inner Loop Header: Depth=1
	v_add_u32_e32 v3, v11, v1
	v_lshrrev_b32_e32 v4, 1, v3
	v_mov_b32_e32 v13, v5
	v_xad_u32 v12, v4, -1, v10
	v_lshl_add_u64 v[14:15], v[4:5], 2, v[6:7]
	v_lshl_add_u64 v[12:13], v[12:13], 2, v[8:9]
	flat_load_dword v3, v[14:15]
	flat_load_dword v16, v[12:13]
	v_add_u32_e32 v12, 1, v4
	s_waitcnt vmcnt(0) lgkmcnt(0)
	v_and_b32_e32 v3, s6, v3
	v_and_b32_e32 v13, s6, v16
	v_cmp_gt_i32_e32 vcc, v3, v13
	s_nop 1
	v_cndmask_b32_e32 v11, v11, v4, vcc
	v_cndmask_b32_e32 v1, v12, v1, vcc
	v_cmp_ge_u32_e32 vcc, v1, v11
	s_or_b64 s[0:1], vcc, s[0:1]
	s_andn2_b64 exec, exec, s[0:1]
	s_cbranch_execnz .LBB780_3
; %bb.4:
	s_or_b64 exec, exec, s[0:1]
.LBB780_5:
	s_or_b64 exec, exec, s[4:5]
	v_add_u32_e32 v2, v1, v2
	v_mov_b32_e32 v1, 0
	v_lshl_add_u64 v[0:1], v[0:1], 2, s[2:3]
	global_store_dword v[0:1], v2, off
.LBB780_6:
	s_endpgm
	.section	.rodata,"a",@progbits
	.p2align	6, 0x0
	.amdhsa_kernel _ZN7rocprim17ROCPRIM_400000_NS6detail17trampoline_kernelINS0_14default_configENS1_38merge_sort_block_merge_config_selectorIiiEEZZNS1_27merge_sort_block_merge_implIS3_N6thrust23THRUST_200600_302600_NS6detail15normal_iteratorINS8_10device_ptrIiEEEESD_jNS1_19radix_merge_compareILb0ELb1EiNS0_19identity_decomposerEEEEE10hipError_tT0_T1_T2_jT3_P12ihipStream_tbPNSt15iterator_traitsISI_E10value_typeEPNSO_ISJ_E10value_typeEPSK_NS1_7vsmem_tEENKUlT_SI_SJ_SK_E_clISD_PiSD_S10_EESH_SX_SI_SJ_SK_EUlSX_E_NS1_11comp_targetILNS1_3genE0ELNS1_11target_archE4294967295ELNS1_3gpuE0ELNS1_3repE0EEENS1_48merge_mergepath_partition_config_static_selectorELNS0_4arch9wavefront6targetE1EEEvSJ_
		.amdhsa_group_segment_fixed_size 0
		.amdhsa_private_segment_fixed_size 0
		.amdhsa_kernarg_size 40
		.amdhsa_user_sgpr_count 2
		.amdhsa_user_sgpr_dispatch_ptr 0
		.amdhsa_user_sgpr_queue_ptr 0
		.amdhsa_user_sgpr_kernarg_segment_ptr 1
		.amdhsa_user_sgpr_dispatch_id 0
		.amdhsa_user_sgpr_kernarg_preload_length 0
		.amdhsa_user_sgpr_kernarg_preload_offset 0
		.amdhsa_user_sgpr_private_segment_size 0
		.amdhsa_uses_dynamic_stack 0
		.amdhsa_enable_private_segment 0
		.amdhsa_system_sgpr_workgroup_id_x 1
		.amdhsa_system_sgpr_workgroup_id_y 0
		.amdhsa_system_sgpr_workgroup_id_z 0
		.amdhsa_system_sgpr_workgroup_info 0
		.amdhsa_system_vgpr_workitem_id 0
		.amdhsa_next_free_vgpr 17
		.amdhsa_next_free_sgpr 10
		.amdhsa_accum_offset 20
		.amdhsa_reserve_vcc 1
		.amdhsa_float_round_mode_32 0
		.amdhsa_float_round_mode_16_64 0
		.amdhsa_float_denorm_mode_32 3
		.amdhsa_float_denorm_mode_16_64 3
		.amdhsa_dx10_clamp 1
		.amdhsa_ieee_mode 1
		.amdhsa_fp16_overflow 0
		.amdhsa_tg_split 0
		.amdhsa_exception_fp_ieee_invalid_op 0
		.amdhsa_exception_fp_denorm_src 0
		.amdhsa_exception_fp_ieee_div_zero 0
		.amdhsa_exception_fp_ieee_overflow 0
		.amdhsa_exception_fp_ieee_underflow 0
		.amdhsa_exception_fp_ieee_inexact 0
		.amdhsa_exception_int_div_zero 0
	.end_amdhsa_kernel
	.section	.text._ZN7rocprim17ROCPRIM_400000_NS6detail17trampoline_kernelINS0_14default_configENS1_38merge_sort_block_merge_config_selectorIiiEEZZNS1_27merge_sort_block_merge_implIS3_N6thrust23THRUST_200600_302600_NS6detail15normal_iteratorINS8_10device_ptrIiEEEESD_jNS1_19radix_merge_compareILb0ELb1EiNS0_19identity_decomposerEEEEE10hipError_tT0_T1_T2_jT3_P12ihipStream_tbPNSt15iterator_traitsISI_E10value_typeEPNSO_ISJ_E10value_typeEPSK_NS1_7vsmem_tEENKUlT_SI_SJ_SK_E_clISD_PiSD_S10_EESH_SX_SI_SJ_SK_EUlSX_E_NS1_11comp_targetILNS1_3genE0ELNS1_11target_archE4294967295ELNS1_3gpuE0ELNS1_3repE0EEENS1_48merge_mergepath_partition_config_static_selectorELNS0_4arch9wavefront6targetE1EEEvSJ_,"axG",@progbits,_ZN7rocprim17ROCPRIM_400000_NS6detail17trampoline_kernelINS0_14default_configENS1_38merge_sort_block_merge_config_selectorIiiEEZZNS1_27merge_sort_block_merge_implIS3_N6thrust23THRUST_200600_302600_NS6detail15normal_iteratorINS8_10device_ptrIiEEEESD_jNS1_19radix_merge_compareILb0ELb1EiNS0_19identity_decomposerEEEEE10hipError_tT0_T1_T2_jT3_P12ihipStream_tbPNSt15iterator_traitsISI_E10value_typeEPNSO_ISJ_E10value_typeEPSK_NS1_7vsmem_tEENKUlT_SI_SJ_SK_E_clISD_PiSD_S10_EESH_SX_SI_SJ_SK_EUlSX_E_NS1_11comp_targetILNS1_3genE0ELNS1_11target_archE4294967295ELNS1_3gpuE0ELNS1_3repE0EEENS1_48merge_mergepath_partition_config_static_selectorELNS0_4arch9wavefront6targetE1EEEvSJ_,comdat
.Lfunc_end780:
	.size	_ZN7rocprim17ROCPRIM_400000_NS6detail17trampoline_kernelINS0_14default_configENS1_38merge_sort_block_merge_config_selectorIiiEEZZNS1_27merge_sort_block_merge_implIS3_N6thrust23THRUST_200600_302600_NS6detail15normal_iteratorINS8_10device_ptrIiEEEESD_jNS1_19radix_merge_compareILb0ELb1EiNS0_19identity_decomposerEEEEE10hipError_tT0_T1_T2_jT3_P12ihipStream_tbPNSt15iterator_traitsISI_E10value_typeEPNSO_ISJ_E10value_typeEPSK_NS1_7vsmem_tEENKUlT_SI_SJ_SK_E_clISD_PiSD_S10_EESH_SX_SI_SJ_SK_EUlSX_E_NS1_11comp_targetILNS1_3genE0ELNS1_11target_archE4294967295ELNS1_3gpuE0ELNS1_3repE0EEENS1_48merge_mergepath_partition_config_static_selectorELNS0_4arch9wavefront6targetE1EEEvSJ_, .Lfunc_end780-_ZN7rocprim17ROCPRIM_400000_NS6detail17trampoline_kernelINS0_14default_configENS1_38merge_sort_block_merge_config_selectorIiiEEZZNS1_27merge_sort_block_merge_implIS3_N6thrust23THRUST_200600_302600_NS6detail15normal_iteratorINS8_10device_ptrIiEEEESD_jNS1_19radix_merge_compareILb0ELb1EiNS0_19identity_decomposerEEEEE10hipError_tT0_T1_T2_jT3_P12ihipStream_tbPNSt15iterator_traitsISI_E10value_typeEPNSO_ISJ_E10value_typeEPSK_NS1_7vsmem_tEENKUlT_SI_SJ_SK_E_clISD_PiSD_S10_EESH_SX_SI_SJ_SK_EUlSX_E_NS1_11comp_targetILNS1_3genE0ELNS1_11target_archE4294967295ELNS1_3gpuE0ELNS1_3repE0EEENS1_48merge_mergepath_partition_config_static_selectorELNS0_4arch9wavefront6targetE1EEEvSJ_
                                        ; -- End function
	.set _ZN7rocprim17ROCPRIM_400000_NS6detail17trampoline_kernelINS0_14default_configENS1_38merge_sort_block_merge_config_selectorIiiEEZZNS1_27merge_sort_block_merge_implIS3_N6thrust23THRUST_200600_302600_NS6detail15normal_iteratorINS8_10device_ptrIiEEEESD_jNS1_19radix_merge_compareILb0ELb1EiNS0_19identity_decomposerEEEEE10hipError_tT0_T1_T2_jT3_P12ihipStream_tbPNSt15iterator_traitsISI_E10value_typeEPNSO_ISJ_E10value_typeEPSK_NS1_7vsmem_tEENKUlT_SI_SJ_SK_E_clISD_PiSD_S10_EESH_SX_SI_SJ_SK_EUlSX_E_NS1_11comp_targetILNS1_3genE0ELNS1_11target_archE4294967295ELNS1_3gpuE0ELNS1_3repE0EEENS1_48merge_mergepath_partition_config_static_selectorELNS0_4arch9wavefront6targetE1EEEvSJ_.num_vgpr, 17
	.set _ZN7rocprim17ROCPRIM_400000_NS6detail17trampoline_kernelINS0_14default_configENS1_38merge_sort_block_merge_config_selectorIiiEEZZNS1_27merge_sort_block_merge_implIS3_N6thrust23THRUST_200600_302600_NS6detail15normal_iteratorINS8_10device_ptrIiEEEESD_jNS1_19radix_merge_compareILb0ELb1EiNS0_19identity_decomposerEEEEE10hipError_tT0_T1_T2_jT3_P12ihipStream_tbPNSt15iterator_traitsISI_E10value_typeEPNSO_ISJ_E10value_typeEPSK_NS1_7vsmem_tEENKUlT_SI_SJ_SK_E_clISD_PiSD_S10_EESH_SX_SI_SJ_SK_EUlSX_E_NS1_11comp_targetILNS1_3genE0ELNS1_11target_archE4294967295ELNS1_3gpuE0ELNS1_3repE0EEENS1_48merge_mergepath_partition_config_static_selectorELNS0_4arch9wavefront6targetE1EEEvSJ_.num_agpr, 0
	.set _ZN7rocprim17ROCPRIM_400000_NS6detail17trampoline_kernelINS0_14default_configENS1_38merge_sort_block_merge_config_selectorIiiEEZZNS1_27merge_sort_block_merge_implIS3_N6thrust23THRUST_200600_302600_NS6detail15normal_iteratorINS8_10device_ptrIiEEEESD_jNS1_19radix_merge_compareILb0ELb1EiNS0_19identity_decomposerEEEEE10hipError_tT0_T1_T2_jT3_P12ihipStream_tbPNSt15iterator_traitsISI_E10value_typeEPNSO_ISJ_E10value_typeEPSK_NS1_7vsmem_tEENKUlT_SI_SJ_SK_E_clISD_PiSD_S10_EESH_SX_SI_SJ_SK_EUlSX_E_NS1_11comp_targetILNS1_3genE0ELNS1_11target_archE4294967295ELNS1_3gpuE0ELNS1_3repE0EEENS1_48merge_mergepath_partition_config_static_selectorELNS0_4arch9wavefront6targetE1EEEvSJ_.numbered_sgpr, 10
	.set _ZN7rocprim17ROCPRIM_400000_NS6detail17trampoline_kernelINS0_14default_configENS1_38merge_sort_block_merge_config_selectorIiiEEZZNS1_27merge_sort_block_merge_implIS3_N6thrust23THRUST_200600_302600_NS6detail15normal_iteratorINS8_10device_ptrIiEEEESD_jNS1_19radix_merge_compareILb0ELb1EiNS0_19identity_decomposerEEEEE10hipError_tT0_T1_T2_jT3_P12ihipStream_tbPNSt15iterator_traitsISI_E10value_typeEPNSO_ISJ_E10value_typeEPSK_NS1_7vsmem_tEENKUlT_SI_SJ_SK_E_clISD_PiSD_S10_EESH_SX_SI_SJ_SK_EUlSX_E_NS1_11comp_targetILNS1_3genE0ELNS1_11target_archE4294967295ELNS1_3gpuE0ELNS1_3repE0EEENS1_48merge_mergepath_partition_config_static_selectorELNS0_4arch9wavefront6targetE1EEEvSJ_.num_named_barrier, 0
	.set _ZN7rocprim17ROCPRIM_400000_NS6detail17trampoline_kernelINS0_14default_configENS1_38merge_sort_block_merge_config_selectorIiiEEZZNS1_27merge_sort_block_merge_implIS3_N6thrust23THRUST_200600_302600_NS6detail15normal_iteratorINS8_10device_ptrIiEEEESD_jNS1_19radix_merge_compareILb0ELb1EiNS0_19identity_decomposerEEEEE10hipError_tT0_T1_T2_jT3_P12ihipStream_tbPNSt15iterator_traitsISI_E10value_typeEPNSO_ISJ_E10value_typeEPSK_NS1_7vsmem_tEENKUlT_SI_SJ_SK_E_clISD_PiSD_S10_EESH_SX_SI_SJ_SK_EUlSX_E_NS1_11comp_targetILNS1_3genE0ELNS1_11target_archE4294967295ELNS1_3gpuE0ELNS1_3repE0EEENS1_48merge_mergepath_partition_config_static_selectorELNS0_4arch9wavefront6targetE1EEEvSJ_.private_seg_size, 0
	.set _ZN7rocprim17ROCPRIM_400000_NS6detail17trampoline_kernelINS0_14default_configENS1_38merge_sort_block_merge_config_selectorIiiEEZZNS1_27merge_sort_block_merge_implIS3_N6thrust23THRUST_200600_302600_NS6detail15normal_iteratorINS8_10device_ptrIiEEEESD_jNS1_19radix_merge_compareILb0ELb1EiNS0_19identity_decomposerEEEEE10hipError_tT0_T1_T2_jT3_P12ihipStream_tbPNSt15iterator_traitsISI_E10value_typeEPNSO_ISJ_E10value_typeEPSK_NS1_7vsmem_tEENKUlT_SI_SJ_SK_E_clISD_PiSD_S10_EESH_SX_SI_SJ_SK_EUlSX_E_NS1_11comp_targetILNS1_3genE0ELNS1_11target_archE4294967295ELNS1_3gpuE0ELNS1_3repE0EEENS1_48merge_mergepath_partition_config_static_selectorELNS0_4arch9wavefront6targetE1EEEvSJ_.uses_vcc, 1
	.set _ZN7rocprim17ROCPRIM_400000_NS6detail17trampoline_kernelINS0_14default_configENS1_38merge_sort_block_merge_config_selectorIiiEEZZNS1_27merge_sort_block_merge_implIS3_N6thrust23THRUST_200600_302600_NS6detail15normal_iteratorINS8_10device_ptrIiEEEESD_jNS1_19radix_merge_compareILb0ELb1EiNS0_19identity_decomposerEEEEE10hipError_tT0_T1_T2_jT3_P12ihipStream_tbPNSt15iterator_traitsISI_E10value_typeEPNSO_ISJ_E10value_typeEPSK_NS1_7vsmem_tEENKUlT_SI_SJ_SK_E_clISD_PiSD_S10_EESH_SX_SI_SJ_SK_EUlSX_E_NS1_11comp_targetILNS1_3genE0ELNS1_11target_archE4294967295ELNS1_3gpuE0ELNS1_3repE0EEENS1_48merge_mergepath_partition_config_static_selectorELNS0_4arch9wavefront6targetE1EEEvSJ_.uses_flat_scratch, 0
	.set _ZN7rocprim17ROCPRIM_400000_NS6detail17trampoline_kernelINS0_14default_configENS1_38merge_sort_block_merge_config_selectorIiiEEZZNS1_27merge_sort_block_merge_implIS3_N6thrust23THRUST_200600_302600_NS6detail15normal_iteratorINS8_10device_ptrIiEEEESD_jNS1_19radix_merge_compareILb0ELb1EiNS0_19identity_decomposerEEEEE10hipError_tT0_T1_T2_jT3_P12ihipStream_tbPNSt15iterator_traitsISI_E10value_typeEPNSO_ISJ_E10value_typeEPSK_NS1_7vsmem_tEENKUlT_SI_SJ_SK_E_clISD_PiSD_S10_EESH_SX_SI_SJ_SK_EUlSX_E_NS1_11comp_targetILNS1_3genE0ELNS1_11target_archE4294967295ELNS1_3gpuE0ELNS1_3repE0EEENS1_48merge_mergepath_partition_config_static_selectorELNS0_4arch9wavefront6targetE1EEEvSJ_.has_dyn_sized_stack, 0
	.set _ZN7rocprim17ROCPRIM_400000_NS6detail17trampoline_kernelINS0_14default_configENS1_38merge_sort_block_merge_config_selectorIiiEEZZNS1_27merge_sort_block_merge_implIS3_N6thrust23THRUST_200600_302600_NS6detail15normal_iteratorINS8_10device_ptrIiEEEESD_jNS1_19radix_merge_compareILb0ELb1EiNS0_19identity_decomposerEEEEE10hipError_tT0_T1_T2_jT3_P12ihipStream_tbPNSt15iterator_traitsISI_E10value_typeEPNSO_ISJ_E10value_typeEPSK_NS1_7vsmem_tEENKUlT_SI_SJ_SK_E_clISD_PiSD_S10_EESH_SX_SI_SJ_SK_EUlSX_E_NS1_11comp_targetILNS1_3genE0ELNS1_11target_archE4294967295ELNS1_3gpuE0ELNS1_3repE0EEENS1_48merge_mergepath_partition_config_static_selectorELNS0_4arch9wavefront6targetE1EEEvSJ_.has_recursion, 0
	.set _ZN7rocprim17ROCPRIM_400000_NS6detail17trampoline_kernelINS0_14default_configENS1_38merge_sort_block_merge_config_selectorIiiEEZZNS1_27merge_sort_block_merge_implIS3_N6thrust23THRUST_200600_302600_NS6detail15normal_iteratorINS8_10device_ptrIiEEEESD_jNS1_19radix_merge_compareILb0ELb1EiNS0_19identity_decomposerEEEEE10hipError_tT0_T1_T2_jT3_P12ihipStream_tbPNSt15iterator_traitsISI_E10value_typeEPNSO_ISJ_E10value_typeEPSK_NS1_7vsmem_tEENKUlT_SI_SJ_SK_E_clISD_PiSD_S10_EESH_SX_SI_SJ_SK_EUlSX_E_NS1_11comp_targetILNS1_3genE0ELNS1_11target_archE4294967295ELNS1_3gpuE0ELNS1_3repE0EEENS1_48merge_mergepath_partition_config_static_selectorELNS0_4arch9wavefront6targetE1EEEvSJ_.has_indirect_call, 0
	.section	.AMDGPU.csdata,"",@progbits
; Kernel info:
; codeLenInByte = 332
; TotalNumSgprs: 16
; NumVgprs: 17
; NumAgprs: 0
; TotalNumVgprs: 17
; ScratchSize: 0
; MemoryBound: 0
; FloatMode: 240
; IeeeMode: 1
; LDSByteSize: 0 bytes/workgroup (compile time only)
; SGPRBlocks: 1
; VGPRBlocks: 2
; NumSGPRsForWavesPerEU: 16
; NumVGPRsForWavesPerEU: 17
; AccumOffset: 20
; Occupancy: 8
; WaveLimiterHint : 0
; COMPUTE_PGM_RSRC2:SCRATCH_EN: 0
; COMPUTE_PGM_RSRC2:USER_SGPR: 2
; COMPUTE_PGM_RSRC2:TRAP_HANDLER: 0
; COMPUTE_PGM_RSRC2:TGID_X_EN: 1
; COMPUTE_PGM_RSRC2:TGID_Y_EN: 0
; COMPUTE_PGM_RSRC2:TGID_Z_EN: 0
; COMPUTE_PGM_RSRC2:TIDIG_COMP_CNT: 0
; COMPUTE_PGM_RSRC3_GFX90A:ACCUM_OFFSET: 4
; COMPUTE_PGM_RSRC3_GFX90A:TG_SPLIT: 0
	.section	.text._ZN7rocprim17ROCPRIM_400000_NS6detail17trampoline_kernelINS0_14default_configENS1_38merge_sort_block_merge_config_selectorIiiEEZZNS1_27merge_sort_block_merge_implIS3_N6thrust23THRUST_200600_302600_NS6detail15normal_iteratorINS8_10device_ptrIiEEEESD_jNS1_19radix_merge_compareILb0ELb1EiNS0_19identity_decomposerEEEEE10hipError_tT0_T1_T2_jT3_P12ihipStream_tbPNSt15iterator_traitsISI_E10value_typeEPNSO_ISJ_E10value_typeEPSK_NS1_7vsmem_tEENKUlT_SI_SJ_SK_E_clISD_PiSD_S10_EESH_SX_SI_SJ_SK_EUlSX_E_NS1_11comp_targetILNS1_3genE10ELNS1_11target_archE1201ELNS1_3gpuE5ELNS1_3repE0EEENS1_48merge_mergepath_partition_config_static_selectorELNS0_4arch9wavefront6targetE1EEEvSJ_,"axG",@progbits,_ZN7rocprim17ROCPRIM_400000_NS6detail17trampoline_kernelINS0_14default_configENS1_38merge_sort_block_merge_config_selectorIiiEEZZNS1_27merge_sort_block_merge_implIS3_N6thrust23THRUST_200600_302600_NS6detail15normal_iteratorINS8_10device_ptrIiEEEESD_jNS1_19radix_merge_compareILb0ELb1EiNS0_19identity_decomposerEEEEE10hipError_tT0_T1_T2_jT3_P12ihipStream_tbPNSt15iterator_traitsISI_E10value_typeEPNSO_ISJ_E10value_typeEPSK_NS1_7vsmem_tEENKUlT_SI_SJ_SK_E_clISD_PiSD_S10_EESH_SX_SI_SJ_SK_EUlSX_E_NS1_11comp_targetILNS1_3genE10ELNS1_11target_archE1201ELNS1_3gpuE5ELNS1_3repE0EEENS1_48merge_mergepath_partition_config_static_selectorELNS0_4arch9wavefront6targetE1EEEvSJ_,comdat
	.protected	_ZN7rocprim17ROCPRIM_400000_NS6detail17trampoline_kernelINS0_14default_configENS1_38merge_sort_block_merge_config_selectorIiiEEZZNS1_27merge_sort_block_merge_implIS3_N6thrust23THRUST_200600_302600_NS6detail15normal_iteratorINS8_10device_ptrIiEEEESD_jNS1_19radix_merge_compareILb0ELb1EiNS0_19identity_decomposerEEEEE10hipError_tT0_T1_T2_jT3_P12ihipStream_tbPNSt15iterator_traitsISI_E10value_typeEPNSO_ISJ_E10value_typeEPSK_NS1_7vsmem_tEENKUlT_SI_SJ_SK_E_clISD_PiSD_S10_EESH_SX_SI_SJ_SK_EUlSX_E_NS1_11comp_targetILNS1_3genE10ELNS1_11target_archE1201ELNS1_3gpuE5ELNS1_3repE0EEENS1_48merge_mergepath_partition_config_static_selectorELNS0_4arch9wavefront6targetE1EEEvSJ_ ; -- Begin function _ZN7rocprim17ROCPRIM_400000_NS6detail17trampoline_kernelINS0_14default_configENS1_38merge_sort_block_merge_config_selectorIiiEEZZNS1_27merge_sort_block_merge_implIS3_N6thrust23THRUST_200600_302600_NS6detail15normal_iteratorINS8_10device_ptrIiEEEESD_jNS1_19radix_merge_compareILb0ELb1EiNS0_19identity_decomposerEEEEE10hipError_tT0_T1_T2_jT3_P12ihipStream_tbPNSt15iterator_traitsISI_E10value_typeEPNSO_ISJ_E10value_typeEPSK_NS1_7vsmem_tEENKUlT_SI_SJ_SK_E_clISD_PiSD_S10_EESH_SX_SI_SJ_SK_EUlSX_E_NS1_11comp_targetILNS1_3genE10ELNS1_11target_archE1201ELNS1_3gpuE5ELNS1_3repE0EEENS1_48merge_mergepath_partition_config_static_selectorELNS0_4arch9wavefront6targetE1EEEvSJ_
	.globl	_ZN7rocprim17ROCPRIM_400000_NS6detail17trampoline_kernelINS0_14default_configENS1_38merge_sort_block_merge_config_selectorIiiEEZZNS1_27merge_sort_block_merge_implIS3_N6thrust23THRUST_200600_302600_NS6detail15normal_iteratorINS8_10device_ptrIiEEEESD_jNS1_19radix_merge_compareILb0ELb1EiNS0_19identity_decomposerEEEEE10hipError_tT0_T1_T2_jT3_P12ihipStream_tbPNSt15iterator_traitsISI_E10value_typeEPNSO_ISJ_E10value_typeEPSK_NS1_7vsmem_tEENKUlT_SI_SJ_SK_E_clISD_PiSD_S10_EESH_SX_SI_SJ_SK_EUlSX_E_NS1_11comp_targetILNS1_3genE10ELNS1_11target_archE1201ELNS1_3gpuE5ELNS1_3repE0EEENS1_48merge_mergepath_partition_config_static_selectorELNS0_4arch9wavefront6targetE1EEEvSJ_
	.p2align	8
	.type	_ZN7rocprim17ROCPRIM_400000_NS6detail17trampoline_kernelINS0_14default_configENS1_38merge_sort_block_merge_config_selectorIiiEEZZNS1_27merge_sort_block_merge_implIS3_N6thrust23THRUST_200600_302600_NS6detail15normal_iteratorINS8_10device_ptrIiEEEESD_jNS1_19radix_merge_compareILb0ELb1EiNS0_19identity_decomposerEEEEE10hipError_tT0_T1_T2_jT3_P12ihipStream_tbPNSt15iterator_traitsISI_E10value_typeEPNSO_ISJ_E10value_typeEPSK_NS1_7vsmem_tEENKUlT_SI_SJ_SK_E_clISD_PiSD_S10_EESH_SX_SI_SJ_SK_EUlSX_E_NS1_11comp_targetILNS1_3genE10ELNS1_11target_archE1201ELNS1_3gpuE5ELNS1_3repE0EEENS1_48merge_mergepath_partition_config_static_selectorELNS0_4arch9wavefront6targetE1EEEvSJ_,@function
_ZN7rocprim17ROCPRIM_400000_NS6detail17trampoline_kernelINS0_14default_configENS1_38merge_sort_block_merge_config_selectorIiiEEZZNS1_27merge_sort_block_merge_implIS3_N6thrust23THRUST_200600_302600_NS6detail15normal_iteratorINS8_10device_ptrIiEEEESD_jNS1_19radix_merge_compareILb0ELb1EiNS0_19identity_decomposerEEEEE10hipError_tT0_T1_T2_jT3_P12ihipStream_tbPNSt15iterator_traitsISI_E10value_typeEPNSO_ISJ_E10value_typeEPSK_NS1_7vsmem_tEENKUlT_SI_SJ_SK_E_clISD_PiSD_S10_EESH_SX_SI_SJ_SK_EUlSX_E_NS1_11comp_targetILNS1_3genE10ELNS1_11target_archE1201ELNS1_3gpuE5ELNS1_3repE0EEENS1_48merge_mergepath_partition_config_static_selectorELNS0_4arch9wavefront6targetE1EEEvSJ_: ; @_ZN7rocprim17ROCPRIM_400000_NS6detail17trampoline_kernelINS0_14default_configENS1_38merge_sort_block_merge_config_selectorIiiEEZZNS1_27merge_sort_block_merge_implIS3_N6thrust23THRUST_200600_302600_NS6detail15normal_iteratorINS8_10device_ptrIiEEEESD_jNS1_19radix_merge_compareILb0ELb1EiNS0_19identity_decomposerEEEEE10hipError_tT0_T1_T2_jT3_P12ihipStream_tbPNSt15iterator_traitsISI_E10value_typeEPNSO_ISJ_E10value_typeEPSK_NS1_7vsmem_tEENKUlT_SI_SJ_SK_E_clISD_PiSD_S10_EESH_SX_SI_SJ_SK_EUlSX_E_NS1_11comp_targetILNS1_3genE10ELNS1_11target_archE1201ELNS1_3gpuE5ELNS1_3repE0EEENS1_48merge_mergepath_partition_config_static_selectorELNS0_4arch9wavefront6targetE1EEEvSJ_
; %bb.0:
	.section	.rodata,"a",@progbits
	.p2align	6, 0x0
	.amdhsa_kernel _ZN7rocprim17ROCPRIM_400000_NS6detail17trampoline_kernelINS0_14default_configENS1_38merge_sort_block_merge_config_selectorIiiEEZZNS1_27merge_sort_block_merge_implIS3_N6thrust23THRUST_200600_302600_NS6detail15normal_iteratorINS8_10device_ptrIiEEEESD_jNS1_19radix_merge_compareILb0ELb1EiNS0_19identity_decomposerEEEEE10hipError_tT0_T1_T2_jT3_P12ihipStream_tbPNSt15iterator_traitsISI_E10value_typeEPNSO_ISJ_E10value_typeEPSK_NS1_7vsmem_tEENKUlT_SI_SJ_SK_E_clISD_PiSD_S10_EESH_SX_SI_SJ_SK_EUlSX_E_NS1_11comp_targetILNS1_3genE10ELNS1_11target_archE1201ELNS1_3gpuE5ELNS1_3repE0EEENS1_48merge_mergepath_partition_config_static_selectorELNS0_4arch9wavefront6targetE1EEEvSJ_
		.amdhsa_group_segment_fixed_size 0
		.amdhsa_private_segment_fixed_size 0
		.amdhsa_kernarg_size 40
		.amdhsa_user_sgpr_count 2
		.amdhsa_user_sgpr_dispatch_ptr 0
		.amdhsa_user_sgpr_queue_ptr 0
		.amdhsa_user_sgpr_kernarg_segment_ptr 1
		.amdhsa_user_sgpr_dispatch_id 0
		.amdhsa_user_sgpr_kernarg_preload_length 0
		.amdhsa_user_sgpr_kernarg_preload_offset 0
		.amdhsa_user_sgpr_private_segment_size 0
		.amdhsa_uses_dynamic_stack 0
		.amdhsa_enable_private_segment 0
		.amdhsa_system_sgpr_workgroup_id_x 1
		.amdhsa_system_sgpr_workgroup_id_y 0
		.amdhsa_system_sgpr_workgroup_id_z 0
		.amdhsa_system_sgpr_workgroup_info 0
		.amdhsa_system_vgpr_workitem_id 0
		.amdhsa_next_free_vgpr 1
		.amdhsa_next_free_sgpr 0
		.amdhsa_accum_offset 4
		.amdhsa_reserve_vcc 0
		.amdhsa_float_round_mode_32 0
		.amdhsa_float_round_mode_16_64 0
		.amdhsa_float_denorm_mode_32 3
		.amdhsa_float_denorm_mode_16_64 3
		.amdhsa_dx10_clamp 1
		.amdhsa_ieee_mode 1
		.amdhsa_fp16_overflow 0
		.amdhsa_tg_split 0
		.amdhsa_exception_fp_ieee_invalid_op 0
		.amdhsa_exception_fp_denorm_src 0
		.amdhsa_exception_fp_ieee_div_zero 0
		.amdhsa_exception_fp_ieee_overflow 0
		.amdhsa_exception_fp_ieee_underflow 0
		.amdhsa_exception_fp_ieee_inexact 0
		.amdhsa_exception_int_div_zero 0
	.end_amdhsa_kernel
	.section	.text._ZN7rocprim17ROCPRIM_400000_NS6detail17trampoline_kernelINS0_14default_configENS1_38merge_sort_block_merge_config_selectorIiiEEZZNS1_27merge_sort_block_merge_implIS3_N6thrust23THRUST_200600_302600_NS6detail15normal_iteratorINS8_10device_ptrIiEEEESD_jNS1_19radix_merge_compareILb0ELb1EiNS0_19identity_decomposerEEEEE10hipError_tT0_T1_T2_jT3_P12ihipStream_tbPNSt15iterator_traitsISI_E10value_typeEPNSO_ISJ_E10value_typeEPSK_NS1_7vsmem_tEENKUlT_SI_SJ_SK_E_clISD_PiSD_S10_EESH_SX_SI_SJ_SK_EUlSX_E_NS1_11comp_targetILNS1_3genE10ELNS1_11target_archE1201ELNS1_3gpuE5ELNS1_3repE0EEENS1_48merge_mergepath_partition_config_static_selectorELNS0_4arch9wavefront6targetE1EEEvSJ_,"axG",@progbits,_ZN7rocprim17ROCPRIM_400000_NS6detail17trampoline_kernelINS0_14default_configENS1_38merge_sort_block_merge_config_selectorIiiEEZZNS1_27merge_sort_block_merge_implIS3_N6thrust23THRUST_200600_302600_NS6detail15normal_iteratorINS8_10device_ptrIiEEEESD_jNS1_19radix_merge_compareILb0ELb1EiNS0_19identity_decomposerEEEEE10hipError_tT0_T1_T2_jT3_P12ihipStream_tbPNSt15iterator_traitsISI_E10value_typeEPNSO_ISJ_E10value_typeEPSK_NS1_7vsmem_tEENKUlT_SI_SJ_SK_E_clISD_PiSD_S10_EESH_SX_SI_SJ_SK_EUlSX_E_NS1_11comp_targetILNS1_3genE10ELNS1_11target_archE1201ELNS1_3gpuE5ELNS1_3repE0EEENS1_48merge_mergepath_partition_config_static_selectorELNS0_4arch9wavefront6targetE1EEEvSJ_,comdat
.Lfunc_end781:
	.size	_ZN7rocprim17ROCPRIM_400000_NS6detail17trampoline_kernelINS0_14default_configENS1_38merge_sort_block_merge_config_selectorIiiEEZZNS1_27merge_sort_block_merge_implIS3_N6thrust23THRUST_200600_302600_NS6detail15normal_iteratorINS8_10device_ptrIiEEEESD_jNS1_19radix_merge_compareILb0ELb1EiNS0_19identity_decomposerEEEEE10hipError_tT0_T1_T2_jT3_P12ihipStream_tbPNSt15iterator_traitsISI_E10value_typeEPNSO_ISJ_E10value_typeEPSK_NS1_7vsmem_tEENKUlT_SI_SJ_SK_E_clISD_PiSD_S10_EESH_SX_SI_SJ_SK_EUlSX_E_NS1_11comp_targetILNS1_3genE10ELNS1_11target_archE1201ELNS1_3gpuE5ELNS1_3repE0EEENS1_48merge_mergepath_partition_config_static_selectorELNS0_4arch9wavefront6targetE1EEEvSJ_, .Lfunc_end781-_ZN7rocprim17ROCPRIM_400000_NS6detail17trampoline_kernelINS0_14default_configENS1_38merge_sort_block_merge_config_selectorIiiEEZZNS1_27merge_sort_block_merge_implIS3_N6thrust23THRUST_200600_302600_NS6detail15normal_iteratorINS8_10device_ptrIiEEEESD_jNS1_19radix_merge_compareILb0ELb1EiNS0_19identity_decomposerEEEEE10hipError_tT0_T1_T2_jT3_P12ihipStream_tbPNSt15iterator_traitsISI_E10value_typeEPNSO_ISJ_E10value_typeEPSK_NS1_7vsmem_tEENKUlT_SI_SJ_SK_E_clISD_PiSD_S10_EESH_SX_SI_SJ_SK_EUlSX_E_NS1_11comp_targetILNS1_3genE10ELNS1_11target_archE1201ELNS1_3gpuE5ELNS1_3repE0EEENS1_48merge_mergepath_partition_config_static_selectorELNS0_4arch9wavefront6targetE1EEEvSJ_
                                        ; -- End function
	.set _ZN7rocprim17ROCPRIM_400000_NS6detail17trampoline_kernelINS0_14default_configENS1_38merge_sort_block_merge_config_selectorIiiEEZZNS1_27merge_sort_block_merge_implIS3_N6thrust23THRUST_200600_302600_NS6detail15normal_iteratorINS8_10device_ptrIiEEEESD_jNS1_19radix_merge_compareILb0ELb1EiNS0_19identity_decomposerEEEEE10hipError_tT0_T1_T2_jT3_P12ihipStream_tbPNSt15iterator_traitsISI_E10value_typeEPNSO_ISJ_E10value_typeEPSK_NS1_7vsmem_tEENKUlT_SI_SJ_SK_E_clISD_PiSD_S10_EESH_SX_SI_SJ_SK_EUlSX_E_NS1_11comp_targetILNS1_3genE10ELNS1_11target_archE1201ELNS1_3gpuE5ELNS1_3repE0EEENS1_48merge_mergepath_partition_config_static_selectorELNS0_4arch9wavefront6targetE1EEEvSJ_.num_vgpr, 0
	.set _ZN7rocprim17ROCPRIM_400000_NS6detail17trampoline_kernelINS0_14default_configENS1_38merge_sort_block_merge_config_selectorIiiEEZZNS1_27merge_sort_block_merge_implIS3_N6thrust23THRUST_200600_302600_NS6detail15normal_iteratorINS8_10device_ptrIiEEEESD_jNS1_19radix_merge_compareILb0ELb1EiNS0_19identity_decomposerEEEEE10hipError_tT0_T1_T2_jT3_P12ihipStream_tbPNSt15iterator_traitsISI_E10value_typeEPNSO_ISJ_E10value_typeEPSK_NS1_7vsmem_tEENKUlT_SI_SJ_SK_E_clISD_PiSD_S10_EESH_SX_SI_SJ_SK_EUlSX_E_NS1_11comp_targetILNS1_3genE10ELNS1_11target_archE1201ELNS1_3gpuE5ELNS1_3repE0EEENS1_48merge_mergepath_partition_config_static_selectorELNS0_4arch9wavefront6targetE1EEEvSJ_.num_agpr, 0
	.set _ZN7rocprim17ROCPRIM_400000_NS6detail17trampoline_kernelINS0_14default_configENS1_38merge_sort_block_merge_config_selectorIiiEEZZNS1_27merge_sort_block_merge_implIS3_N6thrust23THRUST_200600_302600_NS6detail15normal_iteratorINS8_10device_ptrIiEEEESD_jNS1_19radix_merge_compareILb0ELb1EiNS0_19identity_decomposerEEEEE10hipError_tT0_T1_T2_jT3_P12ihipStream_tbPNSt15iterator_traitsISI_E10value_typeEPNSO_ISJ_E10value_typeEPSK_NS1_7vsmem_tEENKUlT_SI_SJ_SK_E_clISD_PiSD_S10_EESH_SX_SI_SJ_SK_EUlSX_E_NS1_11comp_targetILNS1_3genE10ELNS1_11target_archE1201ELNS1_3gpuE5ELNS1_3repE0EEENS1_48merge_mergepath_partition_config_static_selectorELNS0_4arch9wavefront6targetE1EEEvSJ_.numbered_sgpr, 0
	.set _ZN7rocprim17ROCPRIM_400000_NS6detail17trampoline_kernelINS0_14default_configENS1_38merge_sort_block_merge_config_selectorIiiEEZZNS1_27merge_sort_block_merge_implIS3_N6thrust23THRUST_200600_302600_NS6detail15normal_iteratorINS8_10device_ptrIiEEEESD_jNS1_19radix_merge_compareILb0ELb1EiNS0_19identity_decomposerEEEEE10hipError_tT0_T1_T2_jT3_P12ihipStream_tbPNSt15iterator_traitsISI_E10value_typeEPNSO_ISJ_E10value_typeEPSK_NS1_7vsmem_tEENKUlT_SI_SJ_SK_E_clISD_PiSD_S10_EESH_SX_SI_SJ_SK_EUlSX_E_NS1_11comp_targetILNS1_3genE10ELNS1_11target_archE1201ELNS1_3gpuE5ELNS1_3repE0EEENS1_48merge_mergepath_partition_config_static_selectorELNS0_4arch9wavefront6targetE1EEEvSJ_.num_named_barrier, 0
	.set _ZN7rocprim17ROCPRIM_400000_NS6detail17trampoline_kernelINS0_14default_configENS1_38merge_sort_block_merge_config_selectorIiiEEZZNS1_27merge_sort_block_merge_implIS3_N6thrust23THRUST_200600_302600_NS6detail15normal_iteratorINS8_10device_ptrIiEEEESD_jNS1_19radix_merge_compareILb0ELb1EiNS0_19identity_decomposerEEEEE10hipError_tT0_T1_T2_jT3_P12ihipStream_tbPNSt15iterator_traitsISI_E10value_typeEPNSO_ISJ_E10value_typeEPSK_NS1_7vsmem_tEENKUlT_SI_SJ_SK_E_clISD_PiSD_S10_EESH_SX_SI_SJ_SK_EUlSX_E_NS1_11comp_targetILNS1_3genE10ELNS1_11target_archE1201ELNS1_3gpuE5ELNS1_3repE0EEENS1_48merge_mergepath_partition_config_static_selectorELNS0_4arch9wavefront6targetE1EEEvSJ_.private_seg_size, 0
	.set _ZN7rocprim17ROCPRIM_400000_NS6detail17trampoline_kernelINS0_14default_configENS1_38merge_sort_block_merge_config_selectorIiiEEZZNS1_27merge_sort_block_merge_implIS3_N6thrust23THRUST_200600_302600_NS6detail15normal_iteratorINS8_10device_ptrIiEEEESD_jNS1_19radix_merge_compareILb0ELb1EiNS0_19identity_decomposerEEEEE10hipError_tT0_T1_T2_jT3_P12ihipStream_tbPNSt15iterator_traitsISI_E10value_typeEPNSO_ISJ_E10value_typeEPSK_NS1_7vsmem_tEENKUlT_SI_SJ_SK_E_clISD_PiSD_S10_EESH_SX_SI_SJ_SK_EUlSX_E_NS1_11comp_targetILNS1_3genE10ELNS1_11target_archE1201ELNS1_3gpuE5ELNS1_3repE0EEENS1_48merge_mergepath_partition_config_static_selectorELNS0_4arch9wavefront6targetE1EEEvSJ_.uses_vcc, 0
	.set _ZN7rocprim17ROCPRIM_400000_NS6detail17trampoline_kernelINS0_14default_configENS1_38merge_sort_block_merge_config_selectorIiiEEZZNS1_27merge_sort_block_merge_implIS3_N6thrust23THRUST_200600_302600_NS6detail15normal_iteratorINS8_10device_ptrIiEEEESD_jNS1_19radix_merge_compareILb0ELb1EiNS0_19identity_decomposerEEEEE10hipError_tT0_T1_T2_jT3_P12ihipStream_tbPNSt15iterator_traitsISI_E10value_typeEPNSO_ISJ_E10value_typeEPSK_NS1_7vsmem_tEENKUlT_SI_SJ_SK_E_clISD_PiSD_S10_EESH_SX_SI_SJ_SK_EUlSX_E_NS1_11comp_targetILNS1_3genE10ELNS1_11target_archE1201ELNS1_3gpuE5ELNS1_3repE0EEENS1_48merge_mergepath_partition_config_static_selectorELNS0_4arch9wavefront6targetE1EEEvSJ_.uses_flat_scratch, 0
	.set _ZN7rocprim17ROCPRIM_400000_NS6detail17trampoline_kernelINS0_14default_configENS1_38merge_sort_block_merge_config_selectorIiiEEZZNS1_27merge_sort_block_merge_implIS3_N6thrust23THRUST_200600_302600_NS6detail15normal_iteratorINS8_10device_ptrIiEEEESD_jNS1_19radix_merge_compareILb0ELb1EiNS0_19identity_decomposerEEEEE10hipError_tT0_T1_T2_jT3_P12ihipStream_tbPNSt15iterator_traitsISI_E10value_typeEPNSO_ISJ_E10value_typeEPSK_NS1_7vsmem_tEENKUlT_SI_SJ_SK_E_clISD_PiSD_S10_EESH_SX_SI_SJ_SK_EUlSX_E_NS1_11comp_targetILNS1_3genE10ELNS1_11target_archE1201ELNS1_3gpuE5ELNS1_3repE0EEENS1_48merge_mergepath_partition_config_static_selectorELNS0_4arch9wavefront6targetE1EEEvSJ_.has_dyn_sized_stack, 0
	.set _ZN7rocprim17ROCPRIM_400000_NS6detail17trampoline_kernelINS0_14default_configENS1_38merge_sort_block_merge_config_selectorIiiEEZZNS1_27merge_sort_block_merge_implIS3_N6thrust23THRUST_200600_302600_NS6detail15normal_iteratorINS8_10device_ptrIiEEEESD_jNS1_19radix_merge_compareILb0ELb1EiNS0_19identity_decomposerEEEEE10hipError_tT0_T1_T2_jT3_P12ihipStream_tbPNSt15iterator_traitsISI_E10value_typeEPNSO_ISJ_E10value_typeEPSK_NS1_7vsmem_tEENKUlT_SI_SJ_SK_E_clISD_PiSD_S10_EESH_SX_SI_SJ_SK_EUlSX_E_NS1_11comp_targetILNS1_3genE10ELNS1_11target_archE1201ELNS1_3gpuE5ELNS1_3repE0EEENS1_48merge_mergepath_partition_config_static_selectorELNS0_4arch9wavefront6targetE1EEEvSJ_.has_recursion, 0
	.set _ZN7rocprim17ROCPRIM_400000_NS6detail17trampoline_kernelINS0_14default_configENS1_38merge_sort_block_merge_config_selectorIiiEEZZNS1_27merge_sort_block_merge_implIS3_N6thrust23THRUST_200600_302600_NS6detail15normal_iteratorINS8_10device_ptrIiEEEESD_jNS1_19radix_merge_compareILb0ELb1EiNS0_19identity_decomposerEEEEE10hipError_tT0_T1_T2_jT3_P12ihipStream_tbPNSt15iterator_traitsISI_E10value_typeEPNSO_ISJ_E10value_typeEPSK_NS1_7vsmem_tEENKUlT_SI_SJ_SK_E_clISD_PiSD_S10_EESH_SX_SI_SJ_SK_EUlSX_E_NS1_11comp_targetILNS1_3genE10ELNS1_11target_archE1201ELNS1_3gpuE5ELNS1_3repE0EEENS1_48merge_mergepath_partition_config_static_selectorELNS0_4arch9wavefront6targetE1EEEvSJ_.has_indirect_call, 0
	.section	.AMDGPU.csdata,"",@progbits
; Kernel info:
; codeLenInByte = 0
; TotalNumSgprs: 6
; NumVgprs: 0
; NumAgprs: 0
; TotalNumVgprs: 0
; ScratchSize: 0
; MemoryBound: 0
; FloatMode: 240
; IeeeMode: 1
; LDSByteSize: 0 bytes/workgroup (compile time only)
; SGPRBlocks: 0
; VGPRBlocks: 0
; NumSGPRsForWavesPerEU: 6
; NumVGPRsForWavesPerEU: 1
; AccumOffset: 4
; Occupancy: 8
; WaveLimiterHint : 0
; COMPUTE_PGM_RSRC2:SCRATCH_EN: 0
; COMPUTE_PGM_RSRC2:USER_SGPR: 2
; COMPUTE_PGM_RSRC2:TRAP_HANDLER: 0
; COMPUTE_PGM_RSRC2:TGID_X_EN: 1
; COMPUTE_PGM_RSRC2:TGID_Y_EN: 0
; COMPUTE_PGM_RSRC2:TGID_Z_EN: 0
; COMPUTE_PGM_RSRC2:TIDIG_COMP_CNT: 0
; COMPUTE_PGM_RSRC3_GFX90A:ACCUM_OFFSET: 0
; COMPUTE_PGM_RSRC3_GFX90A:TG_SPLIT: 0
	.section	.text._ZN7rocprim17ROCPRIM_400000_NS6detail17trampoline_kernelINS0_14default_configENS1_38merge_sort_block_merge_config_selectorIiiEEZZNS1_27merge_sort_block_merge_implIS3_N6thrust23THRUST_200600_302600_NS6detail15normal_iteratorINS8_10device_ptrIiEEEESD_jNS1_19radix_merge_compareILb0ELb1EiNS0_19identity_decomposerEEEEE10hipError_tT0_T1_T2_jT3_P12ihipStream_tbPNSt15iterator_traitsISI_E10value_typeEPNSO_ISJ_E10value_typeEPSK_NS1_7vsmem_tEENKUlT_SI_SJ_SK_E_clISD_PiSD_S10_EESH_SX_SI_SJ_SK_EUlSX_E_NS1_11comp_targetILNS1_3genE5ELNS1_11target_archE942ELNS1_3gpuE9ELNS1_3repE0EEENS1_48merge_mergepath_partition_config_static_selectorELNS0_4arch9wavefront6targetE1EEEvSJ_,"axG",@progbits,_ZN7rocprim17ROCPRIM_400000_NS6detail17trampoline_kernelINS0_14default_configENS1_38merge_sort_block_merge_config_selectorIiiEEZZNS1_27merge_sort_block_merge_implIS3_N6thrust23THRUST_200600_302600_NS6detail15normal_iteratorINS8_10device_ptrIiEEEESD_jNS1_19radix_merge_compareILb0ELb1EiNS0_19identity_decomposerEEEEE10hipError_tT0_T1_T2_jT3_P12ihipStream_tbPNSt15iterator_traitsISI_E10value_typeEPNSO_ISJ_E10value_typeEPSK_NS1_7vsmem_tEENKUlT_SI_SJ_SK_E_clISD_PiSD_S10_EESH_SX_SI_SJ_SK_EUlSX_E_NS1_11comp_targetILNS1_3genE5ELNS1_11target_archE942ELNS1_3gpuE9ELNS1_3repE0EEENS1_48merge_mergepath_partition_config_static_selectorELNS0_4arch9wavefront6targetE1EEEvSJ_,comdat
	.protected	_ZN7rocprim17ROCPRIM_400000_NS6detail17trampoline_kernelINS0_14default_configENS1_38merge_sort_block_merge_config_selectorIiiEEZZNS1_27merge_sort_block_merge_implIS3_N6thrust23THRUST_200600_302600_NS6detail15normal_iteratorINS8_10device_ptrIiEEEESD_jNS1_19radix_merge_compareILb0ELb1EiNS0_19identity_decomposerEEEEE10hipError_tT0_T1_T2_jT3_P12ihipStream_tbPNSt15iterator_traitsISI_E10value_typeEPNSO_ISJ_E10value_typeEPSK_NS1_7vsmem_tEENKUlT_SI_SJ_SK_E_clISD_PiSD_S10_EESH_SX_SI_SJ_SK_EUlSX_E_NS1_11comp_targetILNS1_3genE5ELNS1_11target_archE942ELNS1_3gpuE9ELNS1_3repE0EEENS1_48merge_mergepath_partition_config_static_selectorELNS0_4arch9wavefront6targetE1EEEvSJ_ ; -- Begin function _ZN7rocprim17ROCPRIM_400000_NS6detail17trampoline_kernelINS0_14default_configENS1_38merge_sort_block_merge_config_selectorIiiEEZZNS1_27merge_sort_block_merge_implIS3_N6thrust23THRUST_200600_302600_NS6detail15normal_iteratorINS8_10device_ptrIiEEEESD_jNS1_19radix_merge_compareILb0ELb1EiNS0_19identity_decomposerEEEEE10hipError_tT0_T1_T2_jT3_P12ihipStream_tbPNSt15iterator_traitsISI_E10value_typeEPNSO_ISJ_E10value_typeEPSK_NS1_7vsmem_tEENKUlT_SI_SJ_SK_E_clISD_PiSD_S10_EESH_SX_SI_SJ_SK_EUlSX_E_NS1_11comp_targetILNS1_3genE5ELNS1_11target_archE942ELNS1_3gpuE9ELNS1_3repE0EEENS1_48merge_mergepath_partition_config_static_selectorELNS0_4arch9wavefront6targetE1EEEvSJ_
	.globl	_ZN7rocprim17ROCPRIM_400000_NS6detail17trampoline_kernelINS0_14default_configENS1_38merge_sort_block_merge_config_selectorIiiEEZZNS1_27merge_sort_block_merge_implIS3_N6thrust23THRUST_200600_302600_NS6detail15normal_iteratorINS8_10device_ptrIiEEEESD_jNS1_19radix_merge_compareILb0ELb1EiNS0_19identity_decomposerEEEEE10hipError_tT0_T1_T2_jT3_P12ihipStream_tbPNSt15iterator_traitsISI_E10value_typeEPNSO_ISJ_E10value_typeEPSK_NS1_7vsmem_tEENKUlT_SI_SJ_SK_E_clISD_PiSD_S10_EESH_SX_SI_SJ_SK_EUlSX_E_NS1_11comp_targetILNS1_3genE5ELNS1_11target_archE942ELNS1_3gpuE9ELNS1_3repE0EEENS1_48merge_mergepath_partition_config_static_selectorELNS0_4arch9wavefront6targetE1EEEvSJ_
	.p2align	8
	.type	_ZN7rocprim17ROCPRIM_400000_NS6detail17trampoline_kernelINS0_14default_configENS1_38merge_sort_block_merge_config_selectorIiiEEZZNS1_27merge_sort_block_merge_implIS3_N6thrust23THRUST_200600_302600_NS6detail15normal_iteratorINS8_10device_ptrIiEEEESD_jNS1_19radix_merge_compareILb0ELb1EiNS0_19identity_decomposerEEEEE10hipError_tT0_T1_T2_jT3_P12ihipStream_tbPNSt15iterator_traitsISI_E10value_typeEPNSO_ISJ_E10value_typeEPSK_NS1_7vsmem_tEENKUlT_SI_SJ_SK_E_clISD_PiSD_S10_EESH_SX_SI_SJ_SK_EUlSX_E_NS1_11comp_targetILNS1_3genE5ELNS1_11target_archE942ELNS1_3gpuE9ELNS1_3repE0EEENS1_48merge_mergepath_partition_config_static_selectorELNS0_4arch9wavefront6targetE1EEEvSJ_,@function
_ZN7rocprim17ROCPRIM_400000_NS6detail17trampoline_kernelINS0_14default_configENS1_38merge_sort_block_merge_config_selectorIiiEEZZNS1_27merge_sort_block_merge_implIS3_N6thrust23THRUST_200600_302600_NS6detail15normal_iteratorINS8_10device_ptrIiEEEESD_jNS1_19radix_merge_compareILb0ELb1EiNS0_19identity_decomposerEEEEE10hipError_tT0_T1_T2_jT3_P12ihipStream_tbPNSt15iterator_traitsISI_E10value_typeEPNSO_ISJ_E10value_typeEPSK_NS1_7vsmem_tEENKUlT_SI_SJ_SK_E_clISD_PiSD_S10_EESH_SX_SI_SJ_SK_EUlSX_E_NS1_11comp_targetILNS1_3genE5ELNS1_11target_archE942ELNS1_3gpuE9ELNS1_3repE0EEENS1_48merge_mergepath_partition_config_static_selectorELNS0_4arch9wavefront6targetE1EEEvSJ_: ; @_ZN7rocprim17ROCPRIM_400000_NS6detail17trampoline_kernelINS0_14default_configENS1_38merge_sort_block_merge_config_selectorIiiEEZZNS1_27merge_sort_block_merge_implIS3_N6thrust23THRUST_200600_302600_NS6detail15normal_iteratorINS8_10device_ptrIiEEEESD_jNS1_19radix_merge_compareILb0ELb1EiNS0_19identity_decomposerEEEEE10hipError_tT0_T1_T2_jT3_P12ihipStream_tbPNSt15iterator_traitsISI_E10value_typeEPNSO_ISJ_E10value_typeEPSK_NS1_7vsmem_tEENKUlT_SI_SJ_SK_E_clISD_PiSD_S10_EESH_SX_SI_SJ_SK_EUlSX_E_NS1_11comp_targetILNS1_3genE5ELNS1_11target_archE942ELNS1_3gpuE9ELNS1_3repE0EEENS1_48merge_mergepath_partition_config_static_selectorELNS0_4arch9wavefront6targetE1EEEvSJ_
; %bb.0:
	.section	.rodata,"a",@progbits
	.p2align	6, 0x0
	.amdhsa_kernel _ZN7rocprim17ROCPRIM_400000_NS6detail17trampoline_kernelINS0_14default_configENS1_38merge_sort_block_merge_config_selectorIiiEEZZNS1_27merge_sort_block_merge_implIS3_N6thrust23THRUST_200600_302600_NS6detail15normal_iteratorINS8_10device_ptrIiEEEESD_jNS1_19radix_merge_compareILb0ELb1EiNS0_19identity_decomposerEEEEE10hipError_tT0_T1_T2_jT3_P12ihipStream_tbPNSt15iterator_traitsISI_E10value_typeEPNSO_ISJ_E10value_typeEPSK_NS1_7vsmem_tEENKUlT_SI_SJ_SK_E_clISD_PiSD_S10_EESH_SX_SI_SJ_SK_EUlSX_E_NS1_11comp_targetILNS1_3genE5ELNS1_11target_archE942ELNS1_3gpuE9ELNS1_3repE0EEENS1_48merge_mergepath_partition_config_static_selectorELNS0_4arch9wavefront6targetE1EEEvSJ_
		.amdhsa_group_segment_fixed_size 0
		.amdhsa_private_segment_fixed_size 0
		.amdhsa_kernarg_size 40
		.amdhsa_user_sgpr_count 2
		.amdhsa_user_sgpr_dispatch_ptr 0
		.amdhsa_user_sgpr_queue_ptr 0
		.amdhsa_user_sgpr_kernarg_segment_ptr 1
		.amdhsa_user_sgpr_dispatch_id 0
		.amdhsa_user_sgpr_kernarg_preload_length 0
		.amdhsa_user_sgpr_kernarg_preload_offset 0
		.amdhsa_user_sgpr_private_segment_size 0
		.amdhsa_uses_dynamic_stack 0
		.amdhsa_enable_private_segment 0
		.amdhsa_system_sgpr_workgroup_id_x 1
		.amdhsa_system_sgpr_workgroup_id_y 0
		.amdhsa_system_sgpr_workgroup_id_z 0
		.amdhsa_system_sgpr_workgroup_info 0
		.amdhsa_system_vgpr_workitem_id 0
		.amdhsa_next_free_vgpr 1
		.amdhsa_next_free_sgpr 0
		.amdhsa_accum_offset 4
		.amdhsa_reserve_vcc 0
		.amdhsa_float_round_mode_32 0
		.amdhsa_float_round_mode_16_64 0
		.amdhsa_float_denorm_mode_32 3
		.amdhsa_float_denorm_mode_16_64 3
		.amdhsa_dx10_clamp 1
		.amdhsa_ieee_mode 1
		.amdhsa_fp16_overflow 0
		.amdhsa_tg_split 0
		.amdhsa_exception_fp_ieee_invalid_op 0
		.amdhsa_exception_fp_denorm_src 0
		.amdhsa_exception_fp_ieee_div_zero 0
		.amdhsa_exception_fp_ieee_overflow 0
		.amdhsa_exception_fp_ieee_underflow 0
		.amdhsa_exception_fp_ieee_inexact 0
		.amdhsa_exception_int_div_zero 0
	.end_amdhsa_kernel
	.section	.text._ZN7rocprim17ROCPRIM_400000_NS6detail17trampoline_kernelINS0_14default_configENS1_38merge_sort_block_merge_config_selectorIiiEEZZNS1_27merge_sort_block_merge_implIS3_N6thrust23THRUST_200600_302600_NS6detail15normal_iteratorINS8_10device_ptrIiEEEESD_jNS1_19radix_merge_compareILb0ELb1EiNS0_19identity_decomposerEEEEE10hipError_tT0_T1_T2_jT3_P12ihipStream_tbPNSt15iterator_traitsISI_E10value_typeEPNSO_ISJ_E10value_typeEPSK_NS1_7vsmem_tEENKUlT_SI_SJ_SK_E_clISD_PiSD_S10_EESH_SX_SI_SJ_SK_EUlSX_E_NS1_11comp_targetILNS1_3genE5ELNS1_11target_archE942ELNS1_3gpuE9ELNS1_3repE0EEENS1_48merge_mergepath_partition_config_static_selectorELNS0_4arch9wavefront6targetE1EEEvSJ_,"axG",@progbits,_ZN7rocprim17ROCPRIM_400000_NS6detail17trampoline_kernelINS0_14default_configENS1_38merge_sort_block_merge_config_selectorIiiEEZZNS1_27merge_sort_block_merge_implIS3_N6thrust23THRUST_200600_302600_NS6detail15normal_iteratorINS8_10device_ptrIiEEEESD_jNS1_19radix_merge_compareILb0ELb1EiNS0_19identity_decomposerEEEEE10hipError_tT0_T1_T2_jT3_P12ihipStream_tbPNSt15iterator_traitsISI_E10value_typeEPNSO_ISJ_E10value_typeEPSK_NS1_7vsmem_tEENKUlT_SI_SJ_SK_E_clISD_PiSD_S10_EESH_SX_SI_SJ_SK_EUlSX_E_NS1_11comp_targetILNS1_3genE5ELNS1_11target_archE942ELNS1_3gpuE9ELNS1_3repE0EEENS1_48merge_mergepath_partition_config_static_selectorELNS0_4arch9wavefront6targetE1EEEvSJ_,comdat
.Lfunc_end782:
	.size	_ZN7rocprim17ROCPRIM_400000_NS6detail17trampoline_kernelINS0_14default_configENS1_38merge_sort_block_merge_config_selectorIiiEEZZNS1_27merge_sort_block_merge_implIS3_N6thrust23THRUST_200600_302600_NS6detail15normal_iteratorINS8_10device_ptrIiEEEESD_jNS1_19radix_merge_compareILb0ELb1EiNS0_19identity_decomposerEEEEE10hipError_tT0_T1_T2_jT3_P12ihipStream_tbPNSt15iterator_traitsISI_E10value_typeEPNSO_ISJ_E10value_typeEPSK_NS1_7vsmem_tEENKUlT_SI_SJ_SK_E_clISD_PiSD_S10_EESH_SX_SI_SJ_SK_EUlSX_E_NS1_11comp_targetILNS1_3genE5ELNS1_11target_archE942ELNS1_3gpuE9ELNS1_3repE0EEENS1_48merge_mergepath_partition_config_static_selectorELNS0_4arch9wavefront6targetE1EEEvSJ_, .Lfunc_end782-_ZN7rocprim17ROCPRIM_400000_NS6detail17trampoline_kernelINS0_14default_configENS1_38merge_sort_block_merge_config_selectorIiiEEZZNS1_27merge_sort_block_merge_implIS3_N6thrust23THRUST_200600_302600_NS6detail15normal_iteratorINS8_10device_ptrIiEEEESD_jNS1_19radix_merge_compareILb0ELb1EiNS0_19identity_decomposerEEEEE10hipError_tT0_T1_T2_jT3_P12ihipStream_tbPNSt15iterator_traitsISI_E10value_typeEPNSO_ISJ_E10value_typeEPSK_NS1_7vsmem_tEENKUlT_SI_SJ_SK_E_clISD_PiSD_S10_EESH_SX_SI_SJ_SK_EUlSX_E_NS1_11comp_targetILNS1_3genE5ELNS1_11target_archE942ELNS1_3gpuE9ELNS1_3repE0EEENS1_48merge_mergepath_partition_config_static_selectorELNS0_4arch9wavefront6targetE1EEEvSJ_
                                        ; -- End function
	.set _ZN7rocprim17ROCPRIM_400000_NS6detail17trampoline_kernelINS0_14default_configENS1_38merge_sort_block_merge_config_selectorIiiEEZZNS1_27merge_sort_block_merge_implIS3_N6thrust23THRUST_200600_302600_NS6detail15normal_iteratorINS8_10device_ptrIiEEEESD_jNS1_19radix_merge_compareILb0ELb1EiNS0_19identity_decomposerEEEEE10hipError_tT0_T1_T2_jT3_P12ihipStream_tbPNSt15iterator_traitsISI_E10value_typeEPNSO_ISJ_E10value_typeEPSK_NS1_7vsmem_tEENKUlT_SI_SJ_SK_E_clISD_PiSD_S10_EESH_SX_SI_SJ_SK_EUlSX_E_NS1_11comp_targetILNS1_3genE5ELNS1_11target_archE942ELNS1_3gpuE9ELNS1_3repE0EEENS1_48merge_mergepath_partition_config_static_selectorELNS0_4arch9wavefront6targetE1EEEvSJ_.num_vgpr, 0
	.set _ZN7rocprim17ROCPRIM_400000_NS6detail17trampoline_kernelINS0_14default_configENS1_38merge_sort_block_merge_config_selectorIiiEEZZNS1_27merge_sort_block_merge_implIS3_N6thrust23THRUST_200600_302600_NS6detail15normal_iteratorINS8_10device_ptrIiEEEESD_jNS1_19radix_merge_compareILb0ELb1EiNS0_19identity_decomposerEEEEE10hipError_tT0_T1_T2_jT3_P12ihipStream_tbPNSt15iterator_traitsISI_E10value_typeEPNSO_ISJ_E10value_typeEPSK_NS1_7vsmem_tEENKUlT_SI_SJ_SK_E_clISD_PiSD_S10_EESH_SX_SI_SJ_SK_EUlSX_E_NS1_11comp_targetILNS1_3genE5ELNS1_11target_archE942ELNS1_3gpuE9ELNS1_3repE0EEENS1_48merge_mergepath_partition_config_static_selectorELNS0_4arch9wavefront6targetE1EEEvSJ_.num_agpr, 0
	.set _ZN7rocprim17ROCPRIM_400000_NS6detail17trampoline_kernelINS0_14default_configENS1_38merge_sort_block_merge_config_selectorIiiEEZZNS1_27merge_sort_block_merge_implIS3_N6thrust23THRUST_200600_302600_NS6detail15normal_iteratorINS8_10device_ptrIiEEEESD_jNS1_19radix_merge_compareILb0ELb1EiNS0_19identity_decomposerEEEEE10hipError_tT0_T1_T2_jT3_P12ihipStream_tbPNSt15iterator_traitsISI_E10value_typeEPNSO_ISJ_E10value_typeEPSK_NS1_7vsmem_tEENKUlT_SI_SJ_SK_E_clISD_PiSD_S10_EESH_SX_SI_SJ_SK_EUlSX_E_NS1_11comp_targetILNS1_3genE5ELNS1_11target_archE942ELNS1_3gpuE9ELNS1_3repE0EEENS1_48merge_mergepath_partition_config_static_selectorELNS0_4arch9wavefront6targetE1EEEvSJ_.numbered_sgpr, 0
	.set _ZN7rocprim17ROCPRIM_400000_NS6detail17trampoline_kernelINS0_14default_configENS1_38merge_sort_block_merge_config_selectorIiiEEZZNS1_27merge_sort_block_merge_implIS3_N6thrust23THRUST_200600_302600_NS6detail15normal_iteratorINS8_10device_ptrIiEEEESD_jNS1_19radix_merge_compareILb0ELb1EiNS0_19identity_decomposerEEEEE10hipError_tT0_T1_T2_jT3_P12ihipStream_tbPNSt15iterator_traitsISI_E10value_typeEPNSO_ISJ_E10value_typeEPSK_NS1_7vsmem_tEENKUlT_SI_SJ_SK_E_clISD_PiSD_S10_EESH_SX_SI_SJ_SK_EUlSX_E_NS1_11comp_targetILNS1_3genE5ELNS1_11target_archE942ELNS1_3gpuE9ELNS1_3repE0EEENS1_48merge_mergepath_partition_config_static_selectorELNS0_4arch9wavefront6targetE1EEEvSJ_.num_named_barrier, 0
	.set _ZN7rocprim17ROCPRIM_400000_NS6detail17trampoline_kernelINS0_14default_configENS1_38merge_sort_block_merge_config_selectorIiiEEZZNS1_27merge_sort_block_merge_implIS3_N6thrust23THRUST_200600_302600_NS6detail15normal_iteratorINS8_10device_ptrIiEEEESD_jNS1_19radix_merge_compareILb0ELb1EiNS0_19identity_decomposerEEEEE10hipError_tT0_T1_T2_jT3_P12ihipStream_tbPNSt15iterator_traitsISI_E10value_typeEPNSO_ISJ_E10value_typeEPSK_NS1_7vsmem_tEENKUlT_SI_SJ_SK_E_clISD_PiSD_S10_EESH_SX_SI_SJ_SK_EUlSX_E_NS1_11comp_targetILNS1_3genE5ELNS1_11target_archE942ELNS1_3gpuE9ELNS1_3repE0EEENS1_48merge_mergepath_partition_config_static_selectorELNS0_4arch9wavefront6targetE1EEEvSJ_.private_seg_size, 0
	.set _ZN7rocprim17ROCPRIM_400000_NS6detail17trampoline_kernelINS0_14default_configENS1_38merge_sort_block_merge_config_selectorIiiEEZZNS1_27merge_sort_block_merge_implIS3_N6thrust23THRUST_200600_302600_NS6detail15normal_iteratorINS8_10device_ptrIiEEEESD_jNS1_19radix_merge_compareILb0ELb1EiNS0_19identity_decomposerEEEEE10hipError_tT0_T1_T2_jT3_P12ihipStream_tbPNSt15iterator_traitsISI_E10value_typeEPNSO_ISJ_E10value_typeEPSK_NS1_7vsmem_tEENKUlT_SI_SJ_SK_E_clISD_PiSD_S10_EESH_SX_SI_SJ_SK_EUlSX_E_NS1_11comp_targetILNS1_3genE5ELNS1_11target_archE942ELNS1_3gpuE9ELNS1_3repE0EEENS1_48merge_mergepath_partition_config_static_selectorELNS0_4arch9wavefront6targetE1EEEvSJ_.uses_vcc, 0
	.set _ZN7rocprim17ROCPRIM_400000_NS6detail17trampoline_kernelINS0_14default_configENS1_38merge_sort_block_merge_config_selectorIiiEEZZNS1_27merge_sort_block_merge_implIS3_N6thrust23THRUST_200600_302600_NS6detail15normal_iteratorINS8_10device_ptrIiEEEESD_jNS1_19radix_merge_compareILb0ELb1EiNS0_19identity_decomposerEEEEE10hipError_tT0_T1_T2_jT3_P12ihipStream_tbPNSt15iterator_traitsISI_E10value_typeEPNSO_ISJ_E10value_typeEPSK_NS1_7vsmem_tEENKUlT_SI_SJ_SK_E_clISD_PiSD_S10_EESH_SX_SI_SJ_SK_EUlSX_E_NS1_11comp_targetILNS1_3genE5ELNS1_11target_archE942ELNS1_3gpuE9ELNS1_3repE0EEENS1_48merge_mergepath_partition_config_static_selectorELNS0_4arch9wavefront6targetE1EEEvSJ_.uses_flat_scratch, 0
	.set _ZN7rocprim17ROCPRIM_400000_NS6detail17trampoline_kernelINS0_14default_configENS1_38merge_sort_block_merge_config_selectorIiiEEZZNS1_27merge_sort_block_merge_implIS3_N6thrust23THRUST_200600_302600_NS6detail15normal_iteratorINS8_10device_ptrIiEEEESD_jNS1_19radix_merge_compareILb0ELb1EiNS0_19identity_decomposerEEEEE10hipError_tT0_T1_T2_jT3_P12ihipStream_tbPNSt15iterator_traitsISI_E10value_typeEPNSO_ISJ_E10value_typeEPSK_NS1_7vsmem_tEENKUlT_SI_SJ_SK_E_clISD_PiSD_S10_EESH_SX_SI_SJ_SK_EUlSX_E_NS1_11comp_targetILNS1_3genE5ELNS1_11target_archE942ELNS1_3gpuE9ELNS1_3repE0EEENS1_48merge_mergepath_partition_config_static_selectorELNS0_4arch9wavefront6targetE1EEEvSJ_.has_dyn_sized_stack, 0
	.set _ZN7rocprim17ROCPRIM_400000_NS6detail17trampoline_kernelINS0_14default_configENS1_38merge_sort_block_merge_config_selectorIiiEEZZNS1_27merge_sort_block_merge_implIS3_N6thrust23THRUST_200600_302600_NS6detail15normal_iteratorINS8_10device_ptrIiEEEESD_jNS1_19radix_merge_compareILb0ELb1EiNS0_19identity_decomposerEEEEE10hipError_tT0_T1_T2_jT3_P12ihipStream_tbPNSt15iterator_traitsISI_E10value_typeEPNSO_ISJ_E10value_typeEPSK_NS1_7vsmem_tEENKUlT_SI_SJ_SK_E_clISD_PiSD_S10_EESH_SX_SI_SJ_SK_EUlSX_E_NS1_11comp_targetILNS1_3genE5ELNS1_11target_archE942ELNS1_3gpuE9ELNS1_3repE0EEENS1_48merge_mergepath_partition_config_static_selectorELNS0_4arch9wavefront6targetE1EEEvSJ_.has_recursion, 0
	.set _ZN7rocprim17ROCPRIM_400000_NS6detail17trampoline_kernelINS0_14default_configENS1_38merge_sort_block_merge_config_selectorIiiEEZZNS1_27merge_sort_block_merge_implIS3_N6thrust23THRUST_200600_302600_NS6detail15normal_iteratorINS8_10device_ptrIiEEEESD_jNS1_19radix_merge_compareILb0ELb1EiNS0_19identity_decomposerEEEEE10hipError_tT0_T1_T2_jT3_P12ihipStream_tbPNSt15iterator_traitsISI_E10value_typeEPNSO_ISJ_E10value_typeEPSK_NS1_7vsmem_tEENKUlT_SI_SJ_SK_E_clISD_PiSD_S10_EESH_SX_SI_SJ_SK_EUlSX_E_NS1_11comp_targetILNS1_3genE5ELNS1_11target_archE942ELNS1_3gpuE9ELNS1_3repE0EEENS1_48merge_mergepath_partition_config_static_selectorELNS0_4arch9wavefront6targetE1EEEvSJ_.has_indirect_call, 0
	.section	.AMDGPU.csdata,"",@progbits
; Kernel info:
; codeLenInByte = 0
; TotalNumSgprs: 6
; NumVgprs: 0
; NumAgprs: 0
; TotalNumVgprs: 0
; ScratchSize: 0
; MemoryBound: 0
; FloatMode: 240
; IeeeMode: 1
; LDSByteSize: 0 bytes/workgroup (compile time only)
; SGPRBlocks: 0
; VGPRBlocks: 0
; NumSGPRsForWavesPerEU: 6
; NumVGPRsForWavesPerEU: 1
; AccumOffset: 4
; Occupancy: 8
; WaveLimiterHint : 0
; COMPUTE_PGM_RSRC2:SCRATCH_EN: 0
; COMPUTE_PGM_RSRC2:USER_SGPR: 2
; COMPUTE_PGM_RSRC2:TRAP_HANDLER: 0
; COMPUTE_PGM_RSRC2:TGID_X_EN: 1
; COMPUTE_PGM_RSRC2:TGID_Y_EN: 0
; COMPUTE_PGM_RSRC2:TGID_Z_EN: 0
; COMPUTE_PGM_RSRC2:TIDIG_COMP_CNT: 0
; COMPUTE_PGM_RSRC3_GFX90A:ACCUM_OFFSET: 0
; COMPUTE_PGM_RSRC3_GFX90A:TG_SPLIT: 0
	.section	.text._ZN7rocprim17ROCPRIM_400000_NS6detail17trampoline_kernelINS0_14default_configENS1_38merge_sort_block_merge_config_selectorIiiEEZZNS1_27merge_sort_block_merge_implIS3_N6thrust23THRUST_200600_302600_NS6detail15normal_iteratorINS8_10device_ptrIiEEEESD_jNS1_19radix_merge_compareILb0ELb1EiNS0_19identity_decomposerEEEEE10hipError_tT0_T1_T2_jT3_P12ihipStream_tbPNSt15iterator_traitsISI_E10value_typeEPNSO_ISJ_E10value_typeEPSK_NS1_7vsmem_tEENKUlT_SI_SJ_SK_E_clISD_PiSD_S10_EESH_SX_SI_SJ_SK_EUlSX_E_NS1_11comp_targetILNS1_3genE4ELNS1_11target_archE910ELNS1_3gpuE8ELNS1_3repE0EEENS1_48merge_mergepath_partition_config_static_selectorELNS0_4arch9wavefront6targetE1EEEvSJ_,"axG",@progbits,_ZN7rocprim17ROCPRIM_400000_NS6detail17trampoline_kernelINS0_14default_configENS1_38merge_sort_block_merge_config_selectorIiiEEZZNS1_27merge_sort_block_merge_implIS3_N6thrust23THRUST_200600_302600_NS6detail15normal_iteratorINS8_10device_ptrIiEEEESD_jNS1_19radix_merge_compareILb0ELb1EiNS0_19identity_decomposerEEEEE10hipError_tT0_T1_T2_jT3_P12ihipStream_tbPNSt15iterator_traitsISI_E10value_typeEPNSO_ISJ_E10value_typeEPSK_NS1_7vsmem_tEENKUlT_SI_SJ_SK_E_clISD_PiSD_S10_EESH_SX_SI_SJ_SK_EUlSX_E_NS1_11comp_targetILNS1_3genE4ELNS1_11target_archE910ELNS1_3gpuE8ELNS1_3repE0EEENS1_48merge_mergepath_partition_config_static_selectorELNS0_4arch9wavefront6targetE1EEEvSJ_,comdat
	.protected	_ZN7rocprim17ROCPRIM_400000_NS6detail17trampoline_kernelINS0_14default_configENS1_38merge_sort_block_merge_config_selectorIiiEEZZNS1_27merge_sort_block_merge_implIS3_N6thrust23THRUST_200600_302600_NS6detail15normal_iteratorINS8_10device_ptrIiEEEESD_jNS1_19radix_merge_compareILb0ELb1EiNS0_19identity_decomposerEEEEE10hipError_tT0_T1_T2_jT3_P12ihipStream_tbPNSt15iterator_traitsISI_E10value_typeEPNSO_ISJ_E10value_typeEPSK_NS1_7vsmem_tEENKUlT_SI_SJ_SK_E_clISD_PiSD_S10_EESH_SX_SI_SJ_SK_EUlSX_E_NS1_11comp_targetILNS1_3genE4ELNS1_11target_archE910ELNS1_3gpuE8ELNS1_3repE0EEENS1_48merge_mergepath_partition_config_static_selectorELNS0_4arch9wavefront6targetE1EEEvSJ_ ; -- Begin function _ZN7rocprim17ROCPRIM_400000_NS6detail17trampoline_kernelINS0_14default_configENS1_38merge_sort_block_merge_config_selectorIiiEEZZNS1_27merge_sort_block_merge_implIS3_N6thrust23THRUST_200600_302600_NS6detail15normal_iteratorINS8_10device_ptrIiEEEESD_jNS1_19radix_merge_compareILb0ELb1EiNS0_19identity_decomposerEEEEE10hipError_tT0_T1_T2_jT3_P12ihipStream_tbPNSt15iterator_traitsISI_E10value_typeEPNSO_ISJ_E10value_typeEPSK_NS1_7vsmem_tEENKUlT_SI_SJ_SK_E_clISD_PiSD_S10_EESH_SX_SI_SJ_SK_EUlSX_E_NS1_11comp_targetILNS1_3genE4ELNS1_11target_archE910ELNS1_3gpuE8ELNS1_3repE0EEENS1_48merge_mergepath_partition_config_static_selectorELNS0_4arch9wavefront6targetE1EEEvSJ_
	.globl	_ZN7rocprim17ROCPRIM_400000_NS6detail17trampoline_kernelINS0_14default_configENS1_38merge_sort_block_merge_config_selectorIiiEEZZNS1_27merge_sort_block_merge_implIS3_N6thrust23THRUST_200600_302600_NS6detail15normal_iteratorINS8_10device_ptrIiEEEESD_jNS1_19radix_merge_compareILb0ELb1EiNS0_19identity_decomposerEEEEE10hipError_tT0_T1_T2_jT3_P12ihipStream_tbPNSt15iterator_traitsISI_E10value_typeEPNSO_ISJ_E10value_typeEPSK_NS1_7vsmem_tEENKUlT_SI_SJ_SK_E_clISD_PiSD_S10_EESH_SX_SI_SJ_SK_EUlSX_E_NS1_11comp_targetILNS1_3genE4ELNS1_11target_archE910ELNS1_3gpuE8ELNS1_3repE0EEENS1_48merge_mergepath_partition_config_static_selectorELNS0_4arch9wavefront6targetE1EEEvSJ_
	.p2align	8
	.type	_ZN7rocprim17ROCPRIM_400000_NS6detail17trampoline_kernelINS0_14default_configENS1_38merge_sort_block_merge_config_selectorIiiEEZZNS1_27merge_sort_block_merge_implIS3_N6thrust23THRUST_200600_302600_NS6detail15normal_iteratorINS8_10device_ptrIiEEEESD_jNS1_19radix_merge_compareILb0ELb1EiNS0_19identity_decomposerEEEEE10hipError_tT0_T1_T2_jT3_P12ihipStream_tbPNSt15iterator_traitsISI_E10value_typeEPNSO_ISJ_E10value_typeEPSK_NS1_7vsmem_tEENKUlT_SI_SJ_SK_E_clISD_PiSD_S10_EESH_SX_SI_SJ_SK_EUlSX_E_NS1_11comp_targetILNS1_3genE4ELNS1_11target_archE910ELNS1_3gpuE8ELNS1_3repE0EEENS1_48merge_mergepath_partition_config_static_selectorELNS0_4arch9wavefront6targetE1EEEvSJ_,@function
_ZN7rocprim17ROCPRIM_400000_NS6detail17trampoline_kernelINS0_14default_configENS1_38merge_sort_block_merge_config_selectorIiiEEZZNS1_27merge_sort_block_merge_implIS3_N6thrust23THRUST_200600_302600_NS6detail15normal_iteratorINS8_10device_ptrIiEEEESD_jNS1_19radix_merge_compareILb0ELb1EiNS0_19identity_decomposerEEEEE10hipError_tT0_T1_T2_jT3_P12ihipStream_tbPNSt15iterator_traitsISI_E10value_typeEPNSO_ISJ_E10value_typeEPSK_NS1_7vsmem_tEENKUlT_SI_SJ_SK_E_clISD_PiSD_S10_EESH_SX_SI_SJ_SK_EUlSX_E_NS1_11comp_targetILNS1_3genE4ELNS1_11target_archE910ELNS1_3gpuE8ELNS1_3repE0EEENS1_48merge_mergepath_partition_config_static_selectorELNS0_4arch9wavefront6targetE1EEEvSJ_: ; @_ZN7rocprim17ROCPRIM_400000_NS6detail17trampoline_kernelINS0_14default_configENS1_38merge_sort_block_merge_config_selectorIiiEEZZNS1_27merge_sort_block_merge_implIS3_N6thrust23THRUST_200600_302600_NS6detail15normal_iteratorINS8_10device_ptrIiEEEESD_jNS1_19radix_merge_compareILb0ELb1EiNS0_19identity_decomposerEEEEE10hipError_tT0_T1_T2_jT3_P12ihipStream_tbPNSt15iterator_traitsISI_E10value_typeEPNSO_ISJ_E10value_typeEPSK_NS1_7vsmem_tEENKUlT_SI_SJ_SK_E_clISD_PiSD_S10_EESH_SX_SI_SJ_SK_EUlSX_E_NS1_11comp_targetILNS1_3genE4ELNS1_11target_archE910ELNS1_3gpuE8ELNS1_3repE0EEENS1_48merge_mergepath_partition_config_static_selectorELNS0_4arch9wavefront6targetE1EEEvSJ_
; %bb.0:
	.section	.rodata,"a",@progbits
	.p2align	6, 0x0
	.amdhsa_kernel _ZN7rocprim17ROCPRIM_400000_NS6detail17trampoline_kernelINS0_14default_configENS1_38merge_sort_block_merge_config_selectorIiiEEZZNS1_27merge_sort_block_merge_implIS3_N6thrust23THRUST_200600_302600_NS6detail15normal_iteratorINS8_10device_ptrIiEEEESD_jNS1_19radix_merge_compareILb0ELb1EiNS0_19identity_decomposerEEEEE10hipError_tT0_T1_T2_jT3_P12ihipStream_tbPNSt15iterator_traitsISI_E10value_typeEPNSO_ISJ_E10value_typeEPSK_NS1_7vsmem_tEENKUlT_SI_SJ_SK_E_clISD_PiSD_S10_EESH_SX_SI_SJ_SK_EUlSX_E_NS1_11comp_targetILNS1_3genE4ELNS1_11target_archE910ELNS1_3gpuE8ELNS1_3repE0EEENS1_48merge_mergepath_partition_config_static_selectorELNS0_4arch9wavefront6targetE1EEEvSJ_
		.amdhsa_group_segment_fixed_size 0
		.amdhsa_private_segment_fixed_size 0
		.amdhsa_kernarg_size 40
		.amdhsa_user_sgpr_count 2
		.amdhsa_user_sgpr_dispatch_ptr 0
		.amdhsa_user_sgpr_queue_ptr 0
		.amdhsa_user_sgpr_kernarg_segment_ptr 1
		.amdhsa_user_sgpr_dispatch_id 0
		.amdhsa_user_sgpr_kernarg_preload_length 0
		.amdhsa_user_sgpr_kernarg_preload_offset 0
		.amdhsa_user_sgpr_private_segment_size 0
		.amdhsa_uses_dynamic_stack 0
		.amdhsa_enable_private_segment 0
		.amdhsa_system_sgpr_workgroup_id_x 1
		.amdhsa_system_sgpr_workgroup_id_y 0
		.amdhsa_system_sgpr_workgroup_id_z 0
		.amdhsa_system_sgpr_workgroup_info 0
		.amdhsa_system_vgpr_workitem_id 0
		.amdhsa_next_free_vgpr 1
		.amdhsa_next_free_sgpr 0
		.amdhsa_accum_offset 4
		.amdhsa_reserve_vcc 0
		.amdhsa_float_round_mode_32 0
		.amdhsa_float_round_mode_16_64 0
		.amdhsa_float_denorm_mode_32 3
		.amdhsa_float_denorm_mode_16_64 3
		.amdhsa_dx10_clamp 1
		.amdhsa_ieee_mode 1
		.amdhsa_fp16_overflow 0
		.amdhsa_tg_split 0
		.amdhsa_exception_fp_ieee_invalid_op 0
		.amdhsa_exception_fp_denorm_src 0
		.amdhsa_exception_fp_ieee_div_zero 0
		.amdhsa_exception_fp_ieee_overflow 0
		.amdhsa_exception_fp_ieee_underflow 0
		.amdhsa_exception_fp_ieee_inexact 0
		.amdhsa_exception_int_div_zero 0
	.end_amdhsa_kernel
	.section	.text._ZN7rocprim17ROCPRIM_400000_NS6detail17trampoline_kernelINS0_14default_configENS1_38merge_sort_block_merge_config_selectorIiiEEZZNS1_27merge_sort_block_merge_implIS3_N6thrust23THRUST_200600_302600_NS6detail15normal_iteratorINS8_10device_ptrIiEEEESD_jNS1_19radix_merge_compareILb0ELb1EiNS0_19identity_decomposerEEEEE10hipError_tT0_T1_T2_jT3_P12ihipStream_tbPNSt15iterator_traitsISI_E10value_typeEPNSO_ISJ_E10value_typeEPSK_NS1_7vsmem_tEENKUlT_SI_SJ_SK_E_clISD_PiSD_S10_EESH_SX_SI_SJ_SK_EUlSX_E_NS1_11comp_targetILNS1_3genE4ELNS1_11target_archE910ELNS1_3gpuE8ELNS1_3repE0EEENS1_48merge_mergepath_partition_config_static_selectorELNS0_4arch9wavefront6targetE1EEEvSJ_,"axG",@progbits,_ZN7rocprim17ROCPRIM_400000_NS6detail17trampoline_kernelINS0_14default_configENS1_38merge_sort_block_merge_config_selectorIiiEEZZNS1_27merge_sort_block_merge_implIS3_N6thrust23THRUST_200600_302600_NS6detail15normal_iteratorINS8_10device_ptrIiEEEESD_jNS1_19radix_merge_compareILb0ELb1EiNS0_19identity_decomposerEEEEE10hipError_tT0_T1_T2_jT3_P12ihipStream_tbPNSt15iterator_traitsISI_E10value_typeEPNSO_ISJ_E10value_typeEPSK_NS1_7vsmem_tEENKUlT_SI_SJ_SK_E_clISD_PiSD_S10_EESH_SX_SI_SJ_SK_EUlSX_E_NS1_11comp_targetILNS1_3genE4ELNS1_11target_archE910ELNS1_3gpuE8ELNS1_3repE0EEENS1_48merge_mergepath_partition_config_static_selectorELNS0_4arch9wavefront6targetE1EEEvSJ_,comdat
.Lfunc_end783:
	.size	_ZN7rocprim17ROCPRIM_400000_NS6detail17trampoline_kernelINS0_14default_configENS1_38merge_sort_block_merge_config_selectorIiiEEZZNS1_27merge_sort_block_merge_implIS3_N6thrust23THRUST_200600_302600_NS6detail15normal_iteratorINS8_10device_ptrIiEEEESD_jNS1_19radix_merge_compareILb0ELb1EiNS0_19identity_decomposerEEEEE10hipError_tT0_T1_T2_jT3_P12ihipStream_tbPNSt15iterator_traitsISI_E10value_typeEPNSO_ISJ_E10value_typeEPSK_NS1_7vsmem_tEENKUlT_SI_SJ_SK_E_clISD_PiSD_S10_EESH_SX_SI_SJ_SK_EUlSX_E_NS1_11comp_targetILNS1_3genE4ELNS1_11target_archE910ELNS1_3gpuE8ELNS1_3repE0EEENS1_48merge_mergepath_partition_config_static_selectorELNS0_4arch9wavefront6targetE1EEEvSJ_, .Lfunc_end783-_ZN7rocprim17ROCPRIM_400000_NS6detail17trampoline_kernelINS0_14default_configENS1_38merge_sort_block_merge_config_selectorIiiEEZZNS1_27merge_sort_block_merge_implIS3_N6thrust23THRUST_200600_302600_NS6detail15normal_iteratorINS8_10device_ptrIiEEEESD_jNS1_19radix_merge_compareILb0ELb1EiNS0_19identity_decomposerEEEEE10hipError_tT0_T1_T2_jT3_P12ihipStream_tbPNSt15iterator_traitsISI_E10value_typeEPNSO_ISJ_E10value_typeEPSK_NS1_7vsmem_tEENKUlT_SI_SJ_SK_E_clISD_PiSD_S10_EESH_SX_SI_SJ_SK_EUlSX_E_NS1_11comp_targetILNS1_3genE4ELNS1_11target_archE910ELNS1_3gpuE8ELNS1_3repE0EEENS1_48merge_mergepath_partition_config_static_selectorELNS0_4arch9wavefront6targetE1EEEvSJ_
                                        ; -- End function
	.set _ZN7rocprim17ROCPRIM_400000_NS6detail17trampoline_kernelINS0_14default_configENS1_38merge_sort_block_merge_config_selectorIiiEEZZNS1_27merge_sort_block_merge_implIS3_N6thrust23THRUST_200600_302600_NS6detail15normal_iteratorINS8_10device_ptrIiEEEESD_jNS1_19radix_merge_compareILb0ELb1EiNS0_19identity_decomposerEEEEE10hipError_tT0_T1_T2_jT3_P12ihipStream_tbPNSt15iterator_traitsISI_E10value_typeEPNSO_ISJ_E10value_typeEPSK_NS1_7vsmem_tEENKUlT_SI_SJ_SK_E_clISD_PiSD_S10_EESH_SX_SI_SJ_SK_EUlSX_E_NS1_11comp_targetILNS1_3genE4ELNS1_11target_archE910ELNS1_3gpuE8ELNS1_3repE0EEENS1_48merge_mergepath_partition_config_static_selectorELNS0_4arch9wavefront6targetE1EEEvSJ_.num_vgpr, 0
	.set _ZN7rocprim17ROCPRIM_400000_NS6detail17trampoline_kernelINS0_14default_configENS1_38merge_sort_block_merge_config_selectorIiiEEZZNS1_27merge_sort_block_merge_implIS3_N6thrust23THRUST_200600_302600_NS6detail15normal_iteratorINS8_10device_ptrIiEEEESD_jNS1_19radix_merge_compareILb0ELb1EiNS0_19identity_decomposerEEEEE10hipError_tT0_T1_T2_jT3_P12ihipStream_tbPNSt15iterator_traitsISI_E10value_typeEPNSO_ISJ_E10value_typeEPSK_NS1_7vsmem_tEENKUlT_SI_SJ_SK_E_clISD_PiSD_S10_EESH_SX_SI_SJ_SK_EUlSX_E_NS1_11comp_targetILNS1_3genE4ELNS1_11target_archE910ELNS1_3gpuE8ELNS1_3repE0EEENS1_48merge_mergepath_partition_config_static_selectorELNS0_4arch9wavefront6targetE1EEEvSJ_.num_agpr, 0
	.set _ZN7rocprim17ROCPRIM_400000_NS6detail17trampoline_kernelINS0_14default_configENS1_38merge_sort_block_merge_config_selectorIiiEEZZNS1_27merge_sort_block_merge_implIS3_N6thrust23THRUST_200600_302600_NS6detail15normal_iteratorINS8_10device_ptrIiEEEESD_jNS1_19radix_merge_compareILb0ELb1EiNS0_19identity_decomposerEEEEE10hipError_tT0_T1_T2_jT3_P12ihipStream_tbPNSt15iterator_traitsISI_E10value_typeEPNSO_ISJ_E10value_typeEPSK_NS1_7vsmem_tEENKUlT_SI_SJ_SK_E_clISD_PiSD_S10_EESH_SX_SI_SJ_SK_EUlSX_E_NS1_11comp_targetILNS1_3genE4ELNS1_11target_archE910ELNS1_3gpuE8ELNS1_3repE0EEENS1_48merge_mergepath_partition_config_static_selectorELNS0_4arch9wavefront6targetE1EEEvSJ_.numbered_sgpr, 0
	.set _ZN7rocprim17ROCPRIM_400000_NS6detail17trampoline_kernelINS0_14default_configENS1_38merge_sort_block_merge_config_selectorIiiEEZZNS1_27merge_sort_block_merge_implIS3_N6thrust23THRUST_200600_302600_NS6detail15normal_iteratorINS8_10device_ptrIiEEEESD_jNS1_19radix_merge_compareILb0ELb1EiNS0_19identity_decomposerEEEEE10hipError_tT0_T1_T2_jT3_P12ihipStream_tbPNSt15iterator_traitsISI_E10value_typeEPNSO_ISJ_E10value_typeEPSK_NS1_7vsmem_tEENKUlT_SI_SJ_SK_E_clISD_PiSD_S10_EESH_SX_SI_SJ_SK_EUlSX_E_NS1_11comp_targetILNS1_3genE4ELNS1_11target_archE910ELNS1_3gpuE8ELNS1_3repE0EEENS1_48merge_mergepath_partition_config_static_selectorELNS0_4arch9wavefront6targetE1EEEvSJ_.num_named_barrier, 0
	.set _ZN7rocprim17ROCPRIM_400000_NS6detail17trampoline_kernelINS0_14default_configENS1_38merge_sort_block_merge_config_selectorIiiEEZZNS1_27merge_sort_block_merge_implIS3_N6thrust23THRUST_200600_302600_NS6detail15normal_iteratorINS8_10device_ptrIiEEEESD_jNS1_19radix_merge_compareILb0ELb1EiNS0_19identity_decomposerEEEEE10hipError_tT0_T1_T2_jT3_P12ihipStream_tbPNSt15iterator_traitsISI_E10value_typeEPNSO_ISJ_E10value_typeEPSK_NS1_7vsmem_tEENKUlT_SI_SJ_SK_E_clISD_PiSD_S10_EESH_SX_SI_SJ_SK_EUlSX_E_NS1_11comp_targetILNS1_3genE4ELNS1_11target_archE910ELNS1_3gpuE8ELNS1_3repE0EEENS1_48merge_mergepath_partition_config_static_selectorELNS0_4arch9wavefront6targetE1EEEvSJ_.private_seg_size, 0
	.set _ZN7rocprim17ROCPRIM_400000_NS6detail17trampoline_kernelINS0_14default_configENS1_38merge_sort_block_merge_config_selectorIiiEEZZNS1_27merge_sort_block_merge_implIS3_N6thrust23THRUST_200600_302600_NS6detail15normal_iteratorINS8_10device_ptrIiEEEESD_jNS1_19radix_merge_compareILb0ELb1EiNS0_19identity_decomposerEEEEE10hipError_tT0_T1_T2_jT3_P12ihipStream_tbPNSt15iterator_traitsISI_E10value_typeEPNSO_ISJ_E10value_typeEPSK_NS1_7vsmem_tEENKUlT_SI_SJ_SK_E_clISD_PiSD_S10_EESH_SX_SI_SJ_SK_EUlSX_E_NS1_11comp_targetILNS1_3genE4ELNS1_11target_archE910ELNS1_3gpuE8ELNS1_3repE0EEENS1_48merge_mergepath_partition_config_static_selectorELNS0_4arch9wavefront6targetE1EEEvSJ_.uses_vcc, 0
	.set _ZN7rocprim17ROCPRIM_400000_NS6detail17trampoline_kernelINS0_14default_configENS1_38merge_sort_block_merge_config_selectorIiiEEZZNS1_27merge_sort_block_merge_implIS3_N6thrust23THRUST_200600_302600_NS6detail15normal_iteratorINS8_10device_ptrIiEEEESD_jNS1_19radix_merge_compareILb0ELb1EiNS0_19identity_decomposerEEEEE10hipError_tT0_T1_T2_jT3_P12ihipStream_tbPNSt15iterator_traitsISI_E10value_typeEPNSO_ISJ_E10value_typeEPSK_NS1_7vsmem_tEENKUlT_SI_SJ_SK_E_clISD_PiSD_S10_EESH_SX_SI_SJ_SK_EUlSX_E_NS1_11comp_targetILNS1_3genE4ELNS1_11target_archE910ELNS1_3gpuE8ELNS1_3repE0EEENS1_48merge_mergepath_partition_config_static_selectorELNS0_4arch9wavefront6targetE1EEEvSJ_.uses_flat_scratch, 0
	.set _ZN7rocprim17ROCPRIM_400000_NS6detail17trampoline_kernelINS0_14default_configENS1_38merge_sort_block_merge_config_selectorIiiEEZZNS1_27merge_sort_block_merge_implIS3_N6thrust23THRUST_200600_302600_NS6detail15normal_iteratorINS8_10device_ptrIiEEEESD_jNS1_19radix_merge_compareILb0ELb1EiNS0_19identity_decomposerEEEEE10hipError_tT0_T1_T2_jT3_P12ihipStream_tbPNSt15iterator_traitsISI_E10value_typeEPNSO_ISJ_E10value_typeEPSK_NS1_7vsmem_tEENKUlT_SI_SJ_SK_E_clISD_PiSD_S10_EESH_SX_SI_SJ_SK_EUlSX_E_NS1_11comp_targetILNS1_3genE4ELNS1_11target_archE910ELNS1_3gpuE8ELNS1_3repE0EEENS1_48merge_mergepath_partition_config_static_selectorELNS0_4arch9wavefront6targetE1EEEvSJ_.has_dyn_sized_stack, 0
	.set _ZN7rocprim17ROCPRIM_400000_NS6detail17trampoline_kernelINS0_14default_configENS1_38merge_sort_block_merge_config_selectorIiiEEZZNS1_27merge_sort_block_merge_implIS3_N6thrust23THRUST_200600_302600_NS6detail15normal_iteratorINS8_10device_ptrIiEEEESD_jNS1_19radix_merge_compareILb0ELb1EiNS0_19identity_decomposerEEEEE10hipError_tT0_T1_T2_jT3_P12ihipStream_tbPNSt15iterator_traitsISI_E10value_typeEPNSO_ISJ_E10value_typeEPSK_NS1_7vsmem_tEENKUlT_SI_SJ_SK_E_clISD_PiSD_S10_EESH_SX_SI_SJ_SK_EUlSX_E_NS1_11comp_targetILNS1_3genE4ELNS1_11target_archE910ELNS1_3gpuE8ELNS1_3repE0EEENS1_48merge_mergepath_partition_config_static_selectorELNS0_4arch9wavefront6targetE1EEEvSJ_.has_recursion, 0
	.set _ZN7rocprim17ROCPRIM_400000_NS6detail17trampoline_kernelINS0_14default_configENS1_38merge_sort_block_merge_config_selectorIiiEEZZNS1_27merge_sort_block_merge_implIS3_N6thrust23THRUST_200600_302600_NS6detail15normal_iteratorINS8_10device_ptrIiEEEESD_jNS1_19radix_merge_compareILb0ELb1EiNS0_19identity_decomposerEEEEE10hipError_tT0_T1_T2_jT3_P12ihipStream_tbPNSt15iterator_traitsISI_E10value_typeEPNSO_ISJ_E10value_typeEPSK_NS1_7vsmem_tEENKUlT_SI_SJ_SK_E_clISD_PiSD_S10_EESH_SX_SI_SJ_SK_EUlSX_E_NS1_11comp_targetILNS1_3genE4ELNS1_11target_archE910ELNS1_3gpuE8ELNS1_3repE0EEENS1_48merge_mergepath_partition_config_static_selectorELNS0_4arch9wavefront6targetE1EEEvSJ_.has_indirect_call, 0
	.section	.AMDGPU.csdata,"",@progbits
; Kernel info:
; codeLenInByte = 0
; TotalNumSgprs: 6
; NumVgprs: 0
; NumAgprs: 0
; TotalNumVgprs: 0
; ScratchSize: 0
; MemoryBound: 0
; FloatMode: 240
; IeeeMode: 1
; LDSByteSize: 0 bytes/workgroup (compile time only)
; SGPRBlocks: 0
; VGPRBlocks: 0
; NumSGPRsForWavesPerEU: 6
; NumVGPRsForWavesPerEU: 1
; AccumOffset: 4
; Occupancy: 8
; WaveLimiterHint : 0
; COMPUTE_PGM_RSRC2:SCRATCH_EN: 0
; COMPUTE_PGM_RSRC2:USER_SGPR: 2
; COMPUTE_PGM_RSRC2:TRAP_HANDLER: 0
; COMPUTE_PGM_RSRC2:TGID_X_EN: 1
; COMPUTE_PGM_RSRC2:TGID_Y_EN: 0
; COMPUTE_PGM_RSRC2:TGID_Z_EN: 0
; COMPUTE_PGM_RSRC2:TIDIG_COMP_CNT: 0
; COMPUTE_PGM_RSRC3_GFX90A:ACCUM_OFFSET: 0
; COMPUTE_PGM_RSRC3_GFX90A:TG_SPLIT: 0
	.section	.text._ZN7rocprim17ROCPRIM_400000_NS6detail17trampoline_kernelINS0_14default_configENS1_38merge_sort_block_merge_config_selectorIiiEEZZNS1_27merge_sort_block_merge_implIS3_N6thrust23THRUST_200600_302600_NS6detail15normal_iteratorINS8_10device_ptrIiEEEESD_jNS1_19radix_merge_compareILb0ELb1EiNS0_19identity_decomposerEEEEE10hipError_tT0_T1_T2_jT3_P12ihipStream_tbPNSt15iterator_traitsISI_E10value_typeEPNSO_ISJ_E10value_typeEPSK_NS1_7vsmem_tEENKUlT_SI_SJ_SK_E_clISD_PiSD_S10_EESH_SX_SI_SJ_SK_EUlSX_E_NS1_11comp_targetILNS1_3genE3ELNS1_11target_archE908ELNS1_3gpuE7ELNS1_3repE0EEENS1_48merge_mergepath_partition_config_static_selectorELNS0_4arch9wavefront6targetE1EEEvSJ_,"axG",@progbits,_ZN7rocprim17ROCPRIM_400000_NS6detail17trampoline_kernelINS0_14default_configENS1_38merge_sort_block_merge_config_selectorIiiEEZZNS1_27merge_sort_block_merge_implIS3_N6thrust23THRUST_200600_302600_NS6detail15normal_iteratorINS8_10device_ptrIiEEEESD_jNS1_19radix_merge_compareILb0ELb1EiNS0_19identity_decomposerEEEEE10hipError_tT0_T1_T2_jT3_P12ihipStream_tbPNSt15iterator_traitsISI_E10value_typeEPNSO_ISJ_E10value_typeEPSK_NS1_7vsmem_tEENKUlT_SI_SJ_SK_E_clISD_PiSD_S10_EESH_SX_SI_SJ_SK_EUlSX_E_NS1_11comp_targetILNS1_3genE3ELNS1_11target_archE908ELNS1_3gpuE7ELNS1_3repE0EEENS1_48merge_mergepath_partition_config_static_selectorELNS0_4arch9wavefront6targetE1EEEvSJ_,comdat
	.protected	_ZN7rocprim17ROCPRIM_400000_NS6detail17trampoline_kernelINS0_14default_configENS1_38merge_sort_block_merge_config_selectorIiiEEZZNS1_27merge_sort_block_merge_implIS3_N6thrust23THRUST_200600_302600_NS6detail15normal_iteratorINS8_10device_ptrIiEEEESD_jNS1_19radix_merge_compareILb0ELb1EiNS0_19identity_decomposerEEEEE10hipError_tT0_T1_T2_jT3_P12ihipStream_tbPNSt15iterator_traitsISI_E10value_typeEPNSO_ISJ_E10value_typeEPSK_NS1_7vsmem_tEENKUlT_SI_SJ_SK_E_clISD_PiSD_S10_EESH_SX_SI_SJ_SK_EUlSX_E_NS1_11comp_targetILNS1_3genE3ELNS1_11target_archE908ELNS1_3gpuE7ELNS1_3repE0EEENS1_48merge_mergepath_partition_config_static_selectorELNS0_4arch9wavefront6targetE1EEEvSJ_ ; -- Begin function _ZN7rocprim17ROCPRIM_400000_NS6detail17trampoline_kernelINS0_14default_configENS1_38merge_sort_block_merge_config_selectorIiiEEZZNS1_27merge_sort_block_merge_implIS3_N6thrust23THRUST_200600_302600_NS6detail15normal_iteratorINS8_10device_ptrIiEEEESD_jNS1_19radix_merge_compareILb0ELb1EiNS0_19identity_decomposerEEEEE10hipError_tT0_T1_T2_jT3_P12ihipStream_tbPNSt15iterator_traitsISI_E10value_typeEPNSO_ISJ_E10value_typeEPSK_NS1_7vsmem_tEENKUlT_SI_SJ_SK_E_clISD_PiSD_S10_EESH_SX_SI_SJ_SK_EUlSX_E_NS1_11comp_targetILNS1_3genE3ELNS1_11target_archE908ELNS1_3gpuE7ELNS1_3repE0EEENS1_48merge_mergepath_partition_config_static_selectorELNS0_4arch9wavefront6targetE1EEEvSJ_
	.globl	_ZN7rocprim17ROCPRIM_400000_NS6detail17trampoline_kernelINS0_14default_configENS1_38merge_sort_block_merge_config_selectorIiiEEZZNS1_27merge_sort_block_merge_implIS3_N6thrust23THRUST_200600_302600_NS6detail15normal_iteratorINS8_10device_ptrIiEEEESD_jNS1_19radix_merge_compareILb0ELb1EiNS0_19identity_decomposerEEEEE10hipError_tT0_T1_T2_jT3_P12ihipStream_tbPNSt15iterator_traitsISI_E10value_typeEPNSO_ISJ_E10value_typeEPSK_NS1_7vsmem_tEENKUlT_SI_SJ_SK_E_clISD_PiSD_S10_EESH_SX_SI_SJ_SK_EUlSX_E_NS1_11comp_targetILNS1_3genE3ELNS1_11target_archE908ELNS1_3gpuE7ELNS1_3repE0EEENS1_48merge_mergepath_partition_config_static_selectorELNS0_4arch9wavefront6targetE1EEEvSJ_
	.p2align	8
	.type	_ZN7rocprim17ROCPRIM_400000_NS6detail17trampoline_kernelINS0_14default_configENS1_38merge_sort_block_merge_config_selectorIiiEEZZNS1_27merge_sort_block_merge_implIS3_N6thrust23THRUST_200600_302600_NS6detail15normal_iteratorINS8_10device_ptrIiEEEESD_jNS1_19radix_merge_compareILb0ELb1EiNS0_19identity_decomposerEEEEE10hipError_tT0_T1_T2_jT3_P12ihipStream_tbPNSt15iterator_traitsISI_E10value_typeEPNSO_ISJ_E10value_typeEPSK_NS1_7vsmem_tEENKUlT_SI_SJ_SK_E_clISD_PiSD_S10_EESH_SX_SI_SJ_SK_EUlSX_E_NS1_11comp_targetILNS1_3genE3ELNS1_11target_archE908ELNS1_3gpuE7ELNS1_3repE0EEENS1_48merge_mergepath_partition_config_static_selectorELNS0_4arch9wavefront6targetE1EEEvSJ_,@function
_ZN7rocprim17ROCPRIM_400000_NS6detail17trampoline_kernelINS0_14default_configENS1_38merge_sort_block_merge_config_selectorIiiEEZZNS1_27merge_sort_block_merge_implIS3_N6thrust23THRUST_200600_302600_NS6detail15normal_iteratorINS8_10device_ptrIiEEEESD_jNS1_19radix_merge_compareILb0ELb1EiNS0_19identity_decomposerEEEEE10hipError_tT0_T1_T2_jT3_P12ihipStream_tbPNSt15iterator_traitsISI_E10value_typeEPNSO_ISJ_E10value_typeEPSK_NS1_7vsmem_tEENKUlT_SI_SJ_SK_E_clISD_PiSD_S10_EESH_SX_SI_SJ_SK_EUlSX_E_NS1_11comp_targetILNS1_3genE3ELNS1_11target_archE908ELNS1_3gpuE7ELNS1_3repE0EEENS1_48merge_mergepath_partition_config_static_selectorELNS0_4arch9wavefront6targetE1EEEvSJ_: ; @_ZN7rocprim17ROCPRIM_400000_NS6detail17trampoline_kernelINS0_14default_configENS1_38merge_sort_block_merge_config_selectorIiiEEZZNS1_27merge_sort_block_merge_implIS3_N6thrust23THRUST_200600_302600_NS6detail15normal_iteratorINS8_10device_ptrIiEEEESD_jNS1_19radix_merge_compareILb0ELb1EiNS0_19identity_decomposerEEEEE10hipError_tT0_T1_T2_jT3_P12ihipStream_tbPNSt15iterator_traitsISI_E10value_typeEPNSO_ISJ_E10value_typeEPSK_NS1_7vsmem_tEENKUlT_SI_SJ_SK_E_clISD_PiSD_S10_EESH_SX_SI_SJ_SK_EUlSX_E_NS1_11comp_targetILNS1_3genE3ELNS1_11target_archE908ELNS1_3gpuE7ELNS1_3repE0EEENS1_48merge_mergepath_partition_config_static_selectorELNS0_4arch9wavefront6targetE1EEEvSJ_
; %bb.0:
	.section	.rodata,"a",@progbits
	.p2align	6, 0x0
	.amdhsa_kernel _ZN7rocprim17ROCPRIM_400000_NS6detail17trampoline_kernelINS0_14default_configENS1_38merge_sort_block_merge_config_selectorIiiEEZZNS1_27merge_sort_block_merge_implIS3_N6thrust23THRUST_200600_302600_NS6detail15normal_iteratorINS8_10device_ptrIiEEEESD_jNS1_19radix_merge_compareILb0ELb1EiNS0_19identity_decomposerEEEEE10hipError_tT0_T1_T2_jT3_P12ihipStream_tbPNSt15iterator_traitsISI_E10value_typeEPNSO_ISJ_E10value_typeEPSK_NS1_7vsmem_tEENKUlT_SI_SJ_SK_E_clISD_PiSD_S10_EESH_SX_SI_SJ_SK_EUlSX_E_NS1_11comp_targetILNS1_3genE3ELNS1_11target_archE908ELNS1_3gpuE7ELNS1_3repE0EEENS1_48merge_mergepath_partition_config_static_selectorELNS0_4arch9wavefront6targetE1EEEvSJ_
		.amdhsa_group_segment_fixed_size 0
		.amdhsa_private_segment_fixed_size 0
		.amdhsa_kernarg_size 40
		.amdhsa_user_sgpr_count 2
		.amdhsa_user_sgpr_dispatch_ptr 0
		.amdhsa_user_sgpr_queue_ptr 0
		.amdhsa_user_sgpr_kernarg_segment_ptr 1
		.amdhsa_user_sgpr_dispatch_id 0
		.amdhsa_user_sgpr_kernarg_preload_length 0
		.amdhsa_user_sgpr_kernarg_preload_offset 0
		.amdhsa_user_sgpr_private_segment_size 0
		.amdhsa_uses_dynamic_stack 0
		.amdhsa_enable_private_segment 0
		.amdhsa_system_sgpr_workgroup_id_x 1
		.amdhsa_system_sgpr_workgroup_id_y 0
		.amdhsa_system_sgpr_workgroup_id_z 0
		.amdhsa_system_sgpr_workgroup_info 0
		.amdhsa_system_vgpr_workitem_id 0
		.amdhsa_next_free_vgpr 1
		.amdhsa_next_free_sgpr 0
		.amdhsa_accum_offset 4
		.amdhsa_reserve_vcc 0
		.amdhsa_float_round_mode_32 0
		.amdhsa_float_round_mode_16_64 0
		.amdhsa_float_denorm_mode_32 3
		.amdhsa_float_denorm_mode_16_64 3
		.amdhsa_dx10_clamp 1
		.amdhsa_ieee_mode 1
		.amdhsa_fp16_overflow 0
		.amdhsa_tg_split 0
		.amdhsa_exception_fp_ieee_invalid_op 0
		.amdhsa_exception_fp_denorm_src 0
		.amdhsa_exception_fp_ieee_div_zero 0
		.amdhsa_exception_fp_ieee_overflow 0
		.amdhsa_exception_fp_ieee_underflow 0
		.amdhsa_exception_fp_ieee_inexact 0
		.amdhsa_exception_int_div_zero 0
	.end_amdhsa_kernel
	.section	.text._ZN7rocprim17ROCPRIM_400000_NS6detail17trampoline_kernelINS0_14default_configENS1_38merge_sort_block_merge_config_selectorIiiEEZZNS1_27merge_sort_block_merge_implIS3_N6thrust23THRUST_200600_302600_NS6detail15normal_iteratorINS8_10device_ptrIiEEEESD_jNS1_19radix_merge_compareILb0ELb1EiNS0_19identity_decomposerEEEEE10hipError_tT0_T1_T2_jT3_P12ihipStream_tbPNSt15iterator_traitsISI_E10value_typeEPNSO_ISJ_E10value_typeEPSK_NS1_7vsmem_tEENKUlT_SI_SJ_SK_E_clISD_PiSD_S10_EESH_SX_SI_SJ_SK_EUlSX_E_NS1_11comp_targetILNS1_3genE3ELNS1_11target_archE908ELNS1_3gpuE7ELNS1_3repE0EEENS1_48merge_mergepath_partition_config_static_selectorELNS0_4arch9wavefront6targetE1EEEvSJ_,"axG",@progbits,_ZN7rocprim17ROCPRIM_400000_NS6detail17trampoline_kernelINS0_14default_configENS1_38merge_sort_block_merge_config_selectorIiiEEZZNS1_27merge_sort_block_merge_implIS3_N6thrust23THRUST_200600_302600_NS6detail15normal_iteratorINS8_10device_ptrIiEEEESD_jNS1_19radix_merge_compareILb0ELb1EiNS0_19identity_decomposerEEEEE10hipError_tT0_T1_T2_jT3_P12ihipStream_tbPNSt15iterator_traitsISI_E10value_typeEPNSO_ISJ_E10value_typeEPSK_NS1_7vsmem_tEENKUlT_SI_SJ_SK_E_clISD_PiSD_S10_EESH_SX_SI_SJ_SK_EUlSX_E_NS1_11comp_targetILNS1_3genE3ELNS1_11target_archE908ELNS1_3gpuE7ELNS1_3repE0EEENS1_48merge_mergepath_partition_config_static_selectorELNS0_4arch9wavefront6targetE1EEEvSJ_,comdat
.Lfunc_end784:
	.size	_ZN7rocprim17ROCPRIM_400000_NS6detail17trampoline_kernelINS0_14default_configENS1_38merge_sort_block_merge_config_selectorIiiEEZZNS1_27merge_sort_block_merge_implIS3_N6thrust23THRUST_200600_302600_NS6detail15normal_iteratorINS8_10device_ptrIiEEEESD_jNS1_19radix_merge_compareILb0ELb1EiNS0_19identity_decomposerEEEEE10hipError_tT0_T1_T2_jT3_P12ihipStream_tbPNSt15iterator_traitsISI_E10value_typeEPNSO_ISJ_E10value_typeEPSK_NS1_7vsmem_tEENKUlT_SI_SJ_SK_E_clISD_PiSD_S10_EESH_SX_SI_SJ_SK_EUlSX_E_NS1_11comp_targetILNS1_3genE3ELNS1_11target_archE908ELNS1_3gpuE7ELNS1_3repE0EEENS1_48merge_mergepath_partition_config_static_selectorELNS0_4arch9wavefront6targetE1EEEvSJ_, .Lfunc_end784-_ZN7rocprim17ROCPRIM_400000_NS6detail17trampoline_kernelINS0_14default_configENS1_38merge_sort_block_merge_config_selectorIiiEEZZNS1_27merge_sort_block_merge_implIS3_N6thrust23THRUST_200600_302600_NS6detail15normal_iteratorINS8_10device_ptrIiEEEESD_jNS1_19radix_merge_compareILb0ELb1EiNS0_19identity_decomposerEEEEE10hipError_tT0_T1_T2_jT3_P12ihipStream_tbPNSt15iterator_traitsISI_E10value_typeEPNSO_ISJ_E10value_typeEPSK_NS1_7vsmem_tEENKUlT_SI_SJ_SK_E_clISD_PiSD_S10_EESH_SX_SI_SJ_SK_EUlSX_E_NS1_11comp_targetILNS1_3genE3ELNS1_11target_archE908ELNS1_3gpuE7ELNS1_3repE0EEENS1_48merge_mergepath_partition_config_static_selectorELNS0_4arch9wavefront6targetE1EEEvSJ_
                                        ; -- End function
	.set _ZN7rocprim17ROCPRIM_400000_NS6detail17trampoline_kernelINS0_14default_configENS1_38merge_sort_block_merge_config_selectorIiiEEZZNS1_27merge_sort_block_merge_implIS3_N6thrust23THRUST_200600_302600_NS6detail15normal_iteratorINS8_10device_ptrIiEEEESD_jNS1_19radix_merge_compareILb0ELb1EiNS0_19identity_decomposerEEEEE10hipError_tT0_T1_T2_jT3_P12ihipStream_tbPNSt15iterator_traitsISI_E10value_typeEPNSO_ISJ_E10value_typeEPSK_NS1_7vsmem_tEENKUlT_SI_SJ_SK_E_clISD_PiSD_S10_EESH_SX_SI_SJ_SK_EUlSX_E_NS1_11comp_targetILNS1_3genE3ELNS1_11target_archE908ELNS1_3gpuE7ELNS1_3repE0EEENS1_48merge_mergepath_partition_config_static_selectorELNS0_4arch9wavefront6targetE1EEEvSJ_.num_vgpr, 0
	.set _ZN7rocprim17ROCPRIM_400000_NS6detail17trampoline_kernelINS0_14default_configENS1_38merge_sort_block_merge_config_selectorIiiEEZZNS1_27merge_sort_block_merge_implIS3_N6thrust23THRUST_200600_302600_NS6detail15normal_iteratorINS8_10device_ptrIiEEEESD_jNS1_19radix_merge_compareILb0ELb1EiNS0_19identity_decomposerEEEEE10hipError_tT0_T1_T2_jT3_P12ihipStream_tbPNSt15iterator_traitsISI_E10value_typeEPNSO_ISJ_E10value_typeEPSK_NS1_7vsmem_tEENKUlT_SI_SJ_SK_E_clISD_PiSD_S10_EESH_SX_SI_SJ_SK_EUlSX_E_NS1_11comp_targetILNS1_3genE3ELNS1_11target_archE908ELNS1_3gpuE7ELNS1_3repE0EEENS1_48merge_mergepath_partition_config_static_selectorELNS0_4arch9wavefront6targetE1EEEvSJ_.num_agpr, 0
	.set _ZN7rocprim17ROCPRIM_400000_NS6detail17trampoline_kernelINS0_14default_configENS1_38merge_sort_block_merge_config_selectorIiiEEZZNS1_27merge_sort_block_merge_implIS3_N6thrust23THRUST_200600_302600_NS6detail15normal_iteratorINS8_10device_ptrIiEEEESD_jNS1_19radix_merge_compareILb0ELb1EiNS0_19identity_decomposerEEEEE10hipError_tT0_T1_T2_jT3_P12ihipStream_tbPNSt15iterator_traitsISI_E10value_typeEPNSO_ISJ_E10value_typeEPSK_NS1_7vsmem_tEENKUlT_SI_SJ_SK_E_clISD_PiSD_S10_EESH_SX_SI_SJ_SK_EUlSX_E_NS1_11comp_targetILNS1_3genE3ELNS1_11target_archE908ELNS1_3gpuE7ELNS1_3repE0EEENS1_48merge_mergepath_partition_config_static_selectorELNS0_4arch9wavefront6targetE1EEEvSJ_.numbered_sgpr, 0
	.set _ZN7rocprim17ROCPRIM_400000_NS6detail17trampoline_kernelINS0_14default_configENS1_38merge_sort_block_merge_config_selectorIiiEEZZNS1_27merge_sort_block_merge_implIS3_N6thrust23THRUST_200600_302600_NS6detail15normal_iteratorINS8_10device_ptrIiEEEESD_jNS1_19radix_merge_compareILb0ELb1EiNS0_19identity_decomposerEEEEE10hipError_tT0_T1_T2_jT3_P12ihipStream_tbPNSt15iterator_traitsISI_E10value_typeEPNSO_ISJ_E10value_typeEPSK_NS1_7vsmem_tEENKUlT_SI_SJ_SK_E_clISD_PiSD_S10_EESH_SX_SI_SJ_SK_EUlSX_E_NS1_11comp_targetILNS1_3genE3ELNS1_11target_archE908ELNS1_3gpuE7ELNS1_3repE0EEENS1_48merge_mergepath_partition_config_static_selectorELNS0_4arch9wavefront6targetE1EEEvSJ_.num_named_barrier, 0
	.set _ZN7rocprim17ROCPRIM_400000_NS6detail17trampoline_kernelINS0_14default_configENS1_38merge_sort_block_merge_config_selectorIiiEEZZNS1_27merge_sort_block_merge_implIS3_N6thrust23THRUST_200600_302600_NS6detail15normal_iteratorINS8_10device_ptrIiEEEESD_jNS1_19radix_merge_compareILb0ELb1EiNS0_19identity_decomposerEEEEE10hipError_tT0_T1_T2_jT3_P12ihipStream_tbPNSt15iterator_traitsISI_E10value_typeEPNSO_ISJ_E10value_typeEPSK_NS1_7vsmem_tEENKUlT_SI_SJ_SK_E_clISD_PiSD_S10_EESH_SX_SI_SJ_SK_EUlSX_E_NS1_11comp_targetILNS1_3genE3ELNS1_11target_archE908ELNS1_3gpuE7ELNS1_3repE0EEENS1_48merge_mergepath_partition_config_static_selectorELNS0_4arch9wavefront6targetE1EEEvSJ_.private_seg_size, 0
	.set _ZN7rocprim17ROCPRIM_400000_NS6detail17trampoline_kernelINS0_14default_configENS1_38merge_sort_block_merge_config_selectorIiiEEZZNS1_27merge_sort_block_merge_implIS3_N6thrust23THRUST_200600_302600_NS6detail15normal_iteratorINS8_10device_ptrIiEEEESD_jNS1_19radix_merge_compareILb0ELb1EiNS0_19identity_decomposerEEEEE10hipError_tT0_T1_T2_jT3_P12ihipStream_tbPNSt15iterator_traitsISI_E10value_typeEPNSO_ISJ_E10value_typeEPSK_NS1_7vsmem_tEENKUlT_SI_SJ_SK_E_clISD_PiSD_S10_EESH_SX_SI_SJ_SK_EUlSX_E_NS1_11comp_targetILNS1_3genE3ELNS1_11target_archE908ELNS1_3gpuE7ELNS1_3repE0EEENS1_48merge_mergepath_partition_config_static_selectorELNS0_4arch9wavefront6targetE1EEEvSJ_.uses_vcc, 0
	.set _ZN7rocprim17ROCPRIM_400000_NS6detail17trampoline_kernelINS0_14default_configENS1_38merge_sort_block_merge_config_selectorIiiEEZZNS1_27merge_sort_block_merge_implIS3_N6thrust23THRUST_200600_302600_NS6detail15normal_iteratorINS8_10device_ptrIiEEEESD_jNS1_19radix_merge_compareILb0ELb1EiNS0_19identity_decomposerEEEEE10hipError_tT0_T1_T2_jT3_P12ihipStream_tbPNSt15iterator_traitsISI_E10value_typeEPNSO_ISJ_E10value_typeEPSK_NS1_7vsmem_tEENKUlT_SI_SJ_SK_E_clISD_PiSD_S10_EESH_SX_SI_SJ_SK_EUlSX_E_NS1_11comp_targetILNS1_3genE3ELNS1_11target_archE908ELNS1_3gpuE7ELNS1_3repE0EEENS1_48merge_mergepath_partition_config_static_selectorELNS0_4arch9wavefront6targetE1EEEvSJ_.uses_flat_scratch, 0
	.set _ZN7rocprim17ROCPRIM_400000_NS6detail17trampoline_kernelINS0_14default_configENS1_38merge_sort_block_merge_config_selectorIiiEEZZNS1_27merge_sort_block_merge_implIS3_N6thrust23THRUST_200600_302600_NS6detail15normal_iteratorINS8_10device_ptrIiEEEESD_jNS1_19radix_merge_compareILb0ELb1EiNS0_19identity_decomposerEEEEE10hipError_tT0_T1_T2_jT3_P12ihipStream_tbPNSt15iterator_traitsISI_E10value_typeEPNSO_ISJ_E10value_typeEPSK_NS1_7vsmem_tEENKUlT_SI_SJ_SK_E_clISD_PiSD_S10_EESH_SX_SI_SJ_SK_EUlSX_E_NS1_11comp_targetILNS1_3genE3ELNS1_11target_archE908ELNS1_3gpuE7ELNS1_3repE0EEENS1_48merge_mergepath_partition_config_static_selectorELNS0_4arch9wavefront6targetE1EEEvSJ_.has_dyn_sized_stack, 0
	.set _ZN7rocprim17ROCPRIM_400000_NS6detail17trampoline_kernelINS0_14default_configENS1_38merge_sort_block_merge_config_selectorIiiEEZZNS1_27merge_sort_block_merge_implIS3_N6thrust23THRUST_200600_302600_NS6detail15normal_iteratorINS8_10device_ptrIiEEEESD_jNS1_19radix_merge_compareILb0ELb1EiNS0_19identity_decomposerEEEEE10hipError_tT0_T1_T2_jT3_P12ihipStream_tbPNSt15iterator_traitsISI_E10value_typeEPNSO_ISJ_E10value_typeEPSK_NS1_7vsmem_tEENKUlT_SI_SJ_SK_E_clISD_PiSD_S10_EESH_SX_SI_SJ_SK_EUlSX_E_NS1_11comp_targetILNS1_3genE3ELNS1_11target_archE908ELNS1_3gpuE7ELNS1_3repE0EEENS1_48merge_mergepath_partition_config_static_selectorELNS0_4arch9wavefront6targetE1EEEvSJ_.has_recursion, 0
	.set _ZN7rocprim17ROCPRIM_400000_NS6detail17trampoline_kernelINS0_14default_configENS1_38merge_sort_block_merge_config_selectorIiiEEZZNS1_27merge_sort_block_merge_implIS3_N6thrust23THRUST_200600_302600_NS6detail15normal_iteratorINS8_10device_ptrIiEEEESD_jNS1_19radix_merge_compareILb0ELb1EiNS0_19identity_decomposerEEEEE10hipError_tT0_T1_T2_jT3_P12ihipStream_tbPNSt15iterator_traitsISI_E10value_typeEPNSO_ISJ_E10value_typeEPSK_NS1_7vsmem_tEENKUlT_SI_SJ_SK_E_clISD_PiSD_S10_EESH_SX_SI_SJ_SK_EUlSX_E_NS1_11comp_targetILNS1_3genE3ELNS1_11target_archE908ELNS1_3gpuE7ELNS1_3repE0EEENS1_48merge_mergepath_partition_config_static_selectorELNS0_4arch9wavefront6targetE1EEEvSJ_.has_indirect_call, 0
	.section	.AMDGPU.csdata,"",@progbits
; Kernel info:
; codeLenInByte = 0
; TotalNumSgprs: 6
; NumVgprs: 0
; NumAgprs: 0
; TotalNumVgprs: 0
; ScratchSize: 0
; MemoryBound: 0
; FloatMode: 240
; IeeeMode: 1
; LDSByteSize: 0 bytes/workgroup (compile time only)
; SGPRBlocks: 0
; VGPRBlocks: 0
; NumSGPRsForWavesPerEU: 6
; NumVGPRsForWavesPerEU: 1
; AccumOffset: 4
; Occupancy: 8
; WaveLimiterHint : 0
; COMPUTE_PGM_RSRC2:SCRATCH_EN: 0
; COMPUTE_PGM_RSRC2:USER_SGPR: 2
; COMPUTE_PGM_RSRC2:TRAP_HANDLER: 0
; COMPUTE_PGM_RSRC2:TGID_X_EN: 1
; COMPUTE_PGM_RSRC2:TGID_Y_EN: 0
; COMPUTE_PGM_RSRC2:TGID_Z_EN: 0
; COMPUTE_PGM_RSRC2:TIDIG_COMP_CNT: 0
; COMPUTE_PGM_RSRC3_GFX90A:ACCUM_OFFSET: 0
; COMPUTE_PGM_RSRC3_GFX90A:TG_SPLIT: 0
	.section	.text._ZN7rocprim17ROCPRIM_400000_NS6detail17trampoline_kernelINS0_14default_configENS1_38merge_sort_block_merge_config_selectorIiiEEZZNS1_27merge_sort_block_merge_implIS3_N6thrust23THRUST_200600_302600_NS6detail15normal_iteratorINS8_10device_ptrIiEEEESD_jNS1_19radix_merge_compareILb0ELb1EiNS0_19identity_decomposerEEEEE10hipError_tT0_T1_T2_jT3_P12ihipStream_tbPNSt15iterator_traitsISI_E10value_typeEPNSO_ISJ_E10value_typeEPSK_NS1_7vsmem_tEENKUlT_SI_SJ_SK_E_clISD_PiSD_S10_EESH_SX_SI_SJ_SK_EUlSX_E_NS1_11comp_targetILNS1_3genE2ELNS1_11target_archE906ELNS1_3gpuE6ELNS1_3repE0EEENS1_48merge_mergepath_partition_config_static_selectorELNS0_4arch9wavefront6targetE1EEEvSJ_,"axG",@progbits,_ZN7rocprim17ROCPRIM_400000_NS6detail17trampoline_kernelINS0_14default_configENS1_38merge_sort_block_merge_config_selectorIiiEEZZNS1_27merge_sort_block_merge_implIS3_N6thrust23THRUST_200600_302600_NS6detail15normal_iteratorINS8_10device_ptrIiEEEESD_jNS1_19radix_merge_compareILb0ELb1EiNS0_19identity_decomposerEEEEE10hipError_tT0_T1_T2_jT3_P12ihipStream_tbPNSt15iterator_traitsISI_E10value_typeEPNSO_ISJ_E10value_typeEPSK_NS1_7vsmem_tEENKUlT_SI_SJ_SK_E_clISD_PiSD_S10_EESH_SX_SI_SJ_SK_EUlSX_E_NS1_11comp_targetILNS1_3genE2ELNS1_11target_archE906ELNS1_3gpuE6ELNS1_3repE0EEENS1_48merge_mergepath_partition_config_static_selectorELNS0_4arch9wavefront6targetE1EEEvSJ_,comdat
	.protected	_ZN7rocprim17ROCPRIM_400000_NS6detail17trampoline_kernelINS0_14default_configENS1_38merge_sort_block_merge_config_selectorIiiEEZZNS1_27merge_sort_block_merge_implIS3_N6thrust23THRUST_200600_302600_NS6detail15normal_iteratorINS8_10device_ptrIiEEEESD_jNS1_19radix_merge_compareILb0ELb1EiNS0_19identity_decomposerEEEEE10hipError_tT0_T1_T2_jT3_P12ihipStream_tbPNSt15iterator_traitsISI_E10value_typeEPNSO_ISJ_E10value_typeEPSK_NS1_7vsmem_tEENKUlT_SI_SJ_SK_E_clISD_PiSD_S10_EESH_SX_SI_SJ_SK_EUlSX_E_NS1_11comp_targetILNS1_3genE2ELNS1_11target_archE906ELNS1_3gpuE6ELNS1_3repE0EEENS1_48merge_mergepath_partition_config_static_selectorELNS0_4arch9wavefront6targetE1EEEvSJ_ ; -- Begin function _ZN7rocprim17ROCPRIM_400000_NS6detail17trampoline_kernelINS0_14default_configENS1_38merge_sort_block_merge_config_selectorIiiEEZZNS1_27merge_sort_block_merge_implIS3_N6thrust23THRUST_200600_302600_NS6detail15normal_iteratorINS8_10device_ptrIiEEEESD_jNS1_19radix_merge_compareILb0ELb1EiNS0_19identity_decomposerEEEEE10hipError_tT0_T1_T2_jT3_P12ihipStream_tbPNSt15iterator_traitsISI_E10value_typeEPNSO_ISJ_E10value_typeEPSK_NS1_7vsmem_tEENKUlT_SI_SJ_SK_E_clISD_PiSD_S10_EESH_SX_SI_SJ_SK_EUlSX_E_NS1_11comp_targetILNS1_3genE2ELNS1_11target_archE906ELNS1_3gpuE6ELNS1_3repE0EEENS1_48merge_mergepath_partition_config_static_selectorELNS0_4arch9wavefront6targetE1EEEvSJ_
	.globl	_ZN7rocprim17ROCPRIM_400000_NS6detail17trampoline_kernelINS0_14default_configENS1_38merge_sort_block_merge_config_selectorIiiEEZZNS1_27merge_sort_block_merge_implIS3_N6thrust23THRUST_200600_302600_NS6detail15normal_iteratorINS8_10device_ptrIiEEEESD_jNS1_19radix_merge_compareILb0ELb1EiNS0_19identity_decomposerEEEEE10hipError_tT0_T1_T2_jT3_P12ihipStream_tbPNSt15iterator_traitsISI_E10value_typeEPNSO_ISJ_E10value_typeEPSK_NS1_7vsmem_tEENKUlT_SI_SJ_SK_E_clISD_PiSD_S10_EESH_SX_SI_SJ_SK_EUlSX_E_NS1_11comp_targetILNS1_3genE2ELNS1_11target_archE906ELNS1_3gpuE6ELNS1_3repE0EEENS1_48merge_mergepath_partition_config_static_selectorELNS0_4arch9wavefront6targetE1EEEvSJ_
	.p2align	8
	.type	_ZN7rocprim17ROCPRIM_400000_NS6detail17trampoline_kernelINS0_14default_configENS1_38merge_sort_block_merge_config_selectorIiiEEZZNS1_27merge_sort_block_merge_implIS3_N6thrust23THRUST_200600_302600_NS6detail15normal_iteratorINS8_10device_ptrIiEEEESD_jNS1_19radix_merge_compareILb0ELb1EiNS0_19identity_decomposerEEEEE10hipError_tT0_T1_T2_jT3_P12ihipStream_tbPNSt15iterator_traitsISI_E10value_typeEPNSO_ISJ_E10value_typeEPSK_NS1_7vsmem_tEENKUlT_SI_SJ_SK_E_clISD_PiSD_S10_EESH_SX_SI_SJ_SK_EUlSX_E_NS1_11comp_targetILNS1_3genE2ELNS1_11target_archE906ELNS1_3gpuE6ELNS1_3repE0EEENS1_48merge_mergepath_partition_config_static_selectorELNS0_4arch9wavefront6targetE1EEEvSJ_,@function
_ZN7rocprim17ROCPRIM_400000_NS6detail17trampoline_kernelINS0_14default_configENS1_38merge_sort_block_merge_config_selectorIiiEEZZNS1_27merge_sort_block_merge_implIS3_N6thrust23THRUST_200600_302600_NS6detail15normal_iteratorINS8_10device_ptrIiEEEESD_jNS1_19radix_merge_compareILb0ELb1EiNS0_19identity_decomposerEEEEE10hipError_tT0_T1_T2_jT3_P12ihipStream_tbPNSt15iterator_traitsISI_E10value_typeEPNSO_ISJ_E10value_typeEPSK_NS1_7vsmem_tEENKUlT_SI_SJ_SK_E_clISD_PiSD_S10_EESH_SX_SI_SJ_SK_EUlSX_E_NS1_11comp_targetILNS1_3genE2ELNS1_11target_archE906ELNS1_3gpuE6ELNS1_3repE0EEENS1_48merge_mergepath_partition_config_static_selectorELNS0_4arch9wavefront6targetE1EEEvSJ_: ; @_ZN7rocprim17ROCPRIM_400000_NS6detail17trampoline_kernelINS0_14default_configENS1_38merge_sort_block_merge_config_selectorIiiEEZZNS1_27merge_sort_block_merge_implIS3_N6thrust23THRUST_200600_302600_NS6detail15normal_iteratorINS8_10device_ptrIiEEEESD_jNS1_19radix_merge_compareILb0ELb1EiNS0_19identity_decomposerEEEEE10hipError_tT0_T1_T2_jT3_P12ihipStream_tbPNSt15iterator_traitsISI_E10value_typeEPNSO_ISJ_E10value_typeEPSK_NS1_7vsmem_tEENKUlT_SI_SJ_SK_E_clISD_PiSD_S10_EESH_SX_SI_SJ_SK_EUlSX_E_NS1_11comp_targetILNS1_3genE2ELNS1_11target_archE906ELNS1_3gpuE6ELNS1_3repE0EEENS1_48merge_mergepath_partition_config_static_selectorELNS0_4arch9wavefront6targetE1EEEvSJ_
; %bb.0:
	.section	.rodata,"a",@progbits
	.p2align	6, 0x0
	.amdhsa_kernel _ZN7rocprim17ROCPRIM_400000_NS6detail17trampoline_kernelINS0_14default_configENS1_38merge_sort_block_merge_config_selectorIiiEEZZNS1_27merge_sort_block_merge_implIS3_N6thrust23THRUST_200600_302600_NS6detail15normal_iteratorINS8_10device_ptrIiEEEESD_jNS1_19radix_merge_compareILb0ELb1EiNS0_19identity_decomposerEEEEE10hipError_tT0_T1_T2_jT3_P12ihipStream_tbPNSt15iterator_traitsISI_E10value_typeEPNSO_ISJ_E10value_typeEPSK_NS1_7vsmem_tEENKUlT_SI_SJ_SK_E_clISD_PiSD_S10_EESH_SX_SI_SJ_SK_EUlSX_E_NS1_11comp_targetILNS1_3genE2ELNS1_11target_archE906ELNS1_3gpuE6ELNS1_3repE0EEENS1_48merge_mergepath_partition_config_static_selectorELNS0_4arch9wavefront6targetE1EEEvSJ_
		.amdhsa_group_segment_fixed_size 0
		.amdhsa_private_segment_fixed_size 0
		.amdhsa_kernarg_size 40
		.amdhsa_user_sgpr_count 2
		.amdhsa_user_sgpr_dispatch_ptr 0
		.amdhsa_user_sgpr_queue_ptr 0
		.amdhsa_user_sgpr_kernarg_segment_ptr 1
		.amdhsa_user_sgpr_dispatch_id 0
		.amdhsa_user_sgpr_kernarg_preload_length 0
		.amdhsa_user_sgpr_kernarg_preload_offset 0
		.amdhsa_user_sgpr_private_segment_size 0
		.amdhsa_uses_dynamic_stack 0
		.amdhsa_enable_private_segment 0
		.amdhsa_system_sgpr_workgroup_id_x 1
		.amdhsa_system_sgpr_workgroup_id_y 0
		.amdhsa_system_sgpr_workgroup_id_z 0
		.amdhsa_system_sgpr_workgroup_info 0
		.amdhsa_system_vgpr_workitem_id 0
		.amdhsa_next_free_vgpr 1
		.amdhsa_next_free_sgpr 0
		.amdhsa_accum_offset 4
		.amdhsa_reserve_vcc 0
		.amdhsa_float_round_mode_32 0
		.amdhsa_float_round_mode_16_64 0
		.amdhsa_float_denorm_mode_32 3
		.amdhsa_float_denorm_mode_16_64 3
		.amdhsa_dx10_clamp 1
		.amdhsa_ieee_mode 1
		.amdhsa_fp16_overflow 0
		.amdhsa_tg_split 0
		.amdhsa_exception_fp_ieee_invalid_op 0
		.amdhsa_exception_fp_denorm_src 0
		.amdhsa_exception_fp_ieee_div_zero 0
		.amdhsa_exception_fp_ieee_overflow 0
		.amdhsa_exception_fp_ieee_underflow 0
		.amdhsa_exception_fp_ieee_inexact 0
		.amdhsa_exception_int_div_zero 0
	.end_amdhsa_kernel
	.section	.text._ZN7rocprim17ROCPRIM_400000_NS6detail17trampoline_kernelINS0_14default_configENS1_38merge_sort_block_merge_config_selectorIiiEEZZNS1_27merge_sort_block_merge_implIS3_N6thrust23THRUST_200600_302600_NS6detail15normal_iteratorINS8_10device_ptrIiEEEESD_jNS1_19radix_merge_compareILb0ELb1EiNS0_19identity_decomposerEEEEE10hipError_tT0_T1_T2_jT3_P12ihipStream_tbPNSt15iterator_traitsISI_E10value_typeEPNSO_ISJ_E10value_typeEPSK_NS1_7vsmem_tEENKUlT_SI_SJ_SK_E_clISD_PiSD_S10_EESH_SX_SI_SJ_SK_EUlSX_E_NS1_11comp_targetILNS1_3genE2ELNS1_11target_archE906ELNS1_3gpuE6ELNS1_3repE0EEENS1_48merge_mergepath_partition_config_static_selectorELNS0_4arch9wavefront6targetE1EEEvSJ_,"axG",@progbits,_ZN7rocprim17ROCPRIM_400000_NS6detail17trampoline_kernelINS0_14default_configENS1_38merge_sort_block_merge_config_selectorIiiEEZZNS1_27merge_sort_block_merge_implIS3_N6thrust23THRUST_200600_302600_NS6detail15normal_iteratorINS8_10device_ptrIiEEEESD_jNS1_19radix_merge_compareILb0ELb1EiNS0_19identity_decomposerEEEEE10hipError_tT0_T1_T2_jT3_P12ihipStream_tbPNSt15iterator_traitsISI_E10value_typeEPNSO_ISJ_E10value_typeEPSK_NS1_7vsmem_tEENKUlT_SI_SJ_SK_E_clISD_PiSD_S10_EESH_SX_SI_SJ_SK_EUlSX_E_NS1_11comp_targetILNS1_3genE2ELNS1_11target_archE906ELNS1_3gpuE6ELNS1_3repE0EEENS1_48merge_mergepath_partition_config_static_selectorELNS0_4arch9wavefront6targetE1EEEvSJ_,comdat
.Lfunc_end785:
	.size	_ZN7rocprim17ROCPRIM_400000_NS6detail17trampoline_kernelINS0_14default_configENS1_38merge_sort_block_merge_config_selectorIiiEEZZNS1_27merge_sort_block_merge_implIS3_N6thrust23THRUST_200600_302600_NS6detail15normal_iteratorINS8_10device_ptrIiEEEESD_jNS1_19radix_merge_compareILb0ELb1EiNS0_19identity_decomposerEEEEE10hipError_tT0_T1_T2_jT3_P12ihipStream_tbPNSt15iterator_traitsISI_E10value_typeEPNSO_ISJ_E10value_typeEPSK_NS1_7vsmem_tEENKUlT_SI_SJ_SK_E_clISD_PiSD_S10_EESH_SX_SI_SJ_SK_EUlSX_E_NS1_11comp_targetILNS1_3genE2ELNS1_11target_archE906ELNS1_3gpuE6ELNS1_3repE0EEENS1_48merge_mergepath_partition_config_static_selectorELNS0_4arch9wavefront6targetE1EEEvSJ_, .Lfunc_end785-_ZN7rocprim17ROCPRIM_400000_NS6detail17trampoline_kernelINS0_14default_configENS1_38merge_sort_block_merge_config_selectorIiiEEZZNS1_27merge_sort_block_merge_implIS3_N6thrust23THRUST_200600_302600_NS6detail15normal_iteratorINS8_10device_ptrIiEEEESD_jNS1_19radix_merge_compareILb0ELb1EiNS0_19identity_decomposerEEEEE10hipError_tT0_T1_T2_jT3_P12ihipStream_tbPNSt15iterator_traitsISI_E10value_typeEPNSO_ISJ_E10value_typeEPSK_NS1_7vsmem_tEENKUlT_SI_SJ_SK_E_clISD_PiSD_S10_EESH_SX_SI_SJ_SK_EUlSX_E_NS1_11comp_targetILNS1_3genE2ELNS1_11target_archE906ELNS1_3gpuE6ELNS1_3repE0EEENS1_48merge_mergepath_partition_config_static_selectorELNS0_4arch9wavefront6targetE1EEEvSJ_
                                        ; -- End function
	.set _ZN7rocprim17ROCPRIM_400000_NS6detail17trampoline_kernelINS0_14default_configENS1_38merge_sort_block_merge_config_selectorIiiEEZZNS1_27merge_sort_block_merge_implIS3_N6thrust23THRUST_200600_302600_NS6detail15normal_iteratorINS8_10device_ptrIiEEEESD_jNS1_19radix_merge_compareILb0ELb1EiNS0_19identity_decomposerEEEEE10hipError_tT0_T1_T2_jT3_P12ihipStream_tbPNSt15iterator_traitsISI_E10value_typeEPNSO_ISJ_E10value_typeEPSK_NS1_7vsmem_tEENKUlT_SI_SJ_SK_E_clISD_PiSD_S10_EESH_SX_SI_SJ_SK_EUlSX_E_NS1_11comp_targetILNS1_3genE2ELNS1_11target_archE906ELNS1_3gpuE6ELNS1_3repE0EEENS1_48merge_mergepath_partition_config_static_selectorELNS0_4arch9wavefront6targetE1EEEvSJ_.num_vgpr, 0
	.set _ZN7rocprim17ROCPRIM_400000_NS6detail17trampoline_kernelINS0_14default_configENS1_38merge_sort_block_merge_config_selectorIiiEEZZNS1_27merge_sort_block_merge_implIS3_N6thrust23THRUST_200600_302600_NS6detail15normal_iteratorINS8_10device_ptrIiEEEESD_jNS1_19radix_merge_compareILb0ELb1EiNS0_19identity_decomposerEEEEE10hipError_tT0_T1_T2_jT3_P12ihipStream_tbPNSt15iterator_traitsISI_E10value_typeEPNSO_ISJ_E10value_typeEPSK_NS1_7vsmem_tEENKUlT_SI_SJ_SK_E_clISD_PiSD_S10_EESH_SX_SI_SJ_SK_EUlSX_E_NS1_11comp_targetILNS1_3genE2ELNS1_11target_archE906ELNS1_3gpuE6ELNS1_3repE0EEENS1_48merge_mergepath_partition_config_static_selectorELNS0_4arch9wavefront6targetE1EEEvSJ_.num_agpr, 0
	.set _ZN7rocprim17ROCPRIM_400000_NS6detail17trampoline_kernelINS0_14default_configENS1_38merge_sort_block_merge_config_selectorIiiEEZZNS1_27merge_sort_block_merge_implIS3_N6thrust23THRUST_200600_302600_NS6detail15normal_iteratorINS8_10device_ptrIiEEEESD_jNS1_19radix_merge_compareILb0ELb1EiNS0_19identity_decomposerEEEEE10hipError_tT0_T1_T2_jT3_P12ihipStream_tbPNSt15iterator_traitsISI_E10value_typeEPNSO_ISJ_E10value_typeEPSK_NS1_7vsmem_tEENKUlT_SI_SJ_SK_E_clISD_PiSD_S10_EESH_SX_SI_SJ_SK_EUlSX_E_NS1_11comp_targetILNS1_3genE2ELNS1_11target_archE906ELNS1_3gpuE6ELNS1_3repE0EEENS1_48merge_mergepath_partition_config_static_selectorELNS0_4arch9wavefront6targetE1EEEvSJ_.numbered_sgpr, 0
	.set _ZN7rocprim17ROCPRIM_400000_NS6detail17trampoline_kernelINS0_14default_configENS1_38merge_sort_block_merge_config_selectorIiiEEZZNS1_27merge_sort_block_merge_implIS3_N6thrust23THRUST_200600_302600_NS6detail15normal_iteratorINS8_10device_ptrIiEEEESD_jNS1_19radix_merge_compareILb0ELb1EiNS0_19identity_decomposerEEEEE10hipError_tT0_T1_T2_jT3_P12ihipStream_tbPNSt15iterator_traitsISI_E10value_typeEPNSO_ISJ_E10value_typeEPSK_NS1_7vsmem_tEENKUlT_SI_SJ_SK_E_clISD_PiSD_S10_EESH_SX_SI_SJ_SK_EUlSX_E_NS1_11comp_targetILNS1_3genE2ELNS1_11target_archE906ELNS1_3gpuE6ELNS1_3repE0EEENS1_48merge_mergepath_partition_config_static_selectorELNS0_4arch9wavefront6targetE1EEEvSJ_.num_named_barrier, 0
	.set _ZN7rocprim17ROCPRIM_400000_NS6detail17trampoline_kernelINS0_14default_configENS1_38merge_sort_block_merge_config_selectorIiiEEZZNS1_27merge_sort_block_merge_implIS3_N6thrust23THRUST_200600_302600_NS6detail15normal_iteratorINS8_10device_ptrIiEEEESD_jNS1_19radix_merge_compareILb0ELb1EiNS0_19identity_decomposerEEEEE10hipError_tT0_T1_T2_jT3_P12ihipStream_tbPNSt15iterator_traitsISI_E10value_typeEPNSO_ISJ_E10value_typeEPSK_NS1_7vsmem_tEENKUlT_SI_SJ_SK_E_clISD_PiSD_S10_EESH_SX_SI_SJ_SK_EUlSX_E_NS1_11comp_targetILNS1_3genE2ELNS1_11target_archE906ELNS1_3gpuE6ELNS1_3repE0EEENS1_48merge_mergepath_partition_config_static_selectorELNS0_4arch9wavefront6targetE1EEEvSJ_.private_seg_size, 0
	.set _ZN7rocprim17ROCPRIM_400000_NS6detail17trampoline_kernelINS0_14default_configENS1_38merge_sort_block_merge_config_selectorIiiEEZZNS1_27merge_sort_block_merge_implIS3_N6thrust23THRUST_200600_302600_NS6detail15normal_iteratorINS8_10device_ptrIiEEEESD_jNS1_19radix_merge_compareILb0ELb1EiNS0_19identity_decomposerEEEEE10hipError_tT0_T1_T2_jT3_P12ihipStream_tbPNSt15iterator_traitsISI_E10value_typeEPNSO_ISJ_E10value_typeEPSK_NS1_7vsmem_tEENKUlT_SI_SJ_SK_E_clISD_PiSD_S10_EESH_SX_SI_SJ_SK_EUlSX_E_NS1_11comp_targetILNS1_3genE2ELNS1_11target_archE906ELNS1_3gpuE6ELNS1_3repE0EEENS1_48merge_mergepath_partition_config_static_selectorELNS0_4arch9wavefront6targetE1EEEvSJ_.uses_vcc, 0
	.set _ZN7rocprim17ROCPRIM_400000_NS6detail17trampoline_kernelINS0_14default_configENS1_38merge_sort_block_merge_config_selectorIiiEEZZNS1_27merge_sort_block_merge_implIS3_N6thrust23THRUST_200600_302600_NS6detail15normal_iteratorINS8_10device_ptrIiEEEESD_jNS1_19radix_merge_compareILb0ELb1EiNS0_19identity_decomposerEEEEE10hipError_tT0_T1_T2_jT3_P12ihipStream_tbPNSt15iterator_traitsISI_E10value_typeEPNSO_ISJ_E10value_typeEPSK_NS1_7vsmem_tEENKUlT_SI_SJ_SK_E_clISD_PiSD_S10_EESH_SX_SI_SJ_SK_EUlSX_E_NS1_11comp_targetILNS1_3genE2ELNS1_11target_archE906ELNS1_3gpuE6ELNS1_3repE0EEENS1_48merge_mergepath_partition_config_static_selectorELNS0_4arch9wavefront6targetE1EEEvSJ_.uses_flat_scratch, 0
	.set _ZN7rocprim17ROCPRIM_400000_NS6detail17trampoline_kernelINS0_14default_configENS1_38merge_sort_block_merge_config_selectorIiiEEZZNS1_27merge_sort_block_merge_implIS3_N6thrust23THRUST_200600_302600_NS6detail15normal_iteratorINS8_10device_ptrIiEEEESD_jNS1_19radix_merge_compareILb0ELb1EiNS0_19identity_decomposerEEEEE10hipError_tT0_T1_T2_jT3_P12ihipStream_tbPNSt15iterator_traitsISI_E10value_typeEPNSO_ISJ_E10value_typeEPSK_NS1_7vsmem_tEENKUlT_SI_SJ_SK_E_clISD_PiSD_S10_EESH_SX_SI_SJ_SK_EUlSX_E_NS1_11comp_targetILNS1_3genE2ELNS1_11target_archE906ELNS1_3gpuE6ELNS1_3repE0EEENS1_48merge_mergepath_partition_config_static_selectorELNS0_4arch9wavefront6targetE1EEEvSJ_.has_dyn_sized_stack, 0
	.set _ZN7rocprim17ROCPRIM_400000_NS6detail17trampoline_kernelINS0_14default_configENS1_38merge_sort_block_merge_config_selectorIiiEEZZNS1_27merge_sort_block_merge_implIS3_N6thrust23THRUST_200600_302600_NS6detail15normal_iteratorINS8_10device_ptrIiEEEESD_jNS1_19radix_merge_compareILb0ELb1EiNS0_19identity_decomposerEEEEE10hipError_tT0_T1_T2_jT3_P12ihipStream_tbPNSt15iterator_traitsISI_E10value_typeEPNSO_ISJ_E10value_typeEPSK_NS1_7vsmem_tEENKUlT_SI_SJ_SK_E_clISD_PiSD_S10_EESH_SX_SI_SJ_SK_EUlSX_E_NS1_11comp_targetILNS1_3genE2ELNS1_11target_archE906ELNS1_3gpuE6ELNS1_3repE0EEENS1_48merge_mergepath_partition_config_static_selectorELNS0_4arch9wavefront6targetE1EEEvSJ_.has_recursion, 0
	.set _ZN7rocprim17ROCPRIM_400000_NS6detail17trampoline_kernelINS0_14default_configENS1_38merge_sort_block_merge_config_selectorIiiEEZZNS1_27merge_sort_block_merge_implIS3_N6thrust23THRUST_200600_302600_NS6detail15normal_iteratorINS8_10device_ptrIiEEEESD_jNS1_19radix_merge_compareILb0ELb1EiNS0_19identity_decomposerEEEEE10hipError_tT0_T1_T2_jT3_P12ihipStream_tbPNSt15iterator_traitsISI_E10value_typeEPNSO_ISJ_E10value_typeEPSK_NS1_7vsmem_tEENKUlT_SI_SJ_SK_E_clISD_PiSD_S10_EESH_SX_SI_SJ_SK_EUlSX_E_NS1_11comp_targetILNS1_3genE2ELNS1_11target_archE906ELNS1_3gpuE6ELNS1_3repE0EEENS1_48merge_mergepath_partition_config_static_selectorELNS0_4arch9wavefront6targetE1EEEvSJ_.has_indirect_call, 0
	.section	.AMDGPU.csdata,"",@progbits
; Kernel info:
; codeLenInByte = 0
; TotalNumSgprs: 6
; NumVgprs: 0
; NumAgprs: 0
; TotalNumVgprs: 0
; ScratchSize: 0
; MemoryBound: 0
; FloatMode: 240
; IeeeMode: 1
; LDSByteSize: 0 bytes/workgroup (compile time only)
; SGPRBlocks: 0
; VGPRBlocks: 0
; NumSGPRsForWavesPerEU: 6
; NumVGPRsForWavesPerEU: 1
; AccumOffset: 4
; Occupancy: 8
; WaveLimiterHint : 0
; COMPUTE_PGM_RSRC2:SCRATCH_EN: 0
; COMPUTE_PGM_RSRC2:USER_SGPR: 2
; COMPUTE_PGM_RSRC2:TRAP_HANDLER: 0
; COMPUTE_PGM_RSRC2:TGID_X_EN: 1
; COMPUTE_PGM_RSRC2:TGID_Y_EN: 0
; COMPUTE_PGM_RSRC2:TGID_Z_EN: 0
; COMPUTE_PGM_RSRC2:TIDIG_COMP_CNT: 0
; COMPUTE_PGM_RSRC3_GFX90A:ACCUM_OFFSET: 0
; COMPUTE_PGM_RSRC3_GFX90A:TG_SPLIT: 0
	.section	.text._ZN7rocprim17ROCPRIM_400000_NS6detail17trampoline_kernelINS0_14default_configENS1_38merge_sort_block_merge_config_selectorIiiEEZZNS1_27merge_sort_block_merge_implIS3_N6thrust23THRUST_200600_302600_NS6detail15normal_iteratorINS8_10device_ptrIiEEEESD_jNS1_19radix_merge_compareILb0ELb1EiNS0_19identity_decomposerEEEEE10hipError_tT0_T1_T2_jT3_P12ihipStream_tbPNSt15iterator_traitsISI_E10value_typeEPNSO_ISJ_E10value_typeEPSK_NS1_7vsmem_tEENKUlT_SI_SJ_SK_E_clISD_PiSD_S10_EESH_SX_SI_SJ_SK_EUlSX_E_NS1_11comp_targetILNS1_3genE9ELNS1_11target_archE1100ELNS1_3gpuE3ELNS1_3repE0EEENS1_48merge_mergepath_partition_config_static_selectorELNS0_4arch9wavefront6targetE1EEEvSJ_,"axG",@progbits,_ZN7rocprim17ROCPRIM_400000_NS6detail17trampoline_kernelINS0_14default_configENS1_38merge_sort_block_merge_config_selectorIiiEEZZNS1_27merge_sort_block_merge_implIS3_N6thrust23THRUST_200600_302600_NS6detail15normal_iteratorINS8_10device_ptrIiEEEESD_jNS1_19radix_merge_compareILb0ELb1EiNS0_19identity_decomposerEEEEE10hipError_tT0_T1_T2_jT3_P12ihipStream_tbPNSt15iterator_traitsISI_E10value_typeEPNSO_ISJ_E10value_typeEPSK_NS1_7vsmem_tEENKUlT_SI_SJ_SK_E_clISD_PiSD_S10_EESH_SX_SI_SJ_SK_EUlSX_E_NS1_11comp_targetILNS1_3genE9ELNS1_11target_archE1100ELNS1_3gpuE3ELNS1_3repE0EEENS1_48merge_mergepath_partition_config_static_selectorELNS0_4arch9wavefront6targetE1EEEvSJ_,comdat
	.protected	_ZN7rocprim17ROCPRIM_400000_NS6detail17trampoline_kernelINS0_14default_configENS1_38merge_sort_block_merge_config_selectorIiiEEZZNS1_27merge_sort_block_merge_implIS3_N6thrust23THRUST_200600_302600_NS6detail15normal_iteratorINS8_10device_ptrIiEEEESD_jNS1_19radix_merge_compareILb0ELb1EiNS0_19identity_decomposerEEEEE10hipError_tT0_T1_T2_jT3_P12ihipStream_tbPNSt15iterator_traitsISI_E10value_typeEPNSO_ISJ_E10value_typeEPSK_NS1_7vsmem_tEENKUlT_SI_SJ_SK_E_clISD_PiSD_S10_EESH_SX_SI_SJ_SK_EUlSX_E_NS1_11comp_targetILNS1_3genE9ELNS1_11target_archE1100ELNS1_3gpuE3ELNS1_3repE0EEENS1_48merge_mergepath_partition_config_static_selectorELNS0_4arch9wavefront6targetE1EEEvSJ_ ; -- Begin function _ZN7rocprim17ROCPRIM_400000_NS6detail17trampoline_kernelINS0_14default_configENS1_38merge_sort_block_merge_config_selectorIiiEEZZNS1_27merge_sort_block_merge_implIS3_N6thrust23THRUST_200600_302600_NS6detail15normal_iteratorINS8_10device_ptrIiEEEESD_jNS1_19radix_merge_compareILb0ELb1EiNS0_19identity_decomposerEEEEE10hipError_tT0_T1_T2_jT3_P12ihipStream_tbPNSt15iterator_traitsISI_E10value_typeEPNSO_ISJ_E10value_typeEPSK_NS1_7vsmem_tEENKUlT_SI_SJ_SK_E_clISD_PiSD_S10_EESH_SX_SI_SJ_SK_EUlSX_E_NS1_11comp_targetILNS1_3genE9ELNS1_11target_archE1100ELNS1_3gpuE3ELNS1_3repE0EEENS1_48merge_mergepath_partition_config_static_selectorELNS0_4arch9wavefront6targetE1EEEvSJ_
	.globl	_ZN7rocprim17ROCPRIM_400000_NS6detail17trampoline_kernelINS0_14default_configENS1_38merge_sort_block_merge_config_selectorIiiEEZZNS1_27merge_sort_block_merge_implIS3_N6thrust23THRUST_200600_302600_NS6detail15normal_iteratorINS8_10device_ptrIiEEEESD_jNS1_19radix_merge_compareILb0ELb1EiNS0_19identity_decomposerEEEEE10hipError_tT0_T1_T2_jT3_P12ihipStream_tbPNSt15iterator_traitsISI_E10value_typeEPNSO_ISJ_E10value_typeEPSK_NS1_7vsmem_tEENKUlT_SI_SJ_SK_E_clISD_PiSD_S10_EESH_SX_SI_SJ_SK_EUlSX_E_NS1_11comp_targetILNS1_3genE9ELNS1_11target_archE1100ELNS1_3gpuE3ELNS1_3repE0EEENS1_48merge_mergepath_partition_config_static_selectorELNS0_4arch9wavefront6targetE1EEEvSJ_
	.p2align	8
	.type	_ZN7rocprim17ROCPRIM_400000_NS6detail17trampoline_kernelINS0_14default_configENS1_38merge_sort_block_merge_config_selectorIiiEEZZNS1_27merge_sort_block_merge_implIS3_N6thrust23THRUST_200600_302600_NS6detail15normal_iteratorINS8_10device_ptrIiEEEESD_jNS1_19radix_merge_compareILb0ELb1EiNS0_19identity_decomposerEEEEE10hipError_tT0_T1_T2_jT3_P12ihipStream_tbPNSt15iterator_traitsISI_E10value_typeEPNSO_ISJ_E10value_typeEPSK_NS1_7vsmem_tEENKUlT_SI_SJ_SK_E_clISD_PiSD_S10_EESH_SX_SI_SJ_SK_EUlSX_E_NS1_11comp_targetILNS1_3genE9ELNS1_11target_archE1100ELNS1_3gpuE3ELNS1_3repE0EEENS1_48merge_mergepath_partition_config_static_selectorELNS0_4arch9wavefront6targetE1EEEvSJ_,@function
_ZN7rocprim17ROCPRIM_400000_NS6detail17trampoline_kernelINS0_14default_configENS1_38merge_sort_block_merge_config_selectorIiiEEZZNS1_27merge_sort_block_merge_implIS3_N6thrust23THRUST_200600_302600_NS6detail15normal_iteratorINS8_10device_ptrIiEEEESD_jNS1_19radix_merge_compareILb0ELb1EiNS0_19identity_decomposerEEEEE10hipError_tT0_T1_T2_jT3_P12ihipStream_tbPNSt15iterator_traitsISI_E10value_typeEPNSO_ISJ_E10value_typeEPSK_NS1_7vsmem_tEENKUlT_SI_SJ_SK_E_clISD_PiSD_S10_EESH_SX_SI_SJ_SK_EUlSX_E_NS1_11comp_targetILNS1_3genE9ELNS1_11target_archE1100ELNS1_3gpuE3ELNS1_3repE0EEENS1_48merge_mergepath_partition_config_static_selectorELNS0_4arch9wavefront6targetE1EEEvSJ_: ; @_ZN7rocprim17ROCPRIM_400000_NS6detail17trampoline_kernelINS0_14default_configENS1_38merge_sort_block_merge_config_selectorIiiEEZZNS1_27merge_sort_block_merge_implIS3_N6thrust23THRUST_200600_302600_NS6detail15normal_iteratorINS8_10device_ptrIiEEEESD_jNS1_19radix_merge_compareILb0ELb1EiNS0_19identity_decomposerEEEEE10hipError_tT0_T1_T2_jT3_P12ihipStream_tbPNSt15iterator_traitsISI_E10value_typeEPNSO_ISJ_E10value_typeEPSK_NS1_7vsmem_tEENKUlT_SI_SJ_SK_E_clISD_PiSD_S10_EESH_SX_SI_SJ_SK_EUlSX_E_NS1_11comp_targetILNS1_3genE9ELNS1_11target_archE1100ELNS1_3gpuE3ELNS1_3repE0EEENS1_48merge_mergepath_partition_config_static_selectorELNS0_4arch9wavefront6targetE1EEEvSJ_
; %bb.0:
	.section	.rodata,"a",@progbits
	.p2align	6, 0x0
	.amdhsa_kernel _ZN7rocprim17ROCPRIM_400000_NS6detail17trampoline_kernelINS0_14default_configENS1_38merge_sort_block_merge_config_selectorIiiEEZZNS1_27merge_sort_block_merge_implIS3_N6thrust23THRUST_200600_302600_NS6detail15normal_iteratorINS8_10device_ptrIiEEEESD_jNS1_19radix_merge_compareILb0ELb1EiNS0_19identity_decomposerEEEEE10hipError_tT0_T1_T2_jT3_P12ihipStream_tbPNSt15iterator_traitsISI_E10value_typeEPNSO_ISJ_E10value_typeEPSK_NS1_7vsmem_tEENKUlT_SI_SJ_SK_E_clISD_PiSD_S10_EESH_SX_SI_SJ_SK_EUlSX_E_NS1_11comp_targetILNS1_3genE9ELNS1_11target_archE1100ELNS1_3gpuE3ELNS1_3repE0EEENS1_48merge_mergepath_partition_config_static_selectorELNS0_4arch9wavefront6targetE1EEEvSJ_
		.amdhsa_group_segment_fixed_size 0
		.amdhsa_private_segment_fixed_size 0
		.amdhsa_kernarg_size 40
		.amdhsa_user_sgpr_count 2
		.amdhsa_user_sgpr_dispatch_ptr 0
		.amdhsa_user_sgpr_queue_ptr 0
		.amdhsa_user_sgpr_kernarg_segment_ptr 1
		.amdhsa_user_sgpr_dispatch_id 0
		.amdhsa_user_sgpr_kernarg_preload_length 0
		.amdhsa_user_sgpr_kernarg_preload_offset 0
		.amdhsa_user_sgpr_private_segment_size 0
		.amdhsa_uses_dynamic_stack 0
		.amdhsa_enable_private_segment 0
		.amdhsa_system_sgpr_workgroup_id_x 1
		.amdhsa_system_sgpr_workgroup_id_y 0
		.amdhsa_system_sgpr_workgroup_id_z 0
		.amdhsa_system_sgpr_workgroup_info 0
		.amdhsa_system_vgpr_workitem_id 0
		.amdhsa_next_free_vgpr 1
		.amdhsa_next_free_sgpr 0
		.amdhsa_accum_offset 4
		.amdhsa_reserve_vcc 0
		.amdhsa_float_round_mode_32 0
		.amdhsa_float_round_mode_16_64 0
		.amdhsa_float_denorm_mode_32 3
		.amdhsa_float_denorm_mode_16_64 3
		.amdhsa_dx10_clamp 1
		.amdhsa_ieee_mode 1
		.amdhsa_fp16_overflow 0
		.amdhsa_tg_split 0
		.amdhsa_exception_fp_ieee_invalid_op 0
		.amdhsa_exception_fp_denorm_src 0
		.amdhsa_exception_fp_ieee_div_zero 0
		.amdhsa_exception_fp_ieee_overflow 0
		.amdhsa_exception_fp_ieee_underflow 0
		.amdhsa_exception_fp_ieee_inexact 0
		.amdhsa_exception_int_div_zero 0
	.end_amdhsa_kernel
	.section	.text._ZN7rocprim17ROCPRIM_400000_NS6detail17trampoline_kernelINS0_14default_configENS1_38merge_sort_block_merge_config_selectorIiiEEZZNS1_27merge_sort_block_merge_implIS3_N6thrust23THRUST_200600_302600_NS6detail15normal_iteratorINS8_10device_ptrIiEEEESD_jNS1_19radix_merge_compareILb0ELb1EiNS0_19identity_decomposerEEEEE10hipError_tT0_T1_T2_jT3_P12ihipStream_tbPNSt15iterator_traitsISI_E10value_typeEPNSO_ISJ_E10value_typeEPSK_NS1_7vsmem_tEENKUlT_SI_SJ_SK_E_clISD_PiSD_S10_EESH_SX_SI_SJ_SK_EUlSX_E_NS1_11comp_targetILNS1_3genE9ELNS1_11target_archE1100ELNS1_3gpuE3ELNS1_3repE0EEENS1_48merge_mergepath_partition_config_static_selectorELNS0_4arch9wavefront6targetE1EEEvSJ_,"axG",@progbits,_ZN7rocprim17ROCPRIM_400000_NS6detail17trampoline_kernelINS0_14default_configENS1_38merge_sort_block_merge_config_selectorIiiEEZZNS1_27merge_sort_block_merge_implIS3_N6thrust23THRUST_200600_302600_NS6detail15normal_iteratorINS8_10device_ptrIiEEEESD_jNS1_19radix_merge_compareILb0ELb1EiNS0_19identity_decomposerEEEEE10hipError_tT0_T1_T2_jT3_P12ihipStream_tbPNSt15iterator_traitsISI_E10value_typeEPNSO_ISJ_E10value_typeEPSK_NS1_7vsmem_tEENKUlT_SI_SJ_SK_E_clISD_PiSD_S10_EESH_SX_SI_SJ_SK_EUlSX_E_NS1_11comp_targetILNS1_3genE9ELNS1_11target_archE1100ELNS1_3gpuE3ELNS1_3repE0EEENS1_48merge_mergepath_partition_config_static_selectorELNS0_4arch9wavefront6targetE1EEEvSJ_,comdat
.Lfunc_end786:
	.size	_ZN7rocprim17ROCPRIM_400000_NS6detail17trampoline_kernelINS0_14default_configENS1_38merge_sort_block_merge_config_selectorIiiEEZZNS1_27merge_sort_block_merge_implIS3_N6thrust23THRUST_200600_302600_NS6detail15normal_iteratorINS8_10device_ptrIiEEEESD_jNS1_19radix_merge_compareILb0ELb1EiNS0_19identity_decomposerEEEEE10hipError_tT0_T1_T2_jT3_P12ihipStream_tbPNSt15iterator_traitsISI_E10value_typeEPNSO_ISJ_E10value_typeEPSK_NS1_7vsmem_tEENKUlT_SI_SJ_SK_E_clISD_PiSD_S10_EESH_SX_SI_SJ_SK_EUlSX_E_NS1_11comp_targetILNS1_3genE9ELNS1_11target_archE1100ELNS1_3gpuE3ELNS1_3repE0EEENS1_48merge_mergepath_partition_config_static_selectorELNS0_4arch9wavefront6targetE1EEEvSJ_, .Lfunc_end786-_ZN7rocprim17ROCPRIM_400000_NS6detail17trampoline_kernelINS0_14default_configENS1_38merge_sort_block_merge_config_selectorIiiEEZZNS1_27merge_sort_block_merge_implIS3_N6thrust23THRUST_200600_302600_NS6detail15normal_iteratorINS8_10device_ptrIiEEEESD_jNS1_19radix_merge_compareILb0ELb1EiNS0_19identity_decomposerEEEEE10hipError_tT0_T1_T2_jT3_P12ihipStream_tbPNSt15iterator_traitsISI_E10value_typeEPNSO_ISJ_E10value_typeEPSK_NS1_7vsmem_tEENKUlT_SI_SJ_SK_E_clISD_PiSD_S10_EESH_SX_SI_SJ_SK_EUlSX_E_NS1_11comp_targetILNS1_3genE9ELNS1_11target_archE1100ELNS1_3gpuE3ELNS1_3repE0EEENS1_48merge_mergepath_partition_config_static_selectorELNS0_4arch9wavefront6targetE1EEEvSJ_
                                        ; -- End function
	.set _ZN7rocprim17ROCPRIM_400000_NS6detail17trampoline_kernelINS0_14default_configENS1_38merge_sort_block_merge_config_selectorIiiEEZZNS1_27merge_sort_block_merge_implIS3_N6thrust23THRUST_200600_302600_NS6detail15normal_iteratorINS8_10device_ptrIiEEEESD_jNS1_19radix_merge_compareILb0ELb1EiNS0_19identity_decomposerEEEEE10hipError_tT0_T1_T2_jT3_P12ihipStream_tbPNSt15iterator_traitsISI_E10value_typeEPNSO_ISJ_E10value_typeEPSK_NS1_7vsmem_tEENKUlT_SI_SJ_SK_E_clISD_PiSD_S10_EESH_SX_SI_SJ_SK_EUlSX_E_NS1_11comp_targetILNS1_3genE9ELNS1_11target_archE1100ELNS1_3gpuE3ELNS1_3repE0EEENS1_48merge_mergepath_partition_config_static_selectorELNS0_4arch9wavefront6targetE1EEEvSJ_.num_vgpr, 0
	.set _ZN7rocprim17ROCPRIM_400000_NS6detail17trampoline_kernelINS0_14default_configENS1_38merge_sort_block_merge_config_selectorIiiEEZZNS1_27merge_sort_block_merge_implIS3_N6thrust23THRUST_200600_302600_NS6detail15normal_iteratorINS8_10device_ptrIiEEEESD_jNS1_19radix_merge_compareILb0ELb1EiNS0_19identity_decomposerEEEEE10hipError_tT0_T1_T2_jT3_P12ihipStream_tbPNSt15iterator_traitsISI_E10value_typeEPNSO_ISJ_E10value_typeEPSK_NS1_7vsmem_tEENKUlT_SI_SJ_SK_E_clISD_PiSD_S10_EESH_SX_SI_SJ_SK_EUlSX_E_NS1_11comp_targetILNS1_3genE9ELNS1_11target_archE1100ELNS1_3gpuE3ELNS1_3repE0EEENS1_48merge_mergepath_partition_config_static_selectorELNS0_4arch9wavefront6targetE1EEEvSJ_.num_agpr, 0
	.set _ZN7rocprim17ROCPRIM_400000_NS6detail17trampoline_kernelINS0_14default_configENS1_38merge_sort_block_merge_config_selectorIiiEEZZNS1_27merge_sort_block_merge_implIS3_N6thrust23THRUST_200600_302600_NS6detail15normal_iteratorINS8_10device_ptrIiEEEESD_jNS1_19radix_merge_compareILb0ELb1EiNS0_19identity_decomposerEEEEE10hipError_tT0_T1_T2_jT3_P12ihipStream_tbPNSt15iterator_traitsISI_E10value_typeEPNSO_ISJ_E10value_typeEPSK_NS1_7vsmem_tEENKUlT_SI_SJ_SK_E_clISD_PiSD_S10_EESH_SX_SI_SJ_SK_EUlSX_E_NS1_11comp_targetILNS1_3genE9ELNS1_11target_archE1100ELNS1_3gpuE3ELNS1_3repE0EEENS1_48merge_mergepath_partition_config_static_selectorELNS0_4arch9wavefront6targetE1EEEvSJ_.numbered_sgpr, 0
	.set _ZN7rocprim17ROCPRIM_400000_NS6detail17trampoline_kernelINS0_14default_configENS1_38merge_sort_block_merge_config_selectorIiiEEZZNS1_27merge_sort_block_merge_implIS3_N6thrust23THRUST_200600_302600_NS6detail15normal_iteratorINS8_10device_ptrIiEEEESD_jNS1_19radix_merge_compareILb0ELb1EiNS0_19identity_decomposerEEEEE10hipError_tT0_T1_T2_jT3_P12ihipStream_tbPNSt15iterator_traitsISI_E10value_typeEPNSO_ISJ_E10value_typeEPSK_NS1_7vsmem_tEENKUlT_SI_SJ_SK_E_clISD_PiSD_S10_EESH_SX_SI_SJ_SK_EUlSX_E_NS1_11comp_targetILNS1_3genE9ELNS1_11target_archE1100ELNS1_3gpuE3ELNS1_3repE0EEENS1_48merge_mergepath_partition_config_static_selectorELNS0_4arch9wavefront6targetE1EEEvSJ_.num_named_barrier, 0
	.set _ZN7rocprim17ROCPRIM_400000_NS6detail17trampoline_kernelINS0_14default_configENS1_38merge_sort_block_merge_config_selectorIiiEEZZNS1_27merge_sort_block_merge_implIS3_N6thrust23THRUST_200600_302600_NS6detail15normal_iteratorINS8_10device_ptrIiEEEESD_jNS1_19radix_merge_compareILb0ELb1EiNS0_19identity_decomposerEEEEE10hipError_tT0_T1_T2_jT3_P12ihipStream_tbPNSt15iterator_traitsISI_E10value_typeEPNSO_ISJ_E10value_typeEPSK_NS1_7vsmem_tEENKUlT_SI_SJ_SK_E_clISD_PiSD_S10_EESH_SX_SI_SJ_SK_EUlSX_E_NS1_11comp_targetILNS1_3genE9ELNS1_11target_archE1100ELNS1_3gpuE3ELNS1_3repE0EEENS1_48merge_mergepath_partition_config_static_selectorELNS0_4arch9wavefront6targetE1EEEvSJ_.private_seg_size, 0
	.set _ZN7rocprim17ROCPRIM_400000_NS6detail17trampoline_kernelINS0_14default_configENS1_38merge_sort_block_merge_config_selectorIiiEEZZNS1_27merge_sort_block_merge_implIS3_N6thrust23THRUST_200600_302600_NS6detail15normal_iteratorINS8_10device_ptrIiEEEESD_jNS1_19radix_merge_compareILb0ELb1EiNS0_19identity_decomposerEEEEE10hipError_tT0_T1_T2_jT3_P12ihipStream_tbPNSt15iterator_traitsISI_E10value_typeEPNSO_ISJ_E10value_typeEPSK_NS1_7vsmem_tEENKUlT_SI_SJ_SK_E_clISD_PiSD_S10_EESH_SX_SI_SJ_SK_EUlSX_E_NS1_11comp_targetILNS1_3genE9ELNS1_11target_archE1100ELNS1_3gpuE3ELNS1_3repE0EEENS1_48merge_mergepath_partition_config_static_selectorELNS0_4arch9wavefront6targetE1EEEvSJ_.uses_vcc, 0
	.set _ZN7rocprim17ROCPRIM_400000_NS6detail17trampoline_kernelINS0_14default_configENS1_38merge_sort_block_merge_config_selectorIiiEEZZNS1_27merge_sort_block_merge_implIS3_N6thrust23THRUST_200600_302600_NS6detail15normal_iteratorINS8_10device_ptrIiEEEESD_jNS1_19radix_merge_compareILb0ELb1EiNS0_19identity_decomposerEEEEE10hipError_tT0_T1_T2_jT3_P12ihipStream_tbPNSt15iterator_traitsISI_E10value_typeEPNSO_ISJ_E10value_typeEPSK_NS1_7vsmem_tEENKUlT_SI_SJ_SK_E_clISD_PiSD_S10_EESH_SX_SI_SJ_SK_EUlSX_E_NS1_11comp_targetILNS1_3genE9ELNS1_11target_archE1100ELNS1_3gpuE3ELNS1_3repE0EEENS1_48merge_mergepath_partition_config_static_selectorELNS0_4arch9wavefront6targetE1EEEvSJ_.uses_flat_scratch, 0
	.set _ZN7rocprim17ROCPRIM_400000_NS6detail17trampoline_kernelINS0_14default_configENS1_38merge_sort_block_merge_config_selectorIiiEEZZNS1_27merge_sort_block_merge_implIS3_N6thrust23THRUST_200600_302600_NS6detail15normal_iteratorINS8_10device_ptrIiEEEESD_jNS1_19radix_merge_compareILb0ELb1EiNS0_19identity_decomposerEEEEE10hipError_tT0_T1_T2_jT3_P12ihipStream_tbPNSt15iterator_traitsISI_E10value_typeEPNSO_ISJ_E10value_typeEPSK_NS1_7vsmem_tEENKUlT_SI_SJ_SK_E_clISD_PiSD_S10_EESH_SX_SI_SJ_SK_EUlSX_E_NS1_11comp_targetILNS1_3genE9ELNS1_11target_archE1100ELNS1_3gpuE3ELNS1_3repE0EEENS1_48merge_mergepath_partition_config_static_selectorELNS0_4arch9wavefront6targetE1EEEvSJ_.has_dyn_sized_stack, 0
	.set _ZN7rocprim17ROCPRIM_400000_NS6detail17trampoline_kernelINS0_14default_configENS1_38merge_sort_block_merge_config_selectorIiiEEZZNS1_27merge_sort_block_merge_implIS3_N6thrust23THRUST_200600_302600_NS6detail15normal_iteratorINS8_10device_ptrIiEEEESD_jNS1_19radix_merge_compareILb0ELb1EiNS0_19identity_decomposerEEEEE10hipError_tT0_T1_T2_jT3_P12ihipStream_tbPNSt15iterator_traitsISI_E10value_typeEPNSO_ISJ_E10value_typeEPSK_NS1_7vsmem_tEENKUlT_SI_SJ_SK_E_clISD_PiSD_S10_EESH_SX_SI_SJ_SK_EUlSX_E_NS1_11comp_targetILNS1_3genE9ELNS1_11target_archE1100ELNS1_3gpuE3ELNS1_3repE0EEENS1_48merge_mergepath_partition_config_static_selectorELNS0_4arch9wavefront6targetE1EEEvSJ_.has_recursion, 0
	.set _ZN7rocprim17ROCPRIM_400000_NS6detail17trampoline_kernelINS0_14default_configENS1_38merge_sort_block_merge_config_selectorIiiEEZZNS1_27merge_sort_block_merge_implIS3_N6thrust23THRUST_200600_302600_NS6detail15normal_iteratorINS8_10device_ptrIiEEEESD_jNS1_19radix_merge_compareILb0ELb1EiNS0_19identity_decomposerEEEEE10hipError_tT0_T1_T2_jT3_P12ihipStream_tbPNSt15iterator_traitsISI_E10value_typeEPNSO_ISJ_E10value_typeEPSK_NS1_7vsmem_tEENKUlT_SI_SJ_SK_E_clISD_PiSD_S10_EESH_SX_SI_SJ_SK_EUlSX_E_NS1_11comp_targetILNS1_3genE9ELNS1_11target_archE1100ELNS1_3gpuE3ELNS1_3repE0EEENS1_48merge_mergepath_partition_config_static_selectorELNS0_4arch9wavefront6targetE1EEEvSJ_.has_indirect_call, 0
	.section	.AMDGPU.csdata,"",@progbits
; Kernel info:
; codeLenInByte = 0
; TotalNumSgprs: 6
; NumVgprs: 0
; NumAgprs: 0
; TotalNumVgprs: 0
; ScratchSize: 0
; MemoryBound: 0
; FloatMode: 240
; IeeeMode: 1
; LDSByteSize: 0 bytes/workgroup (compile time only)
; SGPRBlocks: 0
; VGPRBlocks: 0
; NumSGPRsForWavesPerEU: 6
; NumVGPRsForWavesPerEU: 1
; AccumOffset: 4
; Occupancy: 8
; WaveLimiterHint : 0
; COMPUTE_PGM_RSRC2:SCRATCH_EN: 0
; COMPUTE_PGM_RSRC2:USER_SGPR: 2
; COMPUTE_PGM_RSRC2:TRAP_HANDLER: 0
; COMPUTE_PGM_RSRC2:TGID_X_EN: 1
; COMPUTE_PGM_RSRC2:TGID_Y_EN: 0
; COMPUTE_PGM_RSRC2:TGID_Z_EN: 0
; COMPUTE_PGM_RSRC2:TIDIG_COMP_CNT: 0
; COMPUTE_PGM_RSRC3_GFX90A:ACCUM_OFFSET: 0
; COMPUTE_PGM_RSRC3_GFX90A:TG_SPLIT: 0
	.section	.text._ZN7rocprim17ROCPRIM_400000_NS6detail17trampoline_kernelINS0_14default_configENS1_38merge_sort_block_merge_config_selectorIiiEEZZNS1_27merge_sort_block_merge_implIS3_N6thrust23THRUST_200600_302600_NS6detail15normal_iteratorINS8_10device_ptrIiEEEESD_jNS1_19radix_merge_compareILb0ELb1EiNS0_19identity_decomposerEEEEE10hipError_tT0_T1_T2_jT3_P12ihipStream_tbPNSt15iterator_traitsISI_E10value_typeEPNSO_ISJ_E10value_typeEPSK_NS1_7vsmem_tEENKUlT_SI_SJ_SK_E_clISD_PiSD_S10_EESH_SX_SI_SJ_SK_EUlSX_E_NS1_11comp_targetILNS1_3genE8ELNS1_11target_archE1030ELNS1_3gpuE2ELNS1_3repE0EEENS1_48merge_mergepath_partition_config_static_selectorELNS0_4arch9wavefront6targetE1EEEvSJ_,"axG",@progbits,_ZN7rocprim17ROCPRIM_400000_NS6detail17trampoline_kernelINS0_14default_configENS1_38merge_sort_block_merge_config_selectorIiiEEZZNS1_27merge_sort_block_merge_implIS3_N6thrust23THRUST_200600_302600_NS6detail15normal_iteratorINS8_10device_ptrIiEEEESD_jNS1_19radix_merge_compareILb0ELb1EiNS0_19identity_decomposerEEEEE10hipError_tT0_T1_T2_jT3_P12ihipStream_tbPNSt15iterator_traitsISI_E10value_typeEPNSO_ISJ_E10value_typeEPSK_NS1_7vsmem_tEENKUlT_SI_SJ_SK_E_clISD_PiSD_S10_EESH_SX_SI_SJ_SK_EUlSX_E_NS1_11comp_targetILNS1_3genE8ELNS1_11target_archE1030ELNS1_3gpuE2ELNS1_3repE0EEENS1_48merge_mergepath_partition_config_static_selectorELNS0_4arch9wavefront6targetE1EEEvSJ_,comdat
	.protected	_ZN7rocprim17ROCPRIM_400000_NS6detail17trampoline_kernelINS0_14default_configENS1_38merge_sort_block_merge_config_selectorIiiEEZZNS1_27merge_sort_block_merge_implIS3_N6thrust23THRUST_200600_302600_NS6detail15normal_iteratorINS8_10device_ptrIiEEEESD_jNS1_19radix_merge_compareILb0ELb1EiNS0_19identity_decomposerEEEEE10hipError_tT0_T1_T2_jT3_P12ihipStream_tbPNSt15iterator_traitsISI_E10value_typeEPNSO_ISJ_E10value_typeEPSK_NS1_7vsmem_tEENKUlT_SI_SJ_SK_E_clISD_PiSD_S10_EESH_SX_SI_SJ_SK_EUlSX_E_NS1_11comp_targetILNS1_3genE8ELNS1_11target_archE1030ELNS1_3gpuE2ELNS1_3repE0EEENS1_48merge_mergepath_partition_config_static_selectorELNS0_4arch9wavefront6targetE1EEEvSJ_ ; -- Begin function _ZN7rocprim17ROCPRIM_400000_NS6detail17trampoline_kernelINS0_14default_configENS1_38merge_sort_block_merge_config_selectorIiiEEZZNS1_27merge_sort_block_merge_implIS3_N6thrust23THRUST_200600_302600_NS6detail15normal_iteratorINS8_10device_ptrIiEEEESD_jNS1_19radix_merge_compareILb0ELb1EiNS0_19identity_decomposerEEEEE10hipError_tT0_T1_T2_jT3_P12ihipStream_tbPNSt15iterator_traitsISI_E10value_typeEPNSO_ISJ_E10value_typeEPSK_NS1_7vsmem_tEENKUlT_SI_SJ_SK_E_clISD_PiSD_S10_EESH_SX_SI_SJ_SK_EUlSX_E_NS1_11comp_targetILNS1_3genE8ELNS1_11target_archE1030ELNS1_3gpuE2ELNS1_3repE0EEENS1_48merge_mergepath_partition_config_static_selectorELNS0_4arch9wavefront6targetE1EEEvSJ_
	.globl	_ZN7rocprim17ROCPRIM_400000_NS6detail17trampoline_kernelINS0_14default_configENS1_38merge_sort_block_merge_config_selectorIiiEEZZNS1_27merge_sort_block_merge_implIS3_N6thrust23THRUST_200600_302600_NS6detail15normal_iteratorINS8_10device_ptrIiEEEESD_jNS1_19radix_merge_compareILb0ELb1EiNS0_19identity_decomposerEEEEE10hipError_tT0_T1_T2_jT3_P12ihipStream_tbPNSt15iterator_traitsISI_E10value_typeEPNSO_ISJ_E10value_typeEPSK_NS1_7vsmem_tEENKUlT_SI_SJ_SK_E_clISD_PiSD_S10_EESH_SX_SI_SJ_SK_EUlSX_E_NS1_11comp_targetILNS1_3genE8ELNS1_11target_archE1030ELNS1_3gpuE2ELNS1_3repE0EEENS1_48merge_mergepath_partition_config_static_selectorELNS0_4arch9wavefront6targetE1EEEvSJ_
	.p2align	8
	.type	_ZN7rocprim17ROCPRIM_400000_NS6detail17trampoline_kernelINS0_14default_configENS1_38merge_sort_block_merge_config_selectorIiiEEZZNS1_27merge_sort_block_merge_implIS3_N6thrust23THRUST_200600_302600_NS6detail15normal_iteratorINS8_10device_ptrIiEEEESD_jNS1_19radix_merge_compareILb0ELb1EiNS0_19identity_decomposerEEEEE10hipError_tT0_T1_T2_jT3_P12ihipStream_tbPNSt15iterator_traitsISI_E10value_typeEPNSO_ISJ_E10value_typeEPSK_NS1_7vsmem_tEENKUlT_SI_SJ_SK_E_clISD_PiSD_S10_EESH_SX_SI_SJ_SK_EUlSX_E_NS1_11comp_targetILNS1_3genE8ELNS1_11target_archE1030ELNS1_3gpuE2ELNS1_3repE0EEENS1_48merge_mergepath_partition_config_static_selectorELNS0_4arch9wavefront6targetE1EEEvSJ_,@function
_ZN7rocprim17ROCPRIM_400000_NS6detail17trampoline_kernelINS0_14default_configENS1_38merge_sort_block_merge_config_selectorIiiEEZZNS1_27merge_sort_block_merge_implIS3_N6thrust23THRUST_200600_302600_NS6detail15normal_iteratorINS8_10device_ptrIiEEEESD_jNS1_19radix_merge_compareILb0ELb1EiNS0_19identity_decomposerEEEEE10hipError_tT0_T1_T2_jT3_P12ihipStream_tbPNSt15iterator_traitsISI_E10value_typeEPNSO_ISJ_E10value_typeEPSK_NS1_7vsmem_tEENKUlT_SI_SJ_SK_E_clISD_PiSD_S10_EESH_SX_SI_SJ_SK_EUlSX_E_NS1_11comp_targetILNS1_3genE8ELNS1_11target_archE1030ELNS1_3gpuE2ELNS1_3repE0EEENS1_48merge_mergepath_partition_config_static_selectorELNS0_4arch9wavefront6targetE1EEEvSJ_: ; @_ZN7rocprim17ROCPRIM_400000_NS6detail17trampoline_kernelINS0_14default_configENS1_38merge_sort_block_merge_config_selectorIiiEEZZNS1_27merge_sort_block_merge_implIS3_N6thrust23THRUST_200600_302600_NS6detail15normal_iteratorINS8_10device_ptrIiEEEESD_jNS1_19radix_merge_compareILb0ELb1EiNS0_19identity_decomposerEEEEE10hipError_tT0_T1_T2_jT3_P12ihipStream_tbPNSt15iterator_traitsISI_E10value_typeEPNSO_ISJ_E10value_typeEPSK_NS1_7vsmem_tEENKUlT_SI_SJ_SK_E_clISD_PiSD_S10_EESH_SX_SI_SJ_SK_EUlSX_E_NS1_11comp_targetILNS1_3genE8ELNS1_11target_archE1030ELNS1_3gpuE2ELNS1_3repE0EEENS1_48merge_mergepath_partition_config_static_selectorELNS0_4arch9wavefront6targetE1EEEvSJ_
; %bb.0:
	.section	.rodata,"a",@progbits
	.p2align	6, 0x0
	.amdhsa_kernel _ZN7rocprim17ROCPRIM_400000_NS6detail17trampoline_kernelINS0_14default_configENS1_38merge_sort_block_merge_config_selectorIiiEEZZNS1_27merge_sort_block_merge_implIS3_N6thrust23THRUST_200600_302600_NS6detail15normal_iteratorINS8_10device_ptrIiEEEESD_jNS1_19radix_merge_compareILb0ELb1EiNS0_19identity_decomposerEEEEE10hipError_tT0_T1_T2_jT3_P12ihipStream_tbPNSt15iterator_traitsISI_E10value_typeEPNSO_ISJ_E10value_typeEPSK_NS1_7vsmem_tEENKUlT_SI_SJ_SK_E_clISD_PiSD_S10_EESH_SX_SI_SJ_SK_EUlSX_E_NS1_11comp_targetILNS1_3genE8ELNS1_11target_archE1030ELNS1_3gpuE2ELNS1_3repE0EEENS1_48merge_mergepath_partition_config_static_selectorELNS0_4arch9wavefront6targetE1EEEvSJ_
		.amdhsa_group_segment_fixed_size 0
		.amdhsa_private_segment_fixed_size 0
		.amdhsa_kernarg_size 40
		.amdhsa_user_sgpr_count 2
		.amdhsa_user_sgpr_dispatch_ptr 0
		.amdhsa_user_sgpr_queue_ptr 0
		.amdhsa_user_sgpr_kernarg_segment_ptr 1
		.amdhsa_user_sgpr_dispatch_id 0
		.amdhsa_user_sgpr_kernarg_preload_length 0
		.amdhsa_user_sgpr_kernarg_preload_offset 0
		.amdhsa_user_sgpr_private_segment_size 0
		.amdhsa_uses_dynamic_stack 0
		.amdhsa_enable_private_segment 0
		.amdhsa_system_sgpr_workgroup_id_x 1
		.amdhsa_system_sgpr_workgroup_id_y 0
		.amdhsa_system_sgpr_workgroup_id_z 0
		.amdhsa_system_sgpr_workgroup_info 0
		.amdhsa_system_vgpr_workitem_id 0
		.amdhsa_next_free_vgpr 1
		.amdhsa_next_free_sgpr 0
		.amdhsa_accum_offset 4
		.amdhsa_reserve_vcc 0
		.amdhsa_float_round_mode_32 0
		.amdhsa_float_round_mode_16_64 0
		.amdhsa_float_denorm_mode_32 3
		.amdhsa_float_denorm_mode_16_64 3
		.amdhsa_dx10_clamp 1
		.amdhsa_ieee_mode 1
		.amdhsa_fp16_overflow 0
		.amdhsa_tg_split 0
		.amdhsa_exception_fp_ieee_invalid_op 0
		.amdhsa_exception_fp_denorm_src 0
		.amdhsa_exception_fp_ieee_div_zero 0
		.amdhsa_exception_fp_ieee_overflow 0
		.amdhsa_exception_fp_ieee_underflow 0
		.amdhsa_exception_fp_ieee_inexact 0
		.amdhsa_exception_int_div_zero 0
	.end_amdhsa_kernel
	.section	.text._ZN7rocprim17ROCPRIM_400000_NS6detail17trampoline_kernelINS0_14default_configENS1_38merge_sort_block_merge_config_selectorIiiEEZZNS1_27merge_sort_block_merge_implIS3_N6thrust23THRUST_200600_302600_NS6detail15normal_iteratorINS8_10device_ptrIiEEEESD_jNS1_19radix_merge_compareILb0ELb1EiNS0_19identity_decomposerEEEEE10hipError_tT0_T1_T2_jT3_P12ihipStream_tbPNSt15iterator_traitsISI_E10value_typeEPNSO_ISJ_E10value_typeEPSK_NS1_7vsmem_tEENKUlT_SI_SJ_SK_E_clISD_PiSD_S10_EESH_SX_SI_SJ_SK_EUlSX_E_NS1_11comp_targetILNS1_3genE8ELNS1_11target_archE1030ELNS1_3gpuE2ELNS1_3repE0EEENS1_48merge_mergepath_partition_config_static_selectorELNS0_4arch9wavefront6targetE1EEEvSJ_,"axG",@progbits,_ZN7rocprim17ROCPRIM_400000_NS6detail17trampoline_kernelINS0_14default_configENS1_38merge_sort_block_merge_config_selectorIiiEEZZNS1_27merge_sort_block_merge_implIS3_N6thrust23THRUST_200600_302600_NS6detail15normal_iteratorINS8_10device_ptrIiEEEESD_jNS1_19radix_merge_compareILb0ELb1EiNS0_19identity_decomposerEEEEE10hipError_tT0_T1_T2_jT3_P12ihipStream_tbPNSt15iterator_traitsISI_E10value_typeEPNSO_ISJ_E10value_typeEPSK_NS1_7vsmem_tEENKUlT_SI_SJ_SK_E_clISD_PiSD_S10_EESH_SX_SI_SJ_SK_EUlSX_E_NS1_11comp_targetILNS1_3genE8ELNS1_11target_archE1030ELNS1_3gpuE2ELNS1_3repE0EEENS1_48merge_mergepath_partition_config_static_selectorELNS0_4arch9wavefront6targetE1EEEvSJ_,comdat
.Lfunc_end787:
	.size	_ZN7rocprim17ROCPRIM_400000_NS6detail17trampoline_kernelINS0_14default_configENS1_38merge_sort_block_merge_config_selectorIiiEEZZNS1_27merge_sort_block_merge_implIS3_N6thrust23THRUST_200600_302600_NS6detail15normal_iteratorINS8_10device_ptrIiEEEESD_jNS1_19radix_merge_compareILb0ELb1EiNS0_19identity_decomposerEEEEE10hipError_tT0_T1_T2_jT3_P12ihipStream_tbPNSt15iterator_traitsISI_E10value_typeEPNSO_ISJ_E10value_typeEPSK_NS1_7vsmem_tEENKUlT_SI_SJ_SK_E_clISD_PiSD_S10_EESH_SX_SI_SJ_SK_EUlSX_E_NS1_11comp_targetILNS1_3genE8ELNS1_11target_archE1030ELNS1_3gpuE2ELNS1_3repE0EEENS1_48merge_mergepath_partition_config_static_selectorELNS0_4arch9wavefront6targetE1EEEvSJ_, .Lfunc_end787-_ZN7rocprim17ROCPRIM_400000_NS6detail17trampoline_kernelINS0_14default_configENS1_38merge_sort_block_merge_config_selectorIiiEEZZNS1_27merge_sort_block_merge_implIS3_N6thrust23THRUST_200600_302600_NS6detail15normal_iteratorINS8_10device_ptrIiEEEESD_jNS1_19radix_merge_compareILb0ELb1EiNS0_19identity_decomposerEEEEE10hipError_tT0_T1_T2_jT3_P12ihipStream_tbPNSt15iterator_traitsISI_E10value_typeEPNSO_ISJ_E10value_typeEPSK_NS1_7vsmem_tEENKUlT_SI_SJ_SK_E_clISD_PiSD_S10_EESH_SX_SI_SJ_SK_EUlSX_E_NS1_11comp_targetILNS1_3genE8ELNS1_11target_archE1030ELNS1_3gpuE2ELNS1_3repE0EEENS1_48merge_mergepath_partition_config_static_selectorELNS0_4arch9wavefront6targetE1EEEvSJ_
                                        ; -- End function
	.set _ZN7rocprim17ROCPRIM_400000_NS6detail17trampoline_kernelINS0_14default_configENS1_38merge_sort_block_merge_config_selectorIiiEEZZNS1_27merge_sort_block_merge_implIS3_N6thrust23THRUST_200600_302600_NS6detail15normal_iteratorINS8_10device_ptrIiEEEESD_jNS1_19radix_merge_compareILb0ELb1EiNS0_19identity_decomposerEEEEE10hipError_tT0_T1_T2_jT3_P12ihipStream_tbPNSt15iterator_traitsISI_E10value_typeEPNSO_ISJ_E10value_typeEPSK_NS1_7vsmem_tEENKUlT_SI_SJ_SK_E_clISD_PiSD_S10_EESH_SX_SI_SJ_SK_EUlSX_E_NS1_11comp_targetILNS1_3genE8ELNS1_11target_archE1030ELNS1_3gpuE2ELNS1_3repE0EEENS1_48merge_mergepath_partition_config_static_selectorELNS0_4arch9wavefront6targetE1EEEvSJ_.num_vgpr, 0
	.set _ZN7rocprim17ROCPRIM_400000_NS6detail17trampoline_kernelINS0_14default_configENS1_38merge_sort_block_merge_config_selectorIiiEEZZNS1_27merge_sort_block_merge_implIS3_N6thrust23THRUST_200600_302600_NS6detail15normal_iteratorINS8_10device_ptrIiEEEESD_jNS1_19radix_merge_compareILb0ELb1EiNS0_19identity_decomposerEEEEE10hipError_tT0_T1_T2_jT3_P12ihipStream_tbPNSt15iterator_traitsISI_E10value_typeEPNSO_ISJ_E10value_typeEPSK_NS1_7vsmem_tEENKUlT_SI_SJ_SK_E_clISD_PiSD_S10_EESH_SX_SI_SJ_SK_EUlSX_E_NS1_11comp_targetILNS1_3genE8ELNS1_11target_archE1030ELNS1_3gpuE2ELNS1_3repE0EEENS1_48merge_mergepath_partition_config_static_selectorELNS0_4arch9wavefront6targetE1EEEvSJ_.num_agpr, 0
	.set _ZN7rocprim17ROCPRIM_400000_NS6detail17trampoline_kernelINS0_14default_configENS1_38merge_sort_block_merge_config_selectorIiiEEZZNS1_27merge_sort_block_merge_implIS3_N6thrust23THRUST_200600_302600_NS6detail15normal_iteratorINS8_10device_ptrIiEEEESD_jNS1_19radix_merge_compareILb0ELb1EiNS0_19identity_decomposerEEEEE10hipError_tT0_T1_T2_jT3_P12ihipStream_tbPNSt15iterator_traitsISI_E10value_typeEPNSO_ISJ_E10value_typeEPSK_NS1_7vsmem_tEENKUlT_SI_SJ_SK_E_clISD_PiSD_S10_EESH_SX_SI_SJ_SK_EUlSX_E_NS1_11comp_targetILNS1_3genE8ELNS1_11target_archE1030ELNS1_3gpuE2ELNS1_3repE0EEENS1_48merge_mergepath_partition_config_static_selectorELNS0_4arch9wavefront6targetE1EEEvSJ_.numbered_sgpr, 0
	.set _ZN7rocprim17ROCPRIM_400000_NS6detail17trampoline_kernelINS0_14default_configENS1_38merge_sort_block_merge_config_selectorIiiEEZZNS1_27merge_sort_block_merge_implIS3_N6thrust23THRUST_200600_302600_NS6detail15normal_iteratorINS8_10device_ptrIiEEEESD_jNS1_19radix_merge_compareILb0ELb1EiNS0_19identity_decomposerEEEEE10hipError_tT0_T1_T2_jT3_P12ihipStream_tbPNSt15iterator_traitsISI_E10value_typeEPNSO_ISJ_E10value_typeEPSK_NS1_7vsmem_tEENKUlT_SI_SJ_SK_E_clISD_PiSD_S10_EESH_SX_SI_SJ_SK_EUlSX_E_NS1_11comp_targetILNS1_3genE8ELNS1_11target_archE1030ELNS1_3gpuE2ELNS1_3repE0EEENS1_48merge_mergepath_partition_config_static_selectorELNS0_4arch9wavefront6targetE1EEEvSJ_.num_named_barrier, 0
	.set _ZN7rocprim17ROCPRIM_400000_NS6detail17trampoline_kernelINS0_14default_configENS1_38merge_sort_block_merge_config_selectorIiiEEZZNS1_27merge_sort_block_merge_implIS3_N6thrust23THRUST_200600_302600_NS6detail15normal_iteratorINS8_10device_ptrIiEEEESD_jNS1_19radix_merge_compareILb0ELb1EiNS0_19identity_decomposerEEEEE10hipError_tT0_T1_T2_jT3_P12ihipStream_tbPNSt15iterator_traitsISI_E10value_typeEPNSO_ISJ_E10value_typeEPSK_NS1_7vsmem_tEENKUlT_SI_SJ_SK_E_clISD_PiSD_S10_EESH_SX_SI_SJ_SK_EUlSX_E_NS1_11comp_targetILNS1_3genE8ELNS1_11target_archE1030ELNS1_3gpuE2ELNS1_3repE0EEENS1_48merge_mergepath_partition_config_static_selectorELNS0_4arch9wavefront6targetE1EEEvSJ_.private_seg_size, 0
	.set _ZN7rocprim17ROCPRIM_400000_NS6detail17trampoline_kernelINS0_14default_configENS1_38merge_sort_block_merge_config_selectorIiiEEZZNS1_27merge_sort_block_merge_implIS3_N6thrust23THRUST_200600_302600_NS6detail15normal_iteratorINS8_10device_ptrIiEEEESD_jNS1_19radix_merge_compareILb0ELb1EiNS0_19identity_decomposerEEEEE10hipError_tT0_T1_T2_jT3_P12ihipStream_tbPNSt15iterator_traitsISI_E10value_typeEPNSO_ISJ_E10value_typeEPSK_NS1_7vsmem_tEENKUlT_SI_SJ_SK_E_clISD_PiSD_S10_EESH_SX_SI_SJ_SK_EUlSX_E_NS1_11comp_targetILNS1_3genE8ELNS1_11target_archE1030ELNS1_3gpuE2ELNS1_3repE0EEENS1_48merge_mergepath_partition_config_static_selectorELNS0_4arch9wavefront6targetE1EEEvSJ_.uses_vcc, 0
	.set _ZN7rocprim17ROCPRIM_400000_NS6detail17trampoline_kernelINS0_14default_configENS1_38merge_sort_block_merge_config_selectorIiiEEZZNS1_27merge_sort_block_merge_implIS3_N6thrust23THRUST_200600_302600_NS6detail15normal_iteratorINS8_10device_ptrIiEEEESD_jNS1_19radix_merge_compareILb0ELb1EiNS0_19identity_decomposerEEEEE10hipError_tT0_T1_T2_jT3_P12ihipStream_tbPNSt15iterator_traitsISI_E10value_typeEPNSO_ISJ_E10value_typeEPSK_NS1_7vsmem_tEENKUlT_SI_SJ_SK_E_clISD_PiSD_S10_EESH_SX_SI_SJ_SK_EUlSX_E_NS1_11comp_targetILNS1_3genE8ELNS1_11target_archE1030ELNS1_3gpuE2ELNS1_3repE0EEENS1_48merge_mergepath_partition_config_static_selectorELNS0_4arch9wavefront6targetE1EEEvSJ_.uses_flat_scratch, 0
	.set _ZN7rocprim17ROCPRIM_400000_NS6detail17trampoline_kernelINS0_14default_configENS1_38merge_sort_block_merge_config_selectorIiiEEZZNS1_27merge_sort_block_merge_implIS3_N6thrust23THRUST_200600_302600_NS6detail15normal_iteratorINS8_10device_ptrIiEEEESD_jNS1_19radix_merge_compareILb0ELb1EiNS0_19identity_decomposerEEEEE10hipError_tT0_T1_T2_jT3_P12ihipStream_tbPNSt15iterator_traitsISI_E10value_typeEPNSO_ISJ_E10value_typeEPSK_NS1_7vsmem_tEENKUlT_SI_SJ_SK_E_clISD_PiSD_S10_EESH_SX_SI_SJ_SK_EUlSX_E_NS1_11comp_targetILNS1_3genE8ELNS1_11target_archE1030ELNS1_3gpuE2ELNS1_3repE0EEENS1_48merge_mergepath_partition_config_static_selectorELNS0_4arch9wavefront6targetE1EEEvSJ_.has_dyn_sized_stack, 0
	.set _ZN7rocprim17ROCPRIM_400000_NS6detail17trampoline_kernelINS0_14default_configENS1_38merge_sort_block_merge_config_selectorIiiEEZZNS1_27merge_sort_block_merge_implIS3_N6thrust23THRUST_200600_302600_NS6detail15normal_iteratorINS8_10device_ptrIiEEEESD_jNS1_19radix_merge_compareILb0ELb1EiNS0_19identity_decomposerEEEEE10hipError_tT0_T1_T2_jT3_P12ihipStream_tbPNSt15iterator_traitsISI_E10value_typeEPNSO_ISJ_E10value_typeEPSK_NS1_7vsmem_tEENKUlT_SI_SJ_SK_E_clISD_PiSD_S10_EESH_SX_SI_SJ_SK_EUlSX_E_NS1_11comp_targetILNS1_3genE8ELNS1_11target_archE1030ELNS1_3gpuE2ELNS1_3repE0EEENS1_48merge_mergepath_partition_config_static_selectorELNS0_4arch9wavefront6targetE1EEEvSJ_.has_recursion, 0
	.set _ZN7rocprim17ROCPRIM_400000_NS6detail17trampoline_kernelINS0_14default_configENS1_38merge_sort_block_merge_config_selectorIiiEEZZNS1_27merge_sort_block_merge_implIS3_N6thrust23THRUST_200600_302600_NS6detail15normal_iteratorINS8_10device_ptrIiEEEESD_jNS1_19radix_merge_compareILb0ELb1EiNS0_19identity_decomposerEEEEE10hipError_tT0_T1_T2_jT3_P12ihipStream_tbPNSt15iterator_traitsISI_E10value_typeEPNSO_ISJ_E10value_typeEPSK_NS1_7vsmem_tEENKUlT_SI_SJ_SK_E_clISD_PiSD_S10_EESH_SX_SI_SJ_SK_EUlSX_E_NS1_11comp_targetILNS1_3genE8ELNS1_11target_archE1030ELNS1_3gpuE2ELNS1_3repE0EEENS1_48merge_mergepath_partition_config_static_selectorELNS0_4arch9wavefront6targetE1EEEvSJ_.has_indirect_call, 0
	.section	.AMDGPU.csdata,"",@progbits
; Kernel info:
; codeLenInByte = 0
; TotalNumSgprs: 6
; NumVgprs: 0
; NumAgprs: 0
; TotalNumVgprs: 0
; ScratchSize: 0
; MemoryBound: 0
; FloatMode: 240
; IeeeMode: 1
; LDSByteSize: 0 bytes/workgroup (compile time only)
; SGPRBlocks: 0
; VGPRBlocks: 0
; NumSGPRsForWavesPerEU: 6
; NumVGPRsForWavesPerEU: 1
; AccumOffset: 4
; Occupancy: 8
; WaveLimiterHint : 0
; COMPUTE_PGM_RSRC2:SCRATCH_EN: 0
; COMPUTE_PGM_RSRC2:USER_SGPR: 2
; COMPUTE_PGM_RSRC2:TRAP_HANDLER: 0
; COMPUTE_PGM_RSRC2:TGID_X_EN: 1
; COMPUTE_PGM_RSRC2:TGID_Y_EN: 0
; COMPUTE_PGM_RSRC2:TGID_Z_EN: 0
; COMPUTE_PGM_RSRC2:TIDIG_COMP_CNT: 0
; COMPUTE_PGM_RSRC3_GFX90A:ACCUM_OFFSET: 0
; COMPUTE_PGM_RSRC3_GFX90A:TG_SPLIT: 0
	.section	.text._ZN7rocprim17ROCPRIM_400000_NS6detail17trampoline_kernelINS0_14default_configENS1_38merge_sort_block_merge_config_selectorIiiEEZZNS1_27merge_sort_block_merge_implIS3_N6thrust23THRUST_200600_302600_NS6detail15normal_iteratorINS8_10device_ptrIiEEEESD_jNS1_19radix_merge_compareILb0ELb1EiNS0_19identity_decomposerEEEEE10hipError_tT0_T1_T2_jT3_P12ihipStream_tbPNSt15iterator_traitsISI_E10value_typeEPNSO_ISJ_E10value_typeEPSK_NS1_7vsmem_tEENKUlT_SI_SJ_SK_E_clISD_PiSD_S10_EESH_SX_SI_SJ_SK_EUlSX_E0_NS1_11comp_targetILNS1_3genE0ELNS1_11target_archE4294967295ELNS1_3gpuE0ELNS1_3repE0EEENS1_38merge_mergepath_config_static_selectorELNS0_4arch9wavefront6targetE1EEEvSJ_,"axG",@progbits,_ZN7rocprim17ROCPRIM_400000_NS6detail17trampoline_kernelINS0_14default_configENS1_38merge_sort_block_merge_config_selectorIiiEEZZNS1_27merge_sort_block_merge_implIS3_N6thrust23THRUST_200600_302600_NS6detail15normal_iteratorINS8_10device_ptrIiEEEESD_jNS1_19radix_merge_compareILb0ELb1EiNS0_19identity_decomposerEEEEE10hipError_tT0_T1_T2_jT3_P12ihipStream_tbPNSt15iterator_traitsISI_E10value_typeEPNSO_ISJ_E10value_typeEPSK_NS1_7vsmem_tEENKUlT_SI_SJ_SK_E_clISD_PiSD_S10_EESH_SX_SI_SJ_SK_EUlSX_E0_NS1_11comp_targetILNS1_3genE0ELNS1_11target_archE4294967295ELNS1_3gpuE0ELNS1_3repE0EEENS1_38merge_mergepath_config_static_selectorELNS0_4arch9wavefront6targetE1EEEvSJ_,comdat
	.protected	_ZN7rocprim17ROCPRIM_400000_NS6detail17trampoline_kernelINS0_14default_configENS1_38merge_sort_block_merge_config_selectorIiiEEZZNS1_27merge_sort_block_merge_implIS3_N6thrust23THRUST_200600_302600_NS6detail15normal_iteratorINS8_10device_ptrIiEEEESD_jNS1_19radix_merge_compareILb0ELb1EiNS0_19identity_decomposerEEEEE10hipError_tT0_T1_T2_jT3_P12ihipStream_tbPNSt15iterator_traitsISI_E10value_typeEPNSO_ISJ_E10value_typeEPSK_NS1_7vsmem_tEENKUlT_SI_SJ_SK_E_clISD_PiSD_S10_EESH_SX_SI_SJ_SK_EUlSX_E0_NS1_11comp_targetILNS1_3genE0ELNS1_11target_archE4294967295ELNS1_3gpuE0ELNS1_3repE0EEENS1_38merge_mergepath_config_static_selectorELNS0_4arch9wavefront6targetE1EEEvSJ_ ; -- Begin function _ZN7rocprim17ROCPRIM_400000_NS6detail17trampoline_kernelINS0_14default_configENS1_38merge_sort_block_merge_config_selectorIiiEEZZNS1_27merge_sort_block_merge_implIS3_N6thrust23THRUST_200600_302600_NS6detail15normal_iteratorINS8_10device_ptrIiEEEESD_jNS1_19radix_merge_compareILb0ELb1EiNS0_19identity_decomposerEEEEE10hipError_tT0_T1_T2_jT3_P12ihipStream_tbPNSt15iterator_traitsISI_E10value_typeEPNSO_ISJ_E10value_typeEPSK_NS1_7vsmem_tEENKUlT_SI_SJ_SK_E_clISD_PiSD_S10_EESH_SX_SI_SJ_SK_EUlSX_E0_NS1_11comp_targetILNS1_3genE0ELNS1_11target_archE4294967295ELNS1_3gpuE0ELNS1_3repE0EEENS1_38merge_mergepath_config_static_selectorELNS0_4arch9wavefront6targetE1EEEvSJ_
	.globl	_ZN7rocprim17ROCPRIM_400000_NS6detail17trampoline_kernelINS0_14default_configENS1_38merge_sort_block_merge_config_selectorIiiEEZZNS1_27merge_sort_block_merge_implIS3_N6thrust23THRUST_200600_302600_NS6detail15normal_iteratorINS8_10device_ptrIiEEEESD_jNS1_19radix_merge_compareILb0ELb1EiNS0_19identity_decomposerEEEEE10hipError_tT0_T1_T2_jT3_P12ihipStream_tbPNSt15iterator_traitsISI_E10value_typeEPNSO_ISJ_E10value_typeEPSK_NS1_7vsmem_tEENKUlT_SI_SJ_SK_E_clISD_PiSD_S10_EESH_SX_SI_SJ_SK_EUlSX_E0_NS1_11comp_targetILNS1_3genE0ELNS1_11target_archE4294967295ELNS1_3gpuE0ELNS1_3repE0EEENS1_38merge_mergepath_config_static_selectorELNS0_4arch9wavefront6targetE1EEEvSJ_
	.p2align	8
	.type	_ZN7rocprim17ROCPRIM_400000_NS6detail17trampoline_kernelINS0_14default_configENS1_38merge_sort_block_merge_config_selectorIiiEEZZNS1_27merge_sort_block_merge_implIS3_N6thrust23THRUST_200600_302600_NS6detail15normal_iteratorINS8_10device_ptrIiEEEESD_jNS1_19radix_merge_compareILb0ELb1EiNS0_19identity_decomposerEEEEE10hipError_tT0_T1_T2_jT3_P12ihipStream_tbPNSt15iterator_traitsISI_E10value_typeEPNSO_ISJ_E10value_typeEPSK_NS1_7vsmem_tEENKUlT_SI_SJ_SK_E_clISD_PiSD_S10_EESH_SX_SI_SJ_SK_EUlSX_E0_NS1_11comp_targetILNS1_3genE0ELNS1_11target_archE4294967295ELNS1_3gpuE0ELNS1_3repE0EEENS1_38merge_mergepath_config_static_selectorELNS0_4arch9wavefront6targetE1EEEvSJ_,@function
_ZN7rocprim17ROCPRIM_400000_NS6detail17trampoline_kernelINS0_14default_configENS1_38merge_sort_block_merge_config_selectorIiiEEZZNS1_27merge_sort_block_merge_implIS3_N6thrust23THRUST_200600_302600_NS6detail15normal_iteratorINS8_10device_ptrIiEEEESD_jNS1_19radix_merge_compareILb0ELb1EiNS0_19identity_decomposerEEEEE10hipError_tT0_T1_T2_jT3_P12ihipStream_tbPNSt15iterator_traitsISI_E10value_typeEPNSO_ISJ_E10value_typeEPSK_NS1_7vsmem_tEENKUlT_SI_SJ_SK_E_clISD_PiSD_S10_EESH_SX_SI_SJ_SK_EUlSX_E0_NS1_11comp_targetILNS1_3genE0ELNS1_11target_archE4294967295ELNS1_3gpuE0ELNS1_3repE0EEENS1_38merge_mergepath_config_static_selectorELNS0_4arch9wavefront6targetE1EEEvSJ_: ; @_ZN7rocprim17ROCPRIM_400000_NS6detail17trampoline_kernelINS0_14default_configENS1_38merge_sort_block_merge_config_selectorIiiEEZZNS1_27merge_sort_block_merge_implIS3_N6thrust23THRUST_200600_302600_NS6detail15normal_iteratorINS8_10device_ptrIiEEEESD_jNS1_19radix_merge_compareILb0ELb1EiNS0_19identity_decomposerEEEEE10hipError_tT0_T1_T2_jT3_P12ihipStream_tbPNSt15iterator_traitsISI_E10value_typeEPNSO_ISJ_E10value_typeEPSK_NS1_7vsmem_tEENKUlT_SI_SJ_SK_E_clISD_PiSD_S10_EESH_SX_SI_SJ_SK_EUlSX_E0_NS1_11comp_targetILNS1_3genE0ELNS1_11target_archE4294967295ELNS1_3gpuE0ELNS1_3repE0EEENS1_38merge_mergepath_config_static_selectorELNS0_4arch9wavefront6targetE1EEEvSJ_
; %bb.0:
	s_load_dwordx2 s[28:29], s[0:1], 0x40
	s_load_dwordx2 s[16:17], s[0:1], 0x30
	s_add_u32 s24, s0, 64
	s_addc_u32 s25, s1, 0
	s_waitcnt lgkmcnt(0)
	s_mul_i32 s4, s29, s4
	s_add_i32 s3, s4, s3
	s_mul_i32 s3, s3, s28
	s_add_i32 s26, s3, s2
	s_cmp_ge_u32 s26, s16
	s_cbranch_scc1 .LBB788_46
; %bb.1:
	s_load_dwordx8 s[8:15], s[0:1], 0x10
	s_load_dwordx2 s[20:21], s[0:1], 0x8
	s_load_dwordx2 s[4:5], s[0:1], 0x38
	s_mov_b32 s27, 0
	s_mov_b32 s23, s27
	s_waitcnt lgkmcnt(0)
	s_lshr_b32 s30, s14, 10
	s_cmp_lg_u32 s26, s30
	s_cselect_b64 s[18:19], -1, 0
	s_lshl_b64 s[0:1], s[26:27], 2
	s_add_u32 s0, s4, s0
	s_addc_u32 s1, s5, s1
	s_load_dwordx2 s[4:5], s[0:1], 0x0
	s_lshr_b32 s0, s15, 9
	s_and_b32 s0, s0, 0x7ffffe
	s_sub_i32 s0, 0, s0
	s_and_b32 s1, s26, s0
	s_lshl_b32 s3, s1, 10
	s_lshl_b32 s16, s26, 10
	;; [unrolled: 1-line block ×3, first 2 shown]
	s_sub_i32 s6, s16, s3
	s_add_i32 s1, s1, s15
	s_add_i32 s6, s1, s6
	s_waitcnt lgkmcnt(0)
	s_sub_i32 s7, s6, s4
	s_sub_i32 s6, s6, s5
	;; [unrolled: 1-line block ×3, first 2 shown]
	s_min_u32 s22, s14, s7
	s_addk_i32 s6, 0x400
	s_or_b32 s0, s26, s0
	s_min_u32 s3, s14, s1
	s_add_i32 s1, s1, s15
	s_cmp_eq_u32 s0, -1
	s_cselect_b32 s0, s1, s6
	s_cselect_b32 s1, s3, s5
	s_mov_b32 s5, s27
	s_min_u32 s29, s0, s14
	s_sub_i32 s15, s1, s4
	s_lshl_b64 s[0:1], s[4:5], 2
	s_add_u32 s6, s20, s0
	s_addc_u32 s7, s21, s1
	s_lshl_b64 s[4:5], s[22:23], 2
	s_add_u32 s20, s20, s4
	s_addc_u32 s21, s21, s5
	s_cmp_lt_u32 s2, s28
	v_mov_b32_e32 v5, 0
	s_cselect_b32 s2, 12, 18
	global_load_dword v1, v5, s[24:25] offset:14
	s_add_u32 s2, s24, s2
	s_addc_u32 s3, s25, 0
	global_load_ushort v2, v5, s[2:3]
	s_cmp_eq_u32 s26, s30
	v_lshlrev_b32_e32 v10, 2, v0
	s_waitcnt vmcnt(1)
	v_lshrrev_b32_e32 v3, 16, v1
	v_and_b32_e32 v1, 0xffff, v1
	v_mul_lo_u32 v1, v1, v3
	s_waitcnt vmcnt(0)
	v_mul_lo_u32 v1, v1, v2
	v_add_u32_e32 v14, v1, v0
	v_add_u32_e32 v12, v14, v1
	s_cbranch_scc1 .LBB788_3
; %bb.2:
	v_mov_b32_e32 v11, v5
	v_subrev_co_u32_e32 v4, vcc, s15, v0
	v_lshl_add_u64 v[2:3], s[6:7], 0, v[10:11]
	v_lshl_add_u64 v[6:7], v[4:5], 2, s[20:21]
	v_cndmask_b32_e32 v3, v7, v3, vcc
	v_cndmask_b32_e32 v2, v6, v2, vcc
	v_mov_b32_e32 v15, v5
	v_subrev_co_u32_e32 v4, vcc, s15, v14
	v_lshl_add_u64 v[6:7], v[14:15], 2, s[6:7]
	v_lshl_add_u64 v[8:9], v[4:5], 2, s[20:21]
	v_cndmask_b32_e32 v7, v9, v7, vcc
	v_cndmask_b32_e32 v6, v8, v6, vcc
	v_mov_b32_e32 v13, v5
	v_subrev_co_u32_e32 v4, vcc, s15, v12
	global_load_dword v2, v[2:3], off
	v_lshl_add_u64 v[8:9], v[4:5], 2, s[20:21]
	global_load_dword v3, v[6:7], off
	v_lshl_add_u64 v[6:7], v[12:13], 2, s[6:7]
	v_cndmask_b32_e32 v7, v9, v7, vcc
	v_cndmask_b32_e32 v6, v8, v6, vcc
	global_load_dword v4, v[6:7], off
	v_add_u32_e32 v6, v12, v1
	s_mov_b64 s[2:3], -1
	s_sub_i32 s24, s29, s22
	s_cbranch_execz .LBB788_4
	s_branch .LBB788_9
.LBB788_3:
	s_mov_b64 s[2:3], 0
                                        ; implicit-def: $vgpr6
                                        ; implicit-def: $vgpr2_vgpr3_vgpr4_vgpr5
	s_sub_i32 s24, s29, s22
.LBB788_4:
	s_add_i32 s22, s24, s15
	s_waitcnt vmcnt(2)
	v_mov_b32_e32 v2, 0
	v_cmp_gt_u32_e32 vcc, s22, v0
	s_waitcnt vmcnt(1)
	v_mov_b32_e32 v3, v2
	s_waitcnt vmcnt(0)
	v_mov_b32_e32 v4, v2
	v_mov_b32_e32 v5, v2
	s_and_saveexec_b64 s[2:3], vcc
	s_cbranch_execnz .LBB788_47
; %bb.5:
	s_or_b64 exec, exec, s[2:3]
	v_cmp_gt_u32_e32 vcc, s22, v14
	s_and_saveexec_b64 s[2:3], vcc
	s_cbranch_execnz .LBB788_48
.LBB788_6:
	s_or_b64 exec, exec, s[2:3]
	v_cmp_gt_u32_e32 vcc, s22, v12
	s_and_saveexec_b64 s[2:3], vcc
	s_cbranch_execz .LBB788_8
.LBB788_7:
	v_mov_b32_e32 v13, 0
	v_subrev_co_u32_e32 v8, vcc, s15, v12
	v_mov_b32_e32 v9, v13
	v_lshl_add_u64 v[6:7], v[12:13], 2, s[6:7]
	v_lshl_add_u64 v[8:9], v[8:9], 2, s[20:21]
	v_cndmask_b32_e32 v7, v9, v7, vcc
	v_cndmask_b32_e32 v6, v8, v6, vcc
	global_load_dword v4, v[6:7], off
.LBB788_8:
	s_or_b64 exec, exec, s[2:3]
	v_add_u32_e32 v6, v12, v1
	v_cmp_gt_u32_e64 s[2:3], s22, v6
.LBB788_9:
	s_and_saveexec_b64 s[22:23], s[2:3]
	s_cbranch_execz .LBB788_11
; %bb.10:
	v_mov_b32_e32 v9, 0
	v_mov_b32_e32 v7, v9
	v_subrev_co_u32_e32 v8, vcc, s15, v6
	v_lshl_add_u64 v[16:17], v[6:7], 2, s[6:7]
	v_lshl_add_u64 v[6:7], v[8:9], 2, s[20:21]
	v_cndmask_b32_e32 v7, v7, v17, vcc
	v_cndmask_b32_e32 v6, v6, v16, vcc
	global_load_dword v5, v[6:7], off
.LBB788_11:
	s_or_b64 exec, exec, s[22:23]
	s_add_u32 s0, s10, s0
	s_addc_u32 s1, s11, s1
	s_add_u32 s2, s10, s4
	v_mov_b32_e32 v9, 0
	s_addc_u32 s3, s11, s5
	s_andn2_b64 vcc, exec, s[18:19]
	s_waitcnt vmcnt(0)
	ds_write2st64_b32 v10, v2, v3 offset1:4
	ds_write2st64_b32 v10, v4, v5 offset0:8 offset1:12
	s_cbranch_vccnz .LBB788_13
; %bb.12:
	v_mov_b32_e32 v11, v9
	v_subrev_co_u32_e32 v8, vcc, s15, v0
	v_lshl_add_u64 v[6:7], s[0:1], 0, v[10:11]
	v_lshl_add_u64 v[16:17], v[8:9], 2, s[2:3]
	v_cndmask_b32_e32 v7, v17, v7, vcc
	v_cndmask_b32_e32 v6, v16, v6, vcc
	v_mov_b32_e32 v15, v9
	v_subrev_co_u32_e32 v8, vcc, s15, v14
	v_lshl_add_u64 v[16:17], v[14:15], 2, s[0:1]
	v_lshl_add_u64 v[18:19], v[8:9], 2, s[2:3]
	v_cndmask_b32_e32 v17, v19, v17, vcc
	v_cndmask_b32_e32 v16, v18, v16, vcc
	v_mov_b32_e32 v13, v9
	v_subrev_co_u32_e32 v8, vcc, s15, v12
	global_load_dword v6, v[6:7], off
	v_lshl_add_u64 v[18:19], v[8:9], 2, s[2:3]
	global_load_dword v7, v[16:17], off
	v_lshl_add_u64 v[16:17], v[12:13], 2, s[0:1]
	v_cndmask_b32_e32 v17, v19, v17, vcc
	v_cndmask_b32_e32 v16, v18, v16, vcc
	global_load_dword v8, v[16:17], off
	s_add_i32 s10, s24, s15
	v_add_u32_e32 v16, v12, v1
	s_mov_b64 s[4:5], -1
	v_mov_b32_e32 v11, s10
	s_cbranch_execz .LBB788_14
	s_branch .LBB788_19
.LBB788_13:
	s_mov_b64 s[4:5], 0
                                        ; implicit-def: $vgpr16
                                        ; implicit-def: $vgpr6_vgpr7_vgpr8_vgpr9
                                        ; implicit-def: $vgpr11
.LBB788_14:
	s_add_i32 s6, s24, s15
	s_waitcnt vmcnt(2)
	v_mov_b32_e32 v6, 0
	v_cmp_gt_u32_e32 vcc, s6, v0
	s_waitcnt vmcnt(1)
	v_mov_b32_e32 v7, v6
	s_waitcnt vmcnt(0)
	v_mov_b32_e32 v8, v6
	v_mov_b32_e32 v9, v6
	s_and_saveexec_b64 s[4:5], vcc
	s_cbranch_execnz .LBB788_49
; %bb.15:
	s_or_b64 exec, exec, s[4:5]
	v_cmp_gt_u32_e32 vcc, s6, v14
	s_and_saveexec_b64 s[4:5], vcc
	s_cbranch_execnz .LBB788_50
.LBB788_16:
	s_or_b64 exec, exec, s[4:5]
	v_cmp_gt_u32_e32 vcc, s6, v12
	s_and_saveexec_b64 s[4:5], vcc
	s_cbranch_execz .LBB788_18
.LBB788_17:
	v_mov_b32_e32 v13, 0
	v_subrev_co_u32_e32 v16, vcc, s15, v12
	v_mov_b32_e32 v17, v13
	v_lshl_add_u64 v[14:15], v[12:13], 2, s[0:1]
	v_lshl_add_u64 v[16:17], v[16:17], 2, s[2:3]
	v_cndmask_b32_e32 v15, v17, v15, vcc
	v_cndmask_b32_e32 v14, v16, v14, vcc
	global_load_dword v8, v[14:15], off
.LBB788_18:
	s_or_b64 exec, exec, s[4:5]
	v_add_u32_e32 v16, v12, v1
	v_cmp_gt_u32_e64 s[4:5], s6, v16
	v_mov_b32_e32 v11, s6
.LBB788_19:
	s_and_saveexec_b64 s[6:7], s[4:5]
	s_cbranch_execz .LBB788_21
; %bb.20:
	v_mov_b32_e32 v13, 0
	v_mov_b32_e32 v17, v13
	v_subrev_co_u32_e32 v12, vcc, s15, v16
	v_lshl_add_u64 v[14:15], v[16:17], 2, s[0:1]
	v_lshl_add_u64 v[12:13], v[12:13], 2, s[2:3]
	v_cndmask_b32_e32 v13, v13, v15, vcc
	v_cndmask_b32_e32 v12, v12, v14, vcc
	global_load_dword v9, v[12:13], off
.LBB788_21:
	s_or_b64 exec, exec, s[6:7]
	v_min_u32_e32 v12, v11, v10
	v_sub_u32_e64 v1, v12, s24 clamp
	v_min_u32_e32 v13, s15, v12
	v_cmp_lt_u32_e32 vcc, v1, v13
	s_waitcnt lgkmcnt(0)
	s_barrier
	s_and_saveexec_b64 s[0:1], vcc
	s_cbranch_execz .LBB788_25
; %bb.22:
	v_lshlrev_b32_e32 v14, 2, v12
	v_lshl_add_u32 v14, s15, 2, v14
	s_mov_b64 s[2:3], 0
.LBB788_23:                             ; =>This Inner Loop Header: Depth=1
	v_add_u32_e32 v15, v13, v1
	v_lshrrev_b32_e32 v15, 1, v15
	v_not_b32_e32 v16, v15
	v_lshlrev_b32_e32 v17, 2, v15
	v_lshl_add_u32 v16, v16, 2, v14
	ds_read_b32 v17, v17
	ds_read_b32 v16, v16
	v_add_u32_e32 v18, 1, v15
	s_waitcnt lgkmcnt(1)
	v_and_b32_e32 v17, s17, v17
	s_waitcnt lgkmcnt(0)
	v_and_b32_e32 v16, s17, v16
	v_cmp_gt_i32_e32 vcc, v17, v16
	s_nop 1
	v_cndmask_b32_e32 v13, v13, v15, vcc
	v_cndmask_b32_e32 v1, v18, v1, vcc
	v_cmp_ge_u32_e32 vcc, v1, v13
	s_or_b64 s[2:3], vcc, s[2:3]
	s_andn2_b64 exec, exec, s[2:3]
	s_cbranch_execnz .LBB788_23
; %bb.24:
	s_or_b64 exec, exec, s[2:3]
.LBB788_25:
	s_or_b64 exec, exec, s[0:1]
	v_sub_u32_e32 v12, v12, v1
	v_add_u32_e32 v15, s15, v12
	v_cmp_ge_u32_e32 vcc, s15, v1
	v_cmp_le_u32_e64 s[0:1], v15, v11
	s_or_b64 s[0:1], vcc, s[0:1]
	v_mov_b32_e32 v16, 0
	v_mov_b32_e32 v14, 0
	;; [unrolled: 1-line block ×4, first 2 shown]
	s_and_saveexec_b64 s[10:11], s[0:1]
	s_cbranch_execz .LBB788_31
; %bb.26:
	v_cmp_gt_u32_e32 vcc, s15, v1
                                        ; implicit-def: $vgpr2
	s_and_saveexec_b64 s[0:1], vcc
; %bb.27:
	v_lshlrev_b32_e32 v2, 2, v1
	ds_read_b32 v2, v2
; %bb.28:
	s_or_b64 exec, exec, s[0:1]
	v_cmp_ge_u32_e64 s[0:1], v15, v11
	v_cmp_lt_u32_e64 s[2:3], v15, v11
                                        ; implicit-def: $vgpr3
	s_and_saveexec_b64 s[4:5], s[2:3]
; %bb.29:
	v_lshlrev_b32_e32 v3, 2, v15
	ds_read_b32 v3, v3
; %bb.30:
	s_or_b64 exec, exec, s[4:5]
	s_waitcnt lgkmcnt(0)
	v_and_b32_e32 v4, s17, v3
	v_and_b32_e32 v5, s17, v2
	v_cmp_le_i32_e64 s[2:3], v5, v4
	s_and_b64 s[2:3], vcc, s[2:3]
	s_or_b64 vcc, s[0:1], s[2:3]
	v_mov_b32_e32 v4, s15
	v_cndmask_b32_e32 v12, v15, v1, vcc
	v_cndmask_b32_e32 v5, v11, v4, vcc
	v_add_u32_e32 v13, 1, v12
	v_add_u32_e32 v5, -1, v5
	v_min_u32_e32 v5, v13, v5
	v_lshlrev_b32_e32 v5, 2, v5
	ds_read_b32 v5, v5
	v_cndmask_b32_e32 v14, v13, v15, vcc
	v_cndmask_b32_e32 v1, v1, v13, vcc
	v_cmp_gt_u32_e64 s[2:3], s15, v1
	v_cmp_ge_u32_e64 s[0:1], v14, v11
	s_waitcnt lgkmcnt(0)
	v_cndmask_b32_e32 v16, v5, v3, vcc
	v_cndmask_b32_e32 v5, v2, v5, vcc
	v_and_b32_e32 v13, s17, v16
	v_and_b32_e32 v15, s17, v5
	v_cmp_le_i32_e64 s[4:5], v15, v13
	s_and_b64 s[2:3], s[2:3], s[4:5]
	s_or_b64 s[0:1], s[0:1], s[2:3]
	v_cndmask_b32_e64 v13, v14, v1, s[0:1]
	v_cndmask_b32_e64 v15, v11, v4, s[0:1]
	v_add_u32_e32 v17, 1, v13
	v_add_u32_e32 v15, -1, v15
	v_min_u32_e32 v15, v17, v15
	v_lshlrev_b32_e32 v15, 2, v15
	ds_read_b32 v15, v15
	v_cndmask_b32_e64 v19, v17, v14, s[0:1]
	v_cndmask_b32_e64 v1, v1, v17, s[0:1]
	v_cmp_gt_u32_e64 s[4:5], s15, v1
	v_cmp_ge_u32_e64 s[2:3], v19, v11
	s_waitcnt lgkmcnt(0)
	v_cndmask_b32_e64 v18, v15, v16, s[0:1]
	v_cndmask_b32_e64 v15, v5, v15, s[0:1]
	v_and_b32_e32 v14, s17, v18
	v_and_b32_e32 v17, s17, v15
	v_cmp_le_i32_e64 s[6:7], v17, v14
	s_and_b64 s[4:5], s[4:5], s[6:7]
	s_or_b64 s[2:3], s[2:3], s[4:5]
	v_cndmask_b32_e64 v14, v19, v1, s[2:3]
	v_cndmask_b32_e64 v4, v11, v4, s[2:3]
	v_add_u32_e32 v17, 1, v14
	v_add_u32_e32 v4, -1, v4
	v_min_u32_e32 v4, v17, v4
	v_lshlrev_b32_e32 v4, 2, v4
	ds_read_b32 v20, v4
	v_cndmask_b32_e32 v2, v3, v2, vcc
	v_cndmask_b32_e64 v3, v16, v5, s[0:1]
	v_cndmask_b32_e64 v4, v18, v15, s[2:3]
	;; [unrolled: 1-line block ×3, first 2 shown]
	s_waitcnt lgkmcnt(0)
	v_cndmask_b32_e64 v5, v20, v18, s[2:3]
	v_cndmask_b32_e64 v15, v15, v20, s[2:3]
	;; [unrolled: 1-line block ×3, first 2 shown]
	v_cmp_ge_u32_e32 vcc, v16, v11
	v_and_b32_e32 v11, s17, v5
	v_and_b32_e32 v17, s17, v15
	v_cmp_gt_u32_e64 s[0:1], s15, v1
	v_cmp_le_i32_e64 s[2:3], v17, v11
	s_and_b64 s[0:1], s[0:1], s[2:3]
	s_or_b64 vcc, vcc, s[0:1]
	v_cndmask_b32_e32 v16, v16, v1, vcc
	v_cndmask_b32_e32 v5, v5, v15, vcc
.LBB788_31:
	s_or_b64 exec, exec, s[10:11]
	s_barrier
	s_waitcnt vmcnt(0)
	ds_write2st64_b32 v10, v6, v7 offset1:4
	ds_write2st64_b32 v10, v8, v9 offset0:8 offset1:12
	v_lshrrev_b32_e32 v11, 3, v0
	v_lshlrev_b32_e32 v9, 2, v10
	v_lshlrev_b32_e32 v1, 2, v12
	;; [unrolled: 1-line block ×5, first 2 shown]
	v_lshl_add_u32 v9, v11, 2, v9
	s_waitcnt lgkmcnt(0)
	s_barrier
	ds_read_b32 v1, v1
	ds_read_b32 v6, v6
	;; [unrolled: 1-line block ×4, first 2 shown]
	s_waitcnt lgkmcnt(0)
	s_barrier
	s_barrier
	ds_write2_b32 v9, v2, v3 offset1:1
	ds_write2_b32 v9, v4, v5 offset0:2 offset1:3
	v_and_b32_e32 v2, 28, v11
	v_or_b32_e32 v16, 0x100, v0
	v_add_u32_e32 v4, v2, v10
	v_lshrrev_b32_e32 v2, 3, v16
	v_and_b32_e32 v2, 60, v2
	v_or_b32_e32 v15, 0x200, v0
	s_mov_b32 s17, 0
	v_add_u32_e32 v5, v2, v10
	v_lshrrev_b32_e32 v2, 3, v15
	s_lshl_b64 s[4:5], s[16:17], 2
	v_and_b32_e32 v2, 0x5c, v2
	v_or_b32_e32 v14, 0x300, v0
	s_add_u32 s0, s8, s4
	v_add_u32_e32 v12, v2, v10
	v_lshrrev_b32_e32 v2, 3, v14
	s_addc_u32 s1, s9, s5
	v_and_b32_e32 v2, 0x7c, v2
	v_mov_b32_e32 v11, 0
	v_add_u32_e32 v13, v2, v10
	v_lshl_add_u64 v[2:3], s[0:1], 0, v[10:11]
	s_and_b64 vcc, exec, s[18:19]
	s_waitcnt lgkmcnt(0)
	s_cbranch_vccz .LBB788_33
; %bb.32:
	s_barrier
	ds_read_b32 v11, v4
	ds_read_b32 v17, v5 offset:1024
	ds_read_b32 v18, v12 offset:2048
	ds_read_b32 v19, v13 offset:3072
	s_add_u32 s0, s12, s4
	s_addc_u32 s1, s13, s5
	s_waitcnt lgkmcnt(3)
	global_store_dword v[2:3], v11, off
	s_waitcnt lgkmcnt(2)
	global_store_dword v[2:3], v17, off offset:1024
	s_waitcnt lgkmcnt(1)
	global_store_dword v[2:3], v18, off offset:2048
	;; [unrolled: 2-line block ×3, first 2 shown]
	s_barrier
	ds_write2_b32 v9, v1, v6 offset1:1
	ds_write2_b32 v9, v7, v8 offset0:2 offset1:3
	s_waitcnt lgkmcnt(0)
	s_barrier
	ds_read_b32 v11, v4
	ds_read_b32 v18, v5 offset:1024
	ds_read_b32 v19, v12 offset:2048
	;; [unrolled: 1-line block ×3, first 2 shown]
	s_waitcnt lgkmcnt(3)
	global_store_dword v10, v11, s[0:1]
	s_waitcnt lgkmcnt(2)
	global_store_dword v10, v18, s[0:1] offset:1024
	s_waitcnt lgkmcnt(1)
	global_store_dword v10, v19, s[0:1] offset:2048
	s_mov_b64 s[6:7], -1
	s_cbranch_execz .LBB788_34
	s_branch .LBB788_44
.LBB788_33:
	s_mov_b64 s[6:7], 0
                                        ; implicit-def: $vgpr17
.LBB788_34:
	s_barrier
	s_waitcnt lgkmcnt(0)
	ds_read_b32 v18, v5 offset:1024
	ds_read_b32 v17, v12 offset:2048
	;; [unrolled: 1-line block ×3, first 2 shown]
	s_sub_i32 s8, s14, s16
	v_cmp_gt_u32_e32 vcc, s8, v0
	s_and_saveexec_b64 s[0:1], vcc
	s_cbranch_execnz .LBB788_51
; %bb.35:
	s_or_b64 exec, exec, s[0:1]
	v_cmp_gt_u32_e64 s[0:1], s8, v16
	s_and_saveexec_b64 s[2:3], s[0:1]
	s_cbranch_execnz .LBB788_52
.LBB788_36:
	s_or_b64 exec, exec, s[2:3]
	v_cmp_gt_u32_e64 s[2:3], s8, v15
	s_and_saveexec_b64 s[6:7], s[2:3]
	s_cbranch_execnz .LBB788_53
.LBB788_37:
	s_or_b64 exec, exec, s[6:7]
	v_cmp_gt_u32_e64 s[6:7], s8, v14
	s_and_saveexec_b64 s[8:9], s[6:7]
	s_cbranch_execz .LBB788_39
.LBB788_38:
	s_waitcnt lgkmcnt(0)
	global_store_dword v[2:3], v11, off offset:3072
.LBB788_39:
	s_or_b64 exec, exec, s[8:9]
	s_waitcnt lgkmcnt(0)
	s_barrier
	ds_write2_b32 v9, v1, v6 offset1:1
	ds_write2_b32 v9, v7, v8 offset0:2 offset1:3
	s_waitcnt lgkmcnt(0)
	s_barrier
	ds_read_b32 v3, v5 offset:1024
	ds_read_b32 v2, v12 offset:2048
	;; [unrolled: 1-line block ×3, first 2 shown]
	s_add_u32 s8, s12, s4
	s_addc_u32 s9, s13, s5
	v_mov_b32_e32 v11, 0
	v_lshl_add_u64 v[0:1], s[8:9], 0, v[10:11]
	s_and_saveexec_b64 s[8:9], vcc
	s_cbranch_execnz .LBB788_54
; %bb.40:
	s_or_b64 exec, exec, s[8:9]
	s_and_saveexec_b64 s[8:9], s[0:1]
	s_cbranch_execnz .LBB788_55
.LBB788_41:
	s_or_b64 exec, exec, s[8:9]
	s_and_saveexec_b64 s[0:1], s[2:3]
	s_cbranch_execz .LBB788_43
.LBB788_42:
	s_waitcnt lgkmcnt(1)
	global_store_dword v[0:1], v2, off offset:2048
.LBB788_43:
	s_or_b64 exec, exec, s[0:1]
.LBB788_44:
	s_and_saveexec_b64 s[0:1], s[6:7]
	s_cbranch_execz .LBB788_46
; %bb.45:
	s_add_u32 s0, s12, s4
	s_addc_u32 s1, s13, s5
	s_waitcnt lgkmcnt(0)
	global_store_dword v10, v17, s[0:1] offset:3072
.LBB788_46:
	s_endpgm
.LBB788_47:
	v_mov_b32_e32 v11, v2
	v_subrev_co_u32_e32 v6, vcc, s15, v0
	v_mov_b32_e32 v7, v2
	v_lshl_add_u64 v[4:5], s[6:7], 0, v[10:11]
	v_lshl_add_u64 v[6:7], v[6:7], 2, s[20:21]
	v_cndmask_b32_e32 v5, v7, v5, vcc
	v_cndmask_b32_e32 v4, v6, v4, vcc
	global_load_dword v4, v[4:5], off
	v_mov_b32_e32 v5, v2
	v_mov_b32_e32 v6, v2
	;; [unrolled: 1-line block ×3, first 2 shown]
	s_waitcnt vmcnt(0)
	v_mov_b64_e32 v[2:3], v[4:5]
	v_mov_b64_e32 v[4:5], v[6:7]
	s_or_b64 exec, exec, s[2:3]
	v_cmp_gt_u32_e32 vcc, s22, v14
	s_and_saveexec_b64 s[2:3], vcc
	s_cbranch_execz .LBB788_6
.LBB788_48:
	v_mov_b32_e32 v15, 0
	v_subrev_co_u32_e32 v8, vcc, s15, v14
	v_mov_b32_e32 v9, v15
	v_lshl_add_u64 v[6:7], v[14:15], 2, s[6:7]
	v_lshl_add_u64 v[8:9], v[8:9], 2, s[20:21]
	v_cndmask_b32_e32 v7, v9, v7, vcc
	v_cndmask_b32_e32 v6, v8, v6, vcc
	global_load_dword v3, v[6:7], off
	s_or_b64 exec, exec, s[2:3]
	v_cmp_gt_u32_e32 vcc, s22, v12
	s_and_saveexec_b64 s[2:3], vcc
	s_cbranch_execnz .LBB788_7
	s_branch .LBB788_8
.LBB788_49:
	v_mov_b32_e32 v11, v6
	v_subrev_co_u32_e32 v16, vcc, s15, v0
	v_mov_b32_e32 v17, v6
	v_lshl_add_u64 v[8:9], s[0:1], 0, v[10:11]
	v_lshl_add_u64 v[16:17], v[16:17], 2, s[2:3]
	v_cndmask_b32_e32 v9, v17, v9, vcc
	v_cndmask_b32_e32 v8, v16, v8, vcc
	global_load_dword v16, v[8:9], off
	v_mov_b32_e32 v17, v6
	v_mov_b32_e32 v18, v6
	;; [unrolled: 1-line block ×3, first 2 shown]
	s_waitcnt vmcnt(0)
	v_mov_b64_e32 v[6:7], v[16:17]
	v_mov_b64_e32 v[8:9], v[18:19]
	s_or_b64 exec, exec, s[4:5]
	v_cmp_gt_u32_e32 vcc, s6, v14
	s_and_saveexec_b64 s[4:5], vcc
	s_cbranch_execz .LBB788_16
.LBB788_50:
	v_mov_b32_e32 v15, 0
	v_lshl_add_u64 v[16:17], v[14:15], 2, s[0:1]
	v_subrev_co_u32_e32 v14, vcc, s15, v14
	v_lshl_add_u64 v[14:15], v[14:15], 2, s[2:3]
	s_nop 0
	v_cndmask_b32_e32 v15, v15, v17, vcc
	v_cndmask_b32_e32 v14, v14, v16, vcc
	global_load_dword v7, v[14:15], off
	s_or_b64 exec, exec, s[4:5]
	v_cmp_gt_u32_e32 vcc, s6, v12
	s_and_saveexec_b64 s[4:5], vcc
	s_cbranch_execnz .LBB788_17
	s_branch .LBB788_18
.LBB788_51:
	ds_read_b32 v0, v4
	s_waitcnt lgkmcnt(0)
	global_store_dword v[2:3], v0, off
	s_or_b64 exec, exec, s[0:1]
	v_cmp_gt_u32_e64 s[0:1], s8, v16
	s_and_saveexec_b64 s[2:3], s[0:1]
	s_cbranch_execz .LBB788_36
.LBB788_52:
	s_waitcnt lgkmcnt(2)
	global_store_dword v[2:3], v18, off offset:1024
	s_or_b64 exec, exec, s[2:3]
	v_cmp_gt_u32_e64 s[2:3], s8, v15
	s_and_saveexec_b64 s[6:7], s[2:3]
	s_cbranch_execz .LBB788_37
.LBB788_53:
	s_waitcnt lgkmcnt(1)
	global_store_dword v[2:3], v17, off offset:2048
	s_or_b64 exec, exec, s[6:7]
	v_cmp_gt_u32_e64 s[6:7], s8, v14
	s_and_saveexec_b64 s[8:9], s[6:7]
	s_cbranch_execnz .LBB788_38
	s_branch .LBB788_39
.LBB788_54:
	ds_read_b32 v4, v4
	s_waitcnt lgkmcnt(0)
	global_store_dword v[0:1], v4, off
	s_or_b64 exec, exec, s[8:9]
	s_and_saveexec_b64 s[8:9], s[0:1]
	s_cbranch_execz .LBB788_41
.LBB788_55:
	s_waitcnt lgkmcnt(2)
	global_store_dword v[0:1], v3, off offset:1024
	s_or_b64 exec, exec, s[8:9]
	s_and_saveexec_b64 s[0:1], s[2:3]
	s_cbranch_execnz .LBB788_42
	s_branch .LBB788_43
	.section	.rodata,"a",@progbits
	.p2align	6, 0x0
	.amdhsa_kernel _ZN7rocprim17ROCPRIM_400000_NS6detail17trampoline_kernelINS0_14default_configENS1_38merge_sort_block_merge_config_selectorIiiEEZZNS1_27merge_sort_block_merge_implIS3_N6thrust23THRUST_200600_302600_NS6detail15normal_iteratorINS8_10device_ptrIiEEEESD_jNS1_19radix_merge_compareILb0ELb1EiNS0_19identity_decomposerEEEEE10hipError_tT0_T1_T2_jT3_P12ihipStream_tbPNSt15iterator_traitsISI_E10value_typeEPNSO_ISJ_E10value_typeEPSK_NS1_7vsmem_tEENKUlT_SI_SJ_SK_E_clISD_PiSD_S10_EESH_SX_SI_SJ_SK_EUlSX_E0_NS1_11comp_targetILNS1_3genE0ELNS1_11target_archE4294967295ELNS1_3gpuE0ELNS1_3repE0EEENS1_38merge_mergepath_config_static_selectorELNS0_4arch9wavefront6targetE1EEEvSJ_
		.amdhsa_group_segment_fixed_size 4224
		.amdhsa_private_segment_fixed_size 0
		.amdhsa_kernarg_size 320
		.amdhsa_user_sgpr_count 2
		.amdhsa_user_sgpr_dispatch_ptr 0
		.amdhsa_user_sgpr_queue_ptr 0
		.amdhsa_user_sgpr_kernarg_segment_ptr 1
		.amdhsa_user_sgpr_dispatch_id 0
		.amdhsa_user_sgpr_kernarg_preload_length 0
		.amdhsa_user_sgpr_kernarg_preload_offset 0
		.amdhsa_user_sgpr_private_segment_size 0
		.amdhsa_uses_dynamic_stack 0
		.amdhsa_enable_private_segment 0
		.amdhsa_system_sgpr_workgroup_id_x 1
		.amdhsa_system_sgpr_workgroup_id_y 1
		.amdhsa_system_sgpr_workgroup_id_z 1
		.amdhsa_system_sgpr_workgroup_info 0
		.amdhsa_system_vgpr_workitem_id 0
		.amdhsa_next_free_vgpr 21
		.amdhsa_next_free_sgpr 31
		.amdhsa_accum_offset 24
		.amdhsa_reserve_vcc 1
		.amdhsa_float_round_mode_32 0
		.amdhsa_float_round_mode_16_64 0
		.amdhsa_float_denorm_mode_32 3
		.amdhsa_float_denorm_mode_16_64 3
		.amdhsa_dx10_clamp 1
		.amdhsa_ieee_mode 1
		.amdhsa_fp16_overflow 0
		.amdhsa_tg_split 0
		.amdhsa_exception_fp_ieee_invalid_op 0
		.amdhsa_exception_fp_denorm_src 0
		.amdhsa_exception_fp_ieee_div_zero 0
		.amdhsa_exception_fp_ieee_overflow 0
		.amdhsa_exception_fp_ieee_underflow 0
		.amdhsa_exception_fp_ieee_inexact 0
		.amdhsa_exception_int_div_zero 0
	.end_amdhsa_kernel
	.section	.text._ZN7rocprim17ROCPRIM_400000_NS6detail17trampoline_kernelINS0_14default_configENS1_38merge_sort_block_merge_config_selectorIiiEEZZNS1_27merge_sort_block_merge_implIS3_N6thrust23THRUST_200600_302600_NS6detail15normal_iteratorINS8_10device_ptrIiEEEESD_jNS1_19radix_merge_compareILb0ELb1EiNS0_19identity_decomposerEEEEE10hipError_tT0_T1_T2_jT3_P12ihipStream_tbPNSt15iterator_traitsISI_E10value_typeEPNSO_ISJ_E10value_typeEPSK_NS1_7vsmem_tEENKUlT_SI_SJ_SK_E_clISD_PiSD_S10_EESH_SX_SI_SJ_SK_EUlSX_E0_NS1_11comp_targetILNS1_3genE0ELNS1_11target_archE4294967295ELNS1_3gpuE0ELNS1_3repE0EEENS1_38merge_mergepath_config_static_selectorELNS0_4arch9wavefront6targetE1EEEvSJ_,"axG",@progbits,_ZN7rocprim17ROCPRIM_400000_NS6detail17trampoline_kernelINS0_14default_configENS1_38merge_sort_block_merge_config_selectorIiiEEZZNS1_27merge_sort_block_merge_implIS3_N6thrust23THRUST_200600_302600_NS6detail15normal_iteratorINS8_10device_ptrIiEEEESD_jNS1_19radix_merge_compareILb0ELb1EiNS0_19identity_decomposerEEEEE10hipError_tT0_T1_T2_jT3_P12ihipStream_tbPNSt15iterator_traitsISI_E10value_typeEPNSO_ISJ_E10value_typeEPSK_NS1_7vsmem_tEENKUlT_SI_SJ_SK_E_clISD_PiSD_S10_EESH_SX_SI_SJ_SK_EUlSX_E0_NS1_11comp_targetILNS1_3genE0ELNS1_11target_archE4294967295ELNS1_3gpuE0ELNS1_3repE0EEENS1_38merge_mergepath_config_static_selectorELNS0_4arch9wavefront6targetE1EEEvSJ_,comdat
.Lfunc_end788:
	.size	_ZN7rocprim17ROCPRIM_400000_NS6detail17trampoline_kernelINS0_14default_configENS1_38merge_sort_block_merge_config_selectorIiiEEZZNS1_27merge_sort_block_merge_implIS3_N6thrust23THRUST_200600_302600_NS6detail15normal_iteratorINS8_10device_ptrIiEEEESD_jNS1_19radix_merge_compareILb0ELb1EiNS0_19identity_decomposerEEEEE10hipError_tT0_T1_T2_jT3_P12ihipStream_tbPNSt15iterator_traitsISI_E10value_typeEPNSO_ISJ_E10value_typeEPSK_NS1_7vsmem_tEENKUlT_SI_SJ_SK_E_clISD_PiSD_S10_EESH_SX_SI_SJ_SK_EUlSX_E0_NS1_11comp_targetILNS1_3genE0ELNS1_11target_archE4294967295ELNS1_3gpuE0ELNS1_3repE0EEENS1_38merge_mergepath_config_static_selectorELNS0_4arch9wavefront6targetE1EEEvSJ_, .Lfunc_end788-_ZN7rocprim17ROCPRIM_400000_NS6detail17trampoline_kernelINS0_14default_configENS1_38merge_sort_block_merge_config_selectorIiiEEZZNS1_27merge_sort_block_merge_implIS3_N6thrust23THRUST_200600_302600_NS6detail15normal_iteratorINS8_10device_ptrIiEEEESD_jNS1_19radix_merge_compareILb0ELb1EiNS0_19identity_decomposerEEEEE10hipError_tT0_T1_T2_jT3_P12ihipStream_tbPNSt15iterator_traitsISI_E10value_typeEPNSO_ISJ_E10value_typeEPSK_NS1_7vsmem_tEENKUlT_SI_SJ_SK_E_clISD_PiSD_S10_EESH_SX_SI_SJ_SK_EUlSX_E0_NS1_11comp_targetILNS1_3genE0ELNS1_11target_archE4294967295ELNS1_3gpuE0ELNS1_3repE0EEENS1_38merge_mergepath_config_static_selectorELNS0_4arch9wavefront6targetE1EEEvSJ_
                                        ; -- End function
	.set _ZN7rocprim17ROCPRIM_400000_NS6detail17trampoline_kernelINS0_14default_configENS1_38merge_sort_block_merge_config_selectorIiiEEZZNS1_27merge_sort_block_merge_implIS3_N6thrust23THRUST_200600_302600_NS6detail15normal_iteratorINS8_10device_ptrIiEEEESD_jNS1_19radix_merge_compareILb0ELb1EiNS0_19identity_decomposerEEEEE10hipError_tT0_T1_T2_jT3_P12ihipStream_tbPNSt15iterator_traitsISI_E10value_typeEPNSO_ISJ_E10value_typeEPSK_NS1_7vsmem_tEENKUlT_SI_SJ_SK_E_clISD_PiSD_S10_EESH_SX_SI_SJ_SK_EUlSX_E0_NS1_11comp_targetILNS1_3genE0ELNS1_11target_archE4294967295ELNS1_3gpuE0ELNS1_3repE0EEENS1_38merge_mergepath_config_static_selectorELNS0_4arch9wavefront6targetE1EEEvSJ_.num_vgpr, 21
	.set _ZN7rocprim17ROCPRIM_400000_NS6detail17trampoline_kernelINS0_14default_configENS1_38merge_sort_block_merge_config_selectorIiiEEZZNS1_27merge_sort_block_merge_implIS3_N6thrust23THRUST_200600_302600_NS6detail15normal_iteratorINS8_10device_ptrIiEEEESD_jNS1_19radix_merge_compareILb0ELb1EiNS0_19identity_decomposerEEEEE10hipError_tT0_T1_T2_jT3_P12ihipStream_tbPNSt15iterator_traitsISI_E10value_typeEPNSO_ISJ_E10value_typeEPSK_NS1_7vsmem_tEENKUlT_SI_SJ_SK_E_clISD_PiSD_S10_EESH_SX_SI_SJ_SK_EUlSX_E0_NS1_11comp_targetILNS1_3genE0ELNS1_11target_archE4294967295ELNS1_3gpuE0ELNS1_3repE0EEENS1_38merge_mergepath_config_static_selectorELNS0_4arch9wavefront6targetE1EEEvSJ_.num_agpr, 0
	.set _ZN7rocprim17ROCPRIM_400000_NS6detail17trampoline_kernelINS0_14default_configENS1_38merge_sort_block_merge_config_selectorIiiEEZZNS1_27merge_sort_block_merge_implIS3_N6thrust23THRUST_200600_302600_NS6detail15normal_iteratorINS8_10device_ptrIiEEEESD_jNS1_19radix_merge_compareILb0ELb1EiNS0_19identity_decomposerEEEEE10hipError_tT0_T1_T2_jT3_P12ihipStream_tbPNSt15iterator_traitsISI_E10value_typeEPNSO_ISJ_E10value_typeEPSK_NS1_7vsmem_tEENKUlT_SI_SJ_SK_E_clISD_PiSD_S10_EESH_SX_SI_SJ_SK_EUlSX_E0_NS1_11comp_targetILNS1_3genE0ELNS1_11target_archE4294967295ELNS1_3gpuE0ELNS1_3repE0EEENS1_38merge_mergepath_config_static_selectorELNS0_4arch9wavefront6targetE1EEEvSJ_.numbered_sgpr, 31
	.set _ZN7rocprim17ROCPRIM_400000_NS6detail17trampoline_kernelINS0_14default_configENS1_38merge_sort_block_merge_config_selectorIiiEEZZNS1_27merge_sort_block_merge_implIS3_N6thrust23THRUST_200600_302600_NS6detail15normal_iteratorINS8_10device_ptrIiEEEESD_jNS1_19radix_merge_compareILb0ELb1EiNS0_19identity_decomposerEEEEE10hipError_tT0_T1_T2_jT3_P12ihipStream_tbPNSt15iterator_traitsISI_E10value_typeEPNSO_ISJ_E10value_typeEPSK_NS1_7vsmem_tEENKUlT_SI_SJ_SK_E_clISD_PiSD_S10_EESH_SX_SI_SJ_SK_EUlSX_E0_NS1_11comp_targetILNS1_3genE0ELNS1_11target_archE4294967295ELNS1_3gpuE0ELNS1_3repE0EEENS1_38merge_mergepath_config_static_selectorELNS0_4arch9wavefront6targetE1EEEvSJ_.num_named_barrier, 0
	.set _ZN7rocprim17ROCPRIM_400000_NS6detail17trampoline_kernelINS0_14default_configENS1_38merge_sort_block_merge_config_selectorIiiEEZZNS1_27merge_sort_block_merge_implIS3_N6thrust23THRUST_200600_302600_NS6detail15normal_iteratorINS8_10device_ptrIiEEEESD_jNS1_19radix_merge_compareILb0ELb1EiNS0_19identity_decomposerEEEEE10hipError_tT0_T1_T2_jT3_P12ihipStream_tbPNSt15iterator_traitsISI_E10value_typeEPNSO_ISJ_E10value_typeEPSK_NS1_7vsmem_tEENKUlT_SI_SJ_SK_E_clISD_PiSD_S10_EESH_SX_SI_SJ_SK_EUlSX_E0_NS1_11comp_targetILNS1_3genE0ELNS1_11target_archE4294967295ELNS1_3gpuE0ELNS1_3repE0EEENS1_38merge_mergepath_config_static_selectorELNS0_4arch9wavefront6targetE1EEEvSJ_.private_seg_size, 0
	.set _ZN7rocprim17ROCPRIM_400000_NS6detail17trampoline_kernelINS0_14default_configENS1_38merge_sort_block_merge_config_selectorIiiEEZZNS1_27merge_sort_block_merge_implIS3_N6thrust23THRUST_200600_302600_NS6detail15normal_iteratorINS8_10device_ptrIiEEEESD_jNS1_19radix_merge_compareILb0ELb1EiNS0_19identity_decomposerEEEEE10hipError_tT0_T1_T2_jT3_P12ihipStream_tbPNSt15iterator_traitsISI_E10value_typeEPNSO_ISJ_E10value_typeEPSK_NS1_7vsmem_tEENKUlT_SI_SJ_SK_E_clISD_PiSD_S10_EESH_SX_SI_SJ_SK_EUlSX_E0_NS1_11comp_targetILNS1_3genE0ELNS1_11target_archE4294967295ELNS1_3gpuE0ELNS1_3repE0EEENS1_38merge_mergepath_config_static_selectorELNS0_4arch9wavefront6targetE1EEEvSJ_.uses_vcc, 1
	.set _ZN7rocprim17ROCPRIM_400000_NS6detail17trampoline_kernelINS0_14default_configENS1_38merge_sort_block_merge_config_selectorIiiEEZZNS1_27merge_sort_block_merge_implIS3_N6thrust23THRUST_200600_302600_NS6detail15normal_iteratorINS8_10device_ptrIiEEEESD_jNS1_19radix_merge_compareILb0ELb1EiNS0_19identity_decomposerEEEEE10hipError_tT0_T1_T2_jT3_P12ihipStream_tbPNSt15iterator_traitsISI_E10value_typeEPNSO_ISJ_E10value_typeEPSK_NS1_7vsmem_tEENKUlT_SI_SJ_SK_E_clISD_PiSD_S10_EESH_SX_SI_SJ_SK_EUlSX_E0_NS1_11comp_targetILNS1_3genE0ELNS1_11target_archE4294967295ELNS1_3gpuE0ELNS1_3repE0EEENS1_38merge_mergepath_config_static_selectorELNS0_4arch9wavefront6targetE1EEEvSJ_.uses_flat_scratch, 0
	.set _ZN7rocprim17ROCPRIM_400000_NS6detail17trampoline_kernelINS0_14default_configENS1_38merge_sort_block_merge_config_selectorIiiEEZZNS1_27merge_sort_block_merge_implIS3_N6thrust23THRUST_200600_302600_NS6detail15normal_iteratorINS8_10device_ptrIiEEEESD_jNS1_19radix_merge_compareILb0ELb1EiNS0_19identity_decomposerEEEEE10hipError_tT0_T1_T2_jT3_P12ihipStream_tbPNSt15iterator_traitsISI_E10value_typeEPNSO_ISJ_E10value_typeEPSK_NS1_7vsmem_tEENKUlT_SI_SJ_SK_E_clISD_PiSD_S10_EESH_SX_SI_SJ_SK_EUlSX_E0_NS1_11comp_targetILNS1_3genE0ELNS1_11target_archE4294967295ELNS1_3gpuE0ELNS1_3repE0EEENS1_38merge_mergepath_config_static_selectorELNS0_4arch9wavefront6targetE1EEEvSJ_.has_dyn_sized_stack, 0
	.set _ZN7rocprim17ROCPRIM_400000_NS6detail17trampoline_kernelINS0_14default_configENS1_38merge_sort_block_merge_config_selectorIiiEEZZNS1_27merge_sort_block_merge_implIS3_N6thrust23THRUST_200600_302600_NS6detail15normal_iteratorINS8_10device_ptrIiEEEESD_jNS1_19radix_merge_compareILb0ELb1EiNS0_19identity_decomposerEEEEE10hipError_tT0_T1_T2_jT3_P12ihipStream_tbPNSt15iterator_traitsISI_E10value_typeEPNSO_ISJ_E10value_typeEPSK_NS1_7vsmem_tEENKUlT_SI_SJ_SK_E_clISD_PiSD_S10_EESH_SX_SI_SJ_SK_EUlSX_E0_NS1_11comp_targetILNS1_3genE0ELNS1_11target_archE4294967295ELNS1_3gpuE0ELNS1_3repE0EEENS1_38merge_mergepath_config_static_selectorELNS0_4arch9wavefront6targetE1EEEvSJ_.has_recursion, 0
	.set _ZN7rocprim17ROCPRIM_400000_NS6detail17trampoline_kernelINS0_14default_configENS1_38merge_sort_block_merge_config_selectorIiiEEZZNS1_27merge_sort_block_merge_implIS3_N6thrust23THRUST_200600_302600_NS6detail15normal_iteratorINS8_10device_ptrIiEEEESD_jNS1_19radix_merge_compareILb0ELb1EiNS0_19identity_decomposerEEEEE10hipError_tT0_T1_T2_jT3_P12ihipStream_tbPNSt15iterator_traitsISI_E10value_typeEPNSO_ISJ_E10value_typeEPSK_NS1_7vsmem_tEENKUlT_SI_SJ_SK_E_clISD_PiSD_S10_EESH_SX_SI_SJ_SK_EUlSX_E0_NS1_11comp_targetILNS1_3genE0ELNS1_11target_archE4294967295ELNS1_3gpuE0ELNS1_3repE0EEENS1_38merge_mergepath_config_static_selectorELNS0_4arch9wavefront6targetE1EEEvSJ_.has_indirect_call, 0
	.section	.AMDGPU.csdata,"",@progbits
; Kernel info:
; codeLenInByte = 2904
; TotalNumSgprs: 37
; NumVgprs: 21
; NumAgprs: 0
; TotalNumVgprs: 21
; ScratchSize: 0
; MemoryBound: 0
; FloatMode: 240
; IeeeMode: 1
; LDSByteSize: 4224 bytes/workgroup (compile time only)
; SGPRBlocks: 4
; VGPRBlocks: 2
; NumSGPRsForWavesPerEU: 37
; NumVGPRsForWavesPerEU: 21
; AccumOffset: 24
; Occupancy: 8
; WaveLimiterHint : 1
; COMPUTE_PGM_RSRC2:SCRATCH_EN: 0
; COMPUTE_PGM_RSRC2:USER_SGPR: 2
; COMPUTE_PGM_RSRC2:TRAP_HANDLER: 0
; COMPUTE_PGM_RSRC2:TGID_X_EN: 1
; COMPUTE_PGM_RSRC2:TGID_Y_EN: 1
; COMPUTE_PGM_RSRC2:TGID_Z_EN: 1
; COMPUTE_PGM_RSRC2:TIDIG_COMP_CNT: 0
; COMPUTE_PGM_RSRC3_GFX90A:ACCUM_OFFSET: 5
; COMPUTE_PGM_RSRC3_GFX90A:TG_SPLIT: 0
	.section	.text._ZN7rocprim17ROCPRIM_400000_NS6detail17trampoline_kernelINS0_14default_configENS1_38merge_sort_block_merge_config_selectorIiiEEZZNS1_27merge_sort_block_merge_implIS3_N6thrust23THRUST_200600_302600_NS6detail15normal_iteratorINS8_10device_ptrIiEEEESD_jNS1_19radix_merge_compareILb0ELb1EiNS0_19identity_decomposerEEEEE10hipError_tT0_T1_T2_jT3_P12ihipStream_tbPNSt15iterator_traitsISI_E10value_typeEPNSO_ISJ_E10value_typeEPSK_NS1_7vsmem_tEENKUlT_SI_SJ_SK_E_clISD_PiSD_S10_EESH_SX_SI_SJ_SK_EUlSX_E0_NS1_11comp_targetILNS1_3genE10ELNS1_11target_archE1201ELNS1_3gpuE5ELNS1_3repE0EEENS1_38merge_mergepath_config_static_selectorELNS0_4arch9wavefront6targetE1EEEvSJ_,"axG",@progbits,_ZN7rocprim17ROCPRIM_400000_NS6detail17trampoline_kernelINS0_14default_configENS1_38merge_sort_block_merge_config_selectorIiiEEZZNS1_27merge_sort_block_merge_implIS3_N6thrust23THRUST_200600_302600_NS6detail15normal_iteratorINS8_10device_ptrIiEEEESD_jNS1_19radix_merge_compareILb0ELb1EiNS0_19identity_decomposerEEEEE10hipError_tT0_T1_T2_jT3_P12ihipStream_tbPNSt15iterator_traitsISI_E10value_typeEPNSO_ISJ_E10value_typeEPSK_NS1_7vsmem_tEENKUlT_SI_SJ_SK_E_clISD_PiSD_S10_EESH_SX_SI_SJ_SK_EUlSX_E0_NS1_11comp_targetILNS1_3genE10ELNS1_11target_archE1201ELNS1_3gpuE5ELNS1_3repE0EEENS1_38merge_mergepath_config_static_selectorELNS0_4arch9wavefront6targetE1EEEvSJ_,comdat
	.protected	_ZN7rocprim17ROCPRIM_400000_NS6detail17trampoline_kernelINS0_14default_configENS1_38merge_sort_block_merge_config_selectorIiiEEZZNS1_27merge_sort_block_merge_implIS3_N6thrust23THRUST_200600_302600_NS6detail15normal_iteratorINS8_10device_ptrIiEEEESD_jNS1_19radix_merge_compareILb0ELb1EiNS0_19identity_decomposerEEEEE10hipError_tT0_T1_T2_jT3_P12ihipStream_tbPNSt15iterator_traitsISI_E10value_typeEPNSO_ISJ_E10value_typeEPSK_NS1_7vsmem_tEENKUlT_SI_SJ_SK_E_clISD_PiSD_S10_EESH_SX_SI_SJ_SK_EUlSX_E0_NS1_11comp_targetILNS1_3genE10ELNS1_11target_archE1201ELNS1_3gpuE5ELNS1_3repE0EEENS1_38merge_mergepath_config_static_selectorELNS0_4arch9wavefront6targetE1EEEvSJ_ ; -- Begin function _ZN7rocprim17ROCPRIM_400000_NS6detail17trampoline_kernelINS0_14default_configENS1_38merge_sort_block_merge_config_selectorIiiEEZZNS1_27merge_sort_block_merge_implIS3_N6thrust23THRUST_200600_302600_NS6detail15normal_iteratorINS8_10device_ptrIiEEEESD_jNS1_19radix_merge_compareILb0ELb1EiNS0_19identity_decomposerEEEEE10hipError_tT0_T1_T2_jT3_P12ihipStream_tbPNSt15iterator_traitsISI_E10value_typeEPNSO_ISJ_E10value_typeEPSK_NS1_7vsmem_tEENKUlT_SI_SJ_SK_E_clISD_PiSD_S10_EESH_SX_SI_SJ_SK_EUlSX_E0_NS1_11comp_targetILNS1_3genE10ELNS1_11target_archE1201ELNS1_3gpuE5ELNS1_3repE0EEENS1_38merge_mergepath_config_static_selectorELNS0_4arch9wavefront6targetE1EEEvSJ_
	.globl	_ZN7rocprim17ROCPRIM_400000_NS6detail17trampoline_kernelINS0_14default_configENS1_38merge_sort_block_merge_config_selectorIiiEEZZNS1_27merge_sort_block_merge_implIS3_N6thrust23THRUST_200600_302600_NS6detail15normal_iteratorINS8_10device_ptrIiEEEESD_jNS1_19radix_merge_compareILb0ELb1EiNS0_19identity_decomposerEEEEE10hipError_tT0_T1_T2_jT3_P12ihipStream_tbPNSt15iterator_traitsISI_E10value_typeEPNSO_ISJ_E10value_typeEPSK_NS1_7vsmem_tEENKUlT_SI_SJ_SK_E_clISD_PiSD_S10_EESH_SX_SI_SJ_SK_EUlSX_E0_NS1_11comp_targetILNS1_3genE10ELNS1_11target_archE1201ELNS1_3gpuE5ELNS1_3repE0EEENS1_38merge_mergepath_config_static_selectorELNS0_4arch9wavefront6targetE1EEEvSJ_
	.p2align	8
	.type	_ZN7rocprim17ROCPRIM_400000_NS6detail17trampoline_kernelINS0_14default_configENS1_38merge_sort_block_merge_config_selectorIiiEEZZNS1_27merge_sort_block_merge_implIS3_N6thrust23THRUST_200600_302600_NS6detail15normal_iteratorINS8_10device_ptrIiEEEESD_jNS1_19radix_merge_compareILb0ELb1EiNS0_19identity_decomposerEEEEE10hipError_tT0_T1_T2_jT3_P12ihipStream_tbPNSt15iterator_traitsISI_E10value_typeEPNSO_ISJ_E10value_typeEPSK_NS1_7vsmem_tEENKUlT_SI_SJ_SK_E_clISD_PiSD_S10_EESH_SX_SI_SJ_SK_EUlSX_E0_NS1_11comp_targetILNS1_3genE10ELNS1_11target_archE1201ELNS1_3gpuE5ELNS1_3repE0EEENS1_38merge_mergepath_config_static_selectorELNS0_4arch9wavefront6targetE1EEEvSJ_,@function
_ZN7rocprim17ROCPRIM_400000_NS6detail17trampoline_kernelINS0_14default_configENS1_38merge_sort_block_merge_config_selectorIiiEEZZNS1_27merge_sort_block_merge_implIS3_N6thrust23THRUST_200600_302600_NS6detail15normal_iteratorINS8_10device_ptrIiEEEESD_jNS1_19radix_merge_compareILb0ELb1EiNS0_19identity_decomposerEEEEE10hipError_tT0_T1_T2_jT3_P12ihipStream_tbPNSt15iterator_traitsISI_E10value_typeEPNSO_ISJ_E10value_typeEPSK_NS1_7vsmem_tEENKUlT_SI_SJ_SK_E_clISD_PiSD_S10_EESH_SX_SI_SJ_SK_EUlSX_E0_NS1_11comp_targetILNS1_3genE10ELNS1_11target_archE1201ELNS1_3gpuE5ELNS1_3repE0EEENS1_38merge_mergepath_config_static_selectorELNS0_4arch9wavefront6targetE1EEEvSJ_: ; @_ZN7rocprim17ROCPRIM_400000_NS6detail17trampoline_kernelINS0_14default_configENS1_38merge_sort_block_merge_config_selectorIiiEEZZNS1_27merge_sort_block_merge_implIS3_N6thrust23THRUST_200600_302600_NS6detail15normal_iteratorINS8_10device_ptrIiEEEESD_jNS1_19radix_merge_compareILb0ELb1EiNS0_19identity_decomposerEEEEE10hipError_tT0_T1_T2_jT3_P12ihipStream_tbPNSt15iterator_traitsISI_E10value_typeEPNSO_ISJ_E10value_typeEPSK_NS1_7vsmem_tEENKUlT_SI_SJ_SK_E_clISD_PiSD_S10_EESH_SX_SI_SJ_SK_EUlSX_E0_NS1_11comp_targetILNS1_3genE10ELNS1_11target_archE1201ELNS1_3gpuE5ELNS1_3repE0EEENS1_38merge_mergepath_config_static_selectorELNS0_4arch9wavefront6targetE1EEEvSJ_
; %bb.0:
	.section	.rodata,"a",@progbits
	.p2align	6, 0x0
	.amdhsa_kernel _ZN7rocprim17ROCPRIM_400000_NS6detail17trampoline_kernelINS0_14default_configENS1_38merge_sort_block_merge_config_selectorIiiEEZZNS1_27merge_sort_block_merge_implIS3_N6thrust23THRUST_200600_302600_NS6detail15normal_iteratorINS8_10device_ptrIiEEEESD_jNS1_19radix_merge_compareILb0ELb1EiNS0_19identity_decomposerEEEEE10hipError_tT0_T1_T2_jT3_P12ihipStream_tbPNSt15iterator_traitsISI_E10value_typeEPNSO_ISJ_E10value_typeEPSK_NS1_7vsmem_tEENKUlT_SI_SJ_SK_E_clISD_PiSD_S10_EESH_SX_SI_SJ_SK_EUlSX_E0_NS1_11comp_targetILNS1_3genE10ELNS1_11target_archE1201ELNS1_3gpuE5ELNS1_3repE0EEENS1_38merge_mergepath_config_static_selectorELNS0_4arch9wavefront6targetE1EEEvSJ_
		.amdhsa_group_segment_fixed_size 0
		.amdhsa_private_segment_fixed_size 0
		.amdhsa_kernarg_size 64
		.amdhsa_user_sgpr_count 2
		.amdhsa_user_sgpr_dispatch_ptr 0
		.amdhsa_user_sgpr_queue_ptr 0
		.amdhsa_user_sgpr_kernarg_segment_ptr 1
		.amdhsa_user_sgpr_dispatch_id 0
		.amdhsa_user_sgpr_kernarg_preload_length 0
		.amdhsa_user_sgpr_kernarg_preload_offset 0
		.amdhsa_user_sgpr_private_segment_size 0
		.amdhsa_uses_dynamic_stack 0
		.amdhsa_enable_private_segment 0
		.amdhsa_system_sgpr_workgroup_id_x 1
		.amdhsa_system_sgpr_workgroup_id_y 0
		.amdhsa_system_sgpr_workgroup_id_z 0
		.amdhsa_system_sgpr_workgroup_info 0
		.amdhsa_system_vgpr_workitem_id 0
		.amdhsa_next_free_vgpr 1
		.amdhsa_next_free_sgpr 0
		.amdhsa_accum_offset 4
		.amdhsa_reserve_vcc 0
		.amdhsa_float_round_mode_32 0
		.amdhsa_float_round_mode_16_64 0
		.amdhsa_float_denorm_mode_32 3
		.amdhsa_float_denorm_mode_16_64 3
		.amdhsa_dx10_clamp 1
		.amdhsa_ieee_mode 1
		.amdhsa_fp16_overflow 0
		.amdhsa_tg_split 0
		.amdhsa_exception_fp_ieee_invalid_op 0
		.amdhsa_exception_fp_denorm_src 0
		.amdhsa_exception_fp_ieee_div_zero 0
		.amdhsa_exception_fp_ieee_overflow 0
		.amdhsa_exception_fp_ieee_underflow 0
		.amdhsa_exception_fp_ieee_inexact 0
		.amdhsa_exception_int_div_zero 0
	.end_amdhsa_kernel
	.section	.text._ZN7rocprim17ROCPRIM_400000_NS6detail17trampoline_kernelINS0_14default_configENS1_38merge_sort_block_merge_config_selectorIiiEEZZNS1_27merge_sort_block_merge_implIS3_N6thrust23THRUST_200600_302600_NS6detail15normal_iteratorINS8_10device_ptrIiEEEESD_jNS1_19radix_merge_compareILb0ELb1EiNS0_19identity_decomposerEEEEE10hipError_tT0_T1_T2_jT3_P12ihipStream_tbPNSt15iterator_traitsISI_E10value_typeEPNSO_ISJ_E10value_typeEPSK_NS1_7vsmem_tEENKUlT_SI_SJ_SK_E_clISD_PiSD_S10_EESH_SX_SI_SJ_SK_EUlSX_E0_NS1_11comp_targetILNS1_3genE10ELNS1_11target_archE1201ELNS1_3gpuE5ELNS1_3repE0EEENS1_38merge_mergepath_config_static_selectorELNS0_4arch9wavefront6targetE1EEEvSJ_,"axG",@progbits,_ZN7rocprim17ROCPRIM_400000_NS6detail17trampoline_kernelINS0_14default_configENS1_38merge_sort_block_merge_config_selectorIiiEEZZNS1_27merge_sort_block_merge_implIS3_N6thrust23THRUST_200600_302600_NS6detail15normal_iteratorINS8_10device_ptrIiEEEESD_jNS1_19radix_merge_compareILb0ELb1EiNS0_19identity_decomposerEEEEE10hipError_tT0_T1_T2_jT3_P12ihipStream_tbPNSt15iterator_traitsISI_E10value_typeEPNSO_ISJ_E10value_typeEPSK_NS1_7vsmem_tEENKUlT_SI_SJ_SK_E_clISD_PiSD_S10_EESH_SX_SI_SJ_SK_EUlSX_E0_NS1_11comp_targetILNS1_3genE10ELNS1_11target_archE1201ELNS1_3gpuE5ELNS1_3repE0EEENS1_38merge_mergepath_config_static_selectorELNS0_4arch9wavefront6targetE1EEEvSJ_,comdat
.Lfunc_end789:
	.size	_ZN7rocprim17ROCPRIM_400000_NS6detail17trampoline_kernelINS0_14default_configENS1_38merge_sort_block_merge_config_selectorIiiEEZZNS1_27merge_sort_block_merge_implIS3_N6thrust23THRUST_200600_302600_NS6detail15normal_iteratorINS8_10device_ptrIiEEEESD_jNS1_19radix_merge_compareILb0ELb1EiNS0_19identity_decomposerEEEEE10hipError_tT0_T1_T2_jT3_P12ihipStream_tbPNSt15iterator_traitsISI_E10value_typeEPNSO_ISJ_E10value_typeEPSK_NS1_7vsmem_tEENKUlT_SI_SJ_SK_E_clISD_PiSD_S10_EESH_SX_SI_SJ_SK_EUlSX_E0_NS1_11comp_targetILNS1_3genE10ELNS1_11target_archE1201ELNS1_3gpuE5ELNS1_3repE0EEENS1_38merge_mergepath_config_static_selectorELNS0_4arch9wavefront6targetE1EEEvSJ_, .Lfunc_end789-_ZN7rocprim17ROCPRIM_400000_NS6detail17trampoline_kernelINS0_14default_configENS1_38merge_sort_block_merge_config_selectorIiiEEZZNS1_27merge_sort_block_merge_implIS3_N6thrust23THRUST_200600_302600_NS6detail15normal_iteratorINS8_10device_ptrIiEEEESD_jNS1_19radix_merge_compareILb0ELb1EiNS0_19identity_decomposerEEEEE10hipError_tT0_T1_T2_jT3_P12ihipStream_tbPNSt15iterator_traitsISI_E10value_typeEPNSO_ISJ_E10value_typeEPSK_NS1_7vsmem_tEENKUlT_SI_SJ_SK_E_clISD_PiSD_S10_EESH_SX_SI_SJ_SK_EUlSX_E0_NS1_11comp_targetILNS1_3genE10ELNS1_11target_archE1201ELNS1_3gpuE5ELNS1_3repE0EEENS1_38merge_mergepath_config_static_selectorELNS0_4arch9wavefront6targetE1EEEvSJ_
                                        ; -- End function
	.set _ZN7rocprim17ROCPRIM_400000_NS6detail17trampoline_kernelINS0_14default_configENS1_38merge_sort_block_merge_config_selectorIiiEEZZNS1_27merge_sort_block_merge_implIS3_N6thrust23THRUST_200600_302600_NS6detail15normal_iteratorINS8_10device_ptrIiEEEESD_jNS1_19radix_merge_compareILb0ELb1EiNS0_19identity_decomposerEEEEE10hipError_tT0_T1_T2_jT3_P12ihipStream_tbPNSt15iterator_traitsISI_E10value_typeEPNSO_ISJ_E10value_typeEPSK_NS1_7vsmem_tEENKUlT_SI_SJ_SK_E_clISD_PiSD_S10_EESH_SX_SI_SJ_SK_EUlSX_E0_NS1_11comp_targetILNS1_3genE10ELNS1_11target_archE1201ELNS1_3gpuE5ELNS1_3repE0EEENS1_38merge_mergepath_config_static_selectorELNS0_4arch9wavefront6targetE1EEEvSJ_.num_vgpr, 0
	.set _ZN7rocprim17ROCPRIM_400000_NS6detail17trampoline_kernelINS0_14default_configENS1_38merge_sort_block_merge_config_selectorIiiEEZZNS1_27merge_sort_block_merge_implIS3_N6thrust23THRUST_200600_302600_NS6detail15normal_iteratorINS8_10device_ptrIiEEEESD_jNS1_19radix_merge_compareILb0ELb1EiNS0_19identity_decomposerEEEEE10hipError_tT0_T1_T2_jT3_P12ihipStream_tbPNSt15iterator_traitsISI_E10value_typeEPNSO_ISJ_E10value_typeEPSK_NS1_7vsmem_tEENKUlT_SI_SJ_SK_E_clISD_PiSD_S10_EESH_SX_SI_SJ_SK_EUlSX_E0_NS1_11comp_targetILNS1_3genE10ELNS1_11target_archE1201ELNS1_3gpuE5ELNS1_3repE0EEENS1_38merge_mergepath_config_static_selectorELNS0_4arch9wavefront6targetE1EEEvSJ_.num_agpr, 0
	.set _ZN7rocprim17ROCPRIM_400000_NS6detail17trampoline_kernelINS0_14default_configENS1_38merge_sort_block_merge_config_selectorIiiEEZZNS1_27merge_sort_block_merge_implIS3_N6thrust23THRUST_200600_302600_NS6detail15normal_iteratorINS8_10device_ptrIiEEEESD_jNS1_19radix_merge_compareILb0ELb1EiNS0_19identity_decomposerEEEEE10hipError_tT0_T1_T2_jT3_P12ihipStream_tbPNSt15iterator_traitsISI_E10value_typeEPNSO_ISJ_E10value_typeEPSK_NS1_7vsmem_tEENKUlT_SI_SJ_SK_E_clISD_PiSD_S10_EESH_SX_SI_SJ_SK_EUlSX_E0_NS1_11comp_targetILNS1_3genE10ELNS1_11target_archE1201ELNS1_3gpuE5ELNS1_3repE0EEENS1_38merge_mergepath_config_static_selectorELNS0_4arch9wavefront6targetE1EEEvSJ_.numbered_sgpr, 0
	.set _ZN7rocprim17ROCPRIM_400000_NS6detail17trampoline_kernelINS0_14default_configENS1_38merge_sort_block_merge_config_selectorIiiEEZZNS1_27merge_sort_block_merge_implIS3_N6thrust23THRUST_200600_302600_NS6detail15normal_iteratorINS8_10device_ptrIiEEEESD_jNS1_19radix_merge_compareILb0ELb1EiNS0_19identity_decomposerEEEEE10hipError_tT0_T1_T2_jT3_P12ihipStream_tbPNSt15iterator_traitsISI_E10value_typeEPNSO_ISJ_E10value_typeEPSK_NS1_7vsmem_tEENKUlT_SI_SJ_SK_E_clISD_PiSD_S10_EESH_SX_SI_SJ_SK_EUlSX_E0_NS1_11comp_targetILNS1_3genE10ELNS1_11target_archE1201ELNS1_3gpuE5ELNS1_3repE0EEENS1_38merge_mergepath_config_static_selectorELNS0_4arch9wavefront6targetE1EEEvSJ_.num_named_barrier, 0
	.set _ZN7rocprim17ROCPRIM_400000_NS6detail17trampoline_kernelINS0_14default_configENS1_38merge_sort_block_merge_config_selectorIiiEEZZNS1_27merge_sort_block_merge_implIS3_N6thrust23THRUST_200600_302600_NS6detail15normal_iteratorINS8_10device_ptrIiEEEESD_jNS1_19radix_merge_compareILb0ELb1EiNS0_19identity_decomposerEEEEE10hipError_tT0_T1_T2_jT3_P12ihipStream_tbPNSt15iterator_traitsISI_E10value_typeEPNSO_ISJ_E10value_typeEPSK_NS1_7vsmem_tEENKUlT_SI_SJ_SK_E_clISD_PiSD_S10_EESH_SX_SI_SJ_SK_EUlSX_E0_NS1_11comp_targetILNS1_3genE10ELNS1_11target_archE1201ELNS1_3gpuE5ELNS1_3repE0EEENS1_38merge_mergepath_config_static_selectorELNS0_4arch9wavefront6targetE1EEEvSJ_.private_seg_size, 0
	.set _ZN7rocprim17ROCPRIM_400000_NS6detail17trampoline_kernelINS0_14default_configENS1_38merge_sort_block_merge_config_selectorIiiEEZZNS1_27merge_sort_block_merge_implIS3_N6thrust23THRUST_200600_302600_NS6detail15normal_iteratorINS8_10device_ptrIiEEEESD_jNS1_19radix_merge_compareILb0ELb1EiNS0_19identity_decomposerEEEEE10hipError_tT0_T1_T2_jT3_P12ihipStream_tbPNSt15iterator_traitsISI_E10value_typeEPNSO_ISJ_E10value_typeEPSK_NS1_7vsmem_tEENKUlT_SI_SJ_SK_E_clISD_PiSD_S10_EESH_SX_SI_SJ_SK_EUlSX_E0_NS1_11comp_targetILNS1_3genE10ELNS1_11target_archE1201ELNS1_3gpuE5ELNS1_3repE0EEENS1_38merge_mergepath_config_static_selectorELNS0_4arch9wavefront6targetE1EEEvSJ_.uses_vcc, 0
	.set _ZN7rocprim17ROCPRIM_400000_NS6detail17trampoline_kernelINS0_14default_configENS1_38merge_sort_block_merge_config_selectorIiiEEZZNS1_27merge_sort_block_merge_implIS3_N6thrust23THRUST_200600_302600_NS6detail15normal_iteratorINS8_10device_ptrIiEEEESD_jNS1_19radix_merge_compareILb0ELb1EiNS0_19identity_decomposerEEEEE10hipError_tT0_T1_T2_jT3_P12ihipStream_tbPNSt15iterator_traitsISI_E10value_typeEPNSO_ISJ_E10value_typeEPSK_NS1_7vsmem_tEENKUlT_SI_SJ_SK_E_clISD_PiSD_S10_EESH_SX_SI_SJ_SK_EUlSX_E0_NS1_11comp_targetILNS1_3genE10ELNS1_11target_archE1201ELNS1_3gpuE5ELNS1_3repE0EEENS1_38merge_mergepath_config_static_selectorELNS0_4arch9wavefront6targetE1EEEvSJ_.uses_flat_scratch, 0
	.set _ZN7rocprim17ROCPRIM_400000_NS6detail17trampoline_kernelINS0_14default_configENS1_38merge_sort_block_merge_config_selectorIiiEEZZNS1_27merge_sort_block_merge_implIS3_N6thrust23THRUST_200600_302600_NS6detail15normal_iteratorINS8_10device_ptrIiEEEESD_jNS1_19radix_merge_compareILb0ELb1EiNS0_19identity_decomposerEEEEE10hipError_tT0_T1_T2_jT3_P12ihipStream_tbPNSt15iterator_traitsISI_E10value_typeEPNSO_ISJ_E10value_typeEPSK_NS1_7vsmem_tEENKUlT_SI_SJ_SK_E_clISD_PiSD_S10_EESH_SX_SI_SJ_SK_EUlSX_E0_NS1_11comp_targetILNS1_3genE10ELNS1_11target_archE1201ELNS1_3gpuE5ELNS1_3repE0EEENS1_38merge_mergepath_config_static_selectorELNS0_4arch9wavefront6targetE1EEEvSJ_.has_dyn_sized_stack, 0
	.set _ZN7rocprim17ROCPRIM_400000_NS6detail17trampoline_kernelINS0_14default_configENS1_38merge_sort_block_merge_config_selectorIiiEEZZNS1_27merge_sort_block_merge_implIS3_N6thrust23THRUST_200600_302600_NS6detail15normal_iteratorINS8_10device_ptrIiEEEESD_jNS1_19radix_merge_compareILb0ELb1EiNS0_19identity_decomposerEEEEE10hipError_tT0_T1_T2_jT3_P12ihipStream_tbPNSt15iterator_traitsISI_E10value_typeEPNSO_ISJ_E10value_typeEPSK_NS1_7vsmem_tEENKUlT_SI_SJ_SK_E_clISD_PiSD_S10_EESH_SX_SI_SJ_SK_EUlSX_E0_NS1_11comp_targetILNS1_3genE10ELNS1_11target_archE1201ELNS1_3gpuE5ELNS1_3repE0EEENS1_38merge_mergepath_config_static_selectorELNS0_4arch9wavefront6targetE1EEEvSJ_.has_recursion, 0
	.set _ZN7rocprim17ROCPRIM_400000_NS6detail17trampoline_kernelINS0_14default_configENS1_38merge_sort_block_merge_config_selectorIiiEEZZNS1_27merge_sort_block_merge_implIS3_N6thrust23THRUST_200600_302600_NS6detail15normal_iteratorINS8_10device_ptrIiEEEESD_jNS1_19radix_merge_compareILb0ELb1EiNS0_19identity_decomposerEEEEE10hipError_tT0_T1_T2_jT3_P12ihipStream_tbPNSt15iterator_traitsISI_E10value_typeEPNSO_ISJ_E10value_typeEPSK_NS1_7vsmem_tEENKUlT_SI_SJ_SK_E_clISD_PiSD_S10_EESH_SX_SI_SJ_SK_EUlSX_E0_NS1_11comp_targetILNS1_3genE10ELNS1_11target_archE1201ELNS1_3gpuE5ELNS1_3repE0EEENS1_38merge_mergepath_config_static_selectorELNS0_4arch9wavefront6targetE1EEEvSJ_.has_indirect_call, 0
	.section	.AMDGPU.csdata,"",@progbits
; Kernel info:
; codeLenInByte = 0
; TotalNumSgprs: 6
; NumVgprs: 0
; NumAgprs: 0
; TotalNumVgprs: 0
; ScratchSize: 0
; MemoryBound: 0
; FloatMode: 240
; IeeeMode: 1
; LDSByteSize: 0 bytes/workgroup (compile time only)
; SGPRBlocks: 0
; VGPRBlocks: 0
; NumSGPRsForWavesPerEU: 6
; NumVGPRsForWavesPerEU: 1
; AccumOffset: 4
; Occupancy: 8
; WaveLimiterHint : 0
; COMPUTE_PGM_RSRC2:SCRATCH_EN: 0
; COMPUTE_PGM_RSRC2:USER_SGPR: 2
; COMPUTE_PGM_RSRC2:TRAP_HANDLER: 0
; COMPUTE_PGM_RSRC2:TGID_X_EN: 1
; COMPUTE_PGM_RSRC2:TGID_Y_EN: 0
; COMPUTE_PGM_RSRC2:TGID_Z_EN: 0
; COMPUTE_PGM_RSRC2:TIDIG_COMP_CNT: 0
; COMPUTE_PGM_RSRC3_GFX90A:ACCUM_OFFSET: 0
; COMPUTE_PGM_RSRC3_GFX90A:TG_SPLIT: 0
	.section	.text._ZN7rocprim17ROCPRIM_400000_NS6detail17trampoline_kernelINS0_14default_configENS1_38merge_sort_block_merge_config_selectorIiiEEZZNS1_27merge_sort_block_merge_implIS3_N6thrust23THRUST_200600_302600_NS6detail15normal_iteratorINS8_10device_ptrIiEEEESD_jNS1_19radix_merge_compareILb0ELb1EiNS0_19identity_decomposerEEEEE10hipError_tT0_T1_T2_jT3_P12ihipStream_tbPNSt15iterator_traitsISI_E10value_typeEPNSO_ISJ_E10value_typeEPSK_NS1_7vsmem_tEENKUlT_SI_SJ_SK_E_clISD_PiSD_S10_EESH_SX_SI_SJ_SK_EUlSX_E0_NS1_11comp_targetILNS1_3genE5ELNS1_11target_archE942ELNS1_3gpuE9ELNS1_3repE0EEENS1_38merge_mergepath_config_static_selectorELNS0_4arch9wavefront6targetE1EEEvSJ_,"axG",@progbits,_ZN7rocprim17ROCPRIM_400000_NS6detail17trampoline_kernelINS0_14default_configENS1_38merge_sort_block_merge_config_selectorIiiEEZZNS1_27merge_sort_block_merge_implIS3_N6thrust23THRUST_200600_302600_NS6detail15normal_iteratorINS8_10device_ptrIiEEEESD_jNS1_19radix_merge_compareILb0ELb1EiNS0_19identity_decomposerEEEEE10hipError_tT0_T1_T2_jT3_P12ihipStream_tbPNSt15iterator_traitsISI_E10value_typeEPNSO_ISJ_E10value_typeEPSK_NS1_7vsmem_tEENKUlT_SI_SJ_SK_E_clISD_PiSD_S10_EESH_SX_SI_SJ_SK_EUlSX_E0_NS1_11comp_targetILNS1_3genE5ELNS1_11target_archE942ELNS1_3gpuE9ELNS1_3repE0EEENS1_38merge_mergepath_config_static_selectorELNS0_4arch9wavefront6targetE1EEEvSJ_,comdat
	.protected	_ZN7rocprim17ROCPRIM_400000_NS6detail17trampoline_kernelINS0_14default_configENS1_38merge_sort_block_merge_config_selectorIiiEEZZNS1_27merge_sort_block_merge_implIS3_N6thrust23THRUST_200600_302600_NS6detail15normal_iteratorINS8_10device_ptrIiEEEESD_jNS1_19radix_merge_compareILb0ELb1EiNS0_19identity_decomposerEEEEE10hipError_tT0_T1_T2_jT3_P12ihipStream_tbPNSt15iterator_traitsISI_E10value_typeEPNSO_ISJ_E10value_typeEPSK_NS1_7vsmem_tEENKUlT_SI_SJ_SK_E_clISD_PiSD_S10_EESH_SX_SI_SJ_SK_EUlSX_E0_NS1_11comp_targetILNS1_3genE5ELNS1_11target_archE942ELNS1_3gpuE9ELNS1_3repE0EEENS1_38merge_mergepath_config_static_selectorELNS0_4arch9wavefront6targetE1EEEvSJ_ ; -- Begin function _ZN7rocprim17ROCPRIM_400000_NS6detail17trampoline_kernelINS0_14default_configENS1_38merge_sort_block_merge_config_selectorIiiEEZZNS1_27merge_sort_block_merge_implIS3_N6thrust23THRUST_200600_302600_NS6detail15normal_iteratorINS8_10device_ptrIiEEEESD_jNS1_19radix_merge_compareILb0ELb1EiNS0_19identity_decomposerEEEEE10hipError_tT0_T1_T2_jT3_P12ihipStream_tbPNSt15iterator_traitsISI_E10value_typeEPNSO_ISJ_E10value_typeEPSK_NS1_7vsmem_tEENKUlT_SI_SJ_SK_E_clISD_PiSD_S10_EESH_SX_SI_SJ_SK_EUlSX_E0_NS1_11comp_targetILNS1_3genE5ELNS1_11target_archE942ELNS1_3gpuE9ELNS1_3repE0EEENS1_38merge_mergepath_config_static_selectorELNS0_4arch9wavefront6targetE1EEEvSJ_
	.globl	_ZN7rocprim17ROCPRIM_400000_NS6detail17trampoline_kernelINS0_14default_configENS1_38merge_sort_block_merge_config_selectorIiiEEZZNS1_27merge_sort_block_merge_implIS3_N6thrust23THRUST_200600_302600_NS6detail15normal_iteratorINS8_10device_ptrIiEEEESD_jNS1_19radix_merge_compareILb0ELb1EiNS0_19identity_decomposerEEEEE10hipError_tT0_T1_T2_jT3_P12ihipStream_tbPNSt15iterator_traitsISI_E10value_typeEPNSO_ISJ_E10value_typeEPSK_NS1_7vsmem_tEENKUlT_SI_SJ_SK_E_clISD_PiSD_S10_EESH_SX_SI_SJ_SK_EUlSX_E0_NS1_11comp_targetILNS1_3genE5ELNS1_11target_archE942ELNS1_3gpuE9ELNS1_3repE0EEENS1_38merge_mergepath_config_static_selectorELNS0_4arch9wavefront6targetE1EEEvSJ_
	.p2align	8
	.type	_ZN7rocprim17ROCPRIM_400000_NS6detail17trampoline_kernelINS0_14default_configENS1_38merge_sort_block_merge_config_selectorIiiEEZZNS1_27merge_sort_block_merge_implIS3_N6thrust23THRUST_200600_302600_NS6detail15normal_iteratorINS8_10device_ptrIiEEEESD_jNS1_19radix_merge_compareILb0ELb1EiNS0_19identity_decomposerEEEEE10hipError_tT0_T1_T2_jT3_P12ihipStream_tbPNSt15iterator_traitsISI_E10value_typeEPNSO_ISJ_E10value_typeEPSK_NS1_7vsmem_tEENKUlT_SI_SJ_SK_E_clISD_PiSD_S10_EESH_SX_SI_SJ_SK_EUlSX_E0_NS1_11comp_targetILNS1_3genE5ELNS1_11target_archE942ELNS1_3gpuE9ELNS1_3repE0EEENS1_38merge_mergepath_config_static_selectorELNS0_4arch9wavefront6targetE1EEEvSJ_,@function
_ZN7rocprim17ROCPRIM_400000_NS6detail17trampoline_kernelINS0_14default_configENS1_38merge_sort_block_merge_config_selectorIiiEEZZNS1_27merge_sort_block_merge_implIS3_N6thrust23THRUST_200600_302600_NS6detail15normal_iteratorINS8_10device_ptrIiEEEESD_jNS1_19radix_merge_compareILb0ELb1EiNS0_19identity_decomposerEEEEE10hipError_tT0_T1_T2_jT3_P12ihipStream_tbPNSt15iterator_traitsISI_E10value_typeEPNSO_ISJ_E10value_typeEPSK_NS1_7vsmem_tEENKUlT_SI_SJ_SK_E_clISD_PiSD_S10_EESH_SX_SI_SJ_SK_EUlSX_E0_NS1_11comp_targetILNS1_3genE5ELNS1_11target_archE942ELNS1_3gpuE9ELNS1_3repE0EEENS1_38merge_mergepath_config_static_selectorELNS0_4arch9wavefront6targetE1EEEvSJ_: ; @_ZN7rocprim17ROCPRIM_400000_NS6detail17trampoline_kernelINS0_14default_configENS1_38merge_sort_block_merge_config_selectorIiiEEZZNS1_27merge_sort_block_merge_implIS3_N6thrust23THRUST_200600_302600_NS6detail15normal_iteratorINS8_10device_ptrIiEEEESD_jNS1_19radix_merge_compareILb0ELb1EiNS0_19identity_decomposerEEEEE10hipError_tT0_T1_T2_jT3_P12ihipStream_tbPNSt15iterator_traitsISI_E10value_typeEPNSO_ISJ_E10value_typeEPSK_NS1_7vsmem_tEENKUlT_SI_SJ_SK_E_clISD_PiSD_S10_EESH_SX_SI_SJ_SK_EUlSX_E0_NS1_11comp_targetILNS1_3genE5ELNS1_11target_archE942ELNS1_3gpuE9ELNS1_3repE0EEENS1_38merge_mergepath_config_static_selectorELNS0_4arch9wavefront6targetE1EEEvSJ_
; %bb.0:
	.section	.rodata,"a",@progbits
	.p2align	6, 0x0
	.amdhsa_kernel _ZN7rocprim17ROCPRIM_400000_NS6detail17trampoline_kernelINS0_14default_configENS1_38merge_sort_block_merge_config_selectorIiiEEZZNS1_27merge_sort_block_merge_implIS3_N6thrust23THRUST_200600_302600_NS6detail15normal_iteratorINS8_10device_ptrIiEEEESD_jNS1_19radix_merge_compareILb0ELb1EiNS0_19identity_decomposerEEEEE10hipError_tT0_T1_T2_jT3_P12ihipStream_tbPNSt15iterator_traitsISI_E10value_typeEPNSO_ISJ_E10value_typeEPSK_NS1_7vsmem_tEENKUlT_SI_SJ_SK_E_clISD_PiSD_S10_EESH_SX_SI_SJ_SK_EUlSX_E0_NS1_11comp_targetILNS1_3genE5ELNS1_11target_archE942ELNS1_3gpuE9ELNS1_3repE0EEENS1_38merge_mergepath_config_static_selectorELNS0_4arch9wavefront6targetE1EEEvSJ_
		.amdhsa_group_segment_fixed_size 0
		.amdhsa_private_segment_fixed_size 0
		.amdhsa_kernarg_size 64
		.amdhsa_user_sgpr_count 2
		.amdhsa_user_sgpr_dispatch_ptr 0
		.amdhsa_user_sgpr_queue_ptr 0
		.amdhsa_user_sgpr_kernarg_segment_ptr 1
		.amdhsa_user_sgpr_dispatch_id 0
		.amdhsa_user_sgpr_kernarg_preload_length 0
		.amdhsa_user_sgpr_kernarg_preload_offset 0
		.amdhsa_user_sgpr_private_segment_size 0
		.amdhsa_uses_dynamic_stack 0
		.amdhsa_enable_private_segment 0
		.amdhsa_system_sgpr_workgroup_id_x 1
		.amdhsa_system_sgpr_workgroup_id_y 0
		.amdhsa_system_sgpr_workgroup_id_z 0
		.amdhsa_system_sgpr_workgroup_info 0
		.amdhsa_system_vgpr_workitem_id 0
		.amdhsa_next_free_vgpr 1
		.amdhsa_next_free_sgpr 0
		.amdhsa_accum_offset 4
		.amdhsa_reserve_vcc 0
		.amdhsa_float_round_mode_32 0
		.amdhsa_float_round_mode_16_64 0
		.amdhsa_float_denorm_mode_32 3
		.amdhsa_float_denorm_mode_16_64 3
		.amdhsa_dx10_clamp 1
		.amdhsa_ieee_mode 1
		.amdhsa_fp16_overflow 0
		.amdhsa_tg_split 0
		.amdhsa_exception_fp_ieee_invalid_op 0
		.amdhsa_exception_fp_denorm_src 0
		.amdhsa_exception_fp_ieee_div_zero 0
		.amdhsa_exception_fp_ieee_overflow 0
		.amdhsa_exception_fp_ieee_underflow 0
		.amdhsa_exception_fp_ieee_inexact 0
		.amdhsa_exception_int_div_zero 0
	.end_amdhsa_kernel
	.section	.text._ZN7rocprim17ROCPRIM_400000_NS6detail17trampoline_kernelINS0_14default_configENS1_38merge_sort_block_merge_config_selectorIiiEEZZNS1_27merge_sort_block_merge_implIS3_N6thrust23THRUST_200600_302600_NS6detail15normal_iteratorINS8_10device_ptrIiEEEESD_jNS1_19radix_merge_compareILb0ELb1EiNS0_19identity_decomposerEEEEE10hipError_tT0_T1_T2_jT3_P12ihipStream_tbPNSt15iterator_traitsISI_E10value_typeEPNSO_ISJ_E10value_typeEPSK_NS1_7vsmem_tEENKUlT_SI_SJ_SK_E_clISD_PiSD_S10_EESH_SX_SI_SJ_SK_EUlSX_E0_NS1_11comp_targetILNS1_3genE5ELNS1_11target_archE942ELNS1_3gpuE9ELNS1_3repE0EEENS1_38merge_mergepath_config_static_selectorELNS0_4arch9wavefront6targetE1EEEvSJ_,"axG",@progbits,_ZN7rocprim17ROCPRIM_400000_NS6detail17trampoline_kernelINS0_14default_configENS1_38merge_sort_block_merge_config_selectorIiiEEZZNS1_27merge_sort_block_merge_implIS3_N6thrust23THRUST_200600_302600_NS6detail15normal_iteratorINS8_10device_ptrIiEEEESD_jNS1_19radix_merge_compareILb0ELb1EiNS0_19identity_decomposerEEEEE10hipError_tT0_T1_T2_jT3_P12ihipStream_tbPNSt15iterator_traitsISI_E10value_typeEPNSO_ISJ_E10value_typeEPSK_NS1_7vsmem_tEENKUlT_SI_SJ_SK_E_clISD_PiSD_S10_EESH_SX_SI_SJ_SK_EUlSX_E0_NS1_11comp_targetILNS1_3genE5ELNS1_11target_archE942ELNS1_3gpuE9ELNS1_3repE0EEENS1_38merge_mergepath_config_static_selectorELNS0_4arch9wavefront6targetE1EEEvSJ_,comdat
.Lfunc_end790:
	.size	_ZN7rocprim17ROCPRIM_400000_NS6detail17trampoline_kernelINS0_14default_configENS1_38merge_sort_block_merge_config_selectorIiiEEZZNS1_27merge_sort_block_merge_implIS3_N6thrust23THRUST_200600_302600_NS6detail15normal_iteratorINS8_10device_ptrIiEEEESD_jNS1_19radix_merge_compareILb0ELb1EiNS0_19identity_decomposerEEEEE10hipError_tT0_T1_T2_jT3_P12ihipStream_tbPNSt15iterator_traitsISI_E10value_typeEPNSO_ISJ_E10value_typeEPSK_NS1_7vsmem_tEENKUlT_SI_SJ_SK_E_clISD_PiSD_S10_EESH_SX_SI_SJ_SK_EUlSX_E0_NS1_11comp_targetILNS1_3genE5ELNS1_11target_archE942ELNS1_3gpuE9ELNS1_3repE0EEENS1_38merge_mergepath_config_static_selectorELNS0_4arch9wavefront6targetE1EEEvSJ_, .Lfunc_end790-_ZN7rocprim17ROCPRIM_400000_NS6detail17trampoline_kernelINS0_14default_configENS1_38merge_sort_block_merge_config_selectorIiiEEZZNS1_27merge_sort_block_merge_implIS3_N6thrust23THRUST_200600_302600_NS6detail15normal_iteratorINS8_10device_ptrIiEEEESD_jNS1_19radix_merge_compareILb0ELb1EiNS0_19identity_decomposerEEEEE10hipError_tT0_T1_T2_jT3_P12ihipStream_tbPNSt15iterator_traitsISI_E10value_typeEPNSO_ISJ_E10value_typeEPSK_NS1_7vsmem_tEENKUlT_SI_SJ_SK_E_clISD_PiSD_S10_EESH_SX_SI_SJ_SK_EUlSX_E0_NS1_11comp_targetILNS1_3genE5ELNS1_11target_archE942ELNS1_3gpuE9ELNS1_3repE0EEENS1_38merge_mergepath_config_static_selectorELNS0_4arch9wavefront6targetE1EEEvSJ_
                                        ; -- End function
	.set _ZN7rocprim17ROCPRIM_400000_NS6detail17trampoline_kernelINS0_14default_configENS1_38merge_sort_block_merge_config_selectorIiiEEZZNS1_27merge_sort_block_merge_implIS3_N6thrust23THRUST_200600_302600_NS6detail15normal_iteratorINS8_10device_ptrIiEEEESD_jNS1_19radix_merge_compareILb0ELb1EiNS0_19identity_decomposerEEEEE10hipError_tT0_T1_T2_jT3_P12ihipStream_tbPNSt15iterator_traitsISI_E10value_typeEPNSO_ISJ_E10value_typeEPSK_NS1_7vsmem_tEENKUlT_SI_SJ_SK_E_clISD_PiSD_S10_EESH_SX_SI_SJ_SK_EUlSX_E0_NS1_11comp_targetILNS1_3genE5ELNS1_11target_archE942ELNS1_3gpuE9ELNS1_3repE0EEENS1_38merge_mergepath_config_static_selectorELNS0_4arch9wavefront6targetE1EEEvSJ_.num_vgpr, 0
	.set _ZN7rocprim17ROCPRIM_400000_NS6detail17trampoline_kernelINS0_14default_configENS1_38merge_sort_block_merge_config_selectorIiiEEZZNS1_27merge_sort_block_merge_implIS3_N6thrust23THRUST_200600_302600_NS6detail15normal_iteratorINS8_10device_ptrIiEEEESD_jNS1_19radix_merge_compareILb0ELb1EiNS0_19identity_decomposerEEEEE10hipError_tT0_T1_T2_jT3_P12ihipStream_tbPNSt15iterator_traitsISI_E10value_typeEPNSO_ISJ_E10value_typeEPSK_NS1_7vsmem_tEENKUlT_SI_SJ_SK_E_clISD_PiSD_S10_EESH_SX_SI_SJ_SK_EUlSX_E0_NS1_11comp_targetILNS1_3genE5ELNS1_11target_archE942ELNS1_3gpuE9ELNS1_3repE0EEENS1_38merge_mergepath_config_static_selectorELNS0_4arch9wavefront6targetE1EEEvSJ_.num_agpr, 0
	.set _ZN7rocprim17ROCPRIM_400000_NS6detail17trampoline_kernelINS0_14default_configENS1_38merge_sort_block_merge_config_selectorIiiEEZZNS1_27merge_sort_block_merge_implIS3_N6thrust23THRUST_200600_302600_NS6detail15normal_iteratorINS8_10device_ptrIiEEEESD_jNS1_19radix_merge_compareILb0ELb1EiNS0_19identity_decomposerEEEEE10hipError_tT0_T1_T2_jT3_P12ihipStream_tbPNSt15iterator_traitsISI_E10value_typeEPNSO_ISJ_E10value_typeEPSK_NS1_7vsmem_tEENKUlT_SI_SJ_SK_E_clISD_PiSD_S10_EESH_SX_SI_SJ_SK_EUlSX_E0_NS1_11comp_targetILNS1_3genE5ELNS1_11target_archE942ELNS1_3gpuE9ELNS1_3repE0EEENS1_38merge_mergepath_config_static_selectorELNS0_4arch9wavefront6targetE1EEEvSJ_.numbered_sgpr, 0
	.set _ZN7rocprim17ROCPRIM_400000_NS6detail17trampoline_kernelINS0_14default_configENS1_38merge_sort_block_merge_config_selectorIiiEEZZNS1_27merge_sort_block_merge_implIS3_N6thrust23THRUST_200600_302600_NS6detail15normal_iteratorINS8_10device_ptrIiEEEESD_jNS1_19radix_merge_compareILb0ELb1EiNS0_19identity_decomposerEEEEE10hipError_tT0_T1_T2_jT3_P12ihipStream_tbPNSt15iterator_traitsISI_E10value_typeEPNSO_ISJ_E10value_typeEPSK_NS1_7vsmem_tEENKUlT_SI_SJ_SK_E_clISD_PiSD_S10_EESH_SX_SI_SJ_SK_EUlSX_E0_NS1_11comp_targetILNS1_3genE5ELNS1_11target_archE942ELNS1_3gpuE9ELNS1_3repE0EEENS1_38merge_mergepath_config_static_selectorELNS0_4arch9wavefront6targetE1EEEvSJ_.num_named_barrier, 0
	.set _ZN7rocprim17ROCPRIM_400000_NS6detail17trampoline_kernelINS0_14default_configENS1_38merge_sort_block_merge_config_selectorIiiEEZZNS1_27merge_sort_block_merge_implIS3_N6thrust23THRUST_200600_302600_NS6detail15normal_iteratorINS8_10device_ptrIiEEEESD_jNS1_19radix_merge_compareILb0ELb1EiNS0_19identity_decomposerEEEEE10hipError_tT0_T1_T2_jT3_P12ihipStream_tbPNSt15iterator_traitsISI_E10value_typeEPNSO_ISJ_E10value_typeEPSK_NS1_7vsmem_tEENKUlT_SI_SJ_SK_E_clISD_PiSD_S10_EESH_SX_SI_SJ_SK_EUlSX_E0_NS1_11comp_targetILNS1_3genE5ELNS1_11target_archE942ELNS1_3gpuE9ELNS1_3repE0EEENS1_38merge_mergepath_config_static_selectorELNS0_4arch9wavefront6targetE1EEEvSJ_.private_seg_size, 0
	.set _ZN7rocprim17ROCPRIM_400000_NS6detail17trampoline_kernelINS0_14default_configENS1_38merge_sort_block_merge_config_selectorIiiEEZZNS1_27merge_sort_block_merge_implIS3_N6thrust23THRUST_200600_302600_NS6detail15normal_iteratorINS8_10device_ptrIiEEEESD_jNS1_19radix_merge_compareILb0ELb1EiNS0_19identity_decomposerEEEEE10hipError_tT0_T1_T2_jT3_P12ihipStream_tbPNSt15iterator_traitsISI_E10value_typeEPNSO_ISJ_E10value_typeEPSK_NS1_7vsmem_tEENKUlT_SI_SJ_SK_E_clISD_PiSD_S10_EESH_SX_SI_SJ_SK_EUlSX_E0_NS1_11comp_targetILNS1_3genE5ELNS1_11target_archE942ELNS1_3gpuE9ELNS1_3repE0EEENS1_38merge_mergepath_config_static_selectorELNS0_4arch9wavefront6targetE1EEEvSJ_.uses_vcc, 0
	.set _ZN7rocprim17ROCPRIM_400000_NS6detail17trampoline_kernelINS0_14default_configENS1_38merge_sort_block_merge_config_selectorIiiEEZZNS1_27merge_sort_block_merge_implIS3_N6thrust23THRUST_200600_302600_NS6detail15normal_iteratorINS8_10device_ptrIiEEEESD_jNS1_19radix_merge_compareILb0ELb1EiNS0_19identity_decomposerEEEEE10hipError_tT0_T1_T2_jT3_P12ihipStream_tbPNSt15iterator_traitsISI_E10value_typeEPNSO_ISJ_E10value_typeEPSK_NS1_7vsmem_tEENKUlT_SI_SJ_SK_E_clISD_PiSD_S10_EESH_SX_SI_SJ_SK_EUlSX_E0_NS1_11comp_targetILNS1_3genE5ELNS1_11target_archE942ELNS1_3gpuE9ELNS1_3repE0EEENS1_38merge_mergepath_config_static_selectorELNS0_4arch9wavefront6targetE1EEEvSJ_.uses_flat_scratch, 0
	.set _ZN7rocprim17ROCPRIM_400000_NS6detail17trampoline_kernelINS0_14default_configENS1_38merge_sort_block_merge_config_selectorIiiEEZZNS1_27merge_sort_block_merge_implIS3_N6thrust23THRUST_200600_302600_NS6detail15normal_iteratorINS8_10device_ptrIiEEEESD_jNS1_19radix_merge_compareILb0ELb1EiNS0_19identity_decomposerEEEEE10hipError_tT0_T1_T2_jT3_P12ihipStream_tbPNSt15iterator_traitsISI_E10value_typeEPNSO_ISJ_E10value_typeEPSK_NS1_7vsmem_tEENKUlT_SI_SJ_SK_E_clISD_PiSD_S10_EESH_SX_SI_SJ_SK_EUlSX_E0_NS1_11comp_targetILNS1_3genE5ELNS1_11target_archE942ELNS1_3gpuE9ELNS1_3repE0EEENS1_38merge_mergepath_config_static_selectorELNS0_4arch9wavefront6targetE1EEEvSJ_.has_dyn_sized_stack, 0
	.set _ZN7rocprim17ROCPRIM_400000_NS6detail17trampoline_kernelINS0_14default_configENS1_38merge_sort_block_merge_config_selectorIiiEEZZNS1_27merge_sort_block_merge_implIS3_N6thrust23THRUST_200600_302600_NS6detail15normal_iteratorINS8_10device_ptrIiEEEESD_jNS1_19radix_merge_compareILb0ELb1EiNS0_19identity_decomposerEEEEE10hipError_tT0_T1_T2_jT3_P12ihipStream_tbPNSt15iterator_traitsISI_E10value_typeEPNSO_ISJ_E10value_typeEPSK_NS1_7vsmem_tEENKUlT_SI_SJ_SK_E_clISD_PiSD_S10_EESH_SX_SI_SJ_SK_EUlSX_E0_NS1_11comp_targetILNS1_3genE5ELNS1_11target_archE942ELNS1_3gpuE9ELNS1_3repE0EEENS1_38merge_mergepath_config_static_selectorELNS0_4arch9wavefront6targetE1EEEvSJ_.has_recursion, 0
	.set _ZN7rocprim17ROCPRIM_400000_NS6detail17trampoline_kernelINS0_14default_configENS1_38merge_sort_block_merge_config_selectorIiiEEZZNS1_27merge_sort_block_merge_implIS3_N6thrust23THRUST_200600_302600_NS6detail15normal_iteratorINS8_10device_ptrIiEEEESD_jNS1_19radix_merge_compareILb0ELb1EiNS0_19identity_decomposerEEEEE10hipError_tT0_T1_T2_jT3_P12ihipStream_tbPNSt15iterator_traitsISI_E10value_typeEPNSO_ISJ_E10value_typeEPSK_NS1_7vsmem_tEENKUlT_SI_SJ_SK_E_clISD_PiSD_S10_EESH_SX_SI_SJ_SK_EUlSX_E0_NS1_11comp_targetILNS1_3genE5ELNS1_11target_archE942ELNS1_3gpuE9ELNS1_3repE0EEENS1_38merge_mergepath_config_static_selectorELNS0_4arch9wavefront6targetE1EEEvSJ_.has_indirect_call, 0
	.section	.AMDGPU.csdata,"",@progbits
; Kernel info:
; codeLenInByte = 0
; TotalNumSgprs: 6
; NumVgprs: 0
; NumAgprs: 0
; TotalNumVgprs: 0
; ScratchSize: 0
; MemoryBound: 0
; FloatMode: 240
; IeeeMode: 1
; LDSByteSize: 0 bytes/workgroup (compile time only)
; SGPRBlocks: 0
; VGPRBlocks: 0
; NumSGPRsForWavesPerEU: 6
; NumVGPRsForWavesPerEU: 1
; AccumOffset: 4
; Occupancy: 8
; WaveLimiterHint : 0
; COMPUTE_PGM_RSRC2:SCRATCH_EN: 0
; COMPUTE_PGM_RSRC2:USER_SGPR: 2
; COMPUTE_PGM_RSRC2:TRAP_HANDLER: 0
; COMPUTE_PGM_RSRC2:TGID_X_EN: 1
; COMPUTE_PGM_RSRC2:TGID_Y_EN: 0
; COMPUTE_PGM_RSRC2:TGID_Z_EN: 0
; COMPUTE_PGM_RSRC2:TIDIG_COMP_CNT: 0
; COMPUTE_PGM_RSRC3_GFX90A:ACCUM_OFFSET: 0
; COMPUTE_PGM_RSRC3_GFX90A:TG_SPLIT: 0
	.section	.text._ZN7rocprim17ROCPRIM_400000_NS6detail17trampoline_kernelINS0_14default_configENS1_38merge_sort_block_merge_config_selectorIiiEEZZNS1_27merge_sort_block_merge_implIS3_N6thrust23THRUST_200600_302600_NS6detail15normal_iteratorINS8_10device_ptrIiEEEESD_jNS1_19radix_merge_compareILb0ELb1EiNS0_19identity_decomposerEEEEE10hipError_tT0_T1_T2_jT3_P12ihipStream_tbPNSt15iterator_traitsISI_E10value_typeEPNSO_ISJ_E10value_typeEPSK_NS1_7vsmem_tEENKUlT_SI_SJ_SK_E_clISD_PiSD_S10_EESH_SX_SI_SJ_SK_EUlSX_E0_NS1_11comp_targetILNS1_3genE4ELNS1_11target_archE910ELNS1_3gpuE8ELNS1_3repE0EEENS1_38merge_mergepath_config_static_selectorELNS0_4arch9wavefront6targetE1EEEvSJ_,"axG",@progbits,_ZN7rocprim17ROCPRIM_400000_NS6detail17trampoline_kernelINS0_14default_configENS1_38merge_sort_block_merge_config_selectorIiiEEZZNS1_27merge_sort_block_merge_implIS3_N6thrust23THRUST_200600_302600_NS6detail15normal_iteratorINS8_10device_ptrIiEEEESD_jNS1_19radix_merge_compareILb0ELb1EiNS0_19identity_decomposerEEEEE10hipError_tT0_T1_T2_jT3_P12ihipStream_tbPNSt15iterator_traitsISI_E10value_typeEPNSO_ISJ_E10value_typeEPSK_NS1_7vsmem_tEENKUlT_SI_SJ_SK_E_clISD_PiSD_S10_EESH_SX_SI_SJ_SK_EUlSX_E0_NS1_11comp_targetILNS1_3genE4ELNS1_11target_archE910ELNS1_3gpuE8ELNS1_3repE0EEENS1_38merge_mergepath_config_static_selectorELNS0_4arch9wavefront6targetE1EEEvSJ_,comdat
	.protected	_ZN7rocprim17ROCPRIM_400000_NS6detail17trampoline_kernelINS0_14default_configENS1_38merge_sort_block_merge_config_selectorIiiEEZZNS1_27merge_sort_block_merge_implIS3_N6thrust23THRUST_200600_302600_NS6detail15normal_iteratorINS8_10device_ptrIiEEEESD_jNS1_19radix_merge_compareILb0ELb1EiNS0_19identity_decomposerEEEEE10hipError_tT0_T1_T2_jT3_P12ihipStream_tbPNSt15iterator_traitsISI_E10value_typeEPNSO_ISJ_E10value_typeEPSK_NS1_7vsmem_tEENKUlT_SI_SJ_SK_E_clISD_PiSD_S10_EESH_SX_SI_SJ_SK_EUlSX_E0_NS1_11comp_targetILNS1_3genE4ELNS1_11target_archE910ELNS1_3gpuE8ELNS1_3repE0EEENS1_38merge_mergepath_config_static_selectorELNS0_4arch9wavefront6targetE1EEEvSJ_ ; -- Begin function _ZN7rocprim17ROCPRIM_400000_NS6detail17trampoline_kernelINS0_14default_configENS1_38merge_sort_block_merge_config_selectorIiiEEZZNS1_27merge_sort_block_merge_implIS3_N6thrust23THRUST_200600_302600_NS6detail15normal_iteratorINS8_10device_ptrIiEEEESD_jNS1_19radix_merge_compareILb0ELb1EiNS0_19identity_decomposerEEEEE10hipError_tT0_T1_T2_jT3_P12ihipStream_tbPNSt15iterator_traitsISI_E10value_typeEPNSO_ISJ_E10value_typeEPSK_NS1_7vsmem_tEENKUlT_SI_SJ_SK_E_clISD_PiSD_S10_EESH_SX_SI_SJ_SK_EUlSX_E0_NS1_11comp_targetILNS1_3genE4ELNS1_11target_archE910ELNS1_3gpuE8ELNS1_3repE0EEENS1_38merge_mergepath_config_static_selectorELNS0_4arch9wavefront6targetE1EEEvSJ_
	.globl	_ZN7rocprim17ROCPRIM_400000_NS6detail17trampoline_kernelINS0_14default_configENS1_38merge_sort_block_merge_config_selectorIiiEEZZNS1_27merge_sort_block_merge_implIS3_N6thrust23THRUST_200600_302600_NS6detail15normal_iteratorINS8_10device_ptrIiEEEESD_jNS1_19radix_merge_compareILb0ELb1EiNS0_19identity_decomposerEEEEE10hipError_tT0_T1_T2_jT3_P12ihipStream_tbPNSt15iterator_traitsISI_E10value_typeEPNSO_ISJ_E10value_typeEPSK_NS1_7vsmem_tEENKUlT_SI_SJ_SK_E_clISD_PiSD_S10_EESH_SX_SI_SJ_SK_EUlSX_E0_NS1_11comp_targetILNS1_3genE4ELNS1_11target_archE910ELNS1_3gpuE8ELNS1_3repE0EEENS1_38merge_mergepath_config_static_selectorELNS0_4arch9wavefront6targetE1EEEvSJ_
	.p2align	8
	.type	_ZN7rocprim17ROCPRIM_400000_NS6detail17trampoline_kernelINS0_14default_configENS1_38merge_sort_block_merge_config_selectorIiiEEZZNS1_27merge_sort_block_merge_implIS3_N6thrust23THRUST_200600_302600_NS6detail15normal_iteratorINS8_10device_ptrIiEEEESD_jNS1_19radix_merge_compareILb0ELb1EiNS0_19identity_decomposerEEEEE10hipError_tT0_T1_T2_jT3_P12ihipStream_tbPNSt15iterator_traitsISI_E10value_typeEPNSO_ISJ_E10value_typeEPSK_NS1_7vsmem_tEENKUlT_SI_SJ_SK_E_clISD_PiSD_S10_EESH_SX_SI_SJ_SK_EUlSX_E0_NS1_11comp_targetILNS1_3genE4ELNS1_11target_archE910ELNS1_3gpuE8ELNS1_3repE0EEENS1_38merge_mergepath_config_static_selectorELNS0_4arch9wavefront6targetE1EEEvSJ_,@function
_ZN7rocprim17ROCPRIM_400000_NS6detail17trampoline_kernelINS0_14default_configENS1_38merge_sort_block_merge_config_selectorIiiEEZZNS1_27merge_sort_block_merge_implIS3_N6thrust23THRUST_200600_302600_NS6detail15normal_iteratorINS8_10device_ptrIiEEEESD_jNS1_19radix_merge_compareILb0ELb1EiNS0_19identity_decomposerEEEEE10hipError_tT0_T1_T2_jT3_P12ihipStream_tbPNSt15iterator_traitsISI_E10value_typeEPNSO_ISJ_E10value_typeEPSK_NS1_7vsmem_tEENKUlT_SI_SJ_SK_E_clISD_PiSD_S10_EESH_SX_SI_SJ_SK_EUlSX_E0_NS1_11comp_targetILNS1_3genE4ELNS1_11target_archE910ELNS1_3gpuE8ELNS1_3repE0EEENS1_38merge_mergepath_config_static_selectorELNS0_4arch9wavefront6targetE1EEEvSJ_: ; @_ZN7rocprim17ROCPRIM_400000_NS6detail17trampoline_kernelINS0_14default_configENS1_38merge_sort_block_merge_config_selectorIiiEEZZNS1_27merge_sort_block_merge_implIS3_N6thrust23THRUST_200600_302600_NS6detail15normal_iteratorINS8_10device_ptrIiEEEESD_jNS1_19radix_merge_compareILb0ELb1EiNS0_19identity_decomposerEEEEE10hipError_tT0_T1_T2_jT3_P12ihipStream_tbPNSt15iterator_traitsISI_E10value_typeEPNSO_ISJ_E10value_typeEPSK_NS1_7vsmem_tEENKUlT_SI_SJ_SK_E_clISD_PiSD_S10_EESH_SX_SI_SJ_SK_EUlSX_E0_NS1_11comp_targetILNS1_3genE4ELNS1_11target_archE910ELNS1_3gpuE8ELNS1_3repE0EEENS1_38merge_mergepath_config_static_selectorELNS0_4arch9wavefront6targetE1EEEvSJ_
; %bb.0:
	.section	.rodata,"a",@progbits
	.p2align	6, 0x0
	.amdhsa_kernel _ZN7rocprim17ROCPRIM_400000_NS6detail17trampoline_kernelINS0_14default_configENS1_38merge_sort_block_merge_config_selectorIiiEEZZNS1_27merge_sort_block_merge_implIS3_N6thrust23THRUST_200600_302600_NS6detail15normal_iteratorINS8_10device_ptrIiEEEESD_jNS1_19radix_merge_compareILb0ELb1EiNS0_19identity_decomposerEEEEE10hipError_tT0_T1_T2_jT3_P12ihipStream_tbPNSt15iterator_traitsISI_E10value_typeEPNSO_ISJ_E10value_typeEPSK_NS1_7vsmem_tEENKUlT_SI_SJ_SK_E_clISD_PiSD_S10_EESH_SX_SI_SJ_SK_EUlSX_E0_NS1_11comp_targetILNS1_3genE4ELNS1_11target_archE910ELNS1_3gpuE8ELNS1_3repE0EEENS1_38merge_mergepath_config_static_selectorELNS0_4arch9wavefront6targetE1EEEvSJ_
		.amdhsa_group_segment_fixed_size 0
		.amdhsa_private_segment_fixed_size 0
		.amdhsa_kernarg_size 64
		.amdhsa_user_sgpr_count 2
		.amdhsa_user_sgpr_dispatch_ptr 0
		.amdhsa_user_sgpr_queue_ptr 0
		.amdhsa_user_sgpr_kernarg_segment_ptr 1
		.amdhsa_user_sgpr_dispatch_id 0
		.amdhsa_user_sgpr_kernarg_preload_length 0
		.amdhsa_user_sgpr_kernarg_preload_offset 0
		.amdhsa_user_sgpr_private_segment_size 0
		.amdhsa_uses_dynamic_stack 0
		.amdhsa_enable_private_segment 0
		.amdhsa_system_sgpr_workgroup_id_x 1
		.amdhsa_system_sgpr_workgroup_id_y 0
		.amdhsa_system_sgpr_workgroup_id_z 0
		.amdhsa_system_sgpr_workgroup_info 0
		.amdhsa_system_vgpr_workitem_id 0
		.amdhsa_next_free_vgpr 1
		.amdhsa_next_free_sgpr 0
		.amdhsa_accum_offset 4
		.amdhsa_reserve_vcc 0
		.amdhsa_float_round_mode_32 0
		.amdhsa_float_round_mode_16_64 0
		.amdhsa_float_denorm_mode_32 3
		.amdhsa_float_denorm_mode_16_64 3
		.amdhsa_dx10_clamp 1
		.amdhsa_ieee_mode 1
		.amdhsa_fp16_overflow 0
		.amdhsa_tg_split 0
		.amdhsa_exception_fp_ieee_invalid_op 0
		.amdhsa_exception_fp_denorm_src 0
		.amdhsa_exception_fp_ieee_div_zero 0
		.amdhsa_exception_fp_ieee_overflow 0
		.amdhsa_exception_fp_ieee_underflow 0
		.amdhsa_exception_fp_ieee_inexact 0
		.amdhsa_exception_int_div_zero 0
	.end_amdhsa_kernel
	.section	.text._ZN7rocprim17ROCPRIM_400000_NS6detail17trampoline_kernelINS0_14default_configENS1_38merge_sort_block_merge_config_selectorIiiEEZZNS1_27merge_sort_block_merge_implIS3_N6thrust23THRUST_200600_302600_NS6detail15normal_iteratorINS8_10device_ptrIiEEEESD_jNS1_19radix_merge_compareILb0ELb1EiNS0_19identity_decomposerEEEEE10hipError_tT0_T1_T2_jT3_P12ihipStream_tbPNSt15iterator_traitsISI_E10value_typeEPNSO_ISJ_E10value_typeEPSK_NS1_7vsmem_tEENKUlT_SI_SJ_SK_E_clISD_PiSD_S10_EESH_SX_SI_SJ_SK_EUlSX_E0_NS1_11comp_targetILNS1_3genE4ELNS1_11target_archE910ELNS1_3gpuE8ELNS1_3repE0EEENS1_38merge_mergepath_config_static_selectorELNS0_4arch9wavefront6targetE1EEEvSJ_,"axG",@progbits,_ZN7rocprim17ROCPRIM_400000_NS6detail17trampoline_kernelINS0_14default_configENS1_38merge_sort_block_merge_config_selectorIiiEEZZNS1_27merge_sort_block_merge_implIS3_N6thrust23THRUST_200600_302600_NS6detail15normal_iteratorINS8_10device_ptrIiEEEESD_jNS1_19radix_merge_compareILb0ELb1EiNS0_19identity_decomposerEEEEE10hipError_tT0_T1_T2_jT3_P12ihipStream_tbPNSt15iterator_traitsISI_E10value_typeEPNSO_ISJ_E10value_typeEPSK_NS1_7vsmem_tEENKUlT_SI_SJ_SK_E_clISD_PiSD_S10_EESH_SX_SI_SJ_SK_EUlSX_E0_NS1_11comp_targetILNS1_3genE4ELNS1_11target_archE910ELNS1_3gpuE8ELNS1_3repE0EEENS1_38merge_mergepath_config_static_selectorELNS0_4arch9wavefront6targetE1EEEvSJ_,comdat
.Lfunc_end791:
	.size	_ZN7rocprim17ROCPRIM_400000_NS6detail17trampoline_kernelINS0_14default_configENS1_38merge_sort_block_merge_config_selectorIiiEEZZNS1_27merge_sort_block_merge_implIS3_N6thrust23THRUST_200600_302600_NS6detail15normal_iteratorINS8_10device_ptrIiEEEESD_jNS1_19radix_merge_compareILb0ELb1EiNS0_19identity_decomposerEEEEE10hipError_tT0_T1_T2_jT3_P12ihipStream_tbPNSt15iterator_traitsISI_E10value_typeEPNSO_ISJ_E10value_typeEPSK_NS1_7vsmem_tEENKUlT_SI_SJ_SK_E_clISD_PiSD_S10_EESH_SX_SI_SJ_SK_EUlSX_E0_NS1_11comp_targetILNS1_3genE4ELNS1_11target_archE910ELNS1_3gpuE8ELNS1_3repE0EEENS1_38merge_mergepath_config_static_selectorELNS0_4arch9wavefront6targetE1EEEvSJ_, .Lfunc_end791-_ZN7rocprim17ROCPRIM_400000_NS6detail17trampoline_kernelINS0_14default_configENS1_38merge_sort_block_merge_config_selectorIiiEEZZNS1_27merge_sort_block_merge_implIS3_N6thrust23THRUST_200600_302600_NS6detail15normal_iteratorINS8_10device_ptrIiEEEESD_jNS1_19radix_merge_compareILb0ELb1EiNS0_19identity_decomposerEEEEE10hipError_tT0_T1_T2_jT3_P12ihipStream_tbPNSt15iterator_traitsISI_E10value_typeEPNSO_ISJ_E10value_typeEPSK_NS1_7vsmem_tEENKUlT_SI_SJ_SK_E_clISD_PiSD_S10_EESH_SX_SI_SJ_SK_EUlSX_E0_NS1_11comp_targetILNS1_3genE4ELNS1_11target_archE910ELNS1_3gpuE8ELNS1_3repE0EEENS1_38merge_mergepath_config_static_selectorELNS0_4arch9wavefront6targetE1EEEvSJ_
                                        ; -- End function
	.set _ZN7rocprim17ROCPRIM_400000_NS6detail17trampoline_kernelINS0_14default_configENS1_38merge_sort_block_merge_config_selectorIiiEEZZNS1_27merge_sort_block_merge_implIS3_N6thrust23THRUST_200600_302600_NS6detail15normal_iteratorINS8_10device_ptrIiEEEESD_jNS1_19radix_merge_compareILb0ELb1EiNS0_19identity_decomposerEEEEE10hipError_tT0_T1_T2_jT3_P12ihipStream_tbPNSt15iterator_traitsISI_E10value_typeEPNSO_ISJ_E10value_typeEPSK_NS1_7vsmem_tEENKUlT_SI_SJ_SK_E_clISD_PiSD_S10_EESH_SX_SI_SJ_SK_EUlSX_E0_NS1_11comp_targetILNS1_3genE4ELNS1_11target_archE910ELNS1_3gpuE8ELNS1_3repE0EEENS1_38merge_mergepath_config_static_selectorELNS0_4arch9wavefront6targetE1EEEvSJ_.num_vgpr, 0
	.set _ZN7rocprim17ROCPRIM_400000_NS6detail17trampoline_kernelINS0_14default_configENS1_38merge_sort_block_merge_config_selectorIiiEEZZNS1_27merge_sort_block_merge_implIS3_N6thrust23THRUST_200600_302600_NS6detail15normal_iteratorINS8_10device_ptrIiEEEESD_jNS1_19radix_merge_compareILb0ELb1EiNS0_19identity_decomposerEEEEE10hipError_tT0_T1_T2_jT3_P12ihipStream_tbPNSt15iterator_traitsISI_E10value_typeEPNSO_ISJ_E10value_typeEPSK_NS1_7vsmem_tEENKUlT_SI_SJ_SK_E_clISD_PiSD_S10_EESH_SX_SI_SJ_SK_EUlSX_E0_NS1_11comp_targetILNS1_3genE4ELNS1_11target_archE910ELNS1_3gpuE8ELNS1_3repE0EEENS1_38merge_mergepath_config_static_selectorELNS0_4arch9wavefront6targetE1EEEvSJ_.num_agpr, 0
	.set _ZN7rocprim17ROCPRIM_400000_NS6detail17trampoline_kernelINS0_14default_configENS1_38merge_sort_block_merge_config_selectorIiiEEZZNS1_27merge_sort_block_merge_implIS3_N6thrust23THRUST_200600_302600_NS6detail15normal_iteratorINS8_10device_ptrIiEEEESD_jNS1_19radix_merge_compareILb0ELb1EiNS0_19identity_decomposerEEEEE10hipError_tT0_T1_T2_jT3_P12ihipStream_tbPNSt15iterator_traitsISI_E10value_typeEPNSO_ISJ_E10value_typeEPSK_NS1_7vsmem_tEENKUlT_SI_SJ_SK_E_clISD_PiSD_S10_EESH_SX_SI_SJ_SK_EUlSX_E0_NS1_11comp_targetILNS1_3genE4ELNS1_11target_archE910ELNS1_3gpuE8ELNS1_3repE0EEENS1_38merge_mergepath_config_static_selectorELNS0_4arch9wavefront6targetE1EEEvSJ_.numbered_sgpr, 0
	.set _ZN7rocprim17ROCPRIM_400000_NS6detail17trampoline_kernelINS0_14default_configENS1_38merge_sort_block_merge_config_selectorIiiEEZZNS1_27merge_sort_block_merge_implIS3_N6thrust23THRUST_200600_302600_NS6detail15normal_iteratorINS8_10device_ptrIiEEEESD_jNS1_19radix_merge_compareILb0ELb1EiNS0_19identity_decomposerEEEEE10hipError_tT0_T1_T2_jT3_P12ihipStream_tbPNSt15iterator_traitsISI_E10value_typeEPNSO_ISJ_E10value_typeEPSK_NS1_7vsmem_tEENKUlT_SI_SJ_SK_E_clISD_PiSD_S10_EESH_SX_SI_SJ_SK_EUlSX_E0_NS1_11comp_targetILNS1_3genE4ELNS1_11target_archE910ELNS1_3gpuE8ELNS1_3repE0EEENS1_38merge_mergepath_config_static_selectorELNS0_4arch9wavefront6targetE1EEEvSJ_.num_named_barrier, 0
	.set _ZN7rocprim17ROCPRIM_400000_NS6detail17trampoline_kernelINS0_14default_configENS1_38merge_sort_block_merge_config_selectorIiiEEZZNS1_27merge_sort_block_merge_implIS3_N6thrust23THRUST_200600_302600_NS6detail15normal_iteratorINS8_10device_ptrIiEEEESD_jNS1_19radix_merge_compareILb0ELb1EiNS0_19identity_decomposerEEEEE10hipError_tT0_T1_T2_jT3_P12ihipStream_tbPNSt15iterator_traitsISI_E10value_typeEPNSO_ISJ_E10value_typeEPSK_NS1_7vsmem_tEENKUlT_SI_SJ_SK_E_clISD_PiSD_S10_EESH_SX_SI_SJ_SK_EUlSX_E0_NS1_11comp_targetILNS1_3genE4ELNS1_11target_archE910ELNS1_3gpuE8ELNS1_3repE0EEENS1_38merge_mergepath_config_static_selectorELNS0_4arch9wavefront6targetE1EEEvSJ_.private_seg_size, 0
	.set _ZN7rocprim17ROCPRIM_400000_NS6detail17trampoline_kernelINS0_14default_configENS1_38merge_sort_block_merge_config_selectorIiiEEZZNS1_27merge_sort_block_merge_implIS3_N6thrust23THRUST_200600_302600_NS6detail15normal_iteratorINS8_10device_ptrIiEEEESD_jNS1_19radix_merge_compareILb0ELb1EiNS0_19identity_decomposerEEEEE10hipError_tT0_T1_T2_jT3_P12ihipStream_tbPNSt15iterator_traitsISI_E10value_typeEPNSO_ISJ_E10value_typeEPSK_NS1_7vsmem_tEENKUlT_SI_SJ_SK_E_clISD_PiSD_S10_EESH_SX_SI_SJ_SK_EUlSX_E0_NS1_11comp_targetILNS1_3genE4ELNS1_11target_archE910ELNS1_3gpuE8ELNS1_3repE0EEENS1_38merge_mergepath_config_static_selectorELNS0_4arch9wavefront6targetE1EEEvSJ_.uses_vcc, 0
	.set _ZN7rocprim17ROCPRIM_400000_NS6detail17trampoline_kernelINS0_14default_configENS1_38merge_sort_block_merge_config_selectorIiiEEZZNS1_27merge_sort_block_merge_implIS3_N6thrust23THRUST_200600_302600_NS6detail15normal_iteratorINS8_10device_ptrIiEEEESD_jNS1_19radix_merge_compareILb0ELb1EiNS0_19identity_decomposerEEEEE10hipError_tT0_T1_T2_jT3_P12ihipStream_tbPNSt15iterator_traitsISI_E10value_typeEPNSO_ISJ_E10value_typeEPSK_NS1_7vsmem_tEENKUlT_SI_SJ_SK_E_clISD_PiSD_S10_EESH_SX_SI_SJ_SK_EUlSX_E0_NS1_11comp_targetILNS1_3genE4ELNS1_11target_archE910ELNS1_3gpuE8ELNS1_3repE0EEENS1_38merge_mergepath_config_static_selectorELNS0_4arch9wavefront6targetE1EEEvSJ_.uses_flat_scratch, 0
	.set _ZN7rocprim17ROCPRIM_400000_NS6detail17trampoline_kernelINS0_14default_configENS1_38merge_sort_block_merge_config_selectorIiiEEZZNS1_27merge_sort_block_merge_implIS3_N6thrust23THRUST_200600_302600_NS6detail15normal_iteratorINS8_10device_ptrIiEEEESD_jNS1_19radix_merge_compareILb0ELb1EiNS0_19identity_decomposerEEEEE10hipError_tT0_T1_T2_jT3_P12ihipStream_tbPNSt15iterator_traitsISI_E10value_typeEPNSO_ISJ_E10value_typeEPSK_NS1_7vsmem_tEENKUlT_SI_SJ_SK_E_clISD_PiSD_S10_EESH_SX_SI_SJ_SK_EUlSX_E0_NS1_11comp_targetILNS1_3genE4ELNS1_11target_archE910ELNS1_3gpuE8ELNS1_3repE0EEENS1_38merge_mergepath_config_static_selectorELNS0_4arch9wavefront6targetE1EEEvSJ_.has_dyn_sized_stack, 0
	.set _ZN7rocprim17ROCPRIM_400000_NS6detail17trampoline_kernelINS0_14default_configENS1_38merge_sort_block_merge_config_selectorIiiEEZZNS1_27merge_sort_block_merge_implIS3_N6thrust23THRUST_200600_302600_NS6detail15normal_iteratorINS8_10device_ptrIiEEEESD_jNS1_19radix_merge_compareILb0ELb1EiNS0_19identity_decomposerEEEEE10hipError_tT0_T1_T2_jT3_P12ihipStream_tbPNSt15iterator_traitsISI_E10value_typeEPNSO_ISJ_E10value_typeEPSK_NS1_7vsmem_tEENKUlT_SI_SJ_SK_E_clISD_PiSD_S10_EESH_SX_SI_SJ_SK_EUlSX_E0_NS1_11comp_targetILNS1_3genE4ELNS1_11target_archE910ELNS1_3gpuE8ELNS1_3repE0EEENS1_38merge_mergepath_config_static_selectorELNS0_4arch9wavefront6targetE1EEEvSJ_.has_recursion, 0
	.set _ZN7rocprim17ROCPRIM_400000_NS6detail17trampoline_kernelINS0_14default_configENS1_38merge_sort_block_merge_config_selectorIiiEEZZNS1_27merge_sort_block_merge_implIS3_N6thrust23THRUST_200600_302600_NS6detail15normal_iteratorINS8_10device_ptrIiEEEESD_jNS1_19radix_merge_compareILb0ELb1EiNS0_19identity_decomposerEEEEE10hipError_tT0_T1_T2_jT3_P12ihipStream_tbPNSt15iterator_traitsISI_E10value_typeEPNSO_ISJ_E10value_typeEPSK_NS1_7vsmem_tEENKUlT_SI_SJ_SK_E_clISD_PiSD_S10_EESH_SX_SI_SJ_SK_EUlSX_E0_NS1_11comp_targetILNS1_3genE4ELNS1_11target_archE910ELNS1_3gpuE8ELNS1_3repE0EEENS1_38merge_mergepath_config_static_selectorELNS0_4arch9wavefront6targetE1EEEvSJ_.has_indirect_call, 0
	.section	.AMDGPU.csdata,"",@progbits
; Kernel info:
; codeLenInByte = 0
; TotalNumSgprs: 6
; NumVgprs: 0
; NumAgprs: 0
; TotalNumVgprs: 0
; ScratchSize: 0
; MemoryBound: 0
; FloatMode: 240
; IeeeMode: 1
; LDSByteSize: 0 bytes/workgroup (compile time only)
; SGPRBlocks: 0
; VGPRBlocks: 0
; NumSGPRsForWavesPerEU: 6
; NumVGPRsForWavesPerEU: 1
; AccumOffset: 4
; Occupancy: 8
; WaveLimiterHint : 0
; COMPUTE_PGM_RSRC2:SCRATCH_EN: 0
; COMPUTE_PGM_RSRC2:USER_SGPR: 2
; COMPUTE_PGM_RSRC2:TRAP_HANDLER: 0
; COMPUTE_PGM_RSRC2:TGID_X_EN: 1
; COMPUTE_PGM_RSRC2:TGID_Y_EN: 0
; COMPUTE_PGM_RSRC2:TGID_Z_EN: 0
; COMPUTE_PGM_RSRC2:TIDIG_COMP_CNT: 0
; COMPUTE_PGM_RSRC3_GFX90A:ACCUM_OFFSET: 0
; COMPUTE_PGM_RSRC3_GFX90A:TG_SPLIT: 0
	.section	.text._ZN7rocprim17ROCPRIM_400000_NS6detail17trampoline_kernelINS0_14default_configENS1_38merge_sort_block_merge_config_selectorIiiEEZZNS1_27merge_sort_block_merge_implIS3_N6thrust23THRUST_200600_302600_NS6detail15normal_iteratorINS8_10device_ptrIiEEEESD_jNS1_19radix_merge_compareILb0ELb1EiNS0_19identity_decomposerEEEEE10hipError_tT0_T1_T2_jT3_P12ihipStream_tbPNSt15iterator_traitsISI_E10value_typeEPNSO_ISJ_E10value_typeEPSK_NS1_7vsmem_tEENKUlT_SI_SJ_SK_E_clISD_PiSD_S10_EESH_SX_SI_SJ_SK_EUlSX_E0_NS1_11comp_targetILNS1_3genE3ELNS1_11target_archE908ELNS1_3gpuE7ELNS1_3repE0EEENS1_38merge_mergepath_config_static_selectorELNS0_4arch9wavefront6targetE1EEEvSJ_,"axG",@progbits,_ZN7rocprim17ROCPRIM_400000_NS6detail17trampoline_kernelINS0_14default_configENS1_38merge_sort_block_merge_config_selectorIiiEEZZNS1_27merge_sort_block_merge_implIS3_N6thrust23THRUST_200600_302600_NS6detail15normal_iteratorINS8_10device_ptrIiEEEESD_jNS1_19radix_merge_compareILb0ELb1EiNS0_19identity_decomposerEEEEE10hipError_tT0_T1_T2_jT3_P12ihipStream_tbPNSt15iterator_traitsISI_E10value_typeEPNSO_ISJ_E10value_typeEPSK_NS1_7vsmem_tEENKUlT_SI_SJ_SK_E_clISD_PiSD_S10_EESH_SX_SI_SJ_SK_EUlSX_E0_NS1_11comp_targetILNS1_3genE3ELNS1_11target_archE908ELNS1_3gpuE7ELNS1_3repE0EEENS1_38merge_mergepath_config_static_selectorELNS0_4arch9wavefront6targetE1EEEvSJ_,comdat
	.protected	_ZN7rocprim17ROCPRIM_400000_NS6detail17trampoline_kernelINS0_14default_configENS1_38merge_sort_block_merge_config_selectorIiiEEZZNS1_27merge_sort_block_merge_implIS3_N6thrust23THRUST_200600_302600_NS6detail15normal_iteratorINS8_10device_ptrIiEEEESD_jNS1_19radix_merge_compareILb0ELb1EiNS0_19identity_decomposerEEEEE10hipError_tT0_T1_T2_jT3_P12ihipStream_tbPNSt15iterator_traitsISI_E10value_typeEPNSO_ISJ_E10value_typeEPSK_NS1_7vsmem_tEENKUlT_SI_SJ_SK_E_clISD_PiSD_S10_EESH_SX_SI_SJ_SK_EUlSX_E0_NS1_11comp_targetILNS1_3genE3ELNS1_11target_archE908ELNS1_3gpuE7ELNS1_3repE0EEENS1_38merge_mergepath_config_static_selectorELNS0_4arch9wavefront6targetE1EEEvSJ_ ; -- Begin function _ZN7rocprim17ROCPRIM_400000_NS6detail17trampoline_kernelINS0_14default_configENS1_38merge_sort_block_merge_config_selectorIiiEEZZNS1_27merge_sort_block_merge_implIS3_N6thrust23THRUST_200600_302600_NS6detail15normal_iteratorINS8_10device_ptrIiEEEESD_jNS1_19radix_merge_compareILb0ELb1EiNS0_19identity_decomposerEEEEE10hipError_tT0_T1_T2_jT3_P12ihipStream_tbPNSt15iterator_traitsISI_E10value_typeEPNSO_ISJ_E10value_typeEPSK_NS1_7vsmem_tEENKUlT_SI_SJ_SK_E_clISD_PiSD_S10_EESH_SX_SI_SJ_SK_EUlSX_E0_NS1_11comp_targetILNS1_3genE3ELNS1_11target_archE908ELNS1_3gpuE7ELNS1_3repE0EEENS1_38merge_mergepath_config_static_selectorELNS0_4arch9wavefront6targetE1EEEvSJ_
	.globl	_ZN7rocprim17ROCPRIM_400000_NS6detail17trampoline_kernelINS0_14default_configENS1_38merge_sort_block_merge_config_selectorIiiEEZZNS1_27merge_sort_block_merge_implIS3_N6thrust23THRUST_200600_302600_NS6detail15normal_iteratorINS8_10device_ptrIiEEEESD_jNS1_19radix_merge_compareILb0ELb1EiNS0_19identity_decomposerEEEEE10hipError_tT0_T1_T2_jT3_P12ihipStream_tbPNSt15iterator_traitsISI_E10value_typeEPNSO_ISJ_E10value_typeEPSK_NS1_7vsmem_tEENKUlT_SI_SJ_SK_E_clISD_PiSD_S10_EESH_SX_SI_SJ_SK_EUlSX_E0_NS1_11comp_targetILNS1_3genE3ELNS1_11target_archE908ELNS1_3gpuE7ELNS1_3repE0EEENS1_38merge_mergepath_config_static_selectorELNS0_4arch9wavefront6targetE1EEEvSJ_
	.p2align	8
	.type	_ZN7rocprim17ROCPRIM_400000_NS6detail17trampoline_kernelINS0_14default_configENS1_38merge_sort_block_merge_config_selectorIiiEEZZNS1_27merge_sort_block_merge_implIS3_N6thrust23THRUST_200600_302600_NS6detail15normal_iteratorINS8_10device_ptrIiEEEESD_jNS1_19radix_merge_compareILb0ELb1EiNS0_19identity_decomposerEEEEE10hipError_tT0_T1_T2_jT3_P12ihipStream_tbPNSt15iterator_traitsISI_E10value_typeEPNSO_ISJ_E10value_typeEPSK_NS1_7vsmem_tEENKUlT_SI_SJ_SK_E_clISD_PiSD_S10_EESH_SX_SI_SJ_SK_EUlSX_E0_NS1_11comp_targetILNS1_3genE3ELNS1_11target_archE908ELNS1_3gpuE7ELNS1_3repE0EEENS1_38merge_mergepath_config_static_selectorELNS0_4arch9wavefront6targetE1EEEvSJ_,@function
_ZN7rocprim17ROCPRIM_400000_NS6detail17trampoline_kernelINS0_14default_configENS1_38merge_sort_block_merge_config_selectorIiiEEZZNS1_27merge_sort_block_merge_implIS3_N6thrust23THRUST_200600_302600_NS6detail15normal_iteratorINS8_10device_ptrIiEEEESD_jNS1_19radix_merge_compareILb0ELb1EiNS0_19identity_decomposerEEEEE10hipError_tT0_T1_T2_jT3_P12ihipStream_tbPNSt15iterator_traitsISI_E10value_typeEPNSO_ISJ_E10value_typeEPSK_NS1_7vsmem_tEENKUlT_SI_SJ_SK_E_clISD_PiSD_S10_EESH_SX_SI_SJ_SK_EUlSX_E0_NS1_11comp_targetILNS1_3genE3ELNS1_11target_archE908ELNS1_3gpuE7ELNS1_3repE0EEENS1_38merge_mergepath_config_static_selectorELNS0_4arch9wavefront6targetE1EEEvSJ_: ; @_ZN7rocprim17ROCPRIM_400000_NS6detail17trampoline_kernelINS0_14default_configENS1_38merge_sort_block_merge_config_selectorIiiEEZZNS1_27merge_sort_block_merge_implIS3_N6thrust23THRUST_200600_302600_NS6detail15normal_iteratorINS8_10device_ptrIiEEEESD_jNS1_19radix_merge_compareILb0ELb1EiNS0_19identity_decomposerEEEEE10hipError_tT0_T1_T2_jT3_P12ihipStream_tbPNSt15iterator_traitsISI_E10value_typeEPNSO_ISJ_E10value_typeEPSK_NS1_7vsmem_tEENKUlT_SI_SJ_SK_E_clISD_PiSD_S10_EESH_SX_SI_SJ_SK_EUlSX_E0_NS1_11comp_targetILNS1_3genE3ELNS1_11target_archE908ELNS1_3gpuE7ELNS1_3repE0EEENS1_38merge_mergepath_config_static_selectorELNS0_4arch9wavefront6targetE1EEEvSJ_
; %bb.0:
	.section	.rodata,"a",@progbits
	.p2align	6, 0x0
	.amdhsa_kernel _ZN7rocprim17ROCPRIM_400000_NS6detail17trampoline_kernelINS0_14default_configENS1_38merge_sort_block_merge_config_selectorIiiEEZZNS1_27merge_sort_block_merge_implIS3_N6thrust23THRUST_200600_302600_NS6detail15normal_iteratorINS8_10device_ptrIiEEEESD_jNS1_19radix_merge_compareILb0ELb1EiNS0_19identity_decomposerEEEEE10hipError_tT0_T1_T2_jT3_P12ihipStream_tbPNSt15iterator_traitsISI_E10value_typeEPNSO_ISJ_E10value_typeEPSK_NS1_7vsmem_tEENKUlT_SI_SJ_SK_E_clISD_PiSD_S10_EESH_SX_SI_SJ_SK_EUlSX_E0_NS1_11comp_targetILNS1_3genE3ELNS1_11target_archE908ELNS1_3gpuE7ELNS1_3repE0EEENS1_38merge_mergepath_config_static_selectorELNS0_4arch9wavefront6targetE1EEEvSJ_
		.amdhsa_group_segment_fixed_size 0
		.amdhsa_private_segment_fixed_size 0
		.amdhsa_kernarg_size 64
		.amdhsa_user_sgpr_count 2
		.amdhsa_user_sgpr_dispatch_ptr 0
		.amdhsa_user_sgpr_queue_ptr 0
		.amdhsa_user_sgpr_kernarg_segment_ptr 1
		.amdhsa_user_sgpr_dispatch_id 0
		.amdhsa_user_sgpr_kernarg_preload_length 0
		.amdhsa_user_sgpr_kernarg_preload_offset 0
		.amdhsa_user_sgpr_private_segment_size 0
		.amdhsa_uses_dynamic_stack 0
		.amdhsa_enable_private_segment 0
		.amdhsa_system_sgpr_workgroup_id_x 1
		.amdhsa_system_sgpr_workgroup_id_y 0
		.amdhsa_system_sgpr_workgroup_id_z 0
		.amdhsa_system_sgpr_workgroup_info 0
		.amdhsa_system_vgpr_workitem_id 0
		.amdhsa_next_free_vgpr 1
		.amdhsa_next_free_sgpr 0
		.amdhsa_accum_offset 4
		.amdhsa_reserve_vcc 0
		.amdhsa_float_round_mode_32 0
		.amdhsa_float_round_mode_16_64 0
		.amdhsa_float_denorm_mode_32 3
		.amdhsa_float_denorm_mode_16_64 3
		.amdhsa_dx10_clamp 1
		.amdhsa_ieee_mode 1
		.amdhsa_fp16_overflow 0
		.amdhsa_tg_split 0
		.amdhsa_exception_fp_ieee_invalid_op 0
		.amdhsa_exception_fp_denorm_src 0
		.amdhsa_exception_fp_ieee_div_zero 0
		.amdhsa_exception_fp_ieee_overflow 0
		.amdhsa_exception_fp_ieee_underflow 0
		.amdhsa_exception_fp_ieee_inexact 0
		.amdhsa_exception_int_div_zero 0
	.end_amdhsa_kernel
	.section	.text._ZN7rocprim17ROCPRIM_400000_NS6detail17trampoline_kernelINS0_14default_configENS1_38merge_sort_block_merge_config_selectorIiiEEZZNS1_27merge_sort_block_merge_implIS3_N6thrust23THRUST_200600_302600_NS6detail15normal_iteratorINS8_10device_ptrIiEEEESD_jNS1_19radix_merge_compareILb0ELb1EiNS0_19identity_decomposerEEEEE10hipError_tT0_T1_T2_jT3_P12ihipStream_tbPNSt15iterator_traitsISI_E10value_typeEPNSO_ISJ_E10value_typeEPSK_NS1_7vsmem_tEENKUlT_SI_SJ_SK_E_clISD_PiSD_S10_EESH_SX_SI_SJ_SK_EUlSX_E0_NS1_11comp_targetILNS1_3genE3ELNS1_11target_archE908ELNS1_3gpuE7ELNS1_3repE0EEENS1_38merge_mergepath_config_static_selectorELNS0_4arch9wavefront6targetE1EEEvSJ_,"axG",@progbits,_ZN7rocprim17ROCPRIM_400000_NS6detail17trampoline_kernelINS0_14default_configENS1_38merge_sort_block_merge_config_selectorIiiEEZZNS1_27merge_sort_block_merge_implIS3_N6thrust23THRUST_200600_302600_NS6detail15normal_iteratorINS8_10device_ptrIiEEEESD_jNS1_19radix_merge_compareILb0ELb1EiNS0_19identity_decomposerEEEEE10hipError_tT0_T1_T2_jT3_P12ihipStream_tbPNSt15iterator_traitsISI_E10value_typeEPNSO_ISJ_E10value_typeEPSK_NS1_7vsmem_tEENKUlT_SI_SJ_SK_E_clISD_PiSD_S10_EESH_SX_SI_SJ_SK_EUlSX_E0_NS1_11comp_targetILNS1_3genE3ELNS1_11target_archE908ELNS1_3gpuE7ELNS1_3repE0EEENS1_38merge_mergepath_config_static_selectorELNS0_4arch9wavefront6targetE1EEEvSJ_,comdat
.Lfunc_end792:
	.size	_ZN7rocprim17ROCPRIM_400000_NS6detail17trampoline_kernelINS0_14default_configENS1_38merge_sort_block_merge_config_selectorIiiEEZZNS1_27merge_sort_block_merge_implIS3_N6thrust23THRUST_200600_302600_NS6detail15normal_iteratorINS8_10device_ptrIiEEEESD_jNS1_19radix_merge_compareILb0ELb1EiNS0_19identity_decomposerEEEEE10hipError_tT0_T1_T2_jT3_P12ihipStream_tbPNSt15iterator_traitsISI_E10value_typeEPNSO_ISJ_E10value_typeEPSK_NS1_7vsmem_tEENKUlT_SI_SJ_SK_E_clISD_PiSD_S10_EESH_SX_SI_SJ_SK_EUlSX_E0_NS1_11comp_targetILNS1_3genE3ELNS1_11target_archE908ELNS1_3gpuE7ELNS1_3repE0EEENS1_38merge_mergepath_config_static_selectorELNS0_4arch9wavefront6targetE1EEEvSJ_, .Lfunc_end792-_ZN7rocprim17ROCPRIM_400000_NS6detail17trampoline_kernelINS0_14default_configENS1_38merge_sort_block_merge_config_selectorIiiEEZZNS1_27merge_sort_block_merge_implIS3_N6thrust23THRUST_200600_302600_NS6detail15normal_iteratorINS8_10device_ptrIiEEEESD_jNS1_19radix_merge_compareILb0ELb1EiNS0_19identity_decomposerEEEEE10hipError_tT0_T1_T2_jT3_P12ihipStream_tbPNSt15iterator_traitsISI_E10value_typeEPNSO_ISJ_E10value_typeEPSK_NS1_7vsmem_tEENKUlT_SI_SJ_SK_E_clISD_PiSD_S10_EESH_SX_SI_SJ_SK_EUlSX_E0_NS1_11comp_targetILNS1_3genE3ELNS1_11target_archE908ELNS1_3gpuE7ELNS1_3repE0EEENS1_38merge_mergepath_config_static_selectorELNS0_4arch9wavefront6targetE1EEEvSJ_
                                        ; -- End function
	.set _ZN7rocprim17ROCPRIM_400000_NS6detail17trampoline_kernelINS0_14default_configENS1_38merge_sort_block_merge_config_selectorIiiEEZZNS1_27merge_sort_block_merge_implIS3_N6thrust23THRUST_200600_302600_NS6detail15normal_iteratorINS8_10device_ptrIiEEEESD_jNS1_19radix_merge_compareILb0ELb1EiNS0_19identity_decomposerEEEEE10hipError_tT0_T1_T2_jT3_P12ihipStream_tbPNSt15iterator_traitsISI_E10value_typeEPNSO_ISJ_E10value_typeEPSK_NS1_7vsmem_tEENKUlT_SI_SJ_SK_E_clISD_PiSD_S10_EESH_SX_SI_SJ_SK_EUlSX_E0_NS1_11comp_targetILNS1_3genE3ELNS1_11target_archE908ELNS1_3gpuE7ELNS1_3repE0EEENS1_38merge_mergepath_config_static_selectorELNS0_4arch9wavefront6targetE1EEEvSJ_.num_vgpr, 0
	.set _ZN7rocprim17ROCPRIM_400000_NS6detail17trampoline_kernelINS0_14default_configENS1_38merge_sort_block_merge_config_selectorIiiEEZZNS1_27merge_sort_block_merge_implIS3_N6thrust23THRUST_200600_302600_NS6detail15normal_iteratorINS8_10device_ptrIiEEEESD_jNS1_19radix_merge_compareILb0ELb1EiNS0_19identity_decomposerEEEEE10hipError_tT0_T1_T2_jT3_P12ihipStream_tbPNSt15iterator_traitsISI_E10value_typeEPNSO_ISJ_E10value_typeEPSK_NS1_7vsmem_tEENKUlT_SI_SJ_SK_E_clISD_PiSD_S10_EESH_SX_SI_SJ_SK_EUlSX_E0_NS1_11comp_targetILNS1_3genE3ELNS1_11target_archE908ELNS1_3gpuE7ELNS1_3repE0EEENS1_38merge_mergepath_config_static_selectorELNS0_4arch9wavefront6targetE1EEEvSJ_.num_agpr, 0
	.set _ZN7rocprim17ROCPRIM_400000_NS6detail17trampoline_kernelINS0_14default_configENS1_38merge_sort_block_merge_config_selectorIiiEEZZNS1_27merge_sort_block_merge_implIS3_N6thrust23THRUST_200600_302600_NS6detail15normal_iteratorINS8_10device_ptrIiEEEESD_jNS1_19radix_merge_compareILb0ELb1EiNS0_19identity_decomposerEEEEE10hipError_tT0_T1_T2_jT3_P12ihipStream_tbPNSt15iterator_traitsISI_E10value_typeEPNSO_ISJ_E10value_typeEPSK_NS1_7vsmem_tEENKUlT_SI_SJ_SK_E_clISD_PiSD_S10_EESH_SX_SI_SJ_SK_EUlSX_E0_NS1_11comp_targetILNS1_3genE3ELNS1_11target_archE908ELNS1_3gpuE7ELNS1_3repE0EEENS1_38merge_mergepath_config_static_selectorELNS0_4arch9wavefront6targetE1EEEvSJ_.numbered_sgpr, 0
	.set _ZN7rocprim17ROCPRIM_400000_NS6detail17trampoline_kernelINS0_14default_configENS1_38merge_sort_block_merge_config_selectorIiiEEZZNS1_27merge_sort_block_merge_implIS3_N6thrust23THRUST_200600_302600_NS6detail15normal_iteratorINS8_10device_ptrIiEEEESD_jNS1_19radix_merge_compareILb0ELb1EiNS0_19identity_decomposerEEEEE10hipError_tT0_T1_T2_jT3_P12ihipStream_tbPNSt15iterator_traitsISI_E10value_typeEPNSO_ISJ_E10value_typeEPSK_NS1_7vsmem_tEENKUlT_SI_SJ_SK_E_clISD_PiSD_S10_EESH_SX_SI_SJ_SK_EUlSX_E0_NS1_11comp_targetILNS1_3genE3ELNS1_11target_archE908ELNS1_3gpuE7ELNS1_3repE0EEENS1_38merge_mergepath_config_static_selectorELNS0_4arch9wavefront6targetE1EEEvSJ_.num_named_barrier, 0
	.set _ZN7rocprim17ROCPRIM_400000_NS6detail17trampoline_kernelINS0_14default_configENS1_38merge_sort_block_merge_config_selectorIiiEEZZNS1_27merge_sort_block_merge_implIS3_N6thrust23THRUST_200600_302600_NS6detail15normal_iteratorINS8_10device_ptrIiEEEESD_jNS1_19radix_merge_compareILb0ELb1EiNS0_19identity_decomposerEEEEE10hipError_tT0_T1_T2_jT3_P12ihipStream_tbPNSt15iterator_traitsISI_E10value_typeEPNSO_ISJ_E10value_typeEPSK_NS1_7vsmem_tEENKUlT_SI_SJ_SK_E_clISD_PiSD_S10_EESH_SX_SI_SJ_SK_EUlSX_E0_NS1_11comp_targetILNS1_3genE3ELNS1_11target_archE908ELNS1_3gpuE7ELNS1_3repE0EEENS1_38merge_mergepath_config_static_selectorELNS0_4arch9wavefront6targetE1EEEvSJ_.private_seg_size, 0
	.set _ZN7rocprim17ROCPRIM_400000_NS6detail17trampoline_kernelINS0_14default_configENS1_38merge_sort_block_merge_config_selectorIiiEEZZNS1_27merge_sort_block_merge_implIS3_N6thrust23THRUST_200600_302600_NS6detail15normal_iteratorINS8_10device_ptrIiEEEESD_jNS1_19radix_merge_compareILb0ELb1EiNS0_19identity_decomposerEEEEE10hipError_tT0_T1_T2_jT3_P12ihipStream_tbPNSt15iterator_traitsISI_E10value_typeEPNSO_ISJ_E10value_typeEPSK_NS1_7vsmem_tEENKUlT_SI_SJ_SK_E_clISD_PiSD_S10_EESH_SX_SI_SJ_SK_EUlSX_E0_NS1_11comp_targetILNS1_3genE3ELNS1_11target_archE908ELNS1_3gpuE7ELNS1_3repE0EEENS1_38merge_mergepath_config_static_selectorELNS0_4arch9wavefront6targetE1EEEvSJ_.uses_vcc, 0
	.set _ZN7rocprim17ROCPRIM_400000_NS6detail17trampoline_kernelINS0_14default_configENS1_38merge_sort_block_merge_config_selectorIiiEEZZNS1_27merge_sort_block_merge_implIS3_N6thrust23THRUST_200600_302600_NS6detail15normal_iteratorINS8_10device_ptrIiEEEESD_jNS1_19radix_merge_compareILb0ELb1EiNS0_19identity_decomposerEEEEE10hipError_tT0_T1_T2_jT3_P12ihipStream_tbPNSt15iterator_traitsISI_E10value_typeEPNSO_ISJ_E10value_typeEPSK_NS1_7vsmem_tEENKUlT_SI_SJ_SK_E_clISD_PiSD_S10_EESH_SX_SI_SJ_SK_EUlSX_E0_NS1_11comp_targetILNS1_3genE3ELNS1_11target_archE908ELNS1_3gpuE7ELNS1_3repE0EEENS1_38merge_mergepath_config_static_selectorELNS0_4arch9wavefront6targetE1EEEvSJ_.uses_flat_scratch, 0
	.set _ZN7rocprim17ROCPRIM_400000_NS6detail17trampoline_kernelINS0_14default_configENS1_38merge_sort_block_merge_config_selectorIiiEEZZNS1_27merge_sort_block_merge_implIS3_N6thrust23THRUST_200600_302600_NS6detail15normal_iteratorINS8_10device_ptrIiEEEESD_jNS1_19radix_merge_compareILb0ELb1EiNS0_19identity_decomposerEEEEE10hipError_tT0_T1_T2_jT3_P12ihipStream_tbPNSt15iterator_traitsISI_E10value_typeEPNSO_ISJ_E10value_typeEPSK_NS1_7vsmem_tEENKUlT_SI_SJ_SK_E_clISD_PiSD_S10_EESH_SX_SI_SJ_SK_EUlSX_E0_NS1_11comp_targetILNS1_3genE3ELNS1_11target_archE908ELNS1_3gpuE7ELNS1_3repE0EEENS1_38merge_mergepath_config_static_selectorELNS0_4arch9wavefront6targetE1EEEvSJ_.has_dyn_sized_stack, 0
	.set _ZN7rocprim17ROCPRIM_400000_NS6detail17trampoline_kernelINS0_14default_configENS1_38merge_sort_block_merge_config_selectorIiiEEZZNS1_27merge_sort_block_merge_implIS3_N6thrust23THRUST_200600_302600_NS6detail15normal_iteratorINS8_10device_ptrIiEEEESD_jNS1_19radix_merge_compareILb0ELb1EiNS0_19identity_decomposerEEEEE10hipError_tT0_T1_T2_jT3_P12ihipStream_tbPNSt15iterator_traitsISI_E10value_typeEPNSO_ISJ_E10value_typeEPSK_NS1_7vsmem_tEENKUlT_SI_SJ_SK_E_clISD_PiSD_S10_EESH_SX_SI_SJ_SK_EUlSX_E0_NS1_11comp_targetILNS1_3genE3ELNS1_11target_archE908ELNS1_3gpuE7ELNS1_3repE0EEENS1_38merge_mergepath_config_static_selectorELNS0_4arch9wavefront6targetE1EEEvSJ_.has_recursion, 0
	.set _ZN7rocprim17ROCPRIM_400000_NS6detail17trampoline_kernelINS0_14default_configENS1_38merge_sort_block_merge_config_selectorIiiEEZZNS1_27merge_sort_block_merge_implIS3_N6thrust23THRUST_200600_302600_NS6detail15normal_iteratorINS8_10device_ptrIiEEEESD_jNS1_19radix_merge_compareILb0ELb1EiNS0_19identity_decomposerEEEEE10hipError_tT0_T1_T2_jT3_P12ihipStream_tbPNSt15iterator_traitsISI_E10value_typeEPNSO_ISJ_E10value_typeEPSK_NS1_7vsmem_tEENKUlT_SI_SJ_SK_E_clISD_PiSD_S10_EESH_SX_SI_SJ_SK_EUlSX_E0_NS1_11comp_targetILNS1_3genE3ELNS1_11target_archE908ELNS1_3gpuE7ELNS1_3repE0EEENS1_38merge_mergepath_config_static_selectorELNS0_4arch9wavefront6targetE1EEEvSJ_.has_indirect_call, 0
	.section	.AMDGPU.csdata,"",@progbits
; Kernel info:
; codeLenInByte = 0
; TotalNumSgprs: 6
; NumVgprs: 0
; NumAgprs: 0
; TotalNumVgprs: 0
; ScratchSize: 0
; MemoryBound: 0
; FloatMode: 240
; IeeeMode: 1
; LDSByteSize: 0 bytes/workgroup (compile time only)
; SGPRBlocks: 0
; VGPRBlocks: 0
; NumSGPRsForWavesPerEU: 6
; NumVGPRsForWavesPerEU: 1
; AccumOffset: 4
; Occupancy: 8
; WaveLimiterHint : 0
; COMPUTE_PGM_RSRC2:SCRATCH_EN: 0
; COMPUTE_PGM_RSRC2:USER_SGPR: 2
; COMPUTE_PGM_RSRC2:TRAP_HANDLER: 0
; COMPUTE_PGM_RSRC2:TGID_X_EN: 1
; COMPUTE_PGM_RSRC2:TGID_Y_EN: 0
; COMPUTE_PGM_RSRC2:TGID_Z_EN: 0
; COMPUTE_PGM_RSRC2:TIDIG_COMP_CNT: 0
; COMPUTE_PGM_RSRC3_GFX90A:ACCUM_OFFSET: 0
; COMPUTE_PGM_RSRC3_GFX90A:TG_SPLIT: 0
	.section	.text._ZN7rocprim17ROCPRIM_400000_NS6detail17trampoline_kernelINS0_14default_configENS1_38merge_sort_block_merge_config_selectorIiiEEZZNS1_27merge_sort_block_merge_implIS3_N6thrust23THRUST_200600_302600_NS6detail15normal_iteratorINS8_10device_ptrIiEEEESD_jNS1_19radix_merge_compareILb0ELb1EiNS0_19identity_decomposerEEEEE10hipError_tT0_T1_T2_jT3_P12ihipStream_tbPNSt15iterator_traitsISI_E10value_typeEPNSO_ISJ_E10value_typeEPSK_NS1_7vsmem_tEENKUlT_SI_SJ_SK_E_clISD_PiSD_S10_EESH_SX_SI_SJ_SK_EUlSX_E0_NS1_11comp_targetILNS1_3genE2ELNS1_11target_archE906ELNS1_3gpuE6ELNS1_3repE0EEENS1_38merge_mergepath_config_static_selectorELNS0_4arch9wavefront6targetE1EEEvSJ_,"axG",@progbits,_ZN7rocprim17ROCPRIM_400000_NS6detail17trampoline_kernelINS0_14default_configENS1_38merge_sort_block_merge_config_selectorIiiEEZZNS1_27merge_sort_block_merge_implIS3_N6thrust23THRUST_200600_302600_NS6detail15normal_iteratorINS8_10device_ptrIiEEEESD_jNS1_19radix_merge_compareILb0ELb1EiNS0_19identity_decomposerEEEEE10hipError_tT0_T1_T2_jT3_P12ihipStream_tbPNSt15iterator_traitsISI_E10value_typeEPNSO_ISJ_E10value_typeEPSK_NS1_7vsmem_tEENKUlT_SI_SJ_SK_E_clISD_PiSD_S10_EESH_SX_SI_SJ_SK_EUlSX_E0_NS1_11comp_targetILNS1_3genE2ELNS1_11target_archE906ELNS1_3gpuE6ELNS1_3repE0EEENS1_38merge_mergepath_config_static_selectorELNS0_4arch9wavefront6targetE1EEEvSJ_,comdat
	.protected	_ZN7rocprim17ROCPRIM_400000_NS6detail17trampoline_kernelINS0_14default_configENS1_38merge_sort_block_merge_config_selectorIiiEEZZNS1_27merge_sort_block_merge_implIS3_N6thrust23THRUST_200600_302600_NS6detail15normal_iteratorINS8_10device_ptrIiEEEESD_jNS1_19radix_merge_compareILb0ELb1EiNS0_19identity_decomposerEEEEE10hipError_tT0_T1_T2_jT3_P12ihipStream_tbPNSt15iterator_traitsISI_E10value_typeEPNSO_ISJ_E10value_typeEPSK_NS1_7vsmem_tEENKUlT_SI_SJ_SK_E_clISD_PiSD_S10_EESH_SX_SI_SJ_SK_EUlSX_E0_NS1_11comp_targetILNS1_3genE2ELNS1_11target_archE906ELNS1_3gpuE6ELNS1_3repE0EEENS1_38merge_mergepath_config_static_selectorELNS0_4arch9wavefront6targetE1EEEvSJ_ ; -- Begin function _ZN7rocprim17ROCPRIM_400000_NS6detail17trampoline_kernelINS0_14default_configENS1_38merge_sort_block_merge_config_selectorIiiEEZZNS1_27merge_sort_block_merge_implIS3_N6thrust23THRUST_200600_302600_NS6detail15normal_iteratorINS8_10device_ptrIiEEEESD_jNS1_19radix_merge_compareILb0ELb1EiNS0_19identity_decomposerEEEEE10hipError_tT0_T1_T2_jT3_P12ihipStream_tbPNSt15iterator_traitsISI_E10value_typeEPNSO_ISJ_E10value_typeEPSK_NS1_7vsmem_tEENKUlT_SI_SJ_SK_E_clISD_PiSD_S10_EESH_SX_SI_SJ_SK_EUlSX_E0_NS1_11comp_targetILNS1_3genE2ELNS1_11target_archE906ELNS1_3gpuE6ELNS1_3repE0EEENS1_38merge_mergepath_config_static_selectorELNS0_4arch9wavefront6targetE1EEEvSJ_
	.globl	_ZN7rocprim17ROCPRIM_400000_NS6detail17trampoline_kernelINS0_14default_configENS1_38merge_sort_block_merge_config_selectorIiiEEZZNS1_27merge_sort_block_merge_implIS3_N6thrust23THRUST_200600_302600_NS6detail15normal_iteratorINS8_10device_ptrIiEEEESD_jNS1_19radix_merge_compareILb0ELb1EiNS0_19identity_decomposerEEEEE10hipError_tT0_T1_T2_jT3_P12ihipStream_tbPNSt15iterator_traitsISI_E10value_typeEPNSO_ISJ_E10value_typeEPSK_NS1_7vsmem_tEENKUlT_SI_SJ_SK_E_clISD_PiSD_S10_EESH_SX_SI_SJ_SK_EUlSX_E0_NS1_11comp_targetILNS1_3genE2ELNS1_11target_archE906ELNS1_3gpuE6ELNS1_3repE0EEENS1_38merge_mergepath_config_static_selectorELNS0_4arch9wavefront6targetE1EEEvSJ_
	.p2align	8
	.type	_ZN7rocprim17ROCPRIM_400000_NS6detail17trampoline_kernelINS0_14default_configENS1_38merge_sort_block_merge_config_selectorIiiEEZZNS1_27merge_sort_block_merge_implIS3_N6thrust23THRUST_200600_302600_NS6detail15normal_iteratorINS8_10device_ptrIiEEEESD_jNS1_19radix_merge_compareILb0ELb1EiNS0_19identity_decomposerEEEEE10hipError_tT0_T1_T2_jT3_P12ihipStream_tbPNSt15iterator_traitsISI_E10value_typeEPNSO_ISJ_E10value_typeEPSK_NS1_7vsmem_tEENKUlT_SI_SJ_SK_E_clISD_PiSD_S10_EESH_SX_SI_SJ_SK_EUlSX_E0_NS1_11comp_targetILNS1_3genE2ELNS1_11target_archE906ELNS1_3gpuE6ELNS1_3repE0EEENS1_38merge_mergepath_config_static_selectorELNS0_4arch9wavefront6targetE1EEEvSJ_,@function
_ZN7rocprim17ROCPRIM_400000_NS6detail17trampoline_kernelINS0_14default_configENS1_38merge_sort_block_merge_config_selectorIiiEEZZNS1_27merge_sort_block_merge_implIS3_N6thrust23THRUST_200600_302600_NS6detail15normal_iteratorINS8_10device_ptrIiEEEESD_jNS1_19radix_merge_compareILb0ELb1EiNS0_19identity_decomposerEEEEE10hipError_tT0_T1_T2_jT3_P12ihipStream_tbPNSt15iterator_traitsISI_E10value_typeEPNSO_ISJ_E10value_typeEPSK_NS1_7vsmem_tEENKUlT_SI_SJ_SK_E_clISD_PiSD_S10_EESH_SX_SI_SJ_SK_EUlSX_E0_NS1_11comp_targetILNS1_3genE2ELNS1_11target_archE906ELNS1_3gpuE6ELNS1_3repE0EEENS1_38merge_mergepath_config_static_selectorELNS0_4arch9wavefront6targetE1EEEvSJ_: ; @_ZN7rocprim17ROCPRIM_400000_NS6detail17trampoline_kernelINS0_14default_configENS1_38merge_sort_block_merge_config_selectorIiiEEZZNS1_27merge_sort_block_merge_implIS3_N6thrust23THRUST_200600_302600_NS6detail15normal_iteratorINS8_10device_ptrIiEEEESD_jNS1_19radix_merge_compareILb0ELb1EiNS0_19identity_decomposerEEEEE10hipError_tT0_T1_T2_jT3_P12ihipStream_tbPNSt15iterator_traitsISI_E10value_typeEPNSO_ISJ_E10value_typeEPSK_NS1_7vsmem_tEENKUlT_SI_SJ_SK_E_clISD_PiSD_S10_EESH_SX_SI_SJ_SK_EUlSX_E0_NS1_11comp_targetILNS1_3genE2ELNS1_11target_archE906ELNS1_3gpuE6ELNS1_3repE0EEENS1_38merge_mergepath_config_static_selectorELNS0_4arch9wavefront6targetE1EEEvSJ_
; %bb.0:
	.section	.rodata,"a",@progbits
	.p2align	6, 0x0
	.amdhsa_kernel _ZN7rocprim17ROCPRIM_400000_NS6detail17trampoline_kernelINS0_14default_configENS1_38merge_sort_block_merge_config_selectorIiiEEZZNS1_27merge_sort_block_merge_implIS3_N6thrust23THRUST_200600_302600_NS6detail15normal_iteratorINS8_10device_ptrIiEEEESD_jNS1_19radix_merge_compareILb0ELb1EiNS0_19identity_decomposerEEEEE10hipError_tT0_T1_T2_jT3_P12ihipStream_tbPNSt15iterator_traitsISI_E10value_typeEPNSO_ISJ_E10value_typeEPSK_NS1_7vsmem_tEENKUlT_SI_SJ_SK_E_clISD_PiSD_S10_EESH_SX_SI_SJ_SK_EUlSX_E0_NS1_11comp_targetILNS1_3genE2ELNS1_11target_archE906ELNS1_3gpuE6ELNS1_3repE0EEENS1_38merge_mergepath_config_static_selectorELNS0_4arch9wavefront6targetE1EEEvSJ_
		.amdhsa_group_segment_fixed_size 0
		.amdhsa_private_segment_fixed_size 0
		.amdhsa_kernarg_size 64
		.amdhsa_user_sgpr_count 2
		.amdhsa_user_sgpr_dispatch_ptr 0
		.amdhsa_user_sgpr_queue_ptr 0
		.amdhsa_user_sgpr_kernarg_segment_ptr 1
		.amdhsa_user_sgpr_dispatch_id 0
		.amdhsa_user_sgpr_kernarg_preload_length 0
		.amdhsa_user_sgpr_kernarg_preload_offset 0
		.amdhsa_user_sgpr_private_segment_size 0
		.amdhsa_uses_dynamic_stack 0
		.amdhsa_enable_private_segment 0
		.amdhsa_system_sgpr_workgroup_id_x 1
		.amdhsa_system_sgpr_workgroup_id_y 0
		.amdhsa_system_sgpr_workgroup_id_z 0
		.amdhsa_system_sgpr_workgroup_info 0
		.amdhsa_system_vgpr_workitem_id 0
		.amdhsa_next_free_vgpr 1
		.amdhsa_next_free_sgpr 0
		.amdhsa_accum_offset 4
		.amdhsa_reserve_vcc 0
		.amdhsa_float_round_mode_32 0
		.amdhsa_float_round_mode_16_64 0
		.amdhsa_float_denorm_mode_32 3
		.amdhsa_float_denorm_mode_16_64 3
		.amdhsa_dx10_clamp 1
		.amdhsa_ieee_mode 1
		.amdhsa_fp16_overflow 0
		.amdhsa_tg_split 0
		.amdhsa_exception_fp_ieee_invalid_op 0
		.amdhsa_exception_fp_denorm_src 0
		.amdhsa_exception_fp_ieee_div_zero 0
		.amdhsa_exception_fp_ieee_overflow 0
		.amdhsa_exception_fp_ieee_underflow 0
		.amdhsa_exception_fp_ieee_inexact 0
		.amdhsa_exception_int_div_zero 0
	.end_amdhsa_kernel
	.section	.text._ZN7rocprim17ROCPRIM_400000_NS6detail17trampoline_kernelINS0_14default_configENS1_38merge_sort_block_merge_config_selectorIiiEEZZNS1_27merge_sort_block_merge_implIS3_N6thrust23THRUST_200600_302600_NS6detail15normal_iteratorINS8_10device_ptrIiEEEESD_jNS1_19radix_merge_compareILb0ELb1EiNS0_19identity_decomposerEEEEE10hipError_tT0_T1_T2_jT3_P12ihipStream_tbPNSt15iterator_traitsISI_E10value_typeEPNSO_ISJ_E10value_typeEPSK_NS1_7vsmem_tEENKUlT_SI_SJ_SK_E_clISD_PiSD_S10_EESH_SX_SI_SJ_SK_EUlSX_E0_NS1_11comp_targetILNS1_3genE2ELNS1_11target_archE906ELNS1_3gpuE6ELNS1_3repE0EEENS1_38merge_mergepath_config_static_selectorELNS0_4arch9wavefront6targetE1EEEvSJ_,"axG",@progbits,_ZN7rocprim17ROCPRIM_400000_NS6detail17trampoline_kernelINS0_14default_configENS1_38merge_sort_block_merge_config_selectorIiiEEZZNS1_27merge_sort_block_merge_implIS3_N6thrust23THRUST_200600_302600_NS6detail15normal_iteratorINS8_10device_ptrIiEEEESD_jNS1_19radix_merge_compareILb0ELb1EiNS0_19identity_decomposerEEEEE10hipError_tT0_T1_T2_jT3_P12ihipStream_tbPNSt15iterator_traitsISI_E10value_typeEPNSO_ISJ_E10value_typeEPSK_NS1_7vsmem_tEENKUlT_SI_SJ_SK_E_clISD_PiSD_S10_EESH_SX_SI_SJ_SK_EUlSX_E0_NS1_11comp_targetILNS1_3genE2ELNS1_11target_archE906ELNS1_3gpuE6ELNS1_3repE0EEENS1_38merge_mergepath_config_static_selectorELNS0_4arch9wavefront6targetE1EEEvSJ_,comdat
.Lfunc_end793:
	.size	_ZN7rocprim17ROCPRIM_400000_NS6detail17trampoline_kernelINS0_14default_configENS1_38merge_sort_block_merge_config_selectorIiiEEZZNS1_27merge_sort_block_merge_implIS3_N6thrust23THRUST_200600_302600_NS6detail15normal_iteratorINS8_10device_ptrIiEEEESD_jNS1_19radix_merge_compareILb0ELb1EiNS0_19identity_decomposerEEEEE10hipError_tT0_T1_T2_jT3_P12ihipStream_tbPNSt15iterator_traitsISI_E10value_typeEPNSO_ISJ_E10value_typeEPSK_NS1_7vsmem_tEENKUlT_SI_SJ_SK_E_clISD_PiSD_S10_EESH_SX_SI_SJ_SK_EUlSX_E0_NS1_11comp_targetILNS1_3genE2ELNS1_11target_archE906ELNS1_3gpuE6ELNS1_3repE0EEENS1_38merge_mergepath_config_static_selectorELNS0_4arch9wavefront6targetE1EEEvSJ_, .Lfunc_end793-_ZN7rocprim17ROCPRIM_400000_NS6detail17trampoline_kernelINS0_14default_configENS1_38merge_sort_block_merge_config_selectorIiiEEZZNS1_27merge_sort_block_merge_implIS3_N6thrust23THRUST_200600_302600_NS6detail15normal_iteratorINS8_10device_ptrIiEEEESD_jNS1_19radix_merge_compareILb0ELb1EiNS0_19identity_decomposerEEEEE10hipError_tT0_T1_T2_jT3_P12ihipStream_tbPNSt15iterator_traitsISI_E10value_typeEPNSO_ISJ_E10value_typeEPSK_NS1_7vsmem_tEENKUlT_SI_SJ_SK_E_clISD_PiSD_S10_EESH_SX_SI_SJ_SK_EUlSX_E0_NS1_11comp_targetILNS1_3genE2ELNS1_11target_archE906ELNS1_3gpuE6ELNS1_3repE0EEENS1_38merge_mergepath_config_static_selectorELNS0_4arch9wavefront6targetE1EEEvSJ_
                                        ; -- End function
	.set _ZN7rocprim17ROCPRIM_400000_NS6detail17trampoline_kernelINS0_14default_configENS1_38merge_sort_block_merge_config_selectorIiiEEZZNS1_27merge_sort_block_merge_implIS3_N6thrust23THRUST_200600_302600_NS6detail15normal_iteratorINS8_10device_ptrIiEEEESD_jNS1_19radix_merge_compareILb0ELb1EiNS0_19identity_decomposerEEEEE10hipError_tT0_T1_T2_jT3_P12ihipStream_tbPNSt15iterator_traitsISI_E10value_typeEPNSO_ISJ_E10value_typeEPSK_NS1_7vsmem_tEENKUlT_SI_SJ_SK_E_clISD_PiSD_S10_EESH_SX_SI_SJ_SK_EUlSX_E0_NS1_11comp_targetILNS1_3genE2ELNS1_11target_archE906ELNS1_3gpuE6ELNS1_3repE0EEENS1_38merge_mergepath_config_static_selectorELNS0_4arch9wavefront6targetE1EEEvSJ_.num_vgpr, 0
	.set _ZN7rocprim17ROCPRIM_400000_NS6detail17trampoline_kernelINS0_14default_configENS1_38merge_sort_block_merge_config_selectorIiiEEZZNS1_27merge_sort_block_merge_implIS3_N6thrust23THRUST_200600_302600_NS6detail15normal_iteratorINS8_10device_ptrIiEEEESD_jNS1_19radix_merge_compareILb0ELb1EiNS0_19identity_decomposerEEEEE10hipError_tT0_T1_T2_jT3_P12ihipStream_tbPNSt15iterator_traitsISI_E10value_typeEPNSO_ISJ_E10value_typeEPSK_NS1_7vsmem_tEENKUlT_SI_SJ_SK_E_clISD_PiSD_S10_EESH_SX_SI_SJ_SK_EUlSX_E0_NS1_11comp_targetILNS1_3genE2ELNS1_11target_archE906ELNS1_3gpuE6ELNS1_3repE0EEENS1_38merge_mergepath_config_static_selectorELNS0_4arch9wavefront6targetE1EEEvSJ_.num_agpr, 0
	.set _ZN7rocprim17ROCPRIM_400000_NS6detail17trampoline_kernelINS0_14default_configENS1_38merge_sort_block_merge_config_selectorIiiEEZZNS1_27merge_sort_block_merge_implIS3_N6thrust23THRUST_200600_302600_NS6detail15normal_iteratorINS8_10device_ptrIiEEEESD_jNS1_19radix_merge_compareILb0ELb1EiNS0_19identity_decomposerEEEEE10hipError_tT0_T1_T2_jT3_P12ihipStream_tbPNSt15iterator_traitsISI_E10value_typeEPNSO_ISJ_E10value_typeEPSK_NS1_7vsmem_tEENKUlT_SI_SJ_SK_E_clISD_PiSD_S10_EESH_SX_SI_SJ_SK_EUlSX_E0_NS1_11comp_targetILNS1_3genE2ELNS1_11target_archE906ELNS1_3gpuE6ELNS1_3repE0EEENS1_38merge_mergepath_config_static_selectorELNS0_4arch9wavefront6targetE1EEEvSJ_.numbered_sgpr, 0
	.set _ZN7rocprim17ROCPRIM_400000_NS6detail17trampoline_kernelINS0_14default_configENS1_38merge_sort_block_merge_config_selectorIiiEEZZNS1_27merge_sort_block_merge_implIS3_N6thrust23THRUST_200600_302600_NS6detail15normal_iteratorINS8_10device_ptrIiEEEESD_jNS1_19radix_merge_compareILb0ELb1EiNS0_19identity_decomposerEEEEE10hipError_tT0_T1_T2_jT3_P12ihipStream_tbPNSt15iterator_traitsISI_E10value_typeEPNSO_ISJ_E10value_typeEPSK_NS1_7vsmem_tEENKUlT_SI_SJ_SK_E_clISD_PiSD_S10_EESH_SX_SI_SJ_SK_EUlSX_E0_NS1_11comp_targetILNS1_3genE2ELNS1_11target_archE906ELNS1_3gpuE6ELNS1_3repE0EEENS1_38merge_mergepath_config_static_selectorELNS0_4arch9wavefront6targetE1EEEvSJ_.num_named_barrier, 0
	.set _ZN7rocprim17ROCPRIM_400000_NS6detail17trampoline_kernelINS0_14default_configENS1_38merge_sort_block_merge_config_selectorIiiEEZZNS1_27merge_sort_block_merge_implIS3_N6thrust23THRUST_200600_302600_NS6detail15normal_iteratorINS8_10device_ptrIiEEEESD_jNS1_19radix_merge_compareILb0ELb1EiNS0_19identity_decomposerEEEEE10hipError_tT0_T1_T2_jT3_P12ihipStream_tbPNSt15iterator_traitsISI_E10value_typeEPNSO_ISJ_E10value_typeEPSK_NS1_7vsmem_tEENKUlT_SI_SJ_SK_E_clISD_PiSD_S10_EESH_SX_SI_SJ_SK_EUlSX_E0_NS1_11comp_targetILNS1_3genE2ELNS1_11target_archE906ELNS1_3gpuE6ELNS1_3repE0EEENS1_38merge_mergepath_config_static_selectorELNS0_4arch9wavefront6targetE1EEEvSJ_.private_seg_size, 0
	.set _ZN7rocprim17ROCPRIM_400000_NS6detail17trampoline_kernelINS0_14default_configENS1_38merge_sort_block_merge_config_selectorIiiEEZZNS1_27merge_sort_block_merge_implIS3_N6thrust23THRUST_200600_302600_NS6detail15normal_iteratorINS8_10device_ptrIiEEEESD_jNS1_19radix_merge_compareILb0ELb1EiNS0_19identity_decomposerEEEEE10hipError_tT0_T1_T2_jT3_P12ihipStream_tbPNSt15iterator_traitsISI_E10value_typeEPNSO_ISJ_E10value_typeEPSK_NS1_7vsmem_tEENKUlT_SI_SJ_SK_E_clISD_PiSD_S10_EESH_SX_SI_SJ_SK_EUlSX_E0_NS1_11comp_targetILNS1_3genE2ELNS1_11target_archE906ELNS1_3gpuE6ELNS1_3repE0EEENS1_38merge_mergepath_config_static_selectorELNS0_4arch9wavefront6targetE1EEEvSJ_.uses_vcc, 0
	.set _ZN7rocprim17ROCPRIM_400000_NS6detail17trampoline_kernelINS0_14default_configENS1_38merge_sort_block_merge_config_selectorIiiEEZZNS1_27merge_sort_block_merge_implIS3_N6thrust23THRUST_200600_302600_NS6detail15normal_iteratorINS8_10device_ptrIiEEEESD_jNS1_19radix_merge_compareILb0ELb1EiNS0_19identity_decomposerEEEEE10hipError_tT0_T1_T2_jT3_P12ihipStream_tbPNSt15iterator_traitsISI_E10value_typeEPNSO_ISJ_E10value_typeEPSK_NS1_7vsmem_tEENKUlT_SI_SJ_SK_E_clISD_PiSD_S10_EESH_SX_SI_SJ_SK_EUlSX_E0_NS1_11comp_targetILNS1_3genE2ELNS1_11target_archE906ELNS1_3gpuE6ELNS1_3repE0EEENS1_38merge_mergepath_config_static_selectorELNS0_4arch9wavefront6targetE1EEEvSJ_.uses_flat_scratch, 0
	.set _ZN7rocprim17ROCPRIM_400000_NS6detail17trampoline_kernelINS0_14default_configENS1_38merge_sort_block_merge_config_selectorIiiEEZZNS1_27merge_sort_block_merge_implIS3_N6thrust23THRUST_200600_302600_NS6detail15normal_iteratorINS8_10device_ptrIiEEEESD_jNS1_19radix_merge_compareILb0ELb1EiNS0_19identity_decomposerEEEEE10hipError_tT0_T1_T2_jT3_P12ihipStream_tbPNSt15iterator_traitsISI_E10value_typeEPNSO_ISJ_E10value_typeEPSK_NS1_7vsmem_tEENKUlT_SI_SJ_SK_E_clISD_PiSD_S10_EESH_SX_SI_SJ_SK_EUlSX_E0_NS1_11comp_targetILNS1_3genE2ELNS1_11target_archE906ELNS1_3gpuE6ELNS1_3repE0EEENS1_38merge_mergepath_config_static_selectorELNS0_4arch9wavefront6targetE1EEEvSJ_.has_dyn_sized_stack, 0
	.set _ZN7rocprim17ROCPRIM_400000_NS6detail17trampoline_kernelINS0_14default_configENS1_38merge_sort_block_merge_config_selectorIiiEEZZNS1_27merge_sort_block_merge_implIS3_N6thrust23THRUST_200600_302600_NS6detail15normal_iteratorINS8_10device_ptrIiEEEESD_jNS1_19radix_merge_compareILb0ELb1EiNS0_19identity_decomposerEEEEE10hipError_tT0_T1_T2_jT3_P12ihipStream_tbPNSt15iterator_traitsISI_E10value_typeEPNSO_ISJ_E10value_typeEPSK_NS1_7vsmem_tEENKUlT_SI_SJ_SK_E_clISD_PiSD_S10_EESH_SX_SI_SJ_SK_EUlSX_E0_NS1_11comp_targetILNS1_3genE2ELNS1_11target_archE906ELNS1_3gpuE6ELNS1_3repE0EEENS1_38merge_mergepath_config_static_selectorELNS0_4arch9wavefront6targetE1EEEvSJ_.has_recursion, 0
	.set _ZN7rocprim17ROCPRIM_400000_NS6detail17trampoline_kernelINS0_14default_configENS1_38merge_sort_block_merge_config_selectorIiiEEZZNS1_27merge_sort_block_merge_implIS3_N6thrust23THRUST_200600_302600_NS6detail15normal_iteratorINS8_10device_ptrIiEEEESD_jNS1_19radix_merge_compareILb0ELb1EiNS0_19identity_decomposerEEEEE10hipError_tT0_T1_T2_jT3_P12ihipStream_tbPNSt15iterator_traitsISI_E10value_typeEPNSO_ISJ_E10value_typeEPSK_NS1_7vsmem_tEENKUlT_SI_SJ_SK_E_clISD_PiSD_S10_EESH_SX_SI_SJ_SK_EUlSX_E0_NS1_11comp_targetILNS1_3genE2ELNS1_11target_archE906ELNS1_3gpuE6ELNS1_3repE0EEENS1_38merge_mergepath_config_static_selectorELNS0_4arch9wavefront6targetE1EEEvSJ_.has_indirect_call, 0
	.section	.AMDGPU.csdata,"",@progbits
; Kernel info:
; codeLenInByte = 0
; TotalNumSgprs: 6
; NumVgprs: 0
; NumAgprs: 0
; TotalNumVgprs: 0
; ScratchSize: 0
; MemoryBound: 0
; FloatMode: 240
; IeeeMode: 1
; LDSByteSize: 0 bytes/workgroup (compile time only)
; SGPRBlocks: 0
; VGPRBlocks: 0
; NumSGPRsForWavesPerEU: 6
; NumVGPRsForWavesPerEU: 1
; AccumOffset: 4
; Occupancy: 8
; WaveLimiterHint : 0
; COMPUTE_PGM_RSRC2:SCRATCH_EN: 0
; COMPUTE_PGM_RSRC2:USER_SGPR: 2
; COMPUTE_PGM_RSRC2:TRAP_HANDLER: 0
; COMPUTE_PGM_RSRC2:TGID_X_EN: 1
; COMPUTE_PGM_RSRC2:TGID_Y_EN: 0
; COMPUTE_PGM_RSRC2:TGID_Z_EN: 0
; COMPUTE_PGM_RSRC2:TIDIG_COMP_CNT: 0
; COMPUTE_PGM_RSRC3_GFX90A:ACCUM_OFFSET: 0
; COMPUTE_PGM_RSRC3_GFX90A:TG_SPLIT: 0
	.section	.text._ZN7rocprim17ROCPRIM_400000_NS6detail17trampoline_kernelINS0_14default_configENS1_38merge_sort_block_merge_config_selectorIiiEEZZNS1_27merge_sort_block_merge_implIS3_N6thrust23THRUST_200600_302600_NS6detail15normal_iteratorINS8_10device_ptrIiEEEESD_jNS1_19radix_merge_compareILb0ELb1EiNS0_19identity_decomposerEEEEE10hipError_tT0_T1_T2_jT3_P12ihipStream_tbPNSt15iterator_traitsISI_E10value_typeEPNSO_ISJ_E10value_typeEPSK_NS1_7vsmem_tEENKUlT_SI_SJ_SK_E_clISD_PiSD_S10_EESH_SX_SI_SJ_SK_EUlSX_E0_NS1_11comp_targetILNS1_3genE9ELNS1_11target_archE1100ELNS1_3gpuE3ELNS1_3repE0EEENS1_38merge_mergepath_config_static_selectorELNS0_4arch9wavefront6targetE1EEEvSJ_,"axG",@progbits,_ZN7rocprim17ROCPRIM_400000_NS6detail17trampoline_kernelINS0_14default_configENS1_38merge_sort_block_merge_config_selectorIiiEEZZNS1_27merge_sort_block_merge_implIS3_N6thrust23THRUST_200600_302600_NS6detail15normal_iteratorINS8_10device_ptrIiEEEESD_jNS1_19radix_merge_compareILb0ELb1EiNS0_19identity_decomposerEEEEE10hipError_tT0_T1_T2_jT3_P12ihipStream_tbPNSt15iterator_traitsISI_E10value_typeEPNSO_ISJ_E10value_typeEPSK_NS1_7vsmem_tEENKUlT_SI_SJ_SK_E_clISD_PiSD_S10_EESH_SX_SI_SJ_SK_EUlSX_E0_NS1_11comp_targetILNS1_3genE9ELNS1_11target_archE1100ELNS1_3gpuE3ELNS1_3repE0EEENS1_38merge_mergepath_config_static_selectorELNS0_4arch9wavefront6targetE1EEEvSJ_,comdat
	.protected	_ZN7rocprim17ROCPRIM_400000_NS6detail17trampoline_kernelINS0_14default_configENS1_38merge_sort_block_merge_config_selectorIiiEEZZNS1_27merge_sort_block_merge_implIS3_N6thrust23THRUST_200600_302600_NS6detail15normal_iteratorINS8_10device_ptrIiEEEESD_jNS1_19radix_merge_compareILb0ELb1EiNS0_19identity_decomposerEEEEE10hipError_tT0_T1_T2_jT3_P12ihipStream_tbPNSt15iterator_traitsISI_E10value_typeEPNSO_ISJ_E10value_typeEPSK_NS1_7vsmem_tEENKUlT_SI_SJ_SK_E_clISD_PiSD_S10_EESH_SX_SI_SJ_SK_EUlSX_E0_NS1_11comp_targetILNS1_3genE9ELNS1_11target_archE1100ELNS1_3gpuE3ELNS1_3repE0EEENS1_38merge_mergepath_config_static_selectorELNS0_4arch9wavefront6targetE1EEEvSJ_ ; -- Begin function _ZN7rocprim17ROCPRIM_400000_NS6detail17trampoline_kernelINS0_14default_configENS1_38merge_sort_block_merge_config_selectorIiiEEZZNS1_27merge_sort_block_merge_implIS3_N6thrust23THRUST_200600_302600_NS6detail15normal_iteratorINS8_10device_ptrIiEEEESD_jNS1_19radix_merge_compareILb0ELb1EiNS0_19identity_decomposerEEEEE10hipError_tT0_T1_T2_jT3_P12ihipStream_tbPNSt15iterator_traitsISI_E10value_typeEPNSO_ISJ_E10value_typeEPSK_NS1_7vsmem_tEENKUlT_SI_SJ_SK_E_clISD_PiSD_S10_EESH_SX_SI_SJ_SK_EUlSX_E0_NS1_11comp_targetILNS1_3genE9ELNS1_11target_archE1100ELNS1_3gpuE3ELNS1_3repE0EEENS1_38merge_mergepath_config_static_selectorELNS0_4arch9wavefront6targetE1EEEvSJ_
	.globl	_ZN7rocprim17ROCPRIM_400000_NS6detail17trampoline_kernelINS0_14default_configENS1_38merge_sort_block_merge_config_selectorIiiEEZZNS1_27merge_sort_block_merge_implIS3_N6thrust23THRUST_200600_302600_NS6detail15normal_iteratorINS8_10device_ptrIiEEEESD_jNS1_19radix_merge_compareILb0ELb1EiNS0_19identity_decomposerEEEEE10hipError_tT0_T1_T2_jT3_P12ihipStream_tbPNSt15iterator_traitsISI_E10value_typeEPNSO_ISJ_E10value_typeEPSK_NS1_7vsmem_tEENKUlT_SI_SJ_SK_E_clISD_PiSD_S10_EESH_SX_SI_SJ_SK_EUlSX_E0_NS1_11comp_targetILNS1_3genE9ELNS1_11target_archE1100ELNS1_3gpuE3ELNS1_3repE0EEENS1_38merge_mergepath_config_static_selectorELNS0_4arch9wavefront6targetE1EEEvSJ_
	.p2align	8
	.type	_ZN7rocprim17ROCPRIM_400000_NS6detail17trampoline_kernelINS0_14default_configENS1_38merge_sort_block_merge_config_selectorIiiEEZZNS1_27merge_sort_block_merge_implIS3_N6thrust23THRUST_200600_302600_NS6detail15normal_iteratorINS8_10device_ptrIiEEEESD_jNS1_19radix_merge_compareILb0ELb1EiNS0_19identity_decomposerEEEEE10hipError_tT0_T1_T2_jT3_P12ihipStream_tbPNSt15iterator_traitsISI_E10value_typeEPNSO_ISJ_E10value_typeEPSK_NS1_7vsmem_tEENKUlT_SI_SJ_SK_E_clISD_PiSD_S10_EESH_SX_SI_SJ_SK_EUlSX_E0_NS1_11comp_targetILNS1_3genE9ELNS1_11target_archE1100ELNS1_3gpuE3ELNS1_3repE0EEENS1_38merge_mergepath_config_static_selectorELNS0_4arch9wavefront6targetE1EEEvSJ_,@function
_ZN7rocprim17ROCPRIM_400000_NS6detail17trampoline_kernelINS0_14default_configENS1_38merge_sort_block_merge_config_selectorIiiEEZZNS1_27merge_sort_block_merge_implIS3_N6thrust23THRUST_200600_302600_NS6detail15normal_iteratorINS8_10device_ptrIiEEEESD_jNS1_19radix_merge_compareILb0ELb1EiNS0_19identity_decomposerEEEEE10hipError_tT0_T1_T2_jT3_P12ihipStream_tbPNSt15iterator_traitsISI_E10value_typeEPNSO_ISJ_E10value_typeEPSK_NS1_7vsmem_tEENKUlT_SI_SJ_SK_E_clISD_PiSD_S10_EESH_SX_SI_SJ_SK_EUlSX_E0_NS1_11comp_targetILNS1_3genE9ELNS1_11target_archE1100ELNS1_3gpuE3ELNS1_3repE0EEENS1_38merge_mergepath_config_static_selectorELNS0_4arch9wavefront6targetE1EEEvSJ_: ; @_ZN7rocprim17ROCPRIM_400000_NS6detail17trampoline_kernelINS0_14default_configENS1_38merge_sort_block_merge_config_selectorIiiEEZZNS1_27merge_sort_block_merge_implIS3_N6thrust23THRUST_200600_302600_NS6detail15normal_iteratorINS8_10device_ptrIiEEEESD_jNS1_19radix_merge_compareILb0ELb1EiNS0_19identity_decomposerEEEEE10hipError_tT0_T1_T2_jT3_P12ihipStream_tbPNSt15iterator_traitsISI_E10value_typeEPNSO_ISJ_E10value_typeEPSK_NS1_7vsmem_tEENKUlT_SI_SJ_SK_E_clISD_PiSD_S10_EESH_SX_SI_SJ_SK_EUlSX_E0_NS1_11comp_targetILNS1_3genE9ELNS1_11target_archE1100ELNS1_3gpuE3ELNS1_3repE0EEENS1_38merge_mergepath_config_static_selectorELNS0_4arch9wavefront6targetE1EEEvSJ_
; %bb.0:
	.section	.rodata,"a",@progbits
	.p2align	6, 0x0
	.amdhsa_kernel _ZN7rocprim17ROCPRIM_400000_NS6detail17trampoline_kernelINS0_14default_configENS1_38merge_sort_block_merge_config_selectorIiiEEZZNS1_27merge_sort_block_merge_implIS3_N6thrust23THRUST_200600_302600_NS6detail15normal_iteratorINS8_10device_ptrIiEEEESD_jNS1_19radix_merge_compareILb0ELb1EiNS0_19identity_decomposerEEEEE10hipError_tT0_T1_T2_jT3_P12ihipStream_tbPNSt15iterator_traitsISI_E10value_typeEPNSO_ISJ_E10value_typeEPSK_NS1_7vsmem_tEENKUlT_SI_SJ_SK_E_clISD_PiSD_S10_EESH_SX_SI_SJ_SK_EUlSX_E0_NS1_11comp_targetILNS1_3genE9ELNS1_11target_archE1100ELNS1_3gpuE3ELNS1_3repE0EEENS1_38merge_mergepath_config_static_selectorELNS0_4arch9wavefront6targetE1EEEvSJ_
		.amdhsa_group_segment_fixed_size 0
		.amdhsa_private_segment_fixed_size 0
		.amdhsa_kernarg_size 64
		.amdhsa_user_sgpr_count 2
		.amdhsa_user_sgpr_dispatch_ptr 0
		.amdhsa_user_sgpr_queue_ptr 0
		.amdhsa_user_sgpr_kernarg_segment_ptr 1
		.amdhsa_user_sgpr_dispatch_id 0
		.amdhsa_user_sgpr_kernarg_preload_length 0
		.amdhsa_user_sgpr_kernarg_preload_offset 0
		.amdhsa_user_sgpr_private_segment_size 0
		.amdhsa_uses_dynamic_stack 0
		.amdhsa_enable_private_segment 0
		.amdhsa_system_sgpr_workgroup_id_x 1
		.amdhsa_system_sgpr_workgroup_id_y 0
		.amdhsa_system_sgpr_workgroup_id_z 0
		.amdhsa_system_sgpr_workgroup_info 0
		.amdhsa_system_vgpr_workitem_id 0
		.amdhsa_next_free_vgpr 1
		.amdhsa_next_free_sgpr 0
		.amdhsa_accum_offset 4
		.amdhsa_reserve_vcc 0
		.amdhsa_float_round_mode_32 0
		.amdhsa_float_round_mode_16_64 0
		.amdhsa_float_denorm_mode_32 3
		.amdhsa_float_denorm_mode_16_64 3
		.amdhsa_dx10_clamp 1
		.amdhsa_ieee_mode 1
		.amdhsa_fp16_overflow 0
		.amdhsa_tg_split 0
		.amdhsa_exception_fp_ieee_invalid_op 0
		.amdhsa_exception_fp_denorm_src 0
		.amdhsa_exception_fp_ieee_div_zero 0
		.amdhsa_exception_fp_ieee_overflow 0
		.amdhsa_exception_fp_ieee_underflow 0
		.amdhsa_exception_fp_ieee_inexact 0
		.amdhsa_exception_int_div_zero 0
	.end_amdhsa_kernel
	.section	.text._ZN7rocprim17ROCPRIM_400000_NS6detail17trampoline_kernelINS0_14default_configENS1_38merge_sort_block_merge_config_selectorIiiEEZZNS1_27merge_sort_block_merge_implIS3_N6thrust23THRUST_200600_302600_NS6detail15normal_iteratorINS8_10device_ptrIiEEEESD_jNS1_19radix_merge_compareILb0ELb1EiNS0_19identity_decomposerEEEEE10hipError_tT0_T1_T2_jT3_P12ihipStream_tbPNSt15iterator_traitsISI_E10value_typeEPNSO_ISJ_E10value_typeEPSK_NS1_7vsmem_tEENKUlT_SI_SJ_SK_E_clISD_PiSD_S10_EESH_SX_SI_SJ_SK_EUlSX_E0_NS1_11comp_targetILNS1_3genE9ELNS1_11target_archE1100ELNS1_3gpuE3ELNS1_3repE0EEENS1_38merge_mergepath_config_static_selectorELNS0_4arch9wavefront6targetE1EEEvSJ_,"axG",@progbits,_ZN7rocprim17ROCPRIM_400000_NS6detail17trampoline_kernelINS0_14default_configENS1_38merge_sort_block_merge_config_selectorIiiEEZZNS1_27merge_sort_block_merge_implIS3_N6thrust23THRUST_200600_302600_NS6detail15normal_iteratorINS8_10device_ptrIiEEEESD_jNS1_19radix_merge_compareILb0ELb1EiNS0_19identity_decomposerEEEEE10hipError_tT0_T1_T2_jT3_P12ihipStream_tbPNSt15iterator_traitsISI_E10value_typeEPNSO_ISJ_E10value_typeEPSK_NS1_7vsmem_tEENKUlT_SI_SJ_SK_E_clISD_PiSD_S10_EESH_SX_SI_SJ_SK_EUlSX_E0_NS1_11comp_targetILNS1_3genE9ELNS1_11target_archE1100ELNS1_3gpuE3ELNS1_3repE0EEENS1_38merge_mergepath_config_static_selectorELNS0_4arch9wavefront6targetE1EEEvSJ_,comdat
.Lfunc_end794:
	.size	_ZN7rocprim17ROCPRIM_400000_NS6detail17trampoline_kernelINS0_14default_configENS1_38merge_sort_block_merge_config_selectorIiiEEZZNS1_27merge_sort_block_merge_implIS3_N6thrust23THRUST_200600_302600_NS6detail15normal_iteratorINS8_10device_ptrIiEEEESD_jNS1_19radix_merge_compareILb0ELb1EiNS0_19identity_decomposerEEEEE10hipError_tT0_T1_T2_jT3_P12ihipStream_tbPNSt15iterator_traitsISI_E10value_typeEPNSO_ISJ_E10value_typeEPSK_NS1_7vsmem_tEENKUlT_SI_SJ_SK_E_clISD_PiSD_S10_EESH_SX_SI_SJ_SK_EUlSX_E0_NS1_11comp_targetILNS1_3genE9ELNS1_11target_archE1100ELNS1_3gpuE3ELNS1_3repE0EEENS1_38merge_mergepath_config_static_selectorELNS0_4arch9wavefront6targetE1EEEvSJ_, .Lfunc_end794-_ZN7rocprim17ROCPRIM_400000_NS6detail17trampoline_kernelINS0_14default_configENS1_38merge_sort_block_merge_config_selectorIiiEEZZNS1_27merge_sort_block_merge_implIS3_N6thrust23THRUST_200600_302600_NS6detail15normal_iteratorINS8_10device_ptrIiEEEESD_jNS1_19radix_merge_compareILb0ELb1EiNS0_19identity_decomposerEEEEE10hipError_tT0_T1_T2_jT3_P12ihipStream_tbPNSt15iterator_traitsISI_E10value_typeEPNSO_ISJ_E10value_typeEPSK_NS1_7vsmem_tEENKUlT_SI_SJ_SK_E_clISD_PiSD_S10_EESH_SX_SI_SJ_SK_EUlSX_E0_NS1_11comp_targetILNS1_3genE9ELNS1_11target_archE1100ELNS1_3gpuE3ELNS1_3repE0EEENS1_38merge_mergepath_config_static_selectorELNS0_4arch9wavefront6targetE1EEEvSJ_
                                        ; -- End function
	.set _ZN7rocprim17ROCPRIM_400000_NS6detail17trampoline_kernelINS0_14default_configENS1_38merge_sort_block_merge_config_selectorIiiEEZZNS1_27merge_sort_block_merge_implIS3_N6thrust23THRUST_200600_302600_NS6detail15normal_iteratorINS8_10device_ptrIiEEEESD_jNS1_19radix_merge_compareILb0ELb1EiNS0_19identity_decomposerEEEEE10hipError_tT0_T1_T2_jT3_P12ihipStream_tbPNSt15iterator_traitsISI_E10value_typeEPNSO_ISJ_E10value_typeEPSK_NS1_7vsmem_tEENKUlT_SI_SJ_SK_E_clISD_PiSD_S10_EESH_SX_SI_SJ_SK_EUlSX_E0_NS1_11comp_targetILNS1_3genE9ELNS1_11target_archE1100ELNS1_3gpuE3ELNS1_3repE0EEENS1_38merge_mergepath_config_static_selectorELNS0_4arch9wavefront6targetE1EEEvSJ_.num_vgpr, 0
	.set _ZN7rocprim17ROCPRIM_400000_NS6detail17trampoline_kernelINS0_14default_configENS1_38merge_sort_block_merge_config_selectorIiiEEZZNS1_27merge_sort_block_merge_implIS3_N6thrust23THRUST_200600_302600_NS6detail15normal_iteratorINS8_10device_ptrIiEEEESD_jNS1_19radix_merge_compareILb0ELb1EiNS0_19identity_decomposerEEEEE10hipError_tT0_T1_T2_jT3_P12ihipStream_tbPNSt15iterator_traitsISI_E10value_typeEPNSO_ISJ_E10value_typeEPSK_NS1_7vsmem_tEENKUlT_SI_SJ_SK_E_clISD_PiSD_S10_EESH_SX_SI_SJ_SK_EUlSX_E0_NS1_11comp_targetILNS1_3genE9ELNS1_11target_archE1100ELNS1_3gpuE3ELNS1_3repE0EEENS1_38merge_mergepath_config_static_selectorELNS0_4arch9wavefront6targetE1EEEvSJ_.num_agpr, 0
	.set _ZN7rocprim17ROCPRIM_400000_NS6detail17trampoline_kernelINS0_14default_configENS1_38merge_sort_block_merge_config_selectorIiiEEZZNS1_27merge_sort_block_merge_implIS3_N6thrust23THRUST_200600_302600_NS6detail15normal_iteratorINS8_10device_ptrIiEEEESD_jNS1_19radix_merge_compareILb0ELb1EiNS0_19identity_decomposerEEEEE10hipError_tT0_T1_T2_jT3_P12ihipStream_tbPNSt15iterator_traitsISI_E10value_typeEPNSO_ISJ_E10value_typeEPSK_NS1_7vsmem_tEENKUlT_SI_SJ_SK_E_clISD_PiSD_S10_EESH_SX_SI_SJ_SK_EUlSX_E0_NS1_11comp_targetILNS1_3genE9ELNS1_11target_archE1100ELNS1_3gpuE3ELNS1_3repE0EEENS1_38merge_mergepath_config_static_selectorELNS0_4arch9wavefront6targetE1EEEvSJ_.numbered_sgpr, 0
	.set _ZN7rocprim17ROCPRIM_400000_NS6detail17trampoline_kernelINS0_14default_configENS1_38merge_sort_block_merge_config_selectorIiiEEZZNS1_27merge_sort_block_merge_implIS3_N6thrust23THRUST_200600_302600_NS6detail15normal_iteratorINS8_10device_ptrIiEEEESD_jNS1_19radix_merge_compareILb0ELb1EiNS0_19identity_decomposerEEEEE10hipError_tT0_T1_T2_jT3_P12ihipStream_tbPNSt15iterator_traitsISI_E10value_typeEPNSO_ISJ_E10value_typeEPSK_NS1_7vsmem_tEENKUlT_SI_SJ_SK_E_clISD_PiSD_S10_EESH_SX_SI_SJ_SK_EUlSX_E0_NS1_11comp_targetILNS1_3genE9ELNS1_11target_archE1100ELNS1_3gpuE3ELNS1_3repE0EEENS1_38merge_mergepath_config_static_selectorELNS0_4arch9wavefront6targetE1EEEvSJ_.num_named_barrier, 0
	.set _ZN7rocprim17ROCPRIM_400000_NS6detail17trampoline_kernelINS0_14default_configENS1_38merge_sort_block_merge_config_selectorIiiEEZZNS1_27merge_sort_block_merge_implIS3_N6thrust23THRUST_200600_302600_NS6detail15normal_iteratorINS8_10device_ptrIiEEEESD_jNS1_19radix_merge_compareILb0ELb1EiNS0_19identity_decomposerEEEEE10hipError_tT0_T1_T2_jT3_P12ihipStream_tbPNSt15iterator_traitsISI_E10value_typeEPNSO_ISJ_E10value_typeEPSK_NS1_7vsmem_tEENKUlT_SI_SJ_SK_E_clISD_PiSD_S10_EESH_SX_SI_SJ_SK_EUlSX_E0_NS1_11comp_targetILNS1_3genE9ELNS1_11target_archE1100ELNS1_3gpuE3ELNS1_3repE0EEENS1_38merge_mergepath_config_static_selectorELNS0_4arch9wavefront6targetE1EEEvSJ_.private_seg_size, 0
	.set _ZN7rocprim17ROCPRIM_400000_NS6detail17trampoline_kernelINS0_14default_configENS1_38merge_sort_block_merge_config_selectorIiiEEZZNS1_27merge_sort_block_merge_implIS3_N6thrust23THRUST_200600_302600_NS6detail15normal_iteratorINS8_10device_ptrIiEEEESD_jNS1_19radix_merge_compareILb0ELb1EiNS0_19identity_decomposerEEEEE10hipError_tT0_T1_T2_jT3_P12ihipStream_tbPNSt15iterator_traitsISI_E10value_typeEPNSO_ISJ_E10value_typeEPSK_NS1_7vsmem_tEENKUlT_SI_SJ_SK_E_clISD_PiSD_S10_EESH_SX_SI_SJ_SK_EUlSX_E0_NS1_11comp_targetILNS1_3genE9ELNS1_11target_archE1100ELNS1_3gpuE3ELNS1_3repE0EEENS1_38merge_mergepath_config_static_selectorELNS0_4arch9wavefront6targetE1EEEvSJ_.uses_vcc, 0
	.set _ZN7rocprim17ROCPRIM_400000_NS6detail17trampoline_kernelINS0_14default_configENS1_38merge_sort_block_merge_config_selectorIiiEEZZNS1_27merge_sort_block_merge_implIS3_N6thrust23THRUST_200600_302600_NS6detail15normal_iteratorINS8_10device_ptrIiEEEESD_jNS1_19radix_merge_compareILb0ELb1EiNS0_19identity_decomposerEEEEE10hipError_tT0_T1_T2_jT3_P12ihipStream_tbPNSt15iterator_traitsISI_E10value_typeEPNSO_ISJ_E10value_typeEPSK_NS1_7vsmem_tEENKUlT_SI_SJ_SK_E_clISD_PiSD_S10_EESH_SX_SI_SJ_SK_EUlSX_E0_NS1_11comp_targetILNS1_3genE9ELNS1_11target_archE1100ELNS1_3gpuE3ELNS1_3repE0EEENS1_38merge_mergepath_config_static_selectorELNS0_4arch9wavefront6targetE1EEEvSJ_.uses_flat_scratch, 0
	.set _ZN7rocprim17ROCPRIM_400000_NS6detail17trampoline_kernelINS0_14default_configENS1_38merge_sort_block_merge_config_selectorIiiEEZZNS1_27merge_sort_block_merge_implIS3_N6thrust23THRUST_200600_302600_NS6detail15normal_iteratorINS8_10device_ptrIiEEEESD_jNS1_19radix_merge_compareILb0ELb1EiNS0_19identity_decomposerEEEEE10hipError_tT0_T1_T2_jT3_P12ihipStream_tbPNSt15iterator_traitsISI_E10value_typeEPNSO_ISJ_E10value_typeEPSK_NS1_7vsmem_tEENKUlT_SI_SJ_SK_E_clISD_PiSD_S10_EESH_SX_SI_SJ_SK_EUlSX_E0_NS1_11comp_targetILNS1_3genE9ELNS1_11target_archE1100ELNS1_3gpuE3ELNS1_3repE0EEENS1_38merge_mergepath_config_static_selectorELNS0_4arch9wavefront6targetE1EEEvSJ_.has_dyn_sized_stack, 0
	.set _ZN7rocprim17ROCPRIM_400000_NS6detail17trampoline_kernelINS0_14default_configENS1_38merge_sort_block_merge_config_selectorIiiEEZZNS1_27merge_sort_block_merge_implIS3_N6thrust23THRUST_200600_302600_NS6detail15normal_iteratorINS8_10device_ptrIiEEEESD_jNS1_19radix_merge_compareILb0ELb1EiNS0_19identity_decomposerEEEEE10hipError_tT0_T1_T2_jT3_P12ihipStream_tbPNSt15iterator_traitsISI_E10value_typeEPNSO_ISJ_E10value_typeEPSK_NS1_7vsmem_tEENKUlT_SI_SJ_SK_E_clISD_PiSD_S10_EESH_SX_SI_SJ_SK_EUlSX_E0_NS1_11comp_targetILNS1_3genE9ELNS1_11target_archE1100ELNS1_3gpuE3ELNS1_3repE0EEENS1_38merge_mergepath_config_static_selectorELNS0_4arch9wavefront6targetE1EEEvSJ_.has_recursion, 0
	.set _ZN7rocprim17ROCPRIM_400000_NS6detail17trampoline_kernelINS0_14default_configENS1_38merge_sort_block_merge_config_selectorIiiEEZZNS1_27merge_sort_block_merge_implIS3_N6thrust23THRUST_200600_302600_NS6detail15normal_iteratorINS8_10device_ptrIiEEEESD_jNS1_19radix_merge_compareILb0ELb1EiNS0_19identity_decomposerEEEEE10hipError_tT0_T1_T2_jT3_P12ihipStream_tbPNSt15iterator_traitsISI_E10value_typeEPNSO_ISJ_E10value_typeEPSK_NS1_7vsmem_tEENKUlT_SI_SJ_SK_E_clISD_PiSD_S10_EESH_SX_SI_SJ_SK_EUlSX_E0_NS1_11comp_targetILNS1_3genE9ELNS1_11target_archE1100ELNS1_3gpuE3ELNS1_3repE0EEENS1_38merge_mergepath_config_static_selectorELNS0_4arch9wavefront6targetE1EEEvSJ_.has_indirect_call, 0
	.section	.AMDGPU.csdata,"",@progbits
; Kernel info:
; codeLenInByte = 0
; TotalNumSgprs: 6
; NumVgprs: 0
; NumAgprs: 0
; TotalNumVgprs: 0
; ScratchSize: 0
; MemoryBound: 0
; FloatMode: 240
; IeeeMode: 1
; LDSByteSize: 0 bytes/workgroup (compile time only)
; SGPRBlocks: 0
; VGPRBlocks: 0
; NumSGPRsForWavesPerEU: 6
; NumVGPRsForWavesPerEU: 1
; AccumOffset: 4
; Occupancy: 8
; WaveLimiterHint : 0
; COMPUTE_PGM_RSRC2:SCRATCH_EN: 0
; COMPUTE_PGM_RSRC2:USER_SGPR: 2
; COMPUTE_PGM_RSRC2:TRAP_HANDLER: 0
; COMPUTE_PGM_RSRC2:TGID_X_EN: 1
; COMPUTE_PGM_RSRC2:TGID_Y_EN: 0
; COMPUTE_PGM_RSRC2:TGID_Z_EN: 0
; COMPUTE_PGM_RSRC2:TIDIG_COMP_CNT: 0
; COMPUTE_PGM_RSRC3_GFX90A:ACCUM_OFFSET: 0
; COMPUTE_PGM_RSRC3_GFX90A:TG_SPLIT: 0
	.section	.text._ZN7rocprim17ROCPRIM_400000_NS6detail17trampoline_kernelINS0_14default_configENS1_38merge_sort_block_merge_config_selectorIiiEEZZNS1_27merge_sort_block_merge_implIS3_N6thrust23THRUST_200600_302600_NS6detail15normal_iteratorINS8_10device_ptrIiEEEESD_jNS1_19radix_merge_compareILb0ELb1EiNS0_19identity_decomposerEEEEE10hipError_tT0_T1_T2_jT3_P12ihipStream_tbPNSt15iterator_traitsISI_E10value_typeEPNSO_ISJ_E10value_typeEPSK_NS1_7vsmem_tEENKUlT_SI_SJ_SK_E_clISD_PiSD_S10_EESH_SX_SI_SJ_SK_EUlSX_E0_NS1_11comp_targetILNS1_3genE8ELNS1_11target_archE1030ELNS1_3gpuE2ELNS1_3repE0EEENS1_38merge_mergepath_config_static_selectorELNS0_4arch9wavefront6targetE1EEEvSJ_,"axG",@progbits,_ZN7rocprim17ROCPRIM_400000_NS6detail17trampoline_kernelINS0_14default_configENS1_38merge_sort_block_merge_config_selectorIiiEEZZNS1_27merge_sort_block_merge_implIS3_N6thrust23THRUST_200600_302600_NS6detail15normal_iteratorINS8_10device_ptrIiEEEESD_jNS1_19radix_merge_compareILb0ELb1EiNS0_19identity_decomposerEEEEE10hipError_tT0_T1_T2_jT3_P12ihipStream_tbPNSt15iterator_traitsISI_E10value_typeEPNSO_ISJ_E10value_typeEPSK_NS1_7vsmem_tEENKUlT_SI_SJ_SK_E_clISD_PiSD_S10_EESH_SX_SI_SJ_SK_EUlSX_E0_NS1_11comp_targetILNS1_3genE8ELNS1_11target_archE1030ELNS1_3gpuE2ELNS1_3repE0EEENS1_38merge_mergepath_config_static_selectorELNS0_4arch9wavefront6targetE1EEEvSJ_,comdat
	.protected	_ZN7rocprim17ROCPRIM_400000_NS6detail17trampoline_kernelINS0_14default_configENS1_38merge_sort_block_merge_config_selectorIiiEEZZNS1_27merge_sort_block_merge_implIS3_N6thrust23THRUST_200600_302600_NS6detail15normal_iteratorINS8_10device_ptrIiEEEESD_jNS1_19radix_merge_compareILb0ELb1EiNS0_19identity_decomposerEEEEE10hipError_tT0_T1_T2_jT3_P12ihipStream_tbPNSt15iterator_traitsISI_E10value_typeEPNSO_ISJ_E10value_typeEPSK_NS1_7vsmem_tEENKUlT_SI_SJ_SK_E_clISD_PiSD_S10_EESH_SX_SI_SJ_SK_EUlSX_E0_NS1_11comp_targetILNS1_3genE8ELNS1_11target_archE1030ELNS1_3gpuE2ELNS1_3repE0EEENS1_38merge_mergepath_config_static_selectorELNS0_4arch9wavefront6targetE1EEEvSJ_ ; -- Begin function _ZN7rocprim17ROCPRIM_400000_NS6detail17trampoline_kernelINS0_14default_configENS1_38merge_sort_block_merge_config_selectorIiiEEZZNS1_27merge_sort_block_merge_implIS3_N6thrust23THRUST_200600_302600_NS6detail15normal_iteratorINS8_10device_ptrIiEEEESD_jNS1_19radix_merge_compareILb0ELb1EiNS0_19identity_decomposerEEEEE10hipError_tT0_T1_T2_jT3_P12ihipStream_tbPNSt15iterator_traitsISI_E10value_typeEPNSO_ISJ_E10value_typeEPSK_NS1_7vsmem_tEENKUlT_SI_SJ_SK_E_clISD_PiSD_S10_EESH_SX_SI_SJ_SK_EUlSX_E0_NS1_11comp_targetILNS1_3genE8ELNS1_11target_archE1030ELNS1_3gpuE2ELNS1_3repE0EEENS1_38merge_mergepath_config_static_selectorELNS0_4arch9wavefront6targetE1EEEvSJ_
	.globl	_ZN7rocprim17ROCPRIM_400000_NS6detail17trampoline_kernelINS0_14default_configENS1_38merge_sort_block_merge_config_selectorIiiEEZZNS1_27merge_sort_block_merge_implIS3_N6thrust23THRUST_200600_302600_NS6detail15normal_iteratorINS8_10device_ptrIiEEEESD_jNS1_19radix_merge_compareILb0ELb1EiNS0_19identity_decomposerEEEEE10hipError_tT0_T1_T2_jT3_P12ihipStream_tbPNSt15iterator_traitsISI_E10value_typeEPNSO_ISJ_E10value_typeEPSK_NS1_7vsmem_tEENKUlT_SI_SJ_SK_E_clISD_PiSD_S10_EESH_SX_SI_SJ_SK_EUlSX_E0_NS1_11comp_targetILNS1_3genE8ELNS1_11target_archE1030ELNS1_3gpuE2ELNS1_3repE0EEENS1_38merge_mergepath_config_static_selectorELNS0_4arch9wavefront6targetE1EEEvSJ_
	.p2align	8
	.type	_ZN7rocprim17ROCPRIM_400000_NS6detail17trampoline_kernelINS0_14default_configENS1_38merge_sort_block_merge_config_selectorIiiEEZZNS1_27merge_sort_block_merge_implIS3_N6thrust23THRUST_200600_302600_NS6detail15normal_iteratorINS8_10device_ptrIiEEEESD_jNS1_19radix_merge_compareILb0ELb1EiNS0_19identity_decomposerEEEEE10hipError_tT0_T1_T2_jT3_P12ihipStream_tbPNSt15iterator_traitsISI_E10value_typeEPNSO_ISJ_E10value_typeEPSK_NS1_7vsmem_tEENKUlT_SI_SJ_SK_E_clISD_PiSD_S10_EESH_SX_SI_SJ_SK_EUlSX_E0_NS1_11comp_targetILNS1_3genE8ELNS1_11target_archE1030ELNS1_3gpuE2ELNS1_3repE0EEENS1_38merge_mergepath_config_static_selectorELNS0_4arch9wavefront6targetE1EEEvSJ_,@function
_ZN7rocprim17ROCPRIM_400000_NS6detail17trampoline_kernelINS0_14default_configENS1_38merge_sort_block_merge_config_selectorIiiEEZZNS1_27merge_sort_block_merge_implIS3_N6thrust23THRUST_200600_302600_NS6detail15normal_iteratorINS8_10device_ptrIiEEEESD_jNS1_19radix_merge_compareILb0ELb1EiNS0_19identity_decomposerEEEEE10hipError_tT0_T1_T2_jT3_P12ihipStream_tbPNSt15iterator_traitsISI_E10value_typeEPNSO_ISJ_E10value_typeEPSK_NS1_7vsmem_tEENKUlT_SI_SJ_SK_E_clISD_PiSD_S10_EESH_SX_SI_SJ_SK_EUlSX_E0_NS1_11comp_targetILNS1_3genE8ELNS1_11target_archE1030ELNS1_3gpuE2ELNS1_3repE0EEENS1_38merge_mergepath_config_static_selectorELNS0_4arch9wavefront6targetE1EEEvSJ_: ; @_ZN7rocprim17ROCPRIM_400000_NS6detail17trampoline_kernelINS0_14default_configENS1_38merge_sort_block_merge_config_selectorIiiEEZZNS1_27merge_sort_block_merge_implIS3_N6thrust23THRUST_200600_302600_NS6detail15normal_iteratorINS8_10device_ptrIiEEEESD_jNS1_19radix_merge_compareILb0ELb1EiNS0_19identity_decomposerEEEEE10hipError_tT0_T1_T2_jT3_P12ihipStream_tbPNSt15iterator_traitsISI_E10value_typeEPNSO_ISJ_E10value_typeEPSK_NS1_7vsmem_tEENKUlT_SI_SJ_SK_E_clISD_PiSD_S10_EESH_SX_SI_SJ_SK_EUlSX_E0_NS1_11comp_targetILNS1_3genE8ELNS1_11target_archE1030ELNS1_3gpuE2ELNS1_3repE0EEENS1_38merge_mergepath_config_static_selectorELNS0_4arch9wavefront6targetE1EEEvSJ_
; %bb.0:
	.section	.rodata,"a",@progbits
	.p2align	6, 0x0
	.amdhsa_kernel _ZN7rocprim17ROCPRIM_400000_NS6detail17trampoline_kernelINS0_14default_configENS1_38merge_sort_block_merge_config_selectorIiiEEZZNS1_27merge_sort_block_merge_implIS3_N6thrust23THRUST_200600_302600_NS6detail15normal_iteratorINS8_10device_ptrIiEEEESD_jNS1_19radix_merge_compareILb0ELb1EiNS0_19identity_decomposerEEEEE10hipError_tT0_T1_T2_jT3_P12ihipStream_tbPNSt15iterator_traitsISI_E10value_typeEPNSO_ISJ_E10value_typeEPSK_NS1_7vsmem_tEENKUlT_SI_SJ_SK_E_clISD_PiSD_S10_EESH_SX_SI_SJ_SK_EUlSX_E0_NS1_11comp_targetILNS1_3genE8ELNS1_11target_archE1030ELNS1_3gpuE2ELNS1_3repE0EEENS1_38merge_mergepath_config_static_selectorELNS0_4arch9wavefront6targetE1EEEvSJ_
		.amdhsa_group_segment_fixed_size 0
		.amdhsa_private_segment_fixed_size 0
		.amdhsa_kernarg_size 64
		.amdhsa_user_sgpr_count 2
		.amdhsa_user_sgpr_dispatch_ptr 0
		.amdhsa_user_sgpr_queue_ptr 0
		.amdhsa_user_sgpr_kernarg_segment_ptr 1
		.amdhsa_user_sgpr_dispatch_id 0
		.amdhsa_user_sgpr_kernarg_preload_length 0
		.amdhsa_user_sgpr_kernarg_preload_offset 0
		.amdhsa_user_sgpr_private_segment_size 0
		.amdhsa_uses_dynamic_stack 0
		.amdhsa_enable_private_segment 0
		.amdhsa_system_sgpr_workgroup_id_x 1
		.amdhsa_system_sgpr_workgroup_id_y 0
		.amdhsa_system_sgpr_workgroup_id_z 0
		.amdhsa_system_sgpr_workgroup_info 0
		.amdhsa_system_vgpr_workitem_id 0
		.amdhsa_next_free_vgpr 1
		.amdhsa_next_free_sgpr 0
		.amdhsa_accum_offset 4
		.amdhsa_reserve_vcc 0
		.amdhsa_float_round_mode_32 0
		.amdhsa_float_round_mode_16_64 0
		.amdhsa_float_denorm_mode_32 3
		.amdhsa_float_denorm_mode_16_64 3
		.amdhsa_dx10_clamp 1
		.amdhsa_ieee_mode 1
		.amdhsa_fp16_overflow 0
		.amdhsa_tg_split 0
		.amdhsa_exception_fp_ieee_invalid_op 0
		.amdhsa_exception_fp_denorm_src 0
		.amdhsa_exception_fp_ieee_div_zero 0
		.amdhsa_exception_fp_ieee_overflow 0
		.amdhsa_exception_fp_ieee_underflow 0
		.amdhsa_exception_fp_ieee_inexact 0
		.amdhsa_exception_int_div_zero 0
	.end_amdhsa_kernel
	.section	.text._ZN7rocprim17ROCPRIM_400000_NS6detail17trampoline_kernelINS0_14default_configENS1_38merge_sort_block_merge_config_selectorIiiEEZZNS1_27merge_sort_block_merge_implIS3_N6thrust23THRUST_200600_302600_NS6detail15normal_iteratorINS8_10device_ptrIiEEEESD_jNS1_19radix_merge_compareILb0ELb1EiNS0_19identity_decomposerEEEEE10hipError_tT0_T1_T2_jT3_P12ihipStream_tbPNSt15iterator_traitsISI_E10value_typeEPNSO_ISJ_E10value_typeEPSK_NS1_7vsmem_tEENKUlT_SI_SJ_SK_E_clISD_PiSD_S10_EESH_SX_SI_SJ_SK_EUlSX_E0_NS1_11comp_targetILNS1_3genE8ELNS1_11target_archE1030ELNS1_3gpuE2ELNS1_3repE0EEENS1_38merge_mergepath_config_static_selectorELNS0_4arch9wavefront6targetE1EEEvSJ_,"axG",@progbits,_ZN7rocprim17ROCPRIM_400000_NS6detail17trampoline_kernelINS0_14default_configENS1_38merge_sort_block_merge_config_selectorIiiEEZZNS1_27merge_sort_block_merge_implIS3_N6thrust23THRUST_200600_302600_NS6detail15normal_iteratorINS8_10device_ptrIiEEEESD_jNS1_19radix_merge_compareILb0ELb1EiNS0_19identity_decomposerEEEEE10hipError_tT0_T1_T2_jT3_P12ihipStream_tbPNSt15iterator_traitsISI_E10value_typeEPNSO_ISJ_E10value_typeEPSK_NS1_7vsmem_tEENKUlT_SI_SJ_SK_E_clISD_PiSD_S10_EESH_SX_SI_SJ_SK_EUlSX_E0_NS1_11comp_targetILNS1_3genE8ELNS1_11target_archE1030ELNS1_3gpuE2ELNS1_3repE0EEENS1_38merge_mergepath_config_static_selectorELNS0_4arch9wavefront6targetE1EEEvSJ_,comdat
.Lfunc_end795:
	.size	_ZN7rocprim17ROCPRIM_400000_NS6detail17trampoline_kernelINS0_14default_configENS1_38merge_sort_block_merge_config_selectorIiiEEZZNS1_27merge_sort_block_merge_implIS3_N6thrust23THRUST_200600_302600_NS6detail15normal_iteratorINS8_10device_ptrIiEEEESD_jNS1_19radix_merge_compareILb0ELb1EiNS0_19identity_decomposerEEEEE10hipError_tT0_T1_T2_jT3_P12ihipStream_tbPNSt15iterator_traitsISI_E10value_typeEPNSO_ISJ_E10value_typeEPSK_NS1_7vsmem_tEENKUlT_SI_SJ_SK_E_clISD_PiSD_S10_EESH_SX_SI_SJ_SK_EUlSX_E0_NS1_11comp_targetILNS1_3genE8ELNS1_11target_archE1030ELNS1_3gpuE2ELNS1_3repE0EEENS1_38merge_mergepath_config_static_selectorELNS0_4arch9wavefront6targetE1EEEvSJ_, .Lfunc_end795-_ZN7rocprim17ROCPRIM_400000_NS6detail17trampoline_kernelINS0_14default_configENS1_38merge_sort_block_merge_config_selectorIiiEEZZNS1_27merge_sort_block_merge_implIS3_N6thrust23THRUST_200600_302600_NS6detail15normal_iteratorINS8_10device_ptrIiEEEESD_jNS1_19radix_merge_compareILb0ELb1EiNS0_19identity_decomposerEEEEE10hipError_tT0_T1_T2_jT3_P12ihipStream_tbPNSt15iterator_traitsISI_E10value_typeEPNSO_ISJ_E10value_typeEPSK_NS1_7vsmem_tEENKUlT_SI_SJ_SK_E_clISD_PiSD_S10_EESH_SX_SI_SJ_SK_EUlSX_E0_NS1_11comp_targetILNS1_3genE8ELNS1_11target_archE1030ELNS1_3gpuE2ELNS1_3repE0EEENS1_38merge_mergepath_config_static_selectorELNS0_4arch9wavefront6targetE1EEEvSJ_
                                        ; -- End function
	.set _ZN7rocprim17ROCPRIM_400000_NS6detail17trampoline_kernelINS0_14default_configENS1_38merge_sort_block_merge_config_selectorIiiEEZZNS1_27merge_sort_block_merge_implIS3_N6thrust23THRUST_200600_302600_NS6detail15normal_iteratorINS8_10device_ptrIiEEEESD_jNS1_19radix_merge_compareILb0ELb1EiNS0_19identity_decomposerEEEEE10hipError_tT0_T1_T2_jT3_P12ihipStream_tbPNSt15iterator_traitsISI_E10value_typeEPNSO_ISJ_E10value_typeEPSK_NS1_7vsmem_tEENKUlT_SI_SJ_SK_E_clISD_PiSD_S10_EESH_SX_SI_SJ_SK_EUlSX_E0_NS1_11comp_targetILNS1_3genE8ELNS1_11target_archE1030ELNS1_3gpuE2ELNS1_3repE0EEENS1_38merge_mergepath_config_static_selectorELNS0_4arch9wavefront6targetE1EEEvSJ_.num_vgpr, 0
	.set _ZN7rocprim17ROCPRIM_400000_NS6detail17trampoline_kernelINS0_14default_configENS1_38merge_sort_block_merge_config_selectorIiiEEZZNS1_27merge_sort_block_merge_implIS3_N6thrust23THRUST_200600_302600_NS6detail15normal_iteratorINS8_10device_ptrIiEEEESD_jNS1_19radix_merge_compareILb0ELb1EiNS0_19identity_decomposerEEEEE10hipError_tT0_T1_T2_jT3_P12ihipStream_tbPNSt15iterator_traitsISI_E10value_typeEPNSO_ISJ_E10value_typeEPSK_NS1_7vsmem_tEENKUlT_SI_SJ_SK_E_clISD_PiSD_S10_EESH_SX_SI_SJ_SK_EUlSX_E0_NS1_11comp_targetILNS1_3genE8ELNS1_11target_archE1030ELNS1_3gpuE2ELNS1_3repE0EEENS1_38merge_mergepath_config_static_selectorELNS0_4arch9wavefront6targetE1EEEvSJ_.num_agpr, 0
	.set _ZN7rocprim17ROCPRIM_400000_NS6detail17trampoline_kernelINS0_14default_configENS1_38merge_sort_block_merge_config_selectorIiiEEZZNS1_27merge_sort_block_merge_implIS3_N6thrust23THRUST_200600_302600_NS6detail15normal_iteratorINS8_10device_ptrIiEEEESD_jNS1_19radix_merge_compareILb0ELb1EiNS0_19identity_decomposerEEEEE10hipError_tT0_T1_T2_jT3_P12ihipStream_tbPNSt15iterator_traitsISI_E10value_typeEPNSO_ISJ_E10value_typeEPSK_NS1_7vsmem_tEENKUlT_SI_SJ_SK_E_clISD_PiSD_S10_EESH_SX_SI_SJ_SK_EUlSX_E0_NS1_11comp_targetILNS1_3genE8ELNS1_11target_archE1030ELNS1_3gpuE2ELNS1_3repE0EEENS1_38merge_mergepath_config_static_selectorELNS0_4arch9wavefront6targetE1EEEvSJ_.numbered_sgpr, 0
	.set _ZN7rocprim17ROCPRIM_400000_NS6detail17trampoline_kernelINS0_14default_configENS1_38merge_sort_block_merge_config_selectorIiiEEZZNS1_27merge_sort_block_merge_implIS3_N6thrust23THRUST_200600_302600_NS6detail15normal_iteratorINS8_10device_ptrIiEEEESD_jNS1_19radix_merge_compareILb0ELb1EiNS0_19identity_decomposerEEEEE10hipError_tT0_T1_T2_jT3_P12ihipStream_tbPNSt15iterator_traitsISI_E10value_typeEPNSO_ISJ_E10value_typeEPSK_NS1_7vsmem_tEENKUlT_SI_SJ_SK_E_clISD_PiSD_S10_EESH_SX_SI_SJ_SK_EUlSX_E0_NS1_11comp_targetILNS1_3genE8ELNS1_11target_archE1030ELNS1_3gpuE2ELNS1_3repE0EEENS1_38merge_mergepath_config_static_selectorELNS0_4arch9wavefront6targetE1EEEvSJ_.num_named_barrier, 0
	.set _ZN7rocprim17ROCPRIM_400000_NS6detail17trampoline_kernelINS0_14default_configENS1_38merge_sort_block_merge_config_selectorIiiEEZZNS1_27merge_sort_block_merge_implIS3_N6thrust23THRUST_200600_302600_NS6detail15normal_iteratorINS8_10device_ptrIiEEEESD_jNS1_19radix_merge_compareILb0ELb1EiNS0_19identity_decomposerEEEEE10hipError_tT0_T1_T2_jT3_P12ihipStream_tbPNSt15iterator_traitsISI_E10value_typeEPNSO_ISJ_E10value_typeEPSK_NS1_7vsmem_tEENKUlT_SI_SJ_SK_E_clISD_PiSD_S10_EESH_SX_SI_SJ_SK_EUlSX_E0_NS1_11comp_targetILNS1_3genE8ELNS1_11target_archE1030ELNS1_3gpuE2ELNS1_3repE0EEENS1_38merge_mergepath_config_static_selectorELNS0_4arch9wavefront6targetE1EEEvSJ_.private_seg_size, 0
	.set _ZN7rocprim17ROCPRIM_400000_NS6detail17trampoline_kernelINS0_14default_configENS1_38merge_sort_block_merge_config_selectorIiiEEZZNS1_27merge_sort_block_merge_implIS3_N6thrust23THRUST_200600_302600_NS6detail15normal_iteratorINS8_10device_ptrIiEEEESD_jNS1_19radix_merge_compareILb0ELb1EiNS0_19identity_decomposerEEEEE10hipError_tT0_T1_T2_jT3_P12ihipStream_tbPNSt15iterator_traitsISI_E10value_typeEPNSO_ISJ_E10value_typeEPSK_NS1_7vsmem_tEENKUlT_SI_SJ_SK_E_clISD_PiSD_S10_EESH_SX_SI_SJ_SK_EUlSX_E0_NS1_11comp_targetILNS1_3genE8ELNS1_11target_archE1030ELNS1_3gpuE2ELNS1_3repE0EEENS1_38merge_mergepath_config_static_selectorELNS0_4arch9wavefront6targetE1EEEvSJ_.uses_vcc, 0
	.set _ZN7rocprim17ROCPRIM_400000_NS6detail17trampoline_kernelINS0_14default_configENS1_38merge_sort_block_merge_config_selectorIiiEEZZNS1_27merge_sort_block_merge_implIS3_N6thrust23THRUST_200600_302600_NS6detail15normal_iteratorINS8_10device_ptrIiEEEESD_jNS1_19radix_merge_compareILb0ELb1EiNS0_19identity_decomposerEEEEE10hipError_tT0_T1_T2_jT3_P12ihipStream_tbPNSt15iterator_traitsISI_E10value_typeEPNSO_ISJ_E10value_typeEPSK_NS1_7vsmem_tEENKUlT_SI_SJ_SK_E_clISD_PiSD_S10_EESH_SX_SI_SJ_SK_EUlSX_E0_NS1_11comp_targetILNS1_3genE8ELNS1_11target_archE1030ELNS1_3gpuE2ELNS1_3repE0EEENS1_38merge_mergepath_config_static_selectorELNS0_4arch9wavefront6targetE1EEEvSJ_.uses_flat_scratch, 0
	.set _ZN7rocprim17ROCPRIM_400000_NS6detail17trampoline_kernelINS0_14default_configENS1_38merge_sort_block_merge_config_selectorIiiEEZZNS1_27merge_sort_block_merge_implIS3_N6thrust23THRUST_200600_302600_NS6detail15normal_iteratorINS8_10device_ptrIiEEEESD_jNS1_19radix_merge_compareILb0ELb1EiNS0_19identity_decomposerEEEEE10hipError_tT0_T1_T2_jT3_P12ihipStream_tbPNSt15iterator_traitsISI_E10value_typeEPNSO_ISJ_E10value_typeEPSK_NS1_7vsmem_tEENKUlT_SI_SJ_SK_E_clISD_PiSD_S10_EESH_SX_SI_SJ_SK_EUlSX_E0_NS1_11comp_targetILNS1_3genE8ELNS1_11target_archE1030ELNS1_3gpuE2ELNS1_3repE0EEENS1_38merge_mergepath_config_static_selectorELNS0_4arch9wavefront6targetE1EEEvSJ_.has_dyn_sized_stack, 0
	.set _ZN7rocprim17ROCPRIM_400000_NS6detail17trampoline_kernelINS0_14default_configENS1_38merge_sort_block_merge_config_selectorIiiEEZZNS1_27merge_sort_block_merge_implIS3_N6thrust23THRUST_200600_302600_NS6detail15normal_iteratorINS8_10device_ptrIiEEEESD_jNS1_19radix_merge_compareILb0ELb1EiNS0_19identity_decomposerEEEEE10hipError_tT0_T1_T2_jT3_P12ihipStream_tbPNSt15iterator_traitsISI_E10value_typeEPNSO_ISJ_E10value_typeEPSK_NS1_7vsmem_tEENKUlT_SI_SJ_SK_E_clISD_PiSD_S10_EESH_SX_SI_SJ_SK_EUlSX_E0_NS1_11comp_targetILNS1_3genE8ELNS1_11target_archE1030ELNS1_3gpuE2ELNS1_3repE0EEENS1_38merge_mergepath_config_static_selectorELNS0_4arch9wavefront6targetE1EEEvSJ_.has_recursion, 0
	.set _ZN7rocprim17ROCPRIM_400000_NS6detail17trampoline_kernelINS0_14default_configENS1_38merge_sort_block_merge_config_selectorIiiEEZZNS1_27merge_sort_block_merge_implIS3_N6thrust23THRUST_200600_302600_NS6detail15normal_iteratorINS8_10device_ptrIiEEEESD_jNS1_19radix_merge_compareILb0ELb1EiNS0_19identity_decomposerEEEEE10hipError_tT0_T1_T2_jT3_P12ihipStream_tbPNSt15iterator_traitsISI_E10value_typeEPNSO_ISJ_E10value_typeEPSK_NS1_7vsmem_tEENKUlT_SI_SJ_SK_E_clISD_PiSD_S10_EESH_SX_SI_SJ_SK_EUlSX_E0_NS1_11comp_targetILNS1_3genE8ELNS1_11target_archE1030ELNS1_3gpuE2ELNS1_3repE0EEENS1_38merge_mergepath_config_static_selectorELNS0_4arch9wavefront6targetE1EEEvSJ_.has_indirect_call, 0
	.section	.AMDGPU.csdata,"",@progbits
; Kernel info:
; codeLenInByte = 0
; TotalNumSgprs: 6
; NumVgprs: 0
; NumAgprs: 0
; TotalNumVgprs: 0
; ScratchSize: 0
; MemoryBound: 0
; FloatMode: 240
; IeeeMode: 1
; LDSByteSize: 0 bytes/workgroup (compile time only)
; SGPRBlocks: 0
; VGPRBlocks: 0
; NumSGPRsForWavesPerEU: 6
; NumVGPRsForWavesPerEU: 1
; AccumOffset: 4
; Occupancy: 8
; WaveLimiterHint : 0
; COMPUTE_PGM_RSRC2:SCRATCH_EN: 0
; COMPUTE_PGM_RSRC2:USER_SGPR: 2
; COMPUTE_PGM_RSRC2:TRAP_HANDLER: 0
; COMPUTE_PGM_RSRC2:TGID_X_EN: 1
; COMPUTE_PGM_RSRC2:TGID_Y_EN: 0
; COMPUTE_PGM_RSRC2:TGID_Z_EN: 0
; COMPUTE_PGM_RSRC2:TIDIG_COMP_CNT: 0
; COMPUTE_PGM_RSRC3_GFX90A:ACCUM_OFFSET: 0
; COMPUTE_PGM_RSRC3_GFX90A:TG_SPLIT: 0
	.section	.text._ZN7rocprim17ROCPRIM_400000_NS6detail17trampoline_kernelINS0_14default_configENS1_38merge_sort_block_merge_config_selectorIiiEEZZNS1_27merge_sort_block_merge_implIS3_N6thrust23THRUST_200600_302600_NS6detail15normal_iteratorINS8_10device_ptrIiEEEESD_jNS1_19radix_merge_compareILb0ELb1EiNS0_19identity_decomposerEEEEE10hipError_tT0_T1_T2_jT3_P12ihipStream_tbPNSt15iterator_traitsISI_E10value_typeEPNSO_ISJ_E10value_typeEPSK_NS1_7vsmem_tEENKUlT_SI_SJ_SK_E_clISD_PiSD_S10_EESH_SX_SI_SJ_SK_EUlSX_E1_NS1_11comp_targetILNS1_3genE0ELNS1_11target_archE4294967295ELNS1_3gpuE0ELNS1_3repE0EEENS1_36merge_oddeven_config_static_selectorELNS0_4arch9wavefront6targetE1EEEvSJ_,"axG",@progbits,_ZN7rocprim17ROCPRIM_400000_NS6detail17trampoline_kernelINS0_14default_configENS1_38merge_sort_block_merge_config_selectorIiiEEZZNS1_27merge_sort_block_merge_implIS3_N6thrust23THRUST_200600_302600_NS6detail15normal_iteratorINS8_10device_ptrIiEEEESD_jNS1_19radix_merge_compareILb0ELb1EiNS0_19identity_decomposerEEEEE10hipError_tT0_T1_T2_jT3_P12ihipStream_tbPNSt15iterator_traitsISI_E10value_typeEPNSO_ISJ_E10value_typeEPSK_NS1_7vsmem_tEENKUlT_SI_SJ_SK_E_clISD_PiSD_S10_EESH_SX_SI_SJ_SK_EUlSX_E1_NS1_11comp_targetILNS1_3genE0ELNS1_11target_archE4294967295ELNS1_3gpuE0ELNS1_3repE0EEENS1_36merge_oddeven_config_static_selectorELNS0_4arch9wavefront6targetE1EEEvSJ_,comdat
	.protected	_ZN7rocprim17ROCPRIM_400000_NS6detail17trampoline_kernelINS0_14default_configENS1_38merge_sort_block_merge_config_selectorIiiEEZZNS1_27merge_sort_block_merge_implIS3_N6thrust23THRUST_200600_302600_NS6detail15normal_iteratorINS8_10device_ptrIiEEEESD_jNS1_19radix_merge_compareILb0ELb1EiNS0_19identity_decomposerEEEEE10hipError_tT0_T1_T2_jT3_P12ihipStream_tbPNSt15iterator_traitsISI_E10value_typeEPNSO_ISJ_E10value_typeEPSK_NS1_7vsmem_tEENKUlT_SI_SJ_SK_E_clISD_PiSD_S10_EESH_SX_SI_SJ_SK_EUlSX_E1_NS1_11comp_targetILNS1_3genE0ELNS1_11target_archE4294967295ELNS1_3gpuE0ELNS1_3repE0EEENS1_36merge_oddeven_config_static_selectorELNS0_4arch9wavefront6targetE1EEEvSJ_ ; -- Begin function _ZN7rocprim17ROCPRIM_400000_NS6detail17trampoline_kernelINS0_14default_configENS1_38merge_sort_block_merge_config_selectorIiiEEZZNS1_27merge_sort_block_merge_implIS3_N6thrust23THRUST_200600_302600_NS6detail15normal_iteratorINS8_10device_ptrIiEEEESD_jNS1_19radix_merge_compareILb0ELb1EiNS0_19identity_decomposerEEEEE10hipError_tT0_T1_T2_jT3_P12ihipStream_tbPNSt15iterator_traitsISI_E10value_typeEPNSO_ISJ_E10value_typeEPSK_NS1_7vsmem_tEENKUlT_SI_SJ_SK_E_clISD_PiSD_S10_EESH_SX_SI_SJ_SK_EUlSX_E1_NS1_11comp_targetILNS1_3genE0ELNS1_11target_archE4294967295ELNS1_3gpuE0ELNS1_3repE0EEENS1_36merge_oddeven_config_static_selectorELNS0_4arch9wavefront6targetE1EEEvSJ_
	.globl	_ZN7rocprim17ROCPRIM_400000_NS6detail17trampoline_kernelINS0_14default_configENS1_38merge_sort_block_merge_config_selectorIiiEEZZNS1_27merge_sort_block_merge_implIS3_N6thrust23THRUST_200600_302600_NS6detail15normal_iteratorINS8_10device_ptrIiEEEESD_jNS1_19radix_merge_compareILb0ELb1EiNS0_19identity_decomposerEEEEE10hipError_tT0_T1_T2_jT3_P12ihipStream_tbPNSt15iterator_traitsISI_E10value_typeEPNSO_ISJ_E10value_typeEPSK_NS1_7vsmem_tEENKUlT_SI_SJ_SK_E_clISD_PiSD_S10_EESH_SX_SI_SJ_SK_EUlSX_E1_NS1_11comp_targetILNS1_3genE0ELNS1_11target_archE4294967295ELNS1_3gpuE0ELNS1_3repE0EEENS1_36merge_oddeven_config_static_selectorELNS0_4arch9wavefront6targetE1EEEvSJ_
	.p2align	8
	.type	_ZN7rocprim17ROCPRIM_400000_NS6detail17trampoline_kernelINS0_14default_configENS1_38merge_sort_block_merge_config_selectorIiiEEZZNS1_27merge_sort_block_merge_implIS3_N6thrust23THRUST_200600_302600_NS6detail15normal_iteratorINS8_10device_ptrIiEEEESD_jNS1_19radix_merge_compareILb0ELb1EiNS0_19identity_decomposerEEEEE10hipError_tT0_T1_T2_jT3_P12ihipStream_tbPNSt15iterator_traitsISI_E10value_typeEPNSO_ISJ_E10value_typeEPSK_NS1_7vsmem_tEENKUlT_SI_SJ_SK_E_clISD_PiSD_S10_EESH_SX_SI_SJ_SK_EUlSX_E1_NS1_11comp_targetILNS1_3genE0ELNS1_11target_archE4294967295ELNS1_3gpuE0ELNS1_3repE0EEENS1_36merge_oddeven_config_static_selectorELNS0_4arch9wavefront6targetE1EEEvSJ_,@function
_ZN7rocprim17ROCPRIM_400000_NS6detail17trampoline_kernelINS0_14default_configENS1_38merge_sort_block_merge_config_selectorIiiEEZZNS1_27merge_sort_block_merge_implIS3_N6thrust23THRUST_200600_302600_NS6detail15normal_iteratorINS8_10device_ptrIiEEEESD_jNS1_19radix_merge_compareILb0ELb1EiNS0_19identity_decomposerEEEEE10hipError_tT0_T1_T2_jT3_P12ihipStream_tbPNSt15iterator_traitsISI_E10value_typeEPNSO_ISJ_E10value_typeEPSK_NS1_7vsmem_tEENKUlT_SI_SJ_SK_E_clISD_PiSD_S10_EESH_SX_SI_SJ_SK_EUlSX_E1_NS1_11comp_targetILNS1_3genE0ELNS1_11target_archE4294967295ELNS1_3gpuE0ELNS1_3repE0EEENS1_36merge_oddeven_config_static_selectorELNS0_4arch9wavefront6targetE1EEEvSJ_: ; @_ZN7rocprim17ROCPRIM_400000_NS6detail17trampoline_kernelINS0_14default_configENS1_38merge_sort_block_merge_config_selectorIiiEEZZNS1_27merge_sort_block_merge_implIS3_N6thrust23THRUST_200600_302600_NS6detail15normal_iteratorINS8_10device_ptrIiEEEESD_jNS1_19radix_merge_compareILb0ELb1EiNS0_19identity_decomposerEEEEE10hipError_tT0_T1_T2_jT3_P12ihipStream_tbPNSt15iterator_traitsISI_E10value_typeEPNSO_ISJ_E10value_typeEPSK_NS1_7vsmem_tEENKUlT_SI_SJ_SK_E_clISD_PiSD_S10_EESH_SX_SI_SJ_SK_EUlSX_E1_NS1_11comp_targetILNS1_3genE0ELNS1_11target_archE4294967295ELNS1_3gpuE0ELNS1_3repE0EEENS1_36merge_oddeven_config_static_selectorELNS0_4arch9wavefront6targetE1EEEvSJ_
; %bb.0:
	s_load_dword s20, s[0:1], 0x20
	s_waitcnt lgkmcnt(0)
	s_lshr_b32 s3, s20, 8
	s_cmp_eq_u32 s2, s3
	s_cselect_b64 s[16:17], -1, 0
	s_cmp_lg_u32 s2, s3
	s_cselect_b64 s[4:5], -1, 0
	s_lshl_b32 s18, s2, 8
	s_sub_i32 s3, s20, s18
	v_cmp_gt_u32_e64 s[6:7], s3, v0
	s_or_b64 s[4:5], s[4:5], s[6:7]
	s_and_saveexec_b64 s[8:9], s[4:5]
	s_cbranch_execz .LBB796_24
; %bb.1:
	s_load_dwordx8 s[8:15], s[0:1], 0x0
	s_mov_b32 s19, 0
	s_lshl_b64 s[4:5], s[18:19], 2
	v_lshlrev_b32_e32 v1, 2, v0
	s_load_dword s19, s[0:1], 0x24
	s_waitcnt lgkmcnt(0)
	s_add_u32 s22, s8, s4
	s_addc_u32 s23, s9, s5
	s_add_u32 s4, s12, s4
	s_addc_u32 s5, s13, s5
	global_load_dword v2, v1, s[4:5]
	global_load_dword v3, v1, s[22:23]
	s_lshr_b32 s3, s19, 8
	s_sub_i32 s4, 0, s3
	s_and_b32 s2, s2, s4
	s_and_b32 s3, s2, s3
	s_lshl_b32 s21, s2, 8
	s_sub_i32 s12, 0, s19
	s_cmp_eq_u32 s3, 0
	s_cselect_b64 s[4:5], -1, 0
	s_and_b64 s[2:3], s[4:5], exec
	s_cselect_b32 s12, s19, s12
	s_add_i32 s12, s12, s21
	s_mov_b64 s[2:3], -1
	s_cmp_gt_u32 s20, s12
	v_add_u32_e32 v0, s18, v0
	s_cbranch_scc1 .LBB796_9
; %bb.2:
	s_and_b64 vcc, exec, s[16:17]
	s_cbranch_vccz .LBB796_6
; %bb.3:
	v_cmp_gt_u32_e32 vcc, s20, v0
	s_and_saveexec_b64 s[2:3], vcc
	s_cbranch_execz .LBB796_5
; %bb.4:
	v_mov_b32_e32 v1, 0
	v_lshlrev_b64 v[4:5], 2, v[0:1]
	v_lshl_add_u64 v[6:7], s[10:11], 0, v[4:5]
	v_lshl_add_u64 v[4:5], s[14:15], 0, v[4:5]
	s_waitcnt vmcnt(0)
	global_store_dword v[6:7], v3, off
	global_store_dword v[4:5], v2, off
.LBB796_5:
	s_or_b64 exec, exec, s[2:3]
	s_mov_b64 s[2:3], 0
.LBB796_6:
	s_andn2_b64 vcc, exec, s[2:3]
	s_cbranch_vccnz .LBB796_8
; %bb.7:
	v_mov_b32_e32 v1, 0
	v_lshlrev_b64 v[4:5], 2, v[0:1]
	v_lshl_add_u64 v[6:7], s[10:11], 0, v[4:5]
	v_lshl_add_u64 v[4:5], s[14:15], 0, v[4:5]
	s_waitcnt vmcnt(0)
	global_store_dword v[6:7], v3, off
	global_store_dword v[4:5], v2, off
.LBB796_8:
	s_mov_b64 s[2:3], 0
.LBB796_9:
	s_andn2_b64 vcc, exec, s[2:3]
	s_cbranch_vccnz .LBB796_24
; %bb.10:
	s_load_dword s13, s[0:1], 0x28
	s_min_u32 s18, s12, s20
	s_add_i32 s0, s18, s19
	s_min_u32 s19, s0, s20
	s_min_u32 s0, s21, s18
	s_add_i32 s21, s21, s18
	v_subrev_u32_e32 v0, s21, v0
	v_add_u32_e32 v4, s0, v0
	s_waitcnt vmcnt(0) lgkmcnt(0)
	v_and_b32_e32 v5, s13, v3
	s_mov_b64 s[0:1], -1
	s_and_b64 vcc, exec, s[16:17]
	s_cbranch_vccz .LBB796_18
; %bb.11:
	s_and_saveexec_b64 s[0:1], s[6:7]
	s_cbranch_execz .LBB796_17
; %bb.12:
	s_cmp_ge_u32 s12, s19
	v_mov_b32_e32 v6, s18
	s_cbranch_scc1 .LBB796_16
; %bb.13:
	s_mov_b64 s[2:3], 0
	v_mov_b32_e32 v7, s19
	v_mov_b32_e32 v6, s18
	;; [unrolled: 1-line block ×3, first 2 shown]
.LBB796_14:                             ; =>This Inner Loop Header: Depth=1
	v_add_u32_e32 v0, v6, v7
	v_lshrrev_b32_e32 v0, 1, v0
	v_lshl_add_u64 v[8:9], v[0:1], 2, s[8:9]
	global_load_dword v8, v[8:9], off
	v_add_u32_e32 v9, 1, v0
	s_waitcnt vmcnt(0)
	v_and_b32_e32 v8, s13, v8
	v_cmp_gt_i32_e32 vcc, v5, v8
	s_nop 1
	v_cndmask_b32_e64 v10, 0, 1, vcc
	v_cmp_le_i32_e32 vcc, v8, v5
	s_nop 1
	v_cndmask_b32_e64 v8, 0, 1, vcc
	v_cndmask_b32_e64 v8, v8, v10, s[4:5]
	v_and_b32_e32 v8, 1, v8
	v_cmp_eq_u32_e32 vcc, 1, v8
	s_nop 1
	v_cndmask_b32_e32 v7, v0, v7, vcc
	v_cndmask_b32_e32 v6, v6, v9, vcc
	v_cmp_ge_u32_e32 vcc, v6, v7
	s_or_b64 s[2:3], vcc, s[2:3]
	s_andn2_b64 exec, exec, s[2:3]
	s_cbranch_execnz .LBB796_14
; %bb.15:
	s_or_b64 exec, exec, s[2:3]
.LBB796_16:
	v_add_u32_e32 v0, v6, v4
	v_mov_b32_e32 v1, 0
	v_lshlrev_b64 v[0:1], 2, v[0:1]
	v_lshl_add_u64 v[6:7], s[10:11], 0, v[0:1]
	v_lshl_add_u64 v[0:1], s[14:15], 0, v[0:1]
	global_store_dword v[6:7], v3, off
	global_store_dword v[0:1], v2, off
.LBB796_17:
	s_or_b64 exec, exec, s[0:1]
	s_mov_b64 s[0:1], 0
.LBB796_18:
	s_andn2_b64 vcc, exec, s[0:1]
	s_cbranch_vccnz .LBB796_24
; %bb.19:
	s_cmp_ge_u32 s12, s19
	v_mov_b32_e32 v6, s18
	s_cbranch_scc1 .LBB796_23
; %bb.20:
	s_mov_b64 s[0:1], 0
	v_mov_b32_e32 v7, s19
	v_mov_b32_e32 v6, s18
	;; [unrolled: 1-line block ×3, first 2 shown]
.LBB796_21:                             ; =>This Inner Loop Header: Depth=1
	v_add_u32_e32 v0, v6, v7
	v_lshrrev_b32_e32 v0, 1, v0
	v_lshl_add_u64 v[8:9], v[0:1], 2, s[8:9]
	global_load_dword v8, v[8:9], off
	v_add_u32_e32 v9, 1, v0
	s_waitcnt vmcnt(0)
	v_and_b32_e32 v8, s13, v8
	v_cmp_gt_i32_e32 vcc, v5, v8
	s_nop 1
	v_cndmask_b32_e64 v10, 0, 1, vcc
	v_cmp_le_i32_e32 vcc, v8, v5
	s_nop 1
	v_cndmask_b32_e64 v8, 0, 1, vcc
	v_cndmask_b32_e64 v8, v8, v10, s[4:5]
	v_and_b32_e32 v8, 1, v8
	v_cmp_eq_u32_e32 vcc, 1, v8
	s_nop 1
	v_cndmask_b32_e32 v7, v0, v7, vcc
	v_cndmask_b32_e32 v6, v6, v9, vcc
	v_cmp_ge_u32_e32 vcc, v6, v7
	s_or_b64 s[0:1], vcc, s[0:1]
	s_andn2_b64 exec, exec, s[0:1]
	s_cbranch_execnz .LBB796_21
; %bb.22:
	s_or_b64 exec, exec, s[0:1]
.LBB796_23:
	v_add_u32_e32 v0, v6, v4
	v_mov_b32_e32 v1, 0
	v_lshlrev_b64 v[0:1], 2, v[0:1]
	v_lshl_add_u64 v[4:5], s[10:11], 0, v[0:1]
	v_lshl_add_u64 v[0:1], s[14:15], 0, v[0:1]
	global_store_dword v[4:5], v3, off
	global_store_dword v[0:1], v2, off
.LBB796_24:
	s_endpgm
	.section	.rodata,"a",@progbits
	.p2align	6, 0x0
	.amdhsa_kernel _ZN7rocprim17ROCPRIM_400000_NS6detail17trampoline_kernelINS0_14default_configENS1_38merge_sort_block_merge_config_selectorIiiEEZZNS1_27merge_sort_block_merge_implIS3_N6thrust23THRUST_200600_302600_NS6detail15normal_iteratorINS8_10device_ptrIiEEEESD_jNS1_19radix_merge_compareILb0ELb1EiNS0_19identity_decomposerEEEEE10hipError_tT0_T1_T2_jT3_P12ihipStream_tbPNSt15iterator_traitsISI_E10value_typeEPNSO_ISJ_E10value_typeEPSK_NS1_7vsmem_tEENKUlT_SI_SJ_SK_E_clISD_PiSD_S10_EESH_SX_SI_SJ_SK_EUlSX_E1_NS1_11comp_targetILNS1_3genE0ELNS1_11target_archE4294967295ELNS1_3gpuE0ELNS1_3repE0EEENS1_36merge_oddeven_config_static_selectorELNS0_4arch9wavefront6targetE1EEEvSJ_
		.amdhsa_group_segment_fixed_size 0
		.amdhsa_private_segment_fixed_size 0
		.amdhsa_kernarg_size 48
		.amdhsa_user_sgpr_count 2
		.amdhsa_user_sgpr_dispatch_ptr 0
		.amdhsa_user_sgpr_queue_ptr 0
		.amdhsa_user_sgpr_kernarg_segment_ptr 1
		.amdhsa_user_sgpr_dispatch_id 0
		.amdhsa_user_sgpr_kernarg_preload_length 0
		.amdhsa_user_sgpr_kernarg_preload_offset 0
		.amdhsa_user_sgpr_private_segment_size 0
		.amdhsa_uses_dynamic_stack 0
		.amdhsa_enable_private_segment 0
		.amdhsa_system_sgpr_workgroup_id_x 1
		.amdhsa_system_sgpr_workgroup_id_y 0
		.amdhsa_system_sgpr_workgroup_id_z 0
		.amdhsa_system_sgpr_workgroup_info 0
		.amdhsa_system_vgpr_workitem_id 0
		.amdhsa_next_free_vgpr 11
		.amdhsa_next_free_sgpr 24
		.amdhsa_accum_offset 12
		.amdhsa_reserve_vcc 1
		.amdhsa_float_round_mode_32 0
		.amdhsa_float_round_mode_16_64 0
		.amdhsa_float_denorm_mode_32 3
		.amdhsa_float_denorm_mode_16_64 3
		.amdhsa_dx10_clamp 1
		.amdhsa_ieee_mode 1
		.amdhsa_fp16_overflow 0
		.amdhsa_tg_split 0
		.amdhsa_exception_fp_ieee_invalid_op 0
		.amdhsa_exception_fp_denorm_src 0
		.amdhsa_exception_fp_ieee_div_zero 0
		.amdhsa_exception_fp_ieee_overflow 0
		.amdhsa_exception_fp_ieee_underflow 0
		.amdhsa_exception_fp_ieee_inexact 0
		.amdhsa_exception_int_div_zero 0
	.end_amdhsa_kernel
	.section	.text._ZN7rocprim17ROCPRIM_400000_NS6detail17trampoline_kernelINS0_14default_configENS1_38merge_sort_block_merge_config_selectorIiiEEZZNS1_27merge_sort_block_merge_implIS3_N6thrust23THRUST_200600_302600_NS6detail15normal_iteratorINS8_10device_ptrIiEEEESD_jNS1_19radix_merge_compareILb0ELb1EiNS0_19identity_decomposerEEEEE10hipError_tT0_T1_T2_jT3_P12ihipStream_tbPNSt15iterator_traitsISI_E10value_typeEPNSO_ISJ_E10value_typeEPSK_NS1_7vsmem_tEENKUlT_SI_SJ_SK_E_clISD_PiSD_S10_EESH_SX_SI_SJ_SK_EUlSX_E1_NS1_11comp_targetILNS1_3genE0ELNS1_11target_archE4294967295ELNS1_3gpuE0ELNS1_3repE0EEENS1_36merge_oddeven_config_static_selectorELNS0_4arch9wavefront6targetE1EEEvSJ_,"axG",@progbits,_ZN7rocprim17ROCPRIM_400000_NS6detail17trampoline_kernelINS0_14default_configENS1_38merge_sort_block_merge_config_selectorIiiEEZZNS1_27merge_sort_block_merge_implIS3_N6thrust23THRUST_200600_302600_NS6detail15normal_iteratorINS8_10device_ptrIiEEEESD_jNS1_19radix_merge_compareILb0ELb1EiNS0_19identity_decomposerEEEEE10hipError_tT0_T1_T2_jT3_P12ihipStream_tbPNSt15iterator_traitsISI_E10value_typeEPNSO_ISJ_E10value_typeEPSK_NS1_7vsmem_tEENKUlT_SI_SJ_SK_E_clISD_PiSD_S10_EESH_SX_SI_SJ_SK_EUlSX_E1_NS1_11comp_targetILNS1_3genE0ELNS1_11target_archE4294967295ELNS1_3gpuE0ELNS1_3repE0EEENS1_36merge_oddeven_config_static_selectorELNS0_4arch9wavefront6targetE1EEEvSJ_,comdat
.Lfunc_end796:
	.size	_ZN7rocprim17ROCPRIM_400000_NS6detail17trampoline_kernelINS0_14default_configENS1_38merge_sort_block_merge_config_selectorIiiEEZZNS1_27merge_sort_block_merge_implIS3_N6thrust23THRUST_200600_302600_NS6detail15normal_iteratorINS8_10device_ptrIiEEEESD_jNS1_19radix_merge_compareILb0ELb1EiNS0_19identity_decomposerEEEEE10hipError_tT0_T1_T2_jT3_P12ihipStream_tbPNSt15iterator_traitsISI_E10value_typeEPNSO_ISJ_E10value_typeEPSK_NS1_7vsmem_tEENKUlT_SI_SJ_SK_E_clISD_PiSD_S10_EESH_SX_SI_SJ_SK_EUlSX_E1_NS1_11comp_targetILNS1_3genE0ELNS1_11target_archE4294967295ELNS1_3gpuE0ELNS1_3repE0EEENS1_36merge_oddeven_config_static_selectorELNS0_4arch9wavefront6targetE1EEEvSJ_, .Lfunc_end796-_ZN7rocprim17ROCPRIM_400000_NS6detail17trampoline_kernelINS0_14default_configENS1_38merge_sort_block_merge_config_selectorIiiEEZZNS1_27merge_sort_block_merge_implIS3_N6thrust23THRUST_200600_302600_NS6detail15normal_iteratorINS8_10device_ptrIiEEEESD_jNS1_19radix_merge_compareILb0ELb1EiNS0_19identity_decomposerEEEEE10hipError_tT0_T1_T2_jT3_P12ihipStream_tbPNSt15iterator_traitsISI_E10value_typeEPNSO_ISJ_E10value_typeEPSK_NS1_7vsmem_tEENKUlT_SI_SJ_SK_E_clISD_PiSD_S10_EESH_SX_SI_SJ_SK_EUlSX_E1_NS1_11comp_targetILNS1_3genE0ELNS1_11target_archE4294967295ELNS1_3gpuE0ELNS1_3repE0EEENS1_36merge_oddeven_config_static_selectorELNS0_4arch9wavefront6targetE1EEEvSJ_
                                        ; -- End function
	.set _ZN7rocprim17ROCPRIM_400000_NS6detail17trampoline_kernelINS0_14default_configENS1_38merge_sort_block_merge_config_selectorIiiEEZZNS1_27merge_sort_block_merge_implIS3_N6thrust23THRUST_200600_302600_NS6detail15normal_iteratorINS8_10device_ptrIiEEEESD_jNS1_19radix_merge_compareILb0ELb1EiNS0_19identity_decomposerEEEEE10hipError_tT0_T1_T2_jT3_P12ihipStream_tbPNSt15iterator_traitsISI_E10value_typeEPNSO_ISJ_E10value_typeEPSK_NS1_7vsmem_tEENKUlT_SI_SJ_SK_E_clISD_PiSD_S10_EESH_SX_SI_SJ_SK_EUlSX_E1_NS1_11comp_targetILNS1_3genE0ELNS1_11target_archE4294967295ELNS1_3gpuE0ELNS1_3repE0EEENS1_36merge_oddeven_config_static_selectorELNS0_4arch9wavefront6targetE1EEEvSJ_.num_vgpr, 11
	.set _ZN7rocprim17ROCPRIM_400000_NS6detail17trampoline_kernelINS0_14default_configENS1_38merge_sort_block_merge_config_selectorIiiEEZZNS1_27merge_sort_block_merge_implIS3_N6thrust23THRUST_200600_302600_NS6detail15normal_iteratorINS8_10device_ptrIiEEEESD_jNS1_19radix_merge_compareILb0ELb1EiNS0_19identity_decomposerEEEEE10hipError_tT0_T1_T2_jT3_P12ihipStream_tbPNSt15iterator_traitsISI_E10value_typeEPNSO_ISJ_E10value_typeEPSK_NS1_7vsmem_tEENKUlT_SI_SJ_SK_E_clISD_PiSD_S10_EESH_SX_SI_SJ_SK_EUlSX_E1_NS1_11comp_targetILNS1_3genE0ELNS1_11target_archE4294967295ELNS1_3gpuE0ELNS1_3repE0EEENS1_36merge_oddeven_config_static_selectorELNS0_4arch9wavefront6targetE1EEEvSJ_.num_agpr, 0
	.set _ZN7rocprim17ROCPRIM_400000_NS6detail17trampoline_kernelINS0_14default_configENS1_38merge_sort_block_merge_config_selectorIiiEEZZNS1_27merge_sort_block_merge_implIS3_N6thrust23THRUST_200600_302600_NS6detail15normal_iteratorINS8_10device_ptrIiEEEESD_jNS1_19radix_merge_compareILb0ELb1EiNS0_19identity_decomposerEEEEE10hipError_tT0_T1_T2_jT3_P12ihipStream_tbPNSt15iterator_traitsISI_E10value_typeEPNSO_ISJ_E10value_typeEPSK_NS1_7vsmem_tEENKUlT_SI_SJ_SK_E_clISD_PiSD_S10_EESH_SX_SI_SJ_SK_EUlSX_E1_NS1_11comp_targetILNS1_3genE0ELNS1_11target_archE4294967295ELNS1_3gpuE0ELNS1_3repE0EEENS1_36merge_oddeven_config_static_selectorELNS0_4arch9wavefront6targetE1EEEvSJ_.numbered_sgpr, 24
	.set _ZN7rocprim17ROCPRIM_400000_NS6detail17trampoline_kernelINS0_14default_configENS1_38merge_sort_block_merge_config_selectorIiiEEZZNS1_27merge_sort_block_merge_implIS3_N6thrust23THRUST_200600_302600_NS6detail15normal_iteratorINS8_10device_ptrIiEEEESD_jNS1_19radix_merge_compareILb0ELb1EiNS0_19identity_decomposerEEEEE10hipError_tT0_T1_T2_jT3_P12ihipStream_tbPNSt15iterator_traitsISI_E10value_typeEPNSO_ISJ_E10value_typeEPSK_NS1_7vsmem_tEENKUlT_SI_SJ_SK_E_clISD_PiSD_S10_EESH_SX_SI_SJ_SK_EUlSX_E1_NS1_11comp_targetILNS1_3genE0ELNS1_11target_archE4294967295ELNS1_3gpuE0ELNS1_3repE0EEENS1_36merge_oddeven_config_static_selectorELNS0_4arch9wavefront6targetE1EEEvSJ_.num_named_barrier, 0
	.set _ZN7rocprim17ROCPRIM_400000_NS6detail17trampoline_kernelINS0_14default_configENS1_38merge_sort_block_merge_config_selectorIiiEEZZNS1_27merge_sort_block_merge_implIS3_N6thrust23THRUST_200600_302600_NS6detail15normal_iteratorINS8_10device_ptrIiEEEESD_jNS1_19radix_merge_compareILb0ELb1EiNS0_19identity_decomposerEEEEE10hipError_tT0_T1_T2_jT3_P12ihipStream_tbPNSt15iterator_traitsISI_E10value_typeEPNSO_ISJ_E10value_typeEPSK_NS1_7vsmem_tEENKUlT_SI_SJ_SK_E_clISD_PiSD_S10_EESH_SX_SI_SJ_SK_EUlSX_E1_NS1_11comp_targetILNS1_3genE0ELNS1_11target_archE4294967295ELNS1_3gpuE0ELNS1_3repE0EEENS1_36merge_oddeven_config_static_selectorELNS0_4arch9wavefront6targetE1EEEvSJ_.private_seg_size, 0
	.set _ZN7rocprim17ROCPRIM_400000_NS6detail17trampoline_kernelINS0_14default_configENS1_38merge_sort_block_merge_config_selectorIiiEEZZNS1_27merge_sort_block_merge_implIS3_N6thrust23THRUST_200600_302600_NS6detail15normal_iteratorINS8_10device_ptrIiEEEESD_jNS1_19radix_merge_compareILb0ELb1EiNS0_19identity_decomposerEEEEE10hipError_tT0_T1_T2_jT3_P12ihipStream_tbPNSt15iterator_traitsISI_E10value_typeEPNSO_ISJ_E10value_typeEPSK_NS1_7vsmem_tEENKUlT_SI_SJ_SK_E_clISD_PiSD_S10_EESH_SX_SI_SJ_SK_EUlSX_E1_NS1_11comp_targetILNS1_3genE0ELNS1_11target_archE4294967295ELNS1_3gpuE0ELNS1_3repE0EEENS1_36merge_oddeven_config_static_selectorELNS0_4arch9wavefront6targetE1EEEvSJ_.uses_vcc, 1
	.set _ZN7rocprim17ROCPRIM_400000_NS6detail17trampoline_kernelINS0_14default_configENS1_38merge_sort_block_merge_config_selectorIiiEEZZNS1_27merge_sort_block_merge_implIS3_N6thrust23THRUST_200600_302600_NS6detail15normal_iteratorINS8_10device_ptrIiEEEESD_jNS1_19radix_merge_compareILb0ELb1EiNS0_19identity_decomposerEEEEE10hipError_tT0_T1_T2_jT3_P12ihipStream_tbPNSt15iterator_traitsISI_E10value_typeEPNSO_ISJ_E10value_typeEPSK_NS1_7vsmem_tEENKUlT_SI_SJ_SK_E_clISD_PiSD_S10_EESH_SX_SI_SJ_SK_EUlSX_E1_NS1_11comp_targetILNS1_3genE0ELNS1_11target_archE4294967295ELNS1_3gpuE0ELNS1_3repE0EEENS1_36merge_oddeven_config_static_selectorELNS0_4arch9wavefront6targetE1EEEvSJ_.uses_flat_scratch, 0
	.set _ZN7rocprim17ROCPRIM_400000_NS6detail17trampoline_kernelINS0_14default_configENS1_38merge_sort_block_merge_config_selectorIiiEEZZNS1_27merge_sort_block_merge_implIS3_N6thrust23THRUST_200600_302600_NS6detail15normal_iteratorINS8_10device_ptrIiEEEESD_jNS1_19radix_merge_compareILb0ELb1EiNS0_19identity_decomposerEEEEE10hipError_tT0_T1_T2_jT3_P12ihipStream_tbPNSt15iterator_traitsISI_E10value_typeEPNSO_ISJ_E10value_typeEPSK_NS1_7vsmem_tEENKUlT_SI_SJ_SK_E_clISD_PiSD_S10_EESH_SX_SI_SJ_SK_EUlSX_E1_NS1_11comp_targetILNS1_3genE0ELNS1_11target_archE4294967295ELNS1_3gpuE0ELNS1_3repE0EEENS1_36merge_oddeven_config_static_selectorELNS0_4arch9wavefront6targetE1EEEvSJ_.has_dyn_sized_stack, 0
	.set _ZN7rocprim17ROCPRIM_400000_NS6detail17trampoline_kernelINS0_14default_configENS1_38merge_sort_block_merge_config_selectorIiiEEZZNS1_27merge_sort_block_merge_implIS3_N6thrust23THRUST_200600_302600_NS6detail15normal_iteratorINS8_10device_ptrIiEEEESD_jNS1_19radix_merge_compareILb0ELb1EiNS0_19identity_decomposerEEEEE10hipError_tT0_T1_T2_jT3_P12ihipStream_tbPNSt15iterator_traitsISI_E10value_typeEPNSO_ISJ_E10value_typeEPSK_NS1_7vsmem_tEENKUlT_SI_SJ_SK_E_clISD_PiSD_S10_EESH_SX_SI_SJ_SK_EUlSX_E1_NS1_11comp_targetILNS1_3genE0ELNS1_11target_archE4294967295ELNS1_3gpuE0ELNS1_3repE0EEENS1_36merge_oddeven_config_static_selectorELNS0_4arch9wavefront6targetE1EEEvSJ_.has_recursion, 0
	.set _ZN7rocprim17ROCPRIM_400000_NS6detail17trampoline_kernelINS0_14default_configENS1_38merge_sort_block_merge_config_selectorIiiEEZZNS1_27merge_sort_block_merge_implIS3_N6thrust23THRUST_200600_302600_NS6detail15normal_iteratorINS8_10device_ptrIiEEEESD_jNS1_19radix_merge_compareILb0ELb1EiNS0_19identity_decomposerEEEEE10hipError_tT0_T1_T2_jT3_P12ihipStream_tbPNSt15iterator_traitsISI_E10value_typeEPNSO_ISJ_E10value_typeEPSK_NS1_7vsmem_tEENKUlT_SI_SJ_SK_E_clISD_PiSD_S10_EESH_SX_SI_SJ_SK_EUlSX_E1_NS1_11comp_targetILNS1_3genE0ELNS1_11target_archE4294967295ELNS1_3gpuE0ELNS1_3repE0EEENS1_36merge_oddeven_config_static_selectorELNS0_4arch9wavefront6targetE1EEEvSJ_.has_indirect_call, 0
	.section	.AMDGPU.csdata,"",@progbits
; Kernel info:
; codeLenInByte = 796
; TotalNumSgprs: 30
; NumVgprs: 11
; NumAgprs: 0
; TotalNumVgprs: 11
; ScratchSize: 0
; MemoryBound: 0
; FloatMode: 240
; IeeeMode: 1
; LDSByteSize: 0 bytes/workgroup (compile time only)
; SGPRBlocks: 3
; VGPRBlocks: 1
; NumSGPRsForWavesPerEU: 30
; NumVGPRsForWavesPerEU: 11
; AccumOffset: 12
; Occupancy: 8
; WaveLimiterHint : 0
; COMPUTE_PGM_RSRC2:SCRATCH_EN: 0
; COMPUTE_PGM_RSRC2:USER_SGPR: 2
; COMPUTE_PGM_RSRC2:TRAP_HANDLER: 0
; COMPUTE_PGM_RSRC2:TGID_X_EN: 1
; COMPUTE_PGM_RSRC2:TGID_Y_EN: 0
; COMPUTE_PGM_RSRC2:TGID_Z_EN: 0
; COMPUTE_PGM_RSRC2:TIDIG_COMP_CNT: 0
; COMPUTE_PGM_RSRC3_GFX90A:ACCUM_OFFSET: 2
; COMPUTE_PGM_RSRC3_GFX90A:TG_SPLIT: 0
	.section	.text._ZN7rocprim17ROCPRIM_400000_NS6detail17trampoline_kernelINS0_14default_configENS1_38merge_sort_block_merge_config_selectorIiiEEZZNS1_27merge_sort_block_merge_implIS3_N6thrust23THRUST_200600_302600_NS6detail15normal_iteratorINS8_10device_ptrIiEEEESD_jNS1_19radix_merge_compareILb0ELb1EiNS0_19identity_decomposerEEEEE10hipError_tT0_T1_T2_jT3_P12ihipStream_tbPNSt15iterator_traitsISI_E10value_typeEPNSO_ISJ_E10value_typeEPSK_NS1_7vsmem_tEENKUlT_SI_SJ_SK_E_clISD_PiSD_S10_EESH_SX_SI_SJ_SK_EUlSX_E1_NS1_11comp_targetILNS1_3genE10ELNS1_11target_archE1201ELNS1_3gpuE5ELNS1_3repE0EEENS1_36merge_oddeven_config_static_selectorELNS0_4arch9wavefront6targetE1EEEvSJ_,"axG",@progbits,_ZN7rocprim17ROCPRIM_400000_NS6detail17trampoline_kernelINS0_14default_configENS1_38merge_sort_block_merge_config_selectorIiiEEZZNS1_27merge_sort_block_merge_implIS3_N6thrust23THRUST_200600_302600_NS6detail15normal_iteratorINS8_10device_ptrIiEEEESD_jNS1_19radix_merge_compareILb0ELb1EiNS0_19identity_decomposerEEEEE10hipError_tT0_T1_T2_jT3_P12ihipStream_tbPNSt15iterator_traitsISI_E10value_typeEPNSO_ISJ_E10value_typeEPSK_NS1_7vsmem_tEENKUlT_SI_SJ_SK_E_clISD_PiSD_S10_EESH_SX_SI_SJ_SK_EUlSX_E1_NS1_11comp_targetILNS1_3genE10ELNS1_11target_archE1201ELNS1_3gpuE5ELNS1_3repE0EEENS1_36merge_oddeven_config_static_selectorELNS0_4arch9wavefront6targetE1EEEvSJ_,comdat
	.protected	_ZN7rocprim17ROCPRIM_400000_NS6detail17trampoline_kernelINS0_14default_configENS1_38merge_sort_block_merge_config_selectorIiiEEZZNS1_27merge_sort_block_merge_implIS3_N6thrust23THRUST_200600_302600_NS6detail15normal_iteratorINS8_10device_ptrIiEEEESD_jNS1_19radix_merge_compareILb0ELb1EiNS0_19identity_decomposerEEEEE10hipError_tT0_T1_T2_jT3_P12ihipStream_tbPNSt15iterator_traitsISI_E10value_typeEPNSO_ISJ_E10value_typeEPSK_NS1_7vsmem_tEENKUlT_SI_SJ_SK_E_clISD_PiSD_S10_EESH_SX_SI_SJ_SK_EUlSX_E1_NS1_11comp_targetILNS1_3genE10ELNS1_11target_archE1201ELNS1_3gpuE5ELNS1_3repE0EEENS1_36merge_oddeven_config_static_selectorELNS0_4arch9wavefront6targetE1EEEvSJ_ ; -- Begin function _ZN7rocprim17ROCPRIM_400000_NS6detail17trampoline_kernelINS0_14default_configENS1_38merge_sort_block_merge_config_selectorIiiEEZZNS1_27merge_sort_block_merge_implIS3_N6thrust23THRUST_200600_302600_NS6detail15normal_iteratorINS8_10device_ptrIiEEEESD_jNS1_19radix_merge_compareILb0ELb1EiNS0_19identity_decomposerEEEEE10hipError_tT0_T1_T2_jT3_P12ihipStream_tbPNSt15iterator_traitsISI_E10value_typeEPNSO_ISJ_E10value_typeEPSK_NS1_7vsmem_tEENKUlT_SI_SJ_SK_E_clISD_PiSD_S10_EESH_SX_SI_SJ_SK_EUlSX_E1_NS1_11comp_targetILNS1_3genE10ELNS1_11target_archE1201ELNS1_3gpuE5ELNS1_3repE0EEENS1_36merge_oddeven_config_static_selectorELNS0_4arch9wavefront6targetE1EEEvSJ_
	.globl	_ZN7rocprim17ROCPRIM_400000_NS6detail17trampoline_kernelINS0_14default_configENS1_38merge_sort_block_merge_config_selectorIiiEEZZNS1_27merge_sort_block_merge_implIS3_N6thrust23THRUST_200600_302600_NS6detail15normal_iteratorINS8_10device_ptrIiEEEESD_jNS1_19radix_merge_compareILb0ELb1EiNS0_19identity_decomposerEEEEE10hipError_tT0_T1_T2_jT3_P12ihipStream_tbPNSt15iterator_traitsISI_E10value_typeEPNSO_ISJ_E10value_typeEPSK_NS1_7vsmem_tEENKUlT_SI_SJ_SK_E_clISD_PiSD_S10_EESH_SX_SI_SJ_SK_EUlSX_E1_NS1_11comp_targetILNS1_3genE10ELNS1_11target_archE1201ELNS1_3gpuE5ELNS1_3repE0EEENS1_36merge_oddeven_config_static_selectorELNS0_4arch9wavefront6targetE1EEEvSJ_
	.p2align	8
	.type	_ZN7rocprim17ROCPRIM_400000_NS6detail17trampoline_kernelINS0_14default_configENS1_38merge_sort_block_merge_config_selectorIiiEEZZNS1_27merge_sort_block_merge_implIS3_N6thrust23THRUST_200600_302600_NS6detail15normal_iteratorINS8_10device_ptrIiEEEESD_jNS1_19radix_merge_compareILb0ELb1EiNS0_19identity_decomposerEEEEE10hipError_tT0_T1_T2_jT3_P12ihipStream_tbPNSt15iterator_traitsISI_E10value_typeEPNSO_ISJ_E10value_typeEPSK_NS1_7vsmem_tEENKUlT_SI_SJ_SK_E_clISD_PiSD_S10_EESH_SX_SI_SJ_SK_EUlSX_E1_NS1_11comp_targetILNS1_3genE10ELNS1_11target_archE1201ELNS1_3gpuE5ELNS1_3repE0EEENS1_36merge_oddeven_config_static_selectorELNS0_4arch9wavefront6targetE1EEEvSJ_,@function
_ZN7rocprim17ROCPRIM_400000_NS6detail17trampoline_kernelINS0_14default_configENS1_38merge_sort_block_merge_config_selectorIiiEEZZNS1_27merge_sort_block_merge_implIS3_N6thrust23THRUST_200600_302600_NS6detail15normal_iteratorINS8_10device_ptrIiEEEESD_jNS1_19radix_merge_compareILb0ELb1EiNS0_19identity_decomposerEEEEE10hipError_tT0_T1_T2_jT3_P12ihipStream_tbPNSt15iterator_traitsISI_E10value_typeEPNSO_ISJ_E10value_typeEPSK_NS1_7vsmem_tEENKUlT_SI_SJ_SK_E_clISD_PiSD_S10_EESH_SX_SI_SJ_SK_EUlSX_E1_NS1_11comp_targetILNS1_3genE10ELNS1_11target_archE1201ELNS1_3gpuE5ELNS1_3repE0EEENS1_36merge_oddeven_config_static_selectorELNS0_4arch9wavefront6targetE1EEEvSJ_: ; @_ZN7rocprim17ROCPRIM_400000_NS6detail17trampoline_kernelINS0_14default_configENS1_38merge_sort_block_merge_config_selectorIiiEEZZNS1_27merge_sort_block_merge_implIS3_N6thrust23THRUST_200600_302600_NS6detail15normal_iteratorINS8_10device_ptrIiEEEESD_jNS1_19radix_merge_compareILb0ELb1EiNS0_19identity_decomposerEEEEE10hipError_tT0_T1_T2_jT3_P12ihipStream_tbPNSt15iterator_traitsISI_E10value_typeEPNSO_ISJ_E10value_typeEPSK_NS1_7vsmem_tEENKUlT_SI_SJ_SK_E_clISD_PiSD_S10_EESH_SX_SI_SJ_SK_EUlSX_E1_NS1_11comp_targetILNS1_3genE10ELNS1_11target_archE1201ELNS1_3gpuE5ELNS1_3repE0EEENS1_36merge_oddeven_config_static_selectorELNS0_4arch9wavefront6targetE1EEEvSJ_
; %bb.0:
	.section	.rodata,"a",@progbits
	.p2align	6, 0x0
	.amdhsa_kernel _ZN7rocprim17ROCPRIM_400000_NS6detail17trampoline_kernelINS0_14default_configENS1_38merge_sort_block_merge_config_selectorIiiEEZZNS1_27merge_sort_block_merge_implIS3_N6thrust23THRUST_200600_302600_NS6detail15normal_iteratorINS8_10device_ptrIiEEEESD_jNS1_19radix_merge_compareILb0ELb1EiNS0_19identity_decomposerEEEEE10hipError_tT0_T1_T2_jT3_P12ihipStream_tbPNSt15iterator_traitsISI_E10value_typeEPNSO_ISJ_E10value_typeEPSK_NS1_7vsmem_tEENKUlT_SI_SJ_SK_E_clISD_PiSD_S10_EESH_SX_SI_SJ_SK_EUlSX_E1_NS1_11comp_targetILNS1_3genE10ELNS1_11target_archE1201ELNS1_3gpuE5ELNS1_3repE0EEENS1_36merge_oddeven_config_static_selectorELNS0_4arch9wavefront6targetE1EEEvSJ_
		.amdhsa_group_segment_fixed_size 0
		.amdhsa_private_segment_fixed_size 0
		.amdhsa_kernarg_size 48
		.amdhsa_user_sgpr_count 2
		.amdhsa_user_sgpr_dispatch_ptr 0
		.amdhsa_user_sgpr_queue_ptr 0
		.amdhsa_user_sgpr_kernarg_segment_ptr 1
		.amdhsa_user_sgpr_dispatch_id 0
		.amdhsa_user_sgpr_kernarg_preload_length 0
		.amdhsa_user_sgpr_kernarg_preload_offset 0
		.amdhsa_user_sgpr_private_segment_size 0
		.amdhsa_uses_dynamic_stack 0
		.amdhsa_enable_private_segment 0
		.amdhsa_system_sgpr_workgroup_id_x 1
		.amdhsa_system_sgpr_workgroup_id_y 0
		.amdhsa_system_sgpr_workgroup_id_z 0
		.amdhsa_system_sgpr_workgroup_info 0
		.amdhsa_system_vgpr_workitem_id 0
		.amdhsa_next_free_vgpr 1
		.amdhsa_next_free_sgpr 0
		.amdhsa_accum_offset 4
		.amdhsa_reserve_vcc 0
		.amdhsa_float_round_mode_32 0
		.amdhsa_float_round_mode_16_64 0
		.amdhsa_float_denorm_mode_32 3
		.amdhsa_float_denorm_mode_16_64 3
		.amdhsa_dx10_clamp 1
		.amdhsa_ieee_mode 1
		.amdhsa_fp16_overflow 0
		.amdhsa_tg_split 0
		.amdhsa_exception_fp_ieee_invalid_op 0
		.amdhsa_exception_fp_denorm_src 0
		.amdhsa_exception_fp_ieee_div_zero 0
		.amdhsa_exception_fp_ieee_overflow 0
		.amdhsa_exception_fp_ieee_underflow 0
		.amdhsa_exception_fp_ieee_inexact 0
		.amdhsa_exception_int_div_zero 0
	.end_amdhsa_kernel
	.section	.text._ZN7rocprim17ROCPRIM_400000_NS6detail17trampoline_kernelINS0_14default_configENS1_38merge_sort_block_merge_config_selectorIiiEEZZNS1_27merge_sort_block_merge_implIS3_N6thrust23THRUST_200600_302600_NS6detail15normal_iteratorINS8_10device_ptrIiEEEESD_jNS1_19radix_merge_compareILb0ELb1EiNS0_19identity_decomposerEEEEE10hipError_tT0_T1_T2_jT3_P12ihipStream_tbPNSt15iterator_traitsISI_E10value_typeEPNSO_ISJ_E10value_typeEPSK_NS1_7vsmem_tEENKUlT_SI_SJ_SK_E_clISD_PiSD_S10_EESH_SX_SI_SJ_SK_EUlSX_E1_NS1_11comp_targetILNS1_3genE10ELNS1_11target_archE1201ELNS1_3gpuE5ELNS1_3repE0EEENS1_36merge_oddeven_config_static_selectorELNS0_4arch9wavefront6targetE1EEEvSJ_,"axG",@progbits,_ZN7rocprim17ROCPRIM_400000_NS6detail17trampoline_kernelINS0_14default_configENS1_38merge_sort_block_merge_config_selectorIiiEEZZNS1_27merge_sort_block_merge_implIS3_N6thrust23THRUST_200600_302600_NS6detail15normal_iteratorINS8_10device_ptrIiEEEESD_jNS1_19radix_merge_compareILb0ELb1EiNS0_19identity_decomposerEEEEE10hipError_tT0_T1_T2_jT3_P12ihipStream_tbPNSt15iterator_traitsISI_E10value_typeEPNSO_ISJ_E10value_typeEPSK_NS1_7vsmem_tEENKUlT_SI_SJ_SK_E_clISD_PiSD_S10_EESH_SX_SI_SJ_SK_EUlSX_E1_NS1_11comp_targetILNS1_3genE10ELNS1_11target_archE1201ELNS1_3gpuE5ELNS1_3repE0EEENS1_36merge_oddeven_config_static_selectorELNS0_4arch9wavefront6targetE1EEEvSJ_,comdat
.Lfunc_end797:
	.size	_ZN7rocprim17ROCPRIM_400000_NS6detail17trampoline_kernelINS0_14default_configENS1_38merge_sort_block_merge_config_selectorIiiEEZZNS1_27merge_sort_block_merge_implIS3_N6thrust23THRUST_200600_302600_NS6detail15normal_iteratorINS8_10device_ptrIiEEEESD_jNS1_19radix_merge_compareILb0ELb1EiNS0_19identity_decomposerEEEEE10hipError_tT0_T1_T2_jT3_P12ihipStream_tbPNSt15iterator_traitsISI_E10value_typeEPNSO_ISJ_E10value_typeEPSK_NS1_7vsmem_tEENKUlT_SI_SJ_SK_E_clISD_PiSD_S10_EESH_SX_SI_SJ_SK_EUlSX_E1_NS1_11comp_targetILNS1_3genE10ELNS1_11target_archE1201ELNS1_3gpuE5ELNS1_3repE0EEENS1_36merge_oddeven_config_static_selectorELNS0_4arch9wavefront6targetE1EEEvSJ_, .Lfunc_end797-_ZN7rocprim17ROCPRIM_400000_NS6detail17trampoline_kernelINS0_14default_configENS1_38merge_sort_block_merge_config_selectorIiiEEZZNS1_27merge_sort_block_merge_implIS3_N6thrust23THRUST_200600_302600_NS6detail15normal_iteratorINS8_10device_ptrIiEEEESD_jNS1_19radix_merge_compareILb0ELb1EiNS0_19identity_decomposerEEEEE10hipError_tT0_T1_T2_jT3_P12ihipStream_tbPNSt15iterator_traitsISI_E10value_typeEPNSO_ISJ_E10value_typeEPSK_NS1_7vsmem_tEENKUlT_SI_SJ_SK_E_clISD_PiSD_S10_EESH_SX_SI_SJ_SK_EUlSX_E1_NS1_11comp_targetILNS1_3genE10ELNS1_11target_archE1201ELNS1_3gpuE5ELNS1_3repE0EEENS1_36merge_oddeven_config_static_selectorELNS0_4arch9wavefront6targetE1EEEvSJ_
                                        ; -- End function
	.set _ZN7rocprim17ROCPRIM_400000_NS6detail17trampoline_kernelINS0_14default_configENS1_38merge_sort_block_merge_config_selectorIiiEEZZNS1_27merge_sort_block_merge_implIS3_N6thrust23THRUST_200600_302600_NS6detail15normal_iteratorINS8_10device_ptrIiEEEESD_jNS1_19radix_merge_compareILb0ELb1EiNS0_19identity_decomposerEEEEE10hipError_tT0_T1_T2_jT3_P12ihipStream_tbPNSt15iterator_traitsISI_E10value_typeEPNSO_ISJ_E10value_typeEPSK_NS1_7vsmem_tEENKUlT_SI_SJ_SK_E_clISD_PiSD_S10_EESH_SX_SI_SJ_SK_EUlSX_E1_NS1_11comp_targetILNS1_3genE10ELNS1_11target_archE1201ELNS1_3gpuE5ELNS1_3repE0EEENS1_36merge_oddeven_config_static_selectorELNS0_4arch9wavefront6targetE1EEEvSJ_.num_vgpr, 0
	.set _ZN7rocprim17ROCPRIM_400000_NS6detail17trampoline_kernelINS0_14default_configENS1_38merge_sort_block_merge_config_selectorIiiEEZZNS1_27merge_sort_block_merge_implIS3_N6thrust23THRUST_200600_302600_NS6detail15normal_iteratorINS8_10device_ptrIiEEEESD_jNS1_19radix_merge_compareILb0ELb1EiNS0_19identity_decomposerEEEEE10hipError_tT0_T1_T2_jT3_P12ihipStream_tbPNSt15iterator_traitsISI_E10value_typeEPNSO_ISJ_E10value_typeEPSK_NS1_7vsmem_tEENKUlT_SI_SJ_SK_E_clISD_PiSD_S10_EESH_SX_SI_SJ_SK_EUlSX_E1_NS1_11comp_targetILNS1_3genE10ELNS1_11target_archE1201ELNS1_3gpuE5ELNS1_3repE0EEENS1_36merge_oddeven_config_static_selectorELNS0_4arch9wavefront6targetE1EEEvSJ_.num_agpr, 0
	.set _ZN7rocprim17ROCPRIM_400000_NS6detail17trampoline_kernelINS0_14default_configENS1_38merge_sort_block_merge_config_selectorIiiEEZZNS1_27merge_sort_block_merge_implIS3_N6thrust23THRUST_200600_302600_NS6detail15normal_iteratorINS8_10device_ptrIiEEEESD_jNS1_19radix_merge_compareILb0ELb1EiNS0_19identity_decomposerEEEEE10hipError_tT0_T1_T2_jT3_P12ihipStream_tbPNSt15iterator_traitsISI_E10value_typeEPNSO_ISJ_E10value_typeEPSK_NS1_7vsmem_tEENKUlT_SI_SJ_SK_E_clISD_PiSD_S10_EESH_SX_SI_SJ_SK_EUlSX_E1_NS1_11comp_targetILNS1_3genE10ELNS1_11target_archE1201ELNS1_3gpuE5ELNS1_3repE0EEENS1_36merge_oddeven_config_static_selectorELNS0_4arch9wavefront6targetE1EEEvSJ_.numbered_sgpr, 0
	.set _ZN7rocprim17ROCPRIM_400000_NS6detail17trampoline_kernelINS0_14default_configENS1_38merge_sort_block_merge_config_selectorIiiEEZZNS1_27merge_sort_block_merge_implIS3_N6thrust23THRUST_200600_302600_NS6detail15normal_iteratorINS8_10device_ptrIiEEEESD_jNS1_19radix_merge_compareILb0ELb1EiNS0_19identity_decomposerEEEEE10hipError_tT0_T1_T2_jT3_P12ihipStream_tbPNSt15iterator_traitsISI_E10value_typeEPNSO_ISJ_E10value_typeEPSK_NS1_7vsmem_tEENKUlT_SI_SJ_SK_E_clISD_PiSD_S10_EESH_SX_SI_SJ_SK_EUlSX_E1_NS1_11comp_targetILNS1_3genE10ELNS1_11target_archE1201ELNS1_3gpuE5ELNS1_3repE0EEENS1_36merge_oddeven_config_static_selectorELNS0_4arch9wavefront6targetE1EEEvSJ_.num_named_barrier, 0
	.set _ZN7rocprim17ROCPRIM_400000_NS6detail17trampoline_kernelINS0_14default_configENS1_38merge_sort_block_merge_config_selectorIiiEEZZNS1_27merge_sort_block_merge_implIS3_N6thrust23THRUST_200600_302600_NS6detail15normal_iteratorINS8_10device_ptrIiEEEESD_jNS1_19radix_merge_compareILb0ELb1EiNS0_19identity_decomposerEEEEE10hipError_tT0_T1_T2_jT3_P12ihipStream_tbPNSt15iterator_traitsISI_E10value_typeEPNSO_ISJ_E10value_typeEPSK_NS1_7vsmem_tEENKUlT_SI_SJ_SK_E_clISD_PiSD_S10_EESH_SX_SI_SJ_SK_EUlSX_E1_NS1_11comp_targetILNS1_3genE10ELNS1_11target_archE1201ELNS1_3gpuE5ELNS1_3repE0EEENS1_36merge_oddeven_config_static_selectorELNS0_4arch9wavefront6targetE1EEEvSJ_.private_seg_size, 0
	.set _ZN7rocprim17ROCPRIM_400000_NS6detail17trampoline_kernelINS0_14default_configENS1_38merge_sort_block_merge_config_selectorIiiEEZZNS1_27merge_sort_block_merge_implIS3_N6thrust23THRUST_200600_302600_NS6detail15normal_iteratorINS8_10device_ptrIiEEEESD_jNS1_19radix_merge_compareILb0ELb1EiNS0_19identity_decomposerEEEEE10hipError_tT0_T1_T2_jT3_P12ihipStream_tbPNSt15iterator_traitsISI_E10value_typeEPNSO_ISJ_E10value_typeEPSK_NS1_7vsmem_tEENKUlT_SI_SJ_SK_E_clISD_PiSD_S10_EESH_SX_SI_SJ_SK_EUlSX_E1_NS1_11comp_targetILNS1_3genE10ELNS1_11target_archE1201ELNS1_3gpuE5ELNS1_3repE0EEENS1_36merge_oddeven_config_static_selectorELNS0_4arch9wavefront6targetE1EEEvSJ_.uses_vcc, 0
	.set _ZN7rocprim17ROCPRIM_400000_NS6detail17trampoline_kernelINS0_14default_configENS1_38merge_sort_block_merge_config_selectorIiiEEZZNS1_27merge_sort_block_merge_implIS3_N6thrust23THRUST_200600_302600_NS6detail15normal_iteratorINS8_10device_ptrIiEEEESD_jNS1_19radix_merge_compareILb0ELb1EiNS0_19identity_decomposerEEEEE10hipError_tT0_T1_T2_jT3_P12ihipStream_tbPNSt15iterator_traitsISI_E10value_typeEPNSO_ISJ_E10value_typeEPSK_NS1_7vsmem_tEENKUlT_SI_SJ_SK_E_clISD_PiSD_S10_EESH_SX_SI_SJ_SK_EUlSX_E1_NS1_11comp_targetILNS1_3genE10ELNS1_11target_archE1201ELNS1_3gpuE5ELNS1_3repE0EEENS1_36merge_oddeven_config_static_selectorELNS0_4arch9wavefront6targetE1EEEvSJ_.uses_flat_scratch, 0
	.set _ZN7rocprim17ROCPRIM_400000_NS6detail17trampoline_kernelINS0_14default_configENS1_38merge_sort_block_merge_config_selectorIiiEEZZNS1_27merge_sort_block_merge_implIS3_N6thrust23THRUST_200600_302600_NS6detail15normal_iteratorINS8_10device_ptrIiEEEESD_jNS1_19radix_merge_compareILb0ELb1EiNS0_19identity_decomposerEEEEE10hipError_tT0_T1_T2_jT3_P12ihipStream_tbPNSt15iterator_traitsISI_E10value_typeEPNSO_ISJ_E10value_typeEPSK_NS1_7vsmem_tEENKUlT_SI_SJ_SK_E_clISD_PiSD_S10_EESH_SX_SI_SJ_SK_EUlSX_E1_NS1_11comp_targetILNS1_3genE10ELNS1_11target_archE1201ELNS1_3gpuE5ELNS1_3repE0EEENS1_36merge_oddeven_config_static_selectorELNS0_4arch9wavefront6targetE1EEEvSJ_.has_dyn_sized_stack, 0
	.set _ZN7rocprim17ROCPRIM_400000_NS6detail17trampoline_kernelINS0_14default_configENS1_38merge_sort_block_merge_config_selectorIiiEEZZNS1_27merge_sort_block_merge_implIS3_N6thrust23THRUST_200600_302600_NS6detail15normal_iteratorINS8_10device_ptrIiEEEESD_jNS1_19radix_merge_compareILb0ELb1EiNS0_19identity_decomposerEEEEE10hipError_tT0_T1_T2_jT3_P12ihipStream_tbPNSt15iterator_traitsISI_E10value_typeEPNSO_ISJ_E10value_typeEPSK_NS1_7vsmem_tEENKUlT_SI_SJ_SK_E_clISD_PiSD_S10_EESH_SX_SI_SJ_SK_EUlSX_E1_NS1_11comp_targetILNS1_3genE10ELNS1_11target_archE1201ELNS1_3gpuE5ELNS1_3repE0EEENS1_36merge_oddeven_config_static_selectorELNS0_4arch9wavefront6targetE1EEEvSJ_.has_recursion, 0
	.set _ZN7rocprim17ROCPRIM_400000_NS6detail17trampoline_kernelINS0_14default_configENS1_38merge_sort_block_merge_config_selectorIiiEEZZNS1_27merge_sort_block_merge_implIS3_N6thrust23THRUST_200600_302600_NS6detail15normal_iteratorINS8_10device_ptrIiEEEESD_jNS1_19radix_merge_compareILb0ELb1EiNS0_19identity_decomposerEEEEE10hipError_tT0_T1_T2_jT3_P12ihipStream_tbPNSt15iterator_traitsISI_E10value_typeEPNSO_ISJ_E10value_typeEPSK_NS1_7vsmem_tEENKUlT_SI_SJ_SK_E_clISD_PiSD_S10_EESH_SX_SI_SJ_SK_EUlSX_E1_NS1_11comp_targetILNS1_3genE10ELNS1_11target_archE1201ELNS1_3gpuE5ELNS1_3repE0EEENS1_36merge_oddeven_config_static_selectorELNS0_4arch9wavefront6targetE1EEEvSJ_.has_indirect_call, 0
	.section	.AMDGPU.csdata,"",@progbits
; Kernel info:
; codeLenInByte = 0
; TotalNumSgprs: 6
; NumVgprs: 0
; NumAgprs: 0
; TotalNumVgprs: 0
; ScratchSize: 0
; MemoryBound: 0
; FloatMode: 240
; IeeeMode: 1
; LDSByteSize: 0 bytes/workgroup (compile time only)
; SGPRBlocks: 0
; VGPRBlocks: 0
; NumSGPRsForWavesPerEU: 6
; NumVGPRsForWavesPerEU: 1
; AccumOffset: 4
; Occupancy: 8
; WaveLimiterHint : 0
; COMPUTE_PGM_RSRC2:SCRATCH_EN: 0
; COMPUTE_PGM_RSRC2:USER_SGPR: 2
; COMPUTE_PGM_RSRC2:TRAP_HANDLER: 0
; COMPUTE_PGM_RSRC2:TGID_X_EN: 1
; COMPUTE_PGM_RSRC2:TGID_Y_EN: 0
; COMPUTE_PGM_RSRC2:TGID_Z_EN: 0
; COMPUTE_PGM_RSRC2:TIDIG_COMP_CNT: 0
; COMPUTE_PGM_RSRC3_GFX90A:ACCUM_OFFSET: 0
; COMPUTE_PGM_RSRC3_GFX90A:TG_SPLIT: 0
	.section	.text._ZN7rocprim17ROCPRIM_400000_NS6detail17trampoline_kernelINS0_14default_configENS1_38merge_sort_block_merge_config_selectorIiiEEZZNS1_27merge_sort_block_merge_implIS3_N6thrust23THRUST_200600_302600_NS6detail15normal_iteratorINS8_10device_ptrIiEEEESD_jNS1_19radix_merge_compareILb0ELb1EiNS0_19identity_decomposerEEEEE10hipError_tT0_T1_T2_jT3_P12ihipStream_tbPNSt15iterator_traitsISI_E10value_typeEPNSO_ISJ_E10value_typeEPSK_NS1_7vsmem_tEENKUlT_SI_SJ_SK_E_clISD_PiSD_S10_EESH_SX_SI_SJ_SK_EUlSX_E1_NS1_11comp_targetILNS1_3genE5ELNS1_11target_archE942ELNS1_3gpuE9ELNS1_3repE0EEENS1_36merge_oddeven_config_static_selectorELNS0_4arch9wavefront6targetE1EEEvSJ_,"axG",@progbits,_ZN7rocprim17ROCPRIM_400000_NS6detail17trampoline_kernelINS0_14default_configENS1_38merge_sort_block_merge_config_selectorIiiEEZZNS1_27merge_sort_block_merge_implIS3_N6thrust23THRUST_200600_302600_NS6detail15normal_iteratorINS8_10device_ptrIiEEEESD_jNS1_19radix_merge_compareILb0ELb1EiNS0_19identity_decomposerEEEEE10hipError_tT0_T1_T2_jT3_P12ihipStream_tbPNSt15iterator_traitsISI_E10value_typeEPNSO_ISJ_E10value_typeEPSK_NS1_7vsmem_tEENKUlT_SI_SJ_SK_E_clISD_PiSD_S10_EESH_SX_SI_SJ_SK_EUlSX_E1_NS1_11comp_targetILNS1_3genE5ELNS1_11target_archE942ELNS1_3gpuE9ELNS1_3repE0EEENS1_36merge_oddeven_config_static_selectorELNS0_4arch9wavefront6targetE1EEEvSJ_,comdat
	.protected	_ZN7rocprim17ROCPRIM_400000_NS6detail17trampoline_kernelINS0_14default_configENS1_38merge_sort_block_merge_config_selectorIiiEEZZNS1_27merge_sort_block_merge_implIS3_N6thrust23THRUST_200600_302600_NS6detail15normal_iteratorINS8_10device_ptrIiEEEESD_jNS1_19radix_merge_compareILb0ELb1EiNS0_19identity_decomposerEEEEE10hipError_tT0_T1_T2_jT3_P12ihipStream_tbPNSt15iterator_traitsISI_E10value_typeEPNSO_ISJ_E10value_typeEPSK_NS1_7vsmem_tEENKUlT_SI_SJ_SK_E_clISD_PiSD_S10_EESH_SX_SI_SJ_SK_EUlSX_E1_NS1_11comp_targetILNS1_3genE5ELNS1_11target_archE942ELNS1_3gpuE9ELNS1_3repE0EEENS1_36merge_oddeven_config_static_selectorELNS0_4arch9wavefront6targetE1EEEvSJ_ ; -- Begin function _ZN7rocprim17ROCPRIM_400000_NS6detail17trampoline_kernelINS0_14default_configENS1_38merge_sort_block_merge_config_selectorIiiEEZZNS1_27merge_sort_block_merge_implIS3_N6thrust23THRUST_200600_302600_NS6detail15normal_iteratorINS8_10device_ptrIiEEEESD_jNS1_19radix_merge_compareILb0ELb1EiNS0_19identity_decomposerEEEEE10hipError_tT0_T1_T2_jT3_P12ihipStream_tbPNSt15iterator_traitsISI_E10value_typeEPNSO_ISJ_E10value_typeEPSK_NS1_7vsmem_tEENKUlT_SI_SJ_SK_E_clISD_PiSD_S10_EESH_SX_SI_SJ_SK_EUlSX_E1_NS1_11comp_targetILNS1_3genE5ELNS1_11target_archE942ELNS1_3gpuE9ELNS1_3repE0EEENS1_36merge_oddeven_config_static_selectorELNS0_4arch9wavefront6targetE1EEEvSJ_
	.globl	_ZN7rocprim17ROCPRIM_400000_NS6detail17trampoline_kernelINS0_14default_configENS1_38merge_sort_block_merge_config_selectorIiiEEZZNS1_27merge_sort_block_merge_implIS3_N6thrust23THRUST_200600_302600_NS6detail15normal_iteratorINS8_10device_ptrIiEEEESD_jNS1_19radix_merge_compareILb0ELb1EiNS0_19identity_decomposerEEEEE10hipError_tT0_T1_T2_jT3_P12ihipStream_tbPNSt15iterator_traitsISI_E10value_typeEPNSO_ISJ_E10value_typeEPSK_NS1_7vsmem_tEENKUlT_SI_SJ_SK_E_clISD_PiSD_S10_EESH_SX_SI_SJ_SK_EUlSX_E1_NS1_11comp_targetILNS1_3genE5ELNS1_11target_archE942ELNS1_3gpuE9ELNS1_3repE0EEENS1_36merge_oddeven_config_static_selectorELNS0_4arch9wavefront6targetE1EEEvSJ_
	.p2align	8
	.type	_ZN7rocprim17ROCPRIM_400000_NS6detail17trampoline_kernelINS0_14default_configENS1_38merge_sort_block_merge_config_selectorIiiEEZZNS1_27merge_sort_block_merge_implIS3_N6thrust23THRUST_200600_302600_NS6detail15normal_iteratorINS8_10device_ptrIiEEEESD_jNS1_19radix_merge_compareILb0ELb1EiNS0_19identity_decomposerEEEEE10hipError_tT0_T1_T2_jT3_P12ihipStream_tbPNSt15iterator_traitsISI_E10value_typeEPNSO_ISJ_E10value_typeEPSK_NS1_7vsmem_tEENKUlT_SI_SJ_SK_E_clISD_PiSD_S10_EESH_SX_SI_SJ_SK_EUlSX_E1_NS1_11comp_targetILNS1_3genE5ELNS1_11target_archE942ELNS1_3gpuE9ELNS1_3repE0EEENS1_36merge_oddeven_config_static_selectorELNS0_4arch9wavefront6targetE1EEEvSJ_,@function
_ZN7rocprim17ROCPRIM_400000_NS6detail17trampoline_kernelINS0_14default_configENS1_38merge_sort_block_merge_config_selectorIiiEEZZNS1_27merge_sort_block_merge_implIS3_N6thrust23THRUST_200600_302600_NS6detail15normal_iteratorINS8_10device_ptrIiEEEESD_jNS1_19radix_merge_compareILb0ELb1EiNS0_19identity_decomposerEEEEE10hipError_tT0_T1_T2_jT3_P12ihipStream_tbPNSt15iterator_traitsISI_E10value_typeEPNSO_ISJ_E10value_typeEPSK_NS1_7vsmem_tEENKUlT_SI_SJ_SK_E_clISD_PiSD_S10_EESH_SX_SI_SJ_SK_EUlSX_E1_NS1_11comp_targetILNS1_3genE5ELNS1_11target_archE942ELNS1_3gpuE9ELNS1_3repE0EEENS1_36merge_oddeven_config_static_selectorELNS0_4arch9wavefront6targetE1EEEvSJ_: ; @_ZN7rocprim17ROCPRIM_400000_NS6detail17trampoline_kernelINS0_14default_configENS1_38merge_sort_block_merge_config_selectorIiiEEZZNS1_27merge_sort_block_merge_implIS3_N6thrust23THRUST_200600_302600_NS6detail15normal_iteratorINS8_10device_ptrIiEEEESD_jNS1_19radix_merge_compareILb0ELb1EiNS0_19identity_decomposerEEEEE10hipError_tT0_T1_T2_jT3_P12ihipStream_tbPNSt15iterator_traitsISI_E10value_typeEPNSO_ISJ_E10value_typeEPSK_NS1_7vsmem_tEENKUlT_SI_SJ_SK_E_clISD_PiSD_S10_EESH_SX_SI_SJ_SK_EUlSX_E1_NS1_11comp_targetILNS1_3genE5ELNS1_11target_archE942ELNS1_3gpuE9ELNS1_3repE0EEENS1_36merge_oddeven_config_static_selectorELNS0_4arch9wavefront6targetE1EEEvSJ_
; %bb.0:
	.section	.rodata,"a",@progbits
	.p2align	6, 0x0
	.amdhsa_kernel _ZN7rocprim17ROCPRIM_400000_NS6detail17trampoline_kernelINS0_14default_configENS1_38merge_sort_block_merge_config_selectorIiiEEZZNS1_27merge_sort_block_merge_implIS3_N6thrust23THRUST_200600_302600_NS6detail15normal_iteratorINS8_10device_ptrIiEEEESD_jNS1_19radix_merge_compareILb0ELb1EiNS0_19identity_decomposerEEEEE10hipError_tT0_T1_T2_jT3_P12ihipStream_tbPNSt15iterator_traitsISI_E10value_typeEPNSO_ISJ_E10value_typeEPSK_NS1_7vsmem_tEENKUlT_SI_SJ_SK_E_clISD_PiSD_S10_EESH_SX_SI_SJ_SK_EUlSX_E1_NS1_11comp_targetILNS1_3genE5ELNS1_11target_archE942ELNS1_3gpuE9ELNS1_3repE0EEENS1_36merge_oddeven_config_static_selectorELNS0_4arch9wavefront6targetE1EEEvSJ_
		.amdhsa_group_segment_fixed_size 0
		.amdhsa_private_segment_fixed_size 0
		.amdhsa_kernarg_size 48
		.amdhsa_user_sgpr_count 2
		.amdhsa_user_sgpr_dispatch_ptr 0
		.amdhsa_user_sgpr_queue_ptr 0
		.amdhsa_user_sgpr_kernarg_segment_ptr 1
		.amdhsa_user_sgpr_dispatch_id 0
		.amdhsa_user_sgpr_kernarg_preload_length 0
		.amdhsa_user_sgpr_kernarg_preload_offset 0
		.amdhsa_user_sgpr_private_segment_size 0
		.amdhsa_uses_dynamic_stack 0
		.amdhsa_enable_private_segment 0
		.amdhsa_system_sgpr_workgroup_id_x 1
		.amdhsa_system_sgpr_workgroup_id_y 0
		.amdhsa_system_sgpr_workgroup_id_z 0
		.amdhsa_system_sgpr_workgroup_info 0
		.amdhsa_system_vgpr_workitem_id 0
		.amdhsa_next_free_vgpr 1
		.amdhsa_next_free_sgpr 0
		.amdhsa_accum_offset 4
		.amdhsa_reserve_vcc 0
		.amdhsa_float_round_mode_32 0
		.amdhsa_float_round_mode_16_64 0
		.amdhsa_float_denorm_mode_32 3
		.amdhsa_float_denorm_mode_16_64 3
		.amdhsa_dx10_clamp 1
		.amdhsa_ieee_mode 1
		.amdhsa_fp16_overflow 0
		.amdhsa_tg_split 0
		.amdhsa_exception_fp_ieee_invalid_op 0
		.amdhsa_exception_fp_denorm_src 0
		.amdhsa_exception_fp_ieee_div_zero 0
		.amdhsa_exception_fp_ieee_overflow 0
		.amdhsa_exception_fp_ieee_underflow 0
		.amdhsa_exception_fp_ieee_inexact 0
		.amdhsa_exception_int_div_zero 0
	.end_amdhsa_kernel
	.section	.text._ZN7rocprim17ROCPRIM_400000_NS6detail17trampoline_kernelINS0_14default_configENS1_38merge_sort_block_merge_config_selectorIiiEEZZNS1_27merge_sort_block_merge_implIS3_N6thrust23THRUST_200600_302600_NS6detail15normal_iteratorINS8_10device_ptrIiEEEESD_jNS1_19radix_merge_compareILb0ELb1EiNS0_19identity_decomposerEEEEE10hipError_tT0_T1_T2_jT3_P12ihipStream_tbPNSt15iterator_traitsISI_E10value_typeEPNSO_ISJ_E10value_typeEPSK_NS1_7vsmem_tEENKUlT_SI_SJ_SK_E_clISD_PiSD_S10_EESH_SX_SI_SJ_SK_EUlSX_E1_NS1_11comp_targetILNS1_3genE5ELNS1_11target_archE942ELNS1_3gpuE9ELNS1_3repE0EEENS1_36merge_oddeven_config_static_selectorELNS0_4arch9wavefront6targetE1EEEvSJ_,"axG",@progbits,_ZN7rocprim17ROCPRIM_400000_NS6detail17trampoline_kernelINS0_14default_configENS1_38merge_sort_block_merge_config_selectorIiiEEZZNS1_27merge_sort_block_merge_implIS3_N6thrust23THRUST_200600_302600_NS6detail15normal_iteratorINS8_10device_ptrIiEEEESD_jNS1_19radix_merge_compareILb0ELb1EiNS0_19identity_decomposerEEEEE10hipError_tT0_T1_T2_jT3_P12ihipStream_tbPNSt15iterator_traitsISI_E10value_typeEPNSO_ISJ_E10value_typeEPSK_NS1_7vsmem_tEENKUlT_SI_SJ_SK_E_clISD_PiSD_S10_EESH_SX_SI_SJ_SK_EUlSX_E1_NS1_11comp_targetILNS1_3genE5ELNS1_11target_archE942ELNS1_3gpuE9ELNS1_3repE0EEENS1_36merge_oddeven_config_static_selectorELNS0_4arch9wavefront6targetE1EEEvSJ_,comdat
.Lfunc_end798:
	.size	_ZN7rocprim17ROCPRIM_400000_NS6detail17trampoline_kernelINS0_14default_configENS1_38merge_sort_block_merge_config_selectorIiiEEZZNS1_27merge_sort_block_merge_implIS3_N6thrust23THRUST_200600_302600_NS6detail15normal_iteratorINS8_10device_ptrIiEEEESD_jNS1_19radix_merge_compareILb0ELb1EiNS0_19identity_decomposerEEEEE10hipError_tT0_T1_T2_jT3_P12ihipStream_tbPNSt15iterator_traitsISI_E10value_typeEPNSO_ISJ_E10value_typeEPSK_NS1_7vsmem_tEENKUlT_SI_SJ_SK_E_clISD_PiSD_S10_EESH_SX_SI_SJ_SK_EUlSX_E1_NS1_11comp_targetILNS1_3genE5ELNS1_11target_archE942ELNS1_3gpuE9ELNS1_3repE0EEENS1_36merge_oddeven_config_static_selectorELNS0_4arch9wavefront6targetE1EEEvSJ_, .Lfunc_end798-_ZN7rocprim17ROCPRIM_400000_NS6detail17trampoline_kernelINS0_14default_configENS1_38merge_sort_block_merge_config_selectorIiiEEZZNS1_27merge_sort_block_merge_implIS3_N6thrust23THRUST_200600_302600_NS6detail15normal_iteratorINS8_10device_ptrIiEEEESD_jNS1_19radix_merge_compareILb0ELb1EiNS0_19identity_decomposerEEEEE10hipError_tT0_T1_T2_jT3_P12ihipStream_tbPNSt15iterator_traitsISI_E10value_typeEPNSO_ISJ_E10value_typeEPSK_NS1_7vsmem_tEENKUlT_SI_SJ_SK_E_clISD_PiSD_S10_EESH_SX_SI_SJ_SK_EUlSX_E1_NS1_11comp_targetILNS1_3genE5ELNS1_11target_archE942ELNS1_3gpuE9ELNS1_3repE0EEENS1_36merge_oddeven_config_static_selectorELNS0_4arch9wavefront6targetE1EEEvSJ_
                                        ; -- End function
	.set _ZN7rocprim17ROCPRIM_400000_NS6detail17trampoline_kernelINS0_14default_configENS1_38merge_sort_block_merge_config_selectorIiiEEZZNS1_27merge_sort_block_merge_implIS3_N6thrust23THRUST_200600_302600_NS6detail15normal_iteratorINS8_10device_ptrIiEEEESD_jNS1_19radix_merge_compareILb0ELb1EiNS0_19identity_decomposerEEEEE10hipError_tT0_T1_T2_jT3_P12ihipStream_tbPNSt15iterator_traitsISI_E10value_typeEPNSO_ISJ_E10value_typeEPSK_NS1_7vsmem_tEENKUlT_SI_SJ_SK_E_clISD_PiSD_S10_EESH_SX_SI_SJ_SK_EUlSX_E1_NS1_11comp_targetILNS1_3genE5ELNS1_11target_archE942ELNS1_3gpuE9ELNS1_3repE0EEENS1_36merge_oddeven_config_static_selectorELNS0_4arch9wavefront6targetE1EEEvSJ_.num_vgpr, 0
	.set _ZN7rocprim17ROCPRIM_400000_NS6detail17trampoline_kernelINS0_14default_configENS1_38merge_sort_block_merge_config_selectorIiiEEZZNS1_27merge_sort_block_merge_implIS3_N6thrust23THRUST_200600_302600_NS6detail15normal_iteratorINS8_10device_ptrIiEEEESD_jNS1_19radix_merge_compareILb0ELb1EiNS0_19identity_decomposerEEEEE10hipError_tT0_T1_T2_jT3_P12ihipStream_tbPNSt15iterator_traitsISI_E10value_typeEPNSO_ISJ_E10value_typeEPSK_NS1_7vsmem_tEENKUlT_SI_SJ_SK_E_clISD_PiSD_S10_EESH_SX_SI_SJ_SK_EUlSX_E1_NS1_11comp_targetILNS1_3genE5ELNS1_11target_archE942ELNS1_3gpuE9ELNS1_3repE0EEENS1_36merge_oddeven_config_static_selectorELNS0_4arch9wavefront6targetE1EEEvSJ_.num_agpr, 0
	.set _ZN7rocprim17ROCPRIM_400000_NS6detail17trampoline_kernelINS0_14default_configENS1_38merge_sort_block_merge_config_selectorIiiEEZZNS1_27merge_sort_block_merge_implIS3_N6thrust23THRUST_200600_302600_NS6detail15normal_iteratorINS8_10device_ptrIiEEEESD_jNS1_19radix_merge_compareILb0ELb1EiNS0_19identity_decomposerEEEEE10hipError_tT0_T1_T2_jT3_P12ihipStream_tbPNSt15iterator_traitsISI_E10value_typeEPNSO_ISJ_E10value_typeEPSK_NS1_7vsmem_tEENKUlT_SI_SJ_SK_E_clISD_PiSD_S10_EESH_SX_SI_SJ_SK_EUlSX_E1_NS1_11comp_targetILNS1_3genE5ELNS1_11target_archE942ELNS1_3gpuE9ELNS1_3repE0EEENS1_36merge_oddeven_config_static_selectorELNS0_4arch9wavefront6targetE1EEEvSJ_.numbered_sgpr, 0
	.set _ZN7rocprim17ROCPRIM_400000_NS6detail17trampoline_kernelINS0_14default_configENS1_38merge_sort_block_merge_config_selectorIiiEEZZNS1_27merge_sort_block_merge_implIS3_N6thrust23THRUST_200600_302600_NS6detail15normal_iteratorINS8_10device_ptrIiEEEESD_jNS1_19radix_merge_compareILb0ELb1EiNS0_19identity_decomposerEEEEE10hipError_tT0_T1_T2_jT3_P12ihipStream_tbPNSt15iterator_traitsISI_E10value_typeEPNSO_ISJ_E10value_typeEPSK_NS1_7vsmem_tEENKUlT_SI_SJ_SK_E_clISD_PiSD_S10_EESH_SX_SI_SJ_SK_EUlSX_E1_NS1_11comp_targetILNS1_3genE5ELNS1_11target_archE942ELNS1_3gpuE9ELNS1_3repE0EEENS1_36merge_oddeven_config_static_selectorELNS0_4arch9wavefront6targetE1EEEvSJ_.num_named_barrier, 0
	.set _ZN7rocprim17ROCPRIM_400000_NS6detail17trampoline_kernelINS0_14default_configENS1_38merge_sort_block_merge_config_selectorIiiEEZZNS1_27merge_sort_block_merge_implIS3_N6thrust23THRUST_200600_302600_NS6detail15normal_iteratorINS8_10device_ptrIiEEEESD_jNS1_19radix_merge_compareILb0ELb1EiNS0_19identity_decomposerEEEEE10hipError_tT0_T1_T2_jT3_P12ihipStream_tbPNSt15iterator_traitsISI_E10value_typeEPNSO_ISJ_E10value_typeEPSK_NS1_7vsmem_tEENKUlT_SI_SJ_SK_E_clISD_PiSD_S10_EESH_SX_SI_SJ_SK_EUlSX_E1_NS1_11comp_targetILNS1_3genE5ELNS1_11target_archE942ELNS1_3gpuE9ELNS1_3repE0EEENS1_36merge_oddeven_config_static_selectorELNS0_4arch9wavefront6targetE1EEEvSJ_.private_seg_size, 0
	.set _ZN7rocprim17ROCPRIM_400000_NS6detail17trampoline_kernelINS0_14default_configENS1_38merge_sort_block_merge_config_selectorIiiEEZZNS1_27merge_sort_block_merge_implIS3_N6thrust23THRUST_200600_302600_NS6detail15normal_iteratorINS8_10device_ptrIiEEEESD_jNS1_19radix_merge_compareILb0ELb1EiNS0_19identity_decomposerEEEEE10hipError_tT0_T1_T2_jT3_P12ihipStream_tbPNSt15iterator_traitsISI_E10value_typeEPNSO_ISJ_E10value_typeEPSK_NS1_7vsmem_tEENKUlT_SI_SJ_SK_E_clISD_PiSD_S10_EESH_SX_SI_SJ_SK_EUlSX_E1_NS1_11comp_targetILNS1_3genE5ELNS1_11target_archE942ELNS1_3gpuE9ELNS1_3repE0EEENS1_36merge_oddeven_config_static_selectorELNS0_4arch9wavefront6targetE1EEEvSJ_.uses_vcc, 0
	.set _ZN7rocprim17ROCPRIM_400000_NS6detail17trampoline_kernelINS0_14default_configENS1_38merge_sort_block_merge_config_selectorIiiEEZZNS1_27merge_sort_block_merge_implIS3_N6thrust23THRUST_200600_302600_NS6detail15normal_iteratorINS8_10device_ptrIiEEEESD_jNS1_19radix_merge_compareILb0ELb1EiNS0_19identity_decomposerEEEEE10hipError_tT0_T1_T2_jT3_P12ihipStream_tbPNSt15iterator_traitsISI_E10value_typeEPNSO_ISJ_E10value_typeEPSK_NS1_7vsmem_tEENKUlT_SI_SJ_SK_E_clISD_PiSD_S10_EESH_SX_SI_SJ_SK_EUlSX_E1_NS1_11comp_targetILNS1_3genE5ELNS1_11target_archE942ELNS1_3gpuE9ELNS1_3repE0EEENS1_36merge_oddeven_config_static_selectorELNS0_4arch9wavefront6targetE1EEEvSJ_.uses_flat_scratch, 0
	.set _ZN7rocprim17ROCPRIM_400000_NS6detail17trampoline_kernelINS0_14default_configENS1_38merge_sort_block_merge_config_selectorIiiEEZZNS1_27merge_sort_block_merge_implIS3_N6thrust23THRUST_200600_302600_NS6detail15normal_iteratorINS8_10device_ptrIiEEEESD_jNS1_19radix_merge_compareILb0ELb1EiNS0_19identity_decomposerEEEEE10hipError_tT0_T1_T2_jT3_P12ihipStream_tbPNSt15iterator_traitsISI_E10value_typeEPNSO_ISJ_E10value_typeEPSK_NS1_7vsmem_tEENKUlT_SI_SJ_SK_E_clISD_PiSD_S10_EESH_SX_SI_SJ_SK_EUlSX_E1_NS1_11comp_targetILNS1_3genE5ELNS1_11target_archE942ELNS1_3gpuE9ELNS1_3repE0EEENS1_36merge_oddeven_config_static_selectorELNS0_4arch9wavefront6targetE1EEEvSJ_.has_dyn_sized_stack, 0
	.set _ZN7rocprim17ROCPRIM_400000_NS6detail17trampoline_kernelINS0_14default_configENS1_38merge_sort_block_merge_config_selectorIiiEEZZNS1_27merge_sort_block_merge_implIS3_N6thrust23THRUST_200600_302600_NS6detail15normal_iteratorINS8_10device_ptrIiEEEESD_jNS1_19radix_merge_compareILb0ELb1EiNS0_19identity_decomposerEEEEE10hipError_tT0_T1_T2_jT3_P12ihipStream_tbPNSt15iterator_traitsISI_E10value_typeEPNSO_ISJ_E10value_typeEPSK_NS1_7vsmem_tEENKUlT_SI_SJ_SK_E_clISD_PiSD_S10_EESH_SX_SI_SJ_SK_EUlSX_E1_NS1_11comp_targetILNS1_3genE5ELNS1_11target_archE942ELNS1_3gpuE9ELNS1_3repE0EEENS1_36merge_oddeven_config_static_selectorELNS0_4arch9wavefront6targetE1EEEvSJ_.has_recursion, 0
	.set _ZN7rocprim17ROCPRIM_400000_NS6detail17trampoline_kernelINS0_14default_configENS1_38merge_sort_block_merge_config_selectorIiiEEZZNS1_27merge_sort_block_merge_implIS3_N6thrust23THRUST_200600_302600_NS6detail15normal_iteratorINS8_10device_ptrIiEEEESD_jNS1_19radix_merge_compareILb0ELb1EiNS0_19identity_decomposerEEEEE10hipError_tT0_T1_T2_jT3_P12ihipStream_tbPNSt15iterator_traitsISI_E10value_typeEPNSO_ISJ_E10value_typeEPSK_NS1_7vsmem_tEENKUlT_SI_SJ_SK_E_clISD_PiSD_S10_EESH_SX_SI_SJ_SK_EUlSX_E1_NS1_11comp_targetILNS1_3genE5ELNS1_11target_archE942ELNS1_3gpuE9ELNS1_3repE0EEENS1_36merge_oddeven_config_static_selectorELNS0_4arch9wavefront6targetE1EEEvSJ_.has_indirect_call, 0
	.section	.AMDGPU.csdata,"",@progbits
; Kernel info:
; codeLenInByte = 0
; TotalNumSgprs: 6
; NumVgprs: 0
; NumAgprs: 0
; TotalNumVgprs: 0
; ScratchSize: 0
; MemoryBound: 0
; FloatMode: 240
; IeeeMode: 1
; LDSByteSize: 0 bytes/workgroup (compile time only)
; SGPRBlocks: 0
; VGPRBlocks: 0
; NumSGPRsForWavesPerEU: 6
; NumVGPRsForWavesPerEU: 1
; AccumOffset: 4
; Occupancy: 8
; WaveLimiterHint : 0
; COMPUTE_PGM_RSRC2:SCRATCH_EN: 0
; COMPUTE_PGM_RSRC2:USER_SGPR: 2
; COMPUTE_PGM_RSRC2:TRAP_HANDLER: 0
; COMPUTE_PGM_RSRC2:TGID_X_EN: 1
; COMPUTE_PGM_RSRC2:TGID_Y_EN: 0
; COMPUTE_PGM_RSRC2:TGID_Z_EN: 0
; COMPUTE_PGM_RSRC2:TIDIG_COMP_CNT: 0
; COMPUTE_PGM_RSRC3_GFX90A:ACCUM_OFFSET: 0
; COMPUTE_PGM_RSRC3_GFX90A:TG_SPLIT: 0
	.section	.text._ZN7rocprim17ROCPRIM_400000_NS6detail17trampoline_kernelINS0_14default_configENS1_38merge_sort_block_merge_config_selectorIiiEEZZNS1_27merge_sort_block_merge_implIS3_N6thrust23THRUST_200600_302600_NS6detail15normal_iteratorINS8_10device_ptrIiEEEESD_jNS1_19radix_merge_compareILb0ELb1EiNS0_19identity_decomposerEEEEE10hipError_tT0_T1_T2_jT3_P12ihipStream_tbPNSt15iterator_traitsISI_E10value_typeEPNSO_ISJ_E10value_typeEPSK_NS1_7vsmem_tEENKUlT_SI_SJ_SK_E_clISD_PiSD_S10_EESH_SX_SI_SJ_SK_EUlSX_E1_NS1_11comp_targetILNS1_3genE4ELNS1_11target_archE910ELNS1_3gpuE8ELNS1_3repE0EEENS1_36merge_oddeven_config_static_selectorELNS0_4arch9wavefront6targetE1EEEvSJ_,"axG",@progbits,_ZN7rocprim17ROCPRIM_400000_NS6detail17trampoline_kernelINS0_14default_configENS1_38merge_sort_block_merge_config_selectorIiiEEZZNS1_27merge_sort_block_merge_implIS3_N6thrust23THRUST_200600_302600_NS6detail15normal_iteratorINS8_10device_ptrIiEEEESD_jNS1_19radix_merge_compareILb0ELb1EiNS0_19identity_decomposerEEEEE10hipError_tT0_T1_T2_jT3_P12ihipStream_tbPNSt15iterator_traitsISI_E10value_typeEPNSO_ISJ_E10value_typeEPSK_NS1_7vsmem_tEENKUlT_SI_SJ_SK_E_clISD_PiSD_S10_EESH_SX_SI_SJ_SK_EUlSX_E1_NS1_11comp_targetILNS1_3genE4ELNS1_11target_archE910ELNS1_3gpuE8ELNS1_3repE0EEENS1_36merge_oddeven_config_static_selectorELNS0_4arch9wavefront6targetE1EEEvSJ_,comdat
	.protected	_ZN7rocprim17ROCPRIM_400000_NS6detail17trampoline_kernelINS0_14default_configENS1_38merge_sort_block_merge_config_selectorIiiEEZZNS1_27merge_sort_block_merge_implIS3_N6thrust23THRUST_200600_302600_NS6detail15normal_iteratorINS8_10device_ptrIiEEEESD_jNS1_19radix_merge_compareILb0ELb1EiNS0_19identity_decomposerEEEEE10hipError_tT0_T1_T2_jT3_P12ihipStream_tbPNSt15iterator_traitsISI_E10value_typeEPNSO_ISJ_E10value_typeEPSK_NS1_7vsmem_tEENKUlT_SI_SJ_SK_E_clISD_PiSD_S10_EESH_SX_SI_SJ_SK_EUlSX_E1_NS1_11comp_targetILNS1_3genE4ELNS1_11target_archE910ELNS1_3gpuE8ELNS1_3repE0EEENS1_36merge_oddeven_config_static_selectorELNS0_4arch9wavefront6targetE1EEEvSJ_ ; -- Begin function _ZN7rocprim17ROCPRIM_400000_NS6detail17trampoline_kernelINS0_14default_configENS1_38merge_sort_block_merge_config_selectorIiiEEZZNS1_27merge_sort_block_merge_implIS3_N6thrust23THRUST_200600_302600_NS6detail15normal_iteratorINS8_10device_ptrIiEEEESD_jNS1_19radix_merge_compareILb0ELb1EiNS0_19identity_decomposerEEEEE10hipError_tT0_T1_T2_jT3_P12ihipStream_tbPNSt15iterator_traitsISI_E10value_typeEPNSO_ISJ_E10value_typeEPSK_NS1_7vsmem_tEENKUlT_SI_SJ_SK_E_clISD_PiSD_S10_EESH_SX_SI_SJ_SK_EUlSX_E1_NS1_11comp_targetILNS1_3genE4ELNS1_11target_archE910ELNS1_3gpuE8ELNS1_3repE0EEENS1_36merge_oddeven_config_static_selectorELNS0_4arch9wavefront6targetE1EEEvSJ_
	.globl	_ZN7rocprim17ROCPRIM_400000_NS6detail17trampoline_kernelINS0_14default_configENS1_38merge_sort_block_merge_config_selectorIiiEEZZNS1_27merge_sort_block_merge_implIS3_N6thrust23THRUST_200600_302600_NS6detail15normal_iteratorINS8_10device_ptrIiEEEESD_jNS1_19radix_merge_compareILb0ELb1EiNS0_19identity_decomposerEEEEE10hipError_tT0_T1_T2_jT3_P12ihipStream_tbPNSt15iterator_traitsISI_E10value_typeEPNSO_ISJ_E10value_typeEPSK_NS1_7vsmem_tEENKUlT_SI_SJ_SK_E_clISD_PiSD_S10_EESH_SX_SI_SJ_SK_EUlSX_E1_NS1_11comp_targetILNS1_3genE4ELNS1_11target_archE910ELNS1_3gpuE8ELNS1_3repE0EEENS1_36merge_oddeven_config_static_selectorELNS0_4arch9wavefront6targetE1EEEvSJ_
	.p2align	8
	.type	_ZN7rocprim17ROCPRIM_400000_NS6detail17trampoline_kernelINS0_14default_configENS1_38merge_sort_block_merge_config_selectorIiiEEZZNS1_27merge_sort_block_merge_implIS3_N6thrust23THRUST_200600_302600_NS6detail15normal_iteratorINS8_10device_ptrIiEEEESD_jNS1_19radix_merge_compareILb0ELb1EiNS0_19identity_decomposerEEEEE10hipError_tT0_T1_T2_jT3_P12ihipStream_tbPNSt15iterator_traitsISI_E10value_typeEPNSO_ISJ_E10value_typeEPSK_NS1_7vsmem_tEENKUlT_SI_SJ_SK_E_clISD_PiSD_S10_EESH_SX_SI_SJ_SK_EUlSX_E1_NS1_11comp_targetILNS1_3genE4ELNS1_11target_archE910ELNS1_3gpuE8ELNS1_3repE0EEENS1_36merge_oddeven_config_static_selectorELNS0_4arch9wavefront6targetE1EEEvSJ_,@function
_ZN7rocprim17ROCPRIM_400000_NS6detail17trampoline_kernelINS0_14default_configENS1_38merge_sort_block_merge_config_selectorIiiEEZZNS1_27merge_sort_block_merge_implIS3_N6thrust23THRUST_200600_302600_NS6detail15normal_iteratorINS8_10device_ptrIiEEEESD_jNS1_19radix_merge_compareILb0ELb1EiNS0_19identity_decomposerEEEEE10hipError_tT0_T1_T2_jT3_P12ihipStream_tbPNSt15iterator_traitsISI_E10value_typeEPNSO_ISJ_E10value_typeEPSK_NS1_7vsmem_tEENKUlT_SI_SJ_SK_E_clISD_PiSD_S10_EESH_SX_SI_SJ_SK_EUlSX_E1_NS1_11comp_targetILNS1_3genE4ELNS1_11target_archE910ELNS1_3gpuE8ELNS1_3repE0EEENS1_36merge_oddeven_config_static_selectorELNS0_4arch9wavefront6targetE1EEEvSJ_: ; @_ZN7rocprim17ROCPRIM_400000_NS6detail17trampoline_kernelINS0_14default_configENS1_38merge_sort_block_merge_config_selectorIiiEEZZNS1_27merge_sort_block_merge_implIS3_N6thrust23THRUST_200600_302600_NS6detail15normal_iteratorINS8_10device_ptrIiEEEESD_jNS1_19radix_merge_compareILb0ELb1EiNS0_19identity_decomposerEEEEE10hipError_tT0_T1_T2_jT3_P12ihipStream_tbPNSt15iterator_traitsISI_E10value_typeEPNSO_ISJ_E10value_typeEPSK_NS1_7vsmem_tEENKUlT_SI_SJ_SK_E_clISD_PiSD_S10_EESH_SX_SI_SJ_SK_EUlSX_E1_NS1_11comp_targetILNS1_3genE4ELNS1_11target_archE910ELNS1_3gpuE8ELNS1_3repE0EEENS1_36merge_oddeven_config_static_selectorELNS0_4arch9wavefront6targetE1EEEvSJ_
; %bb.0:
	.section	.rodata,"a",@progbits
	.p2align	6, 0x0
	.amdhsa_kernel _ZN7rocprim17ROCPRIM_400000_NS6detail17trampoline_kernelINS0_14default_configENS1_38merge_sort_block_merge_config_selectorIiiEEZZNS1_27merge_sort_block_merge_implIS3_N6thrust23THRUST_200600_302600_NS6detail15normal_iteratorINS8_10device_ptrIiEEEESD_jNS1_19radix_merge_compareILb0ELb1EiNS0_19identity_decomposerEEEEE10hipError_tT0_T1_T2_jT3_P12ihipStream_tbPNSt15iterator_traitsISI_E10value_typeEPNSO_ISJ_E10value_typeEPSK_NS1_7vsmem_tEENKUlT_SI_SJ_SK_E_clISD_PiSD_S10_EESH_SX_SI_SJ_SK_EUlSX_E1_NS1_11comp_targetILNS1_3genE4ELNS1_11target_archE910ELNS1_3gpuE8ELNS1_3repE0EEENS1_36merge_oddeven_config_static_selectorELNS0_4arch9wavefront6targetE1EEEvSJ_
		.amdhsa_group_segment_fixed_size 0
		.amdhsa_private_segment_fixed_size 0
		.amdhsa_kernarg_size 48
		.amdhsa_user_sgpr_count 2
		.amdhsa_user_sgpr_dispatch_ptr 0
		.amdhsa_user_sgpr_queue_ptr 0
		.amdhsa_user_sgpr_kernarg_segment_ptr 1
		.amdhsa_user_sgpr_dispatch_id 0
		.amdhsa_user_sgpr_kernarg_preload_length 0
		.amdhsa_user_sgpr_kernarg_preload_offset 0
		.amdhsa_user_sgpr_private_segment_size 0
		.amdhsa_uses_dynamic_stack 0
		.amdhsa_enable_private_segment 0
		.amdhsa_system_sgpr_workgroup_id_x 1
		.amdhsa_system_sgpr_workgroup_id_y 0
		.amdhsa_system_sgpr_workgroup_id_z 0
		.amdhsa_system_sgpr_workgroup_info 0
		.amdhsa_system_vgpr_workitem_id 0
		.amdhsa_next_free_vgpr 1
		.amdhsa_next_free_sgpr 0
		.amdhsa_accum_offset 4
		.amdhsa_reserve_vcc 0
		.amdhsa_float_round_mode_32 0
		.amdhsa_float_round_mode_16_64 0
		.amdhsa_float_denorm_mode_32 3
		.amdhsa_float_denorm_mode_16_64 3
		.amdhsa_dx10_clamp 1
		.amdhsa_ieee_mode 1
		.amdhsa_fp16_overflow 0
		.amdhsa_tg_split 0
		.amdhsa_exception_fp_ieee_invalid_op 0
		.amdhsa_exception_fp_denorm_src 0
		.amdhsa_exception_fp_ieee_div_zero 0
		.amdhsa_exception_fp_ieee_overflow 0
		.amdhsa_exception_fp_ieee_underflow 0
		.amdhsa_exception_fp_ieee_inexact 0
		.amdhsa_exception_int_div_zero 0
	.end_amdhsa_kernel
	.section	.text._ZN7rocprim17ROCPRIM_400000_NS6detail17trampoline_kernelINS0_14default_configENS1_38merge_sort_block_merge_config_selectorIiiEEZZNS1_27merge_sort_block_merge_implIS3_N6thrust23THRUST_200600_302600_NS6detail15normal_iteratorINS8_10device_ptrIiEEEESD_jNS1_19radix_merge_compareILb0ELb1EiNS0_19identity_decomposerEEEEE10hipError_tT0_T1_T2_jT3_P12ihipStream_tbPNSt15iterator_traitsISI_E10value_typeEPNSO_ISJ_E10value_typeEPSK_NS1_7vsmem_tEENKUlT_SI_SJ_SK_E_clISD_PiSD_S10_EESH_SX_SI_SJ_SK_EUlSX_E1_NS1_11comp_targetILNS1_3genE4ELNS1_11target_archE910ELNS1_3gpuE8ELNS1_3repE0EEENS1_36merge_oddeven_config_static_selectorELNS0_4arch9wavefront6targetE1EEEvSJ_,"axG",@progbits,_ZN7rocprim17ROCPRIM_400000_NS6detail17trampoline_kernelINS0_14default_configENS1_38merge_sort_block_merge_config_selectorIiiEEZZNS1_27merge_sort_block_merge_implIS3_N6thrust23THRUST_200600_302600_NS6detail15normal_iteratorINS8_10device_ptrIiEEEESD_jNS1_19radix_merge_compareILb0ELb1EiNS0_19identity_decomposerEEEEE10hipError_tT0_T1_T2_jT3_P12ihipStream_tbPNSt15iterator_traitsISI_E10value_typeEPNSO_ISJ_E10value_typeEPSK_NS1_7vsmem_tEENKUlT_SI_SJ_SK_E_clISD_PiSD_S10_EESH_SX_SI_SJ_SK_EUlSX_E1_NS1_11comp_targetILNS1_3genE4ELNS1_11target_archE910ELNS1_3gpuE8ELNS1_3repE0EEENS1_36merge_oddeven_config_static_selectorELNS0_4arch9wavefront6targetE1EEEvSJ_,comdat
.Lfunc_end799:
	.size	_ZN7rocprim17ROCPRIM_400000_NS6detail17trampoline_kernelINS0_14default_configENS1_38merge_sort_block_merge_config_selectorIiiEEZZNS1_27merge_sort_block_merge_implIS3_N6thrust23THRUST_200600_302600_NS6detail15normal_iteratorINS8_10device_ptrIiEEEESD_jNS1_19radix_merge_compareILb0ELb1EiNS0_19identity_decomposerEEEEE10hipError_tT0_T1_T2_jT3_P12ihipStream_tbPNSt15iterator_traitsISI_E10value_typeEPNSO_ISJ_E10value_typeEPSK_NS1_7vsmem_tEENKUlT_SI_SJ_SK_E_clISD_PiSD_S10_EESH_SX_SI_SJ_SK_EUlSX_E1_NS1_11comp_targetILNS1_3genE4ELNS1_11target_archE910ELNS1_3gpuE8ELNS1_3repE0EEENS1_36merge_oddeven_config_static_selectorELNS0_4arch9wavefront6targetE1EEEvSJ_, .Lfunc_end799-_ZN7rocprim17ROCPRIM_400000_NS6detail17trampoline_kernelINS0_14default_configENS1_38merge_sort_block_merge_config_selectorIiiEEZZNS1_27merge_sort_block_merge_implIS3_N6thrust23THRUST_200600_302600_NS6detail15normal_iteratorINS8_10device_ptrIiEEEESD_jNS1_19radix_merge_compareILb0ELb1EiNS0_19identity_decomposerEEEEE10hipError_tT0_T1_T2_jT3_P12ihipStream_tbPNSt15iterator_traitsISI_E10value_typeEPNSO_ISJ_E10value_typeEPSK_NS1_7vsmem_tEENKUlT_SI_SJ_SK_E_clISD_PiSD_S10_EESH_SX_SI_SJ_SK_EUlSX_E1_NS1_11comp_targetILNS1_3genE4ELNS1_11target_archE910ELNS1_3gpuE8ELNS1_3repE0EEENS1_36merge_oddeven_config_static_selectorELNS0_4arch9wavefront6targetE1EEEvSJ_
                                        ; -- End function
	.set _ZN7rocprim17ROCPRIM_400000_NS6detail17trampoline_kernelINS0_14default_configENS1_38merge_sort_block_merge_config_selectorIiiEEZZNS1_27merge_sort_block_merge_implIS3_N6thrust23THRUST_200600_302600_NS6detail15normal_iteratorINS8_10device_ptrIiEEEESD_jNS1_19radix_merge_compareILb0ELb1EiNS0_19identity_decomposerEEEEE10hipError_tT0_T1_T2_jT3_P12ihipStream_tbPNSt15iterator_traitsISI_E10value_typeEPNSO_ISJ_E10value_typeEPSK_NS1_7vsmem_tEENKUlT_SI_SJ_SK_E_clISD_PiSD_S10_EESH_SX_SI_SJ_SK_EUlSX_E1_NS1_11comp_targetILNS1_3genE4ELNS1_11target_archE910ELNS1_3gpuE8ELNS1_3repE0EEENS1_36merge_oddeven_config_static_selectorELNS0_4arch9wavefront6targetE1EEEvSJ_.num_vgpr, 0
	.set _ZN7rocprim17ROCPRIM_400000_NS6detail17trampoline_kernelINS0_14default_configENS1_38merge_sort_block_merge_config_selectorIiiEEZZNS1_27merge_sort_block_merge_implIS3_N6thrust23THRUST_200600_302600_NS6detail15normal_iteratorINS8_10device_ptrIiEEEESD_jNS1_19radix_merge_compareILb0ELb1EiNS0_19identity_decomposerEEEEE10hipError_tT0_T1_T2_jT3_P12ihipStream_tbPNSt15iterator_traitsISI_E10value_typeEPNSO_ISJ_E10value_typeEPSK_NS1_7vsmem_tEENKUlT_SI_SJ_SK_E_clISD_PiSD_S10_EESH_SX_SI_SJ_SK_EUlSX_E1_NS1_11comp_targetILNS1_3genE4ELNS1_11target_archE910ELNS1_3gpuE8ELNS1_3repE0EEENS1_36merge_oddeven_config_static_selectorELNS0_4arch9wavefront6targetE1EEEvSJ_.num_agpr, 0
	.set _ZN7rocprim17ROCPRIM_400000_NS6detail17trampoline_kernelINS0_14default_configENS1_38merge_sort_block_merge_config_selectorIiiEEZZNS1_27merge_sort_block_merge_implIS3_N6thrust23THRUST_200600_302600_NS6detail15normal_iteratorINS8_10device_ptrIiEEEESD_jNS1_19radix_merge_compareILb0ELb1EiNS0_19identity_decomposerEEEEE10hipError_tT0_T1_T2_jT3_P12ihipStream_tbPNSt15iterator_traitsISI_E10value_typeEPNSO_ISJ_E10value_typeEPSK_NS1_7vsmem_tEENKUlT_SI_SJ_SK_E_clISD_PiSD_S10_EESH_SX_SI_SJ_SK_EUlSX_E1_NS1_11comp_targetILNS1_3genE4ELNS1_11target_archE910ELNS1_3gpuE8ELNS1_3repE0EEENS1_36merge_oddeven_config_static_selectorELNS0_4arch9wavefront6targetE1EEEvSJ_.numbered_sgpr, 0
	.set _ZN7rocprim17ROCPRIM_400000_NS6detail17trampoline_kernelINS0_14default_configENS1_38merge_sort_block_merge_config_selectorIiiEEZZNS1_27merge_sort_block_merge_implIS3_N6thrust23THRUST_200600_302600_NS6detail15normal_iteratorINS8_10device_ptrIiEEEESD_jNS1_19radix_merge_compareILb0ELb1EiNS0_19identity_decomposerEEEEE10hipError_tT0_T1_T2_jT3_P12ihipStream_tbPNSt15iterator_traitsISI_E10value_typeEPNSO_ISJ_E10value_typeEPSK_NS1_7vsmem_tEENKUlT_SI_SJ_SK_E_clISD_PiSD_S10_EESH_SX_SI_SJ_SK_EUlSX_E1_NS1_11comp_targetILNS1_3genE4ELNS1_11target_archE910ELNS1_3gpuE8ELNS1_3repE0EEENS1_36merge_oddeven_config_static_selectorELNS0_4arch9wavefront6targetE1EEEvSJ_.num_named_barrier, 0
	.set _ZN7rocprim17ROCPRIM_400000_NS6detail17trampoline_kernelINS0_14default_configENS1_38merge_sort_block_merge_config_selectorIiiEEZZNS1_27merge_sort_block_merge_implIS3_N6thrust23THRUST_200600_302600_NS6detail15normal_iteratorINS8_10device_ptrIiEEEESD_jNS1_19radix_merge_compareILb0ELb1EiNS0_19identity_decomposerEEEEE10hipError_tT0_T1_T2_jT3_P12ihipStream_tbPNSt15iterator_traitsISI_E10value_typeEPNSO_ISJ_E10value_typeEPSK_NS1_7vsmem_tEENKUlT_SI_SJ_SK_E_clISD_PiSD_S10_EESH_SX_SI_SJ_SK_EUlSX_E1_NS1_11comp_targetILNS1_3genE4ELNS1_11target_archE910ELNS1_3gpuE8ELNS1_3repE0EEENS1_36merge_oddeven_config_static_selectorELNS0_4arch9wavefront6targetE1EEEvSJ_.private_seg_size, 0
	.set _ZN7rocprim17ROCPRIM_400000_NS6detail17trampoline_kernelINS0_14default_configENS1_38merge_sort_block_merge_config_selectorIiiEEZZNS1_27merge_sort_block_merge_implIS3_N6thrust23THRUST_200600_302600_NS6detail15normal_iteratorINS8_10device_ptrIiEEEESD_jNS1_19radix_merge_compareILb0ELb1EiNS0_19identity_decomposerEEEEE10hipError_tT0_T1_T2_jT3_P12ihipStream_tbPNSt15iterator_traitsISI_E10value_typeEPNSO_ISJ_E10value_typeEPSK_NS1_7vsmem_tEENKUlT_SI_SJ_SK_E_clISD_PiSD_S10_EESH_SX_SI_SJ_SK_EUlSX_E1_NS1_11comp_targetILNS1_3genE4ELNS1_11target_archE910ELNS1_3gpuE8ELNS1_3repE0EEENS1_36merge_oddeven_config_static_selectorELNS0_4arch9wavefront6targetE1EEEvSJ_.uses_vcc, 0
	.set _ZN7rocprim17ROCPRIM_400000_NS6detail17trampoline_kernelINS0_14default_configENS1_38merge_sort_block_merge_config_selectorIiiEEZZNS1_27merge_sort_block_merge_implIS3_N6thrust23THRUST_200600_302600_NS6detail15normal_iteratorINS8_10device_ptrIiEEEESD_jNS1_19radix_merge_compareILb0ELb1EiNS0_19identity_decomposerEEEEE10hipError_tT0_T1_T2_jT3_P12ihipStream_tbPNSt15iterator_traitsISI_E10value_typeEPNSO_ISJ_E10value_typeEPSK_NS1_7vsmem_tEENKUlT_SI_SJ_SK_E_clISD_PiSD_S10_EESH_SX_SI_SJ_SK_EUlSX_E1_NS1_11comp_targetILNS1_3genE4ELNS1_11target_archE910ELNS1_3gpuE8ELNS1_3repE0EEENS1_36merge_oddeven_config_static_selectorELNS0_4arch9wavefront6targetE1EEEvSJ_.uses_flat_scratch, 0
	.set _ZN7rocprim17ROCPRIM_400000_NS6detail17trampoline_kernelINS0_14default_configENS1_38merge_sort_block_merge_config_selectorIiiEEZZNS1_27merge_sort_block_merge_implIS3_N6thrust23THRUST_200600_302600_NS6detail15normal_iteratorINS8_10device_ptrIiEEEESD_jNS1_19radix_merge_compareILb0ELb1EiNS0_19identity_decomposerEEEEE10hipError_tT0_T1_T2_jT3_P12ihipStream_tbPNSt15iterator_traitsISI_E10value_typeEPNSO_ISJ_E10value_typeEPSK_NS1_7vsmem_tEENKUlT_SI_SJ_SK_E_clISD_PiSD_S10_EESH_SX_SI_SJ_SK_EUlSX_E1_NS1_11comp_targetILNS1_3genE4ELNS1_11target_archE910ELNS1_3gpuE8ELNS1_3repE0EEENS1_36merge_oddeven_config_static_selectorELNS0_4arch9wavefront6targetE1EEEvSJ_.has_dyn_sized_stack, 0
	.set _ZN7rocprim17ROCPRIM_400000_NS6detail17trampoline_kernelINS0_14default_configENS1_38merge_sort_block_merge_config_selectorIiiEEZZNS1_27merge_sort_block_merge_implIS3_N6thrust23THRUST_200600_302600_NS6detail15normal_iteratorINS8_10device_ptrIiEEEESD_jNS1_19radix_merge_compareILb0ELb1EiNS0_19identity_decomposerEEEEE10hipError_tT0_T1_T2_jT3_P12ihipStream_tbPNSt15iterator_traitsISI_E10value_typeEPNSO_ISJ_E10value_typeEPSK_NS1_7vsmem_tEENKUlT_SI_SJ_SK_E_clISD_PiSD_S10_EESH_SX_SI_SJ_SK_EUlSX_E1_NS1_11comp_targetILNS1_3genE4ELNS1_11target_archE910ELNS1_3gpuE8ELNS1_3repE0EEENS1_36merge_oddeven_config_static_selectorELNS0_4arch9wavefront6targetE1EEEvSJ_.has_recursion, 0
	.set _ZN7rocprim17ROCPRIM_400000_NS6detail17trampoline_kernelINS0_14default_configENS1_38merge_sort_block_merge_config_selectorIiiEEZZNS1_27merge_sort_block_merge_implIS3_N6thrust23THRUST_200600_302600_NS6detail15normal_iteratorINS8_10device_ptrIiEEEESD_jNS1_19radix_merge_compareILb0ELb1EiNS0_19identity_decomposerEEEEE10hipError_tT0_T1_T2_jT3_P12ihipStream_tbPNSt15iterator_traitsISI_E10value_typeEPNSO_ISJ_E10value_typeEPSK_NS1_7vsmem_tEENKUlT_SI_SJ_SK_E_clISD_PiSD_S10_EESH_SX_SI_SJ_SK_EUlSX_E1_NS1_11comp_targetILNS1_3genE4ELNS1_11target_archE910ELNS1_3gpuE8ELNS1_3repE0EEENS1_36merge_oddeven_config_static_selectorELNS0_4arch9wavefront6targetE1EEEvSJ_.has_indirect_call, 0
	.section	.AMDGPU.csdata,"",@progbits
; Kernel info:
; codeLenInByte = 0
; TotalNumSgprs: 6
; NumVgprs: 0
; NumAgprs: 0
; TotalNumVgprs: 0
; ScratchSize: 0
; MemoryBound: 0
; FloatMode: 240
; IeeeMode: 1
; LDSByteSize: 0 bytes/workgroup (compile time only)
; SGPRBlocks: 0
; VGPRBlocks: 0
; NumSGPRsForWavesPerEU: 6
; NumVGPRsForWavesPerEU: 1
; AccumOffset: 4
; Occupancy: 8
; WaveLimiterHint : 0
; COMPUTE_PGM_RSRC2:SCRATCH_EN: 0
; COMPUTE_PGM_RSRC2:USER_SGPR: 2
; COMPUTE_PGM_RSRC2:TRAP_HANDLER: 0
; COMPUTE_PGM_RSRC2:TGID_X_EN: 1
; COMPUTE_PGM_RSRC2:TGID_Y_EN: 0
; COMPUTE_PGM_RSRC2:TGID_Z_EN: 0
; COMPUTE_PGM_RSRC2:TIDIG_COMP_CNT: 0
; COMPUTE_PGM_RSRC3_GFX90A:ACCUM_OFFSET: 0
; COMPUTE_PGM_RSRC3_GFX90A:TG_SPLIT: 0
	.section	.text._ZN7rocprim17ROCPRIM_400000_NS6detail17trampoline_kernelINS0_14default_configENS1_38merge_sort_block_merge_config_selectorIiiEEZZNS1_27merge_sort_block_merge_implIS3_N6thrust23THRUST_200600_302600_NS6detail15normal_iteratorINS8_10device_ptrIiEEEESD_jNS1_19radix_merge_compareILb0ELb1EiNS0_19identity_decomposerEEEEE10hipError_tT0_T1_T2_jT3_P12ihipStream_tbPNSt15iterator_traitsISI_E10value_typeEPNSO_ISJ_E10value_typeEPSK_NS1_7vsmem_tEENKUlT_SI_SJ_SK_E_clISD_PiSD_S10_EESH_SX_SI_SJ_SK_EUlSX_E1_NS1_11comp_targetILNS1_3genE3ELNS1_11target_archE908ELNS1_3gpuE7ELNS1_3repE0EEENS1_36merge_oddeven_config_static_selectorELNS0_4arch9wavefront6targetE1EEEvSJ_,"axG",@progbits,_ZN7rocprim17ROCPRIM_400000_NS6detail17trampoline_kernelINS0_14default_configENS1_38merge_sort_block_merge_config_selectorIiiEEZZNS1_27merge_sort_block_merge_implIS3_N6thrust23THRUST_200600_302600_NS6detail15normal_iteratorINS8_10device_ptrIiEEEESD_jNS1_19radix_merge_compareILb0ELb1EiNS0_19identity_decomposerEEEEE10hipError_tT0_T1_T2_jT3_P12ihipStream_tbPNSt15iterator_traitsISI_E10value_typeEPNSO_ISJ_E10value_typeEPSK_NS1_7vsmem_tEENKUlT_SI_SJ_SK_E_clISD_PiSD_S10_EESH_SX_SI_SJ_SK_EUlSX_E1_NS1_11comp_targetILNS1_3genE3ELNS1_11target_archE908ELNS1_3gpuE7ELNS1_3repE0EEENS1_36merge_oddeven_config_static_selectorELNS0_4arch9wavefront6targetE1EEEvSJ_,comdat
	.protected	_ZN7rocprim17ROCPRIM_400000_NS6detail17trampoline_kernelINS0_14default_configENS1_38merge_sort_block_merge_config_selectorIiiEEZZNS1_27merge_sort_block_merge_implIS3_N6thrust23THRUST_200600_302600_NS6detail15normal_iteratorINS8_10device_ptrIiEEEESD_jNS1_19radix_merge_compareILb0ELb1EiNS0_19identity_decomposerEEEEE10hipError_tT0_T1_T2_jT3_P12ihipStream_tbPNSt15iterator_traitsISI_E10value_typeEPNSO_ISJ_E10value_typeEPSK_NS1_7vsmem_tEENKUlT_SI_SJ_SK_E_clISD_PiSD_S10_EESH_SX_SI_SJ_SK_EUlSX_E1_NS1_11comp_targetILNS1_3genE3ELNS1_11target_archE908ELNS1_3gpuE7ELNS1_3repE0EEENS1_36merge_oddeven_config_static_selectorELNS0_4arch9wavefront6targetE1EEEvSJ_ ; -- Begin function _ZN7rocprim17ROCPRIM_400000_NS6detail17trampoline_kernelINS0_14default_configENS1_38merge_sort_block_merge_config_selectorIiiEEZZNS1_27merge_sort_block_merge_implIS3_N6thrust23THRUST_200600_302600_NS6detail15normal_iteratorINS8_10device_ptrIiEEEESD_jNS1_19radix_merge_compareILb0ELb1EiNS0_19identity_decomposerEEEEE10hipError_tT0_T1_T2_jT3_P12ihipStream_tbPNSt15iterator_traitsISI_E10value_typeEPNSO_ISJ_E10value_typeEPSK_NS1_7vsmem_tEENKUlT_SI_SJ_SK_E_clISD_PiSD_S10_EESH_SX_SI_SJ_SK_EUlSX_E1_NS1_11comp_targetILNS1_3genE3ELNS1_11target_archE908ELNS1_3gpuE7ELNS1_3repE0EEENS1_36merge_oddeven_config_static_selectorELNS0_4arch9wavefront6targetE1EEEvSJ_
	.globl	_ZN7rocprim17ROCPRIM_400000_NS6detail17trampoline_kernelINS0_14default_configENS1_38merge_sort_block_merge_config_selectorIiiEEZZNS1_27merge_sort_block_merge_implIS3_N6thrust23THRUST_200600_302600_NS6detail15normal_iteratorINS8_10device_ptrIiEEEESD_jNS1_19radix_merge_compareILb0ELb1EiNS0_19identity_decomposerEEEEE10hipError_tT0_T1_T2_jT3_P12ihipStream_tbPNSt15iterator_traitsISI_E10value_typeEPNSO_ISJ_E10value_typeEPSK_NS1_7vsmem_tEENKUlT_SI_SJ_SK_E_clISD_PiSD_S10_EESH_SX_SI_SJ_SK_EUlSX_E1_NS1_11comp_targetILNS1_3genE3ELNS1_11target_archE908ELNS1_3gpuE7ELNS1_3repE0EEENS1_36merge_oddeven_config_static_selectorELNS0_4arch9wavefront6targetE1EEEvSJ_
	.p2align	8
	.type	_ZN7rocprim17ROCPRIM_400000_NS6detail17trampoline_kernelINS0_14default_configENS1_38merge_sort_block_merge_config_selectorIiiEEZZNS1_27merge_sort_block_merge_implIS3_N6thrust23THRUST_200600_302600_NS6detail15normal_iteratorINS8_10device_ptrIiEEEESD_jNS1_19radix_merge_compareILb0ELb1EiNS0_19identity_decomposerEEEEE10hipError_tT0_T1_T2_jT3_P12ihipStream_tbPNSt15iterator_traitsISI_E10value_typeEPNSO_ISJ_E10value_typeEPSK_NS1_7vsmem_tEENKUlT_SI_SJ_SK_E_clISD_PiSD_S10_EESH_SX_SI_SJ_SK_EUlSX_E1_NS1_11comp_targetILNS1_3genE3ELNS1_11target_archE908ELNS1_3gpuE7ELNS1_3repE0EEENS1_36merge_oddeven_config_static_selectorELNS0_4arch9wavefront6targetE1EEEvSJ_,@function
_ZN7rocprim17ROCPRIM_400000_NS6detail17trampoline_kernelINS0_14default_configENS1_38merge_sort_block_merge_config_selectorIiiEEZZNS1_27merge_sort_block_merge_implIS3_N6thrust23THRUST_200600_302600_NS6detail15normal_iteratorINS8_10device_ptrIiEEEESD_jNS1_19radix_merge_compareILb0ELb1EiNS0_19identity_decomposerEEEEE10hipError_tT0_T1_T2_jT3_P12ihipStream_tbPNSt15iterator_traitsISI_E10value_typeEPNSO_ISJ_E10value_typeEPSK_NS1_7vsmem_tEENKUlT_SI_SJ_SK_E_clISD_PiSD_S10_EESH_SX_SI_SJ_SK_EUlSX_E1_NS1_11comp_targetILNS1_3genE3ELNS1_11target_archE908ELNS1_3gpuE7ELNS1_3repE0EEENS1_36merge_oddeven_config_static_selectorELNS0_4arch9wavefront6targetE1EEEvSJ_: ; @_ZN7rocprim17ROCPRIM_400000_NS6detail17trampoline_kernelINS0_14default_configENS1_38merge_sort_block_merge_config_selectorIiiEEZZNS1_27merge_sort_block_merge_implIS3_N6thrust23THRUST_200600_302600_NS6detail15normal_iteratorINS8_10device_ptrIiEEEESD_jNS1_19radix_merge_compareILb0ELb1EiNS0_19identity_decomposerEEEEE10hipError_tT0_T1_T2_jT3_P12ihipStream_tbPNSt15iterator_traitsISI_E10value_typeEPNSO_ISJ_E10value_typeEPSK_NS1_7vsmem_tEENKUlT_SI_SJ_SK_E_clISD_PiSD_S10_EESH_SX_SI_SJ_SK_EUlSX_E1_NS1_11comp_targetILNS1_3genE3ELNS1_11target_archE908ELNS1_3gpuE7ELNS1_3repE0EEENS1_36merge_oddeven_config_static_selectorELNS0_4arch9wavefront6targetE1EEEvSJ_
; %bb.0:
	.section	.rodata,"a",@progbits
	.p2align	6, 0x0
	.amdhsa_kernel _ZN7rocprim17ROCPRIM_400000_NS6detail17trampoline_kernelINS0_14default_configENS1_38merge_sort_block_merge_config_selectorIiiEEZZNS1_27merge_sort_block_merge_implIS3_N6thrust23THRUST_200600_302600_NS6detail15normal_iteratorINS8_10device_ptrIiEEEESD_jNS1_19radix_merge_compareILb0ELb1EiNS0_19identity_decomposerEEEEE10hipError_tT0_T1_T2_jT3_P12ihipStream_tbPNSt15iterator_traitsISI_E10value_typeEPNSO_ISJ_E10value_typeEPSK_NS1_7vsmem_tEENKUlT_SI_SJ_SK_E_clISD_PiSD_S10_EESH_SX_SI_SJ_SK_EUlSX_E1_NS1_11comp_targetILNS1_3genE3ELNS1_11target_archE908ELNS1_3gpuE7ELNS1_3repE0EEENS1_36merge_oddeven_config_static_selectorELNS0_4arch9wavefront6targetE1EEEvSJ_
		.amdhsa_group_segment_fixed_size 0
		.amdhsa_private_segment_fixed_size 0
		.amdhsa_kernarg_size 48
		.amdhsa_user_sgpr_count 2
		.amdhsa_user_sgpr_dispatch_ptr 0
		.amdhsa_user_sgpr_queue_ptr 0
		.amdhsa_user_sgpr_kernarg_segment_ptr 1
		.amdhsa_user_sgpr_dispatch_id 0
		.amdhsa_user_sgpr_kernarg_preload_length 0
		.amdhsa_user_sgpr_kernarg_preload_offset 0
		.amdhsa_user_sgpr_private_segment_size 0
		.amdhsa_uses_dynamic_stack 0
		.amdhsa_enable_private_segment 0
		.amdhsa_system_sgpr_workgroup_id_x 1
		.amdhsa_system_sgpr_workgroup_id_y 0
		.amdhsa_system_sgpr_workgroup_id_z 0
		.amdhsa_system_sgpr_workgroup_info 0
		.amdhsa_system_vgpr_workitem_id 0
		.amdhsa_next_free_vgpr 1
		.amdhsa_next_free_sgpr 0
		.amdhsa_accum_offset 4
		.amdhsa_reserve_vcc 0
		.amdhsa_float_round_mode_32 0
		.amdhsa_float_round_mode_16_64 0
		.amdhsa_float_denorm_mode_32 3
		.amdhsa_float_denorm_mode_16_64 3
		.amdhsa_dx10_clamp 1
		.amdhsa_ieee_mode 1
		.amdhsa_fp16_overflow 0
		.amdhsa_tg_split 0
		.amdhsa_exception_fp_ieee_invalid_op 0
		.amdhsa_exception_fp_denorm_src 0
		.amdhsa_exception_fp_ieee_div_zero 0
		.amdhsa_exception_fp_ieee_overflow 0
		.amdhsa_exception_fp_ieee_underflow 0
		.amdhsa_exception_fp_ieee_inexact 0
		.amdhsa_exception_int_div_zero 0
	.end_amdhsa_kernel
	.section	.text._ZN7rocprim17ROCPRIM_400000_NS6detail17trampoline_kernelINS0_14default_configENS1_38merge_sort_block_merge_config_selectorIiiEEZZNS1_27merge_sort_block_merge_implIS3_N6thrust23THRUST_200600_302600_NS6detail15normal_iteratorINS8_10device_ptrIiEEEESD_jNS1_19radix_merge_compareILb0ELb1EiNS0_19identity_decomposerEEEEE10hipError_tT0_T1_T2_jT3_P12ihipStream_tbPNSt15iterator_traitsISI_E10value_typeEPNSO_ISJ_E10value_typeEPSK_NS1_7vsmem_tEENKUlT_SI_SJ_SK_E_clISD_PiSD_S10_EESH_SX_SI_SJ_SK_EUlSX_E1_NS1_11comp_targetILNS1_3genE3ELNS1_11target_archE908ELNS1_3gpuE7ELNS1_3repE0EEENS1_36merge_oddeven_config_static_selectorELNS0_4arch9wavefront6targetE1EEEvSJ_,"axG",@progbits,_ZN7rocprim17ROCPRIM_400000_NS6detail17trampoline_kernelINS0_14default_configENS1_38merge_sort_block_merge_config_selectorIiiEEZZNS1_27merge_sort_block_merge_implIS3_N6thrust23THRUST_200600_302600_NS6detail15normal_iteratorINS8_10device_ptrIiEEEESD_jNS1_19radix_merge_compareILb0ELb1EiNS0_19identity_decomposerEEEEE10hipError_tT0_T1_T2_jT3_P12ihipStream_tbPNSt15iterator_traitsISI_E10value_typeEPNSO_ISJ_E10value_typeEPSK_NS1_7vsmem_tEENKUlT_SI_SJ_SK_E_clISD_PiSD_S10_EESH_SX_SI_SJ_SK_EUlSX_E1_NS1_11comp_targetILNS1_3genE3ELNS1_11target_archE908ELNS1_3gpuE7ELNS1_3repE0EEENS1_36merge_oddeven_config_static_selectorELNS0_4arch9wavefront6targetE1EEEvSJ_,comdat
.Lfunc_end800:
	.size	_ZN7rocprim17ROCPRIM_400000_NS6detail17trampoline_kernelINS0_14default_configENS1_38merge_sort_block_merge_config_selectorIiiEEZZNS1_27merge_sort_block_merge_implIS3_N6thrust23THRUST_200600_302600_NS6detail15normal_iteratorINS8_10device_ptrIiEEEESD_jNS1_19radix_merge_compareILb0ELb1EiNS0_19identity_decomposerEEEEE10hipError_tT0_T1_T2_jT3_P12ihipStream_tbPNSt15iterator_traitsISI_E10value_typeEPNSO_ISJ_E10value_typeEPSK_NS1_7vsmem_tEENKUlT_SI_SJ_SK_E_clISD_PiSD_S10_EESH_SX_SI_SJ_SK_EUlSX_E1_NS1_11comp_targetILNS1_3genE3ELNS1_11target_archE908ELNS1_3gpuE7ELNS1_3repE0EEENS1_36merge_oddeven_config_static_selectorELNS0_4arch9wavefront6targetE1EEEvSJ_, .Lfunc_end800-_ZN7rocprim17ROCPRIM_400000_NS6detail17trampoline_kernelINS0_14default_configENS1_38merge_sort_block_merge_config_selectorIiiEEZZNS1_27merge_sort_block_merge_implIS3_N6thrust23THRUST_200600_302600_NS6detail15normal_iteratorINS8_10device_ptrIiEEEESD_jNS1_19radix_merge_compareILb0ELb1EiNS0_19identity_decomposerEEEEE10hipError_tT0_T1_T2_jT3_P12ihipStream_tbPNSt15iterator_traitsISI_E10value_typeEPNSO_ISJ_E10value_typeEPSK_NS1_7vsmem_tEENKUlT_SI_SJ_SK_E_clISD_PiSD_S10_EESH_SX_SI_SJ_SK_EUlSX_E1_NS1_11comp_targetILNS1_3genE3ELNS1_11target_archE908ELNS1_3gpuE7ELNS1_3repE0EEENS1_36merge_oddeven_config_static_selectorELNS0_4arch9wavefront6targetE1EEEvSJ_
                                        ; -- End function
	.set _ZN7rocprim17ROCPRIM_400000_NS6detail17trampoline_kernelINS0_14default_configENS1_38merge_sort_block_merge_config_selectorIiiEEZZNS1_27merge_sort_block_merge_implIS3_N6thrust23THRUST_200600_302600_NS6detail15normal_iteratorINS8_10device_ptrIiEEEESD_jNS1_19radix_merge_compareILb0ELb1EiNS0_19identity_decomposerEEEEE10hipError_tT0_T1_T2_jT3_P12ihipStream_tbPNSt15iterator_traitsISI_E10value_typeEPNSO_ISJ_E10value_typeEPSK_NS1_7vsmem_tEENKUlT_SI_SJ_SK_E_clISD_PiSD_S10_EESH_SX_SI_SJ_SK_EUlSX_E1_NS1_11comp_targetILNS1_3genE3ELNS1_11target_archE908ELNS1_3gpuE7ELNS1_3repE0EEENS1_36merge_oddeven_config_static_selectorELNS0_4arch9wavefront6targetE1EEEvSJ_.num_vgpr, 0
	.set _ZN7rocprim17ROCPRIM_400000_NS6detail17trampoline_kernelINS0_14default_configENS1_38merge_sort_block_merge_config_selectorIiiEEZZNS1_27merge_sort_block_merge_implIS3_N6thrust23THRUST_200600_302600_NS6detail15normal_iteratorINS8_10device_ptrIiEEEESD_jNS1_19radix_merge_compareILb0ELb1EiNS0_19identity_decomposerEEEEE10hipError_tT0_T1_T2_jT3_P12ihipStream_tbPNSt15iterator_traitsISI_E10value_typeEPNSO_ISJ_E10value_typeEPSK_NS1_7vsmem_tEENKUlT_SI_SJ_SK_E_clISD_PiSD_S10_EESH_SX_SI_SJ_SK_EUlSX_E1_NS1_11comp_targetILNS1_3genE3ELNS1_11target_archE908ELNS1_3gpuE7ELNS1_3repE0EEENS1_36merge_oddeven_config_static_selectorELNS0_4arch9wavefront6targetE1EEEvSJ_.num_agpr, 0
	.set _ZN7rocprim17ROCPRIM_400000_NS6detail17trampoline_kernelINS0_14default_configENS1_38merge_sort_block_merge_config_selectorIiiEEZZNS1_27merge_sort_block_merge_implIS3_N6thrust23THRUST_200600_302600_NS6detail15normal_iteratorINS8_10device_ptrIiEEEESD_jNS1_19radix_merge_compareILb0ELb1EiNS0_19identity_decomposerEEEEE10hipError_tT0_T1_T2_jT3_P12ihipStream_tbPNSt15iterator_traitsISI_E10value_typeEPNSO_ISJ_E10value_typeEPSK_NS1_7vsmem_tEENKUlT_SI_SJ_SK_E_clISD_PiSD_S10_EESH_SX_SI_SJ_SK_EUlSX_E1_NS1_11comp_targetILNS1_3genE3ELNS1_11target_archE908ELNS1_3gpuE7ELNS1_3repE0EEENS1_36merge_oddeven_config_static_selectorELNS0_4arch9wavefront6targetE1EEEvSJ_.numbered_sgpr, 0
	.set _ZN7rocprim17ROCPRIM_400000_NS6detail17trampoline_kernelINS0_14default_configENS1_38merge_sort_block_merge_config_selectorIiiEEZZNS1_27merge_sort_block_merge_implIS3_N6thrust23THRUST_200600_302600_NS6detail15normal_iteratorINS8_10device_ptrIiEEEESD_jNS1_19radix_merge_compareILb0ELb1EiNS0_19identity_decomposerEEEEE10hipError_tT0_T1_T2_jT3_P12ihipStream_tbPNSt15iterator_traitsISI_E10value_typeEPNSO_ISJ_E10value_typeEPSK_NS1_7vsmem_tEENKUlT_SI_SJ_SK_E_clISD_PiSD_S10_EESH_SX_SI_SJ_SK_EUlSX_E1_NS1_11comp_targetILNS1_3genE3ELNS1_11target_archE908ELNS1_3gpuE7ELNS1_3repE0EEENS1_36merge_oddeven_config_static_selectorELNS0_4arch9wavefront6targetE1EEEvSJ_.num_named_barrier, 0
	.set _ZN7rocprim17ROCPRIM_400000_NS6detail17trampoline_kernelINS0_14default_configENS1_38merge_sort_block_merge_config_selectorIiiEEZZNS1_27merge_sort_block_merge_implIS3_N6thrust23THRUST_200600_302600_NS6detail15normal_iteratorINS8_10device_ptrIiEEEESD_jNS1_19radix_merge_compareILb0ELb1EiNS0_19identity_decomposerEEEEE10hipError_tT0_T1_T2_jT3_P12ihipStream_tbPNSt15iterator_traitsISI_E10value_typeEPNSO_ISJ_E10value_typeEPSK_NS1_7vsmem_tEENKUlT_SI_SJ_SK_E_clISD_PiSD_S10_EESH_SX_SI_SJ_SK_EUlSX_E1_NS1_11comp_targetILNS1_3genE3ELNS1_11target_archE908ELNS1_3gpuE7ELNS1_3repE0EEENS1_36merge_oddeven_config_static_selectorELNS0_4arch9wavefront6targetE1EEEvSJ_.private_seg_size, 0
	.set _ZN7rocprim17ROCPRIM_400000_NS6detail17trampoline_kernelINS0_14default_configENS1_38merge_sort_block_merge_config_selectorIiiEEZZNS1_27merge_sort_block_merge_implIS3_N6thrust23THRUST_200600_302600_NS6detail15normal_iteratorINS8_10device_ptrIiEEEESD_jNS1_19radix_merge_compareILb0ELb1EiNS0_19identity_decomposerEEEEE10hipError_tT0_T1_T2_jT3_P12ihipStream_tbPNSt15iterator_traitsISI_E10value_typeEPNSO_ISJ_E10value_typeEPSK_NS1_7vsmem_tEENKUlT_SI_SJ_SK_E_clISD_PiSD_S10_EESH_SX_SI_SJ_SK_EUlSX_E1_NS1_11comp_targetILNS1_3genE3ELNS1_11target_archE908ELNS1_3gpuE7ELNS1_3repE0EEENS1_36merge_oddeven_config_static_selectorELNS0_4arch9wavefront6targetE1EEEvSJ_.uses_vcc, 0
	.set _ZN7rocprim17ROCPRIM_400000_NS6detail17trampoline_kernelINS0_14default_configENS1_38merge_sort_block_merge_config_selectorIiiEEZZNS1_27merge_sort_block_merge_implIS3_N6thrust23THRUST_200600_302600_NS6detail15normal_iteratorINS8_10device_ptrIiEEEESD_jNS1_19radix_merge_compareILb0ELb1EiNS0_19identity_decomposerEEEEE10hipError_tT0_T1_T2_jT3_P12ihipStream_tbPNSt15iterator_traitsISI_E10value_typeEPNSO_ISJ_E10value_typeEPSK_NS1_7vsmem_tEENKUlT_SI_SJ_SK_E_clISD_PiSD_S10_EESH_SX_SI_SJ_SK_EUlSX_E1_NS1_11comp_targetILNS1_3genE3ELNS1_11target_archE908ELNS1_3gpuE7ELNS1_3repE0EEENS1_36merge_oddeven_config_static_selectorELNS0_4arch9wavefront6targetE1EEEvSJ_.uses_flat_scratch, 0
	.set _ZN7rocprim17ROCPRIM_400000_NS6detail17trampoline_kernelINS0_14default_configENS1_38merge_sort_block_merge_config_selectorIiiEEZZNS1_27merge_sort_block_merge_implIS3_N6thrust23THRUST_200600_302600_NS6detail15normal_iteratorINS8_10device_ptrIiEEEESD_jNS1_19radix_merge_compareILb0ELb1EiNS0_19identity_decomposerEEEEE10hipError_tT0_T1_T2_jT3_P12ihipStream_tbPNSt15iterator_traitsISI_E10value_typeEPNSO_ISJ_E10value_typeEPSK_NS1_7vsmem_tEENKUlT_SI_SJ_SK_E_clISD_PiSD_S10_EESH_SX_SI_SJ_SK_EUlSX_E1_NS1_11comp_targetILNS1_3genE3ELNS1_11target_archE908ELNS1_3gpuE7ELNS1_3repE0EEENS1_36merge_oddeven_config_static_selectorELNS0_4arch9wavefront6targetE1EEEvSJ_.has_dyn_sized_stack, 0
	.set _ZN7rocprim17ROCPRIM_400000_NS6detail17trampoline_kernelINS0_14default_configENS1_38merge_sort_block_merge_config_selectorIiiEEZZNS1_27merge_sort_block_merge_implIS3_N6thrust23THRUST_200600_302600_NS6detail15normal_iteratorINS8_10device_ptrIiEEEESD_jNS1_19radix_merge_compareILb0ELb1EiNS0_19identity_decomposerEEEEE10hipError_tT0_T1_T2_jT3_P12ihipStream_tbPNSt15iterator_traitsISI_E10value_typeEPNSO_ISJ_E10value_typeEPSK_NS1_7vsmem_tEENKUlT_SI_SJ_SK_E_clISD_PiSD_S10_EESH_SX_SI_SJ_SK_EUlSX_E1_NS1_11comp_targetILNS1_3genE3ELNS1_11target_archE908ELNS1_3gpuE7ELNS1_3repE0EEENS1_36merge_oddeven_config_static_selectorELNS0_4arch9wavefront6targetE1EEEvSJ_.has_recursion, 0
	.set _ZN7rocprim17ROCPRIM_400000_NS6detail17trampoline_kernelINS0_14default_configENS1_38merge_sort_block_merge_config_selectorIiiEEZZNS1_27merge_sort_block_merge_implIS3_N6thrust23THRUST_200600_302600_NS6detail15normal_iteratorINS8_10device_ptrIiEEEESD_jNS1_19radix_merge_compareILb0ELb1EiNS0_19identity_decomposerEEEEE10hipError_tT0_T1_T2_jT3_P12ihipStream_tbPNSt15iterator_traitsISI_E10value_typeEPNSO_ISJ_E10value_typeEPSK_NS1_7vsmem_tEENKUlT_SI_SJ_SK_E_clISD_PiSD_S10_EESH_SX_SI_SJ_SK_EUlSX_E1_NS1_11comp_targetILNS1_3genE3ELNS1_11target_archE908ELNS1_3gpuE7ELNS1_3repE0EEENS1_36merge_oddeven_config_static_selectorELNS0_4arch9wavefront6targetE1EEEvSJ_.has_indirect_call, 0
	.section	.AMDGPU.csdata,"",@progbits
; Kernel info:
; codeLenInByte = 0
; TotalNumSgprs: 6
; NumVgprs: 0
; NumAgprs: 0
; TotalNumVgprs: 0
; ScratchSize: 0
; MemoryBound: 0
; FloatMode: 240
; IeeeMode: 1
; LDSByteSize: 0 bytes/workgroup (compile time only)
; SGPRBlocks: 0
; VGPRBlocks: 0
; NumSGPRsForWavesPerEU: 6
; NumVGPRsForWavesPerEU: 1
; AccumOffset: 4
; Occupancy: 8
; WaveLimiterHint : 0
; COMPUTE_PGM_RSRC2:SCRATCH_EN: 0
; COMPUTE_PGM_RSRC2:USER_SGPR: 2
; COMPUTE_PGM_RSRC2:TRAP_HANDLER: 0
; COMPUTE_PGM_RSRC2:TGID_X_EN: 1
; COMPUTE_PGM_RSRC2:TGID_Y_EN: 0
; COMPUTE_PGM_RSRC2:TGID_Z_EN: 0
; COMPUTE_PGM_RSRC2:TIDIG_COMP_CNT: 0
; COMPUTE_PGM_RSRC3_GFX90A:ACCUM_OFFSET: 0
; COMPUTE_PGM_RSRC3_GFX90A:TG_SPLIT: 0
	.section	.text._ZN7rocprim17ROCPRIM_400000_NS6detail17trampoline_kernelINS0_14default_configENS1_38merge_sort_block_merge_config_selectorIiiEEZZNS1_27merge_sort_block_merge_implIS3_N6thrust23THRUST_200600_302600_NS6detail15normal_iteratorINS8_10device_ptrIiEEEESD_jNS1_19radix_merge_compareILb0ELb1EiNS0_19identity_decomposerEEEEE10hipError_tT0_T1_T2_jT3_P12ihipStream_tbPNSt15iterator_traitsISI_E10value_typeEPNSO_ISJ_E10value_typeEPSK_NS1_7vsmem_tEENKUlT_SI_SJ_SK_E_clISD_PiSD_S10_EESH_SX_SI_SJ_SK_EUlSX_E1_NS1_11comp_targetILNS1_3genE2ELNS1_11target_archE906ELNS1_3gpuE6ELNS1_3repE0EEENS1_36merge_oddeven_config_static_selectorELNS0_4arch9wavefront6targetE1EEEvSJ_,"axG",@progbits,_ZN7rocprim17ROCPRIM_400000_NS6detail17trampoline_kernelINS0_14default_configENS1_38merge_sort_block_merge_config_selectorIiiEEZZNS1_27merge_sort_block_merge_implIS3_N6thrust23THRUST_200600_302600_NS6detail15normal_iteratorINS8_10device_ptrIiEEEESD_jNS1_19radix_merge_compareILb0ELb1EiNS0_19identity_decomposerEEEEE10hipError_tT0_T1_T2_jT3_P12ihipStream_tbPNSt15iterator_traitsISI_E10value_typeEPNSO_ISJ_E10value_typeEPSK_NS1_7vsmem_tEENKUlT_SI_SJ_SK_E_clISD_PiSD_S10_EESH_SX_SI_SJ_SK_EUlSX_E1_NS1_11comp_targetILNS1_3genE2ELNS1_11target_archE906ELNS1_3gpuE6ELNS1_3repE0EEENS1_36merge_oddeven_config_static_selectorELNS0_4arch9wavefront6targetE1EEEvSJ_,comdat
	.protected	_ZN7rocprim17ROCPRIM_400000_NS6detail17trampoline_kernelINS0_14default_configENS1_38merge_sort_block_merge_config_selectorIiiEEZZNS1_27merge_sort_block_merge_implIS3_N6thrust23THRUST_200600_302600_NS6detail15normal_iteratorINS8_10device_ptrIiEEEESD_jNS1_19radix_merge_compareILb0ELb1EiNS0_19identity_decomposerEEEEE10hipError_tT0_T1_T2_jT3_P12ihipStream_tbPNSt15iterator_traitsISI_E10value_typeEPNSO_ISJ_E10value_typeEPSK_NS1_7vsmem_tEENKUlT_SI_SJ_SK_E_clISD_PiSD_S10_EESH_SX_SI_SJ_SK_EUlSX_E1_NS1_11comp_targetILNS1_3genE2ELNS1_11target_archE906ELNS1_3gpuE6ELNS1_3repE0EEENS1_36merge_oddeven_config_static_selectorELNS0_4arch9wavefront6targetE1EEEvSJ_ ; -- Begin function _ZN7rocprim17ROCPRIM_400000_NS6detail17trampoline_kernelINS0_14default_configENS1_38merge_sort_block_merge_config_selectorIiiEEZZNS1_27merge_sort_block_merge_implIS3_N6thrust23THRUST_200600_302600_NS6detail15normal_iteratorINS8_10device_ptrIiEEEESD_jNS1_19radix_merge_compareILb0ELb1EiNS0_19identity_decomposerEEEEE10hipError_tT0_T1_T2_jT3_P12ihipStream_tbPNSt15iterator_traitsISI_E10value_typeEPNSO_ISJ_E10value_typeEPSK_NS1_7vsmem_tEENKUlT_SI_SJ_SK_E_clISD_PiSD_S10_EESH_SX_SI_SJ_SK_EUlSX_E1_NS1_11comp_targetILNS1_3genE2ELNS1_11target_archE906ELNS1_3gpuE6ELNS1_3repE0EEENS1_36merge_oddeven_config_static_selectorELNS0_4arch9wavefront6targetE1EEEvSJ_
	.globl	_ZN7rocprim17ROCPRIM_400000_NS6detail17trampoline_kernelINS0_14default_configENS1_38merge_sort_block_merge_config_selectorIiiEEZZNS1_27merge_sort_block_merge_implIS3_N6thrust23THRUST_200600_302600_NS6detail15normal_iteratorINS8_10device_ptrIiEEEESD_jNS1_19radix_merge_compareILb0ELb1EiNS0_19identity_decomposerEEEEE10hipError_tT0_T1_T2_jT3_P12ihipStream_tbPNSt15iterator_traitsISI_E10value_typeEPNSO_ISJ_E10value_typeEPSK_NS1_7vsmem_tEENKUlT_SI_SJ_SK_E_clISD_PiSD_S10_EESH_SX_SI_SJ_SK_EUlSX_E1_NS1_11comp_targetILNS1_3genE2ELNS1_11target_archE906ELNS1_3gpuE6ELNS1_3repE0EEENS1_36merge_oddeven_config_static_selectorELNS0_4arch9wavefront6targetE1EEEvSJ_
	.p2align	8
	.type	_ZN7rocprim17ROCPRIM_400000_NS6detail17trampoline_kernelINS0_14default_configENS1_38merge_sort_block_merge_config_selectorIiiEEZZNS1_27merge_sort_block_merge_implIS3_N6thrust23THRUST_200600_302600_NS6detail15normal_iteratorINS8_10device_ptrIiEEEESD_jNS1_19radix_merge_compareILb0ELb1EiNS0_19identity_decomposerEEEEE10hipError_tT0_T1_T2_jT3_P12ihipStream_tbPNSt15iterator_traitsISI_E10value_typeEPNSO_ISJ_E10value_typeEPSK_NS1_7vsmem_tEENKUlT_SI_SJ_SK_E_clISD_PiSD_S10_EESH_SX_SI_SJ_SK_EUlSX_E1_NS1_11comp_targetILNS1_3genE2ELNS1_11target_archE906ELNS1_3gpuE6ELNS1_3repE0EEENS1_36merge_oddeven_config_static_selectorELNS0_4arch9wavefront6targetE1EEEvSJ_,@function
_ZN7rocprim17ROCPRIM_400000_NS6detail17trampoline_kernelINS0_14default_configENS1_38merge_sort_block_merge_config_selectorIiiEEZZNS1_27merge_sort_block_merge_implIS3_N6thrust23THRUST_200600_302600_NS6detail15normal_iteratorINS8_10device_ptrIiEEEESD_jNS1_19radix_merge_compareILb0ELb1EiNS0_19identity_decomposerEEEEE10hipError_tT0_T1_T2_jT3_P12ihipStream_tbPNSt15iterator_traitsISI_E10value_typeEPNSO_ISJ_E10value_typeEPSK_NS1_7vsmem_tEENKUlT_SI_SJ_SK_E_clISD_PiSD_S10_EESH_SX_SI_SJ_SK_EUlSX_E1_NS1_11comp_targetILNS1_3genE2ELNS1_11target_archE906ELNS1_3gpuE6ELNS1_3repE0EEENS1_36merge_oddeven_config_static_selectorELNS0_4arch9wavefront6targetE1EEEvSJ_: ; @_ZN7rocprim17ROCPRIM_400000_NS6detail17trampoline_kernelINS0_14default_configENS1_38merge_sort_block_merge_config_selectorIiiEEZZNS1_27merge_sort_block_merge_implIS3_N6thrust23THRUST_200600_302600_NS6detail15normal_iteratorINS8_10device_ptrIiEEEESD_jNS1_19radix_merge_compareILb0ELb1EiNS0_19identity_decomposerEEEEE10hipError_tT0_T1_T2_jT3_P12ihipStream_tbPNSt15iterator_traitsISI_E10value_typeEPNSO_ISJ_E10value_typeEPSK_NS1_7vsmem_tEENKUlT_SI_SJ_SK_E_clISD_PiSD_S10_EESH_SX_SI_SJ_SK_EUlSX_E1_NS1_11comp_targetILNS1_3genE2ELNS1_11target_archE906ELNS1_3gpuE6ELNS1_3repE0EEENS1_36merge_oddeven_config_static_selectorELNS0_4arch9wavefront6targetE1EEEvSJ_
; %bb.0:
	.section	.rodata,"a",@progbits
	.p2align	6, 0x0
	.amdhsa_kernel _ZN7rocprim17ROCPRIM_400000_NS6detail17trampoline_kernelINS0_14default_configENS1_38merge_sort_block_merge_config_selectorIiiEEZZNS1_27merge_sort_block_merge_implIS3_N6thrust23THRUST_200600_302600_NS6detail15normal_iteratorINS8_10device_ptrIiEEEESD_jNS1_19radix_merge_compareILb0ELb1EiNS0_19identity_decomposerEEEEE10hipError_tT0_T1_T2_jT3_P12ihipStream_tbPNSt15iterator_traitsISI_E10value_typeEPNSO_ISJ_E10value_typeEPSK_NS1_7vsmem_tEENKUlT_SI_SJ_SK_E_clISD_PiSD_S10_EESH_SX_SI_SJ_SK_EUlSX_E1_NS1_11comp_targetILNS1_3genE2ELNS1_11target_archE906ELNS1_3gpuE6ELNS1_3repE0EEENS1_36merge_oddeven_config_static_selectorELNS0_4arch9wavefront6targetE1EEEvSJ_
		.amdhsa_group_segment_fixed_size 0
		.amdhsa_private_segment_fixed_size 0
		.amdhsa_kernarg_size 48
		.amdhsa_user_sgpr_count 2
		.amdhsa_user_sgpr_dispatch_ptr 0
		.amdhsa_user_sgpr_queue_ptr 0
		.amdhsa_user_sgpr_kernarg_segment_ptr 1
		.amdhsa_user_sgpr_dispatch_id 0
		.amdhsa_user_sgpr_kernarg_preload_length 0
		.amdhsa_user_sgpr_kernarg_preload_offset 0
		.amdhsa_user_sgpr_private_segment_size 0
		.amdhsa_uses_dynamic_stack 0
		.amdhsa_enable_private_segment 0
		.amdhsa_system_sgpr_workgroup_id_x 1
		.amdhsa_system_sgpr_workgroup_id_y 0
		.amdhsa_system_sgpr_workgroup_id_z 0
		.amdhsa_system_sgpr_workgroup_info 0
		.amdhsa_system_vgpr_workitem_id 0
		.amdhsa_next_free_vgpr 1
		.amdhsa_next_free_sgpr 0
		.amdhsa_accum_offset 4
		.amdhsa_reserve_vcc 0
		.amdhsa_float_round_mode_32 0
		.amdhsa_float_round_mode_16_64 0
		.amdhsa_float_denorm_mode_32 3
		.amdhsa_float_denorm_mode_16_64 3
		.amdhsa_dx10_clamp 1
		.amdhsa_ieee_mode 1
		.amdhsa_fp16_overflow 0
		.amdhsa_tg_split 0
		.amdhsa_exception_fp_ieee_invalid_op 0
		.amdhsa_exception_fp_denorm_src 0
		.amdhsa_exception_fp_ieee_div_zero 0
		.amdhsa_exception_fp_ieee_overflow 0
		.amdhsa_exception_fp_ieee_underflow 0
		.amdhsa_exception_fp_ieee_inexact 0
		.amdhsa_exception_int_div_zero 0
	.end_amdhsa_kernel
	.section	.text._ZN7rocprim17ROCPRIM_400000_NS6detail17trampoline_kernelINS0_14default_configENS1_38merge_sort_block_merge_config_selectorIiiEEZZNS1_27merge_sort_block_merge_implIS3_N6thrust23THRUST_200600_302600_NS6detail15normal_iteratorINS8_10device_ptrIiEEEESD_jNS1_19radix_merge_compareILb0ELb1EiNS0_19identity_decomposerEEEEE10hipError_tT0_T1_T2_jT3_P12ihipStream_tbPNSt15iterator_traitsISI_E10value_typeEPNSO_ISJ_E10value_typeEPSK_NS1_7vsmem_tEENKUlT_SI_SJ_SK_E_clISD_PiSD_S10_EESH_SX_SI_SJ_SK_EUlSX_E1_NS1_11comp_targetILNS1_3genE2ELNS1_11target_archE906ELNS1_3gpuE6ELNS1_3repE0EEENS1_36merge_oddeven_config_static_selectorELNS0_4arch9wavefront6targetE1EEEvSJ_,"axG",@progbits,_ZN7rocprim17ROCPRIM_400000_NS6detail17trampoline_kernelINS0_14default_configENS1_38merge_sort_block_merge_config_selectorIiiEEZZNS1_27merge_sort_block_merge_implIS3_N6thrust23THRUST_200600_302600_NS6detail15normal_iteratorINS8_10device_ptrIiEEEESD_jNS1_19radix_merge_compareILb0ELb1EiNS0_19identity_decomposerEEEEE10hipError_tT0_T1_T2_jT3_P12ihipStream_tbPNSt15iterator_traitsISI_E10value_typeEPNSO_ISJ_E10value_typeEPSK_NS1_7vsmem_tEENKUlT_SI_SJ_SK_E_clISD_PiSD_S10_EESH_SX_SI_SJ_SK_EUlSX_E1_NS1_11comp_targetILNS1_3genE2ELNS1_11target_archE906ELNS1_3gpuE6ELNS1_3repE0EEENS1_36merge_oddeven_config_static_selectorELNS0_4arch9wavefront6targetE1EEEvSJ_,comdat
.Lfunc_end801:
	.size	_ZN7rocprim17ROCPRIM_400000_NS6detail17trampoline_kernelINS0_14default_configENS1_38merge_sort_block_merge_config_selectorIiiEEZZNS1_27merge_sort_block_merge_implIS3_N6thrust23THRUST_200600_302600_NS6detail15normal_iteratorINS8_10device_ptrIiEEEESD_jNS1_19radix_merge_compareILb0ELb1EiNS0_19identity_decomposerEEEEE10hipError_tT0_T1_T2_jT3_P12ihipStream_tbPNSt15iterator_traitsISI_E10value_typeEPNSO_ISJ_E10value_typeEPSK_NS1_7vsmem_tEENKUlT_SI_SJ_SK_E_clISD_PiSD_S10_EESH_SX_SI_SJ_SK_EUlSX_E1_NS1_11comp_targetILNS1_3genE2ELNS1_11target_archE906ELNS1_3gpuE6ELNS1_3repE0EEENS1_36merge_oddeven_config_static_selectorELNS0_4arch9wavefront6targetE1EEEvSJ_, .Lfunc_end801-_ZN7rocprim17ROCPRIM_400000_NS6detail17trampoline_kernelINS0_14default_configENS1_38merge_sort_block_merge_config_selectorIiiEEZZNS1_27merge_sort_block_merge_implIS3_N6thrust23THRUST_200600_302600_NS6detail15normal_iteratorINS8_10device_ptrIiEEEESD_jNS1_19radix_merge_compareILb0ELb1EiNS0_19identity_decomposerEEEEE10hipError_tT0_T1_T2_jT3_P12ihipStream_tbPNSt15iterator_traitsISI_E10value_typeEPNSO_ISJ_E10value_typeEPSK_NS1_7vsmem_tEENKUlT_SI_SJ_SK_E_clISD_PiSD_S10_EESH_SX_SI_SJ_SK_EUlSX_E1_NS1_11comp_targetILNS1_3genE2ELNS1_11target_archE906ELNS1_3gpuE6ELNS1_3repE0EEENS1_36merge_oddeven_config_static_selectorELNS0_4arch9wavefront6targetE1EEEvSJ_
                                        ; -- End function
	.set _ZN7rocprim17ROCPRIM_400000_NS6detail17trampoline_kernelINS0_14default_configENS1_38merge_sort_block_merge_config_selectorIiiEEZZNS1_27merge_sort_block_merge_implIS3_N6thrust23THRUST_200600_302600_NS6detail15normal_iteratorINS8_10device_ptrIiEEEESD_jNS1_19radix_merge_compareILb0ELb1EiNS0_19identity_decomposerEEEEE10hipError_tT0_T1_T2_jT3_P12ihipStream_tbPNSt15iterator_traitsISI_E10value_typeEPNSO_ISJ_E10value_typeEPSK_NS1_7vsmem_tEENKUlT_SI_SJ_SK_E_clISD_PiSD_S10_EESH_SX_SI_SJ_SK_EUlSX_E1_NS1_11comp_targetILNS1_3genE2ELNS1_11target_archE906ELNS1_3gpuE6ELNS1_3repE0EEENS1_36merge_oddeven_config_static_selectorELNS0_4arch9wavefront6targetE1EEEvSJ_.num_vgpr, 0
	.set _ZN7rocprim17ROCPRIM_400000_NS6detail17trampoline_kernelINS0_14default_configENS1_38merge_sort_block_merge_config_selectorIiiEEZZNS1_27merge_sort_block_merge_implIS3_N6thrust23THRUST_200600_302600_NS6detail15normal_iteratorINS8_10device_ptrIiEEEESD_jNS1_19radix_merge_compareILb0ELb1EiNS0_19identity_decomposerEEEEE10hipError_tT0_T1_T2_jT3_P12ihipStream_tbPNSt15iterator_traitsISI_E10value_typeEPNSO_ISJ_E10value_typeEPSK_NS1_7vsmem_tEENKUlT_SI_SJ_SK_E_clISD_PiSD_S10_EESH_SX_SI_SJ_SK_EUlSX_E1_NS1_11comp_targetILNS1_3genE2ELNS1_11target_archE906ELNS1_3gpuE6ELNS1_3repE0EEENS1_36merge_oddeven_config_static_selectorELNS0_4arch9wavefront6targetE1EEEvSJ_.num_agpr, 0
	.set _ZN7rocprim17ROCPRIM_400000_NS6detail17trampoline_kernelINS0_14default_configENS1_38merge_sort_block_merge_config_selectorIiiEEZZNS1_27merge_sort_block_merge_implIS3_N6thrust23THRUST_200600_302600_NS6detail15normal_iteratorINS8_10device_ptrIiEEEESD_jNS1_19radix_merge_compareILb0ELb1EiNS0_19identity_decomposerEEEEE10hipError_tT0_T1_T2_jT3_P12ihipStream_tbPNSt15iterator_traitsISI_E10value_typeEPNSO_ISJ_E10value_typeEPSK_NS1_7vsmem_tEENKUlT_SI_SJ_SK_E_clISD_PiSD_S10_EESH_SX_SI_SJ_SK_EUlSX_E1_NS1_11comp_targetILNS1_3genE2ELNS1_11target_archE906ELNS1_3gpuE6ELNS1_3repE0EEENS1_36merge_oddeven_config_static_selectorELNS0_4arch9wavefront6targetE1EEEvSJ_.numbered_sgpr, 0
	.set _ZN7rocprim17ROCPRIM_400000_NS6detail17trampoline_kernelINS0_14default_configENS1_38merge_sort_block_merge_config_selectorIiiEEZZNS1_27merge_sort_block_merge_implIS3_N6thrust23THRUST_200600_302600_NS6detail15normal_iteratorINS8_10device_ptrIiEEEESD_jNS1_19radix_merge_compareILb0ELb1EiNS0_19identity_decomposerEEEEE10hipError_tT0_T1_T2_jT3_P12ihipStream_tbPNSt15iterator_traitsISI_E10value_typeEPNSO_ISJ_E10value_typeEPSK_NS1_7vsmem_tEENKUlT_SI_SJ_SK_E_clISD_PiSD_S10_EESH_SX_SI_SJ_SK_EUlSX_E1_NS1_11comp_targetILNS1_3genE2ELNS1_11target_archE906ELNS1_3gpuE6ELNS1_3repE0EEENS1_36merge_oddeven_config_static_selectorELNS0_4arch9wavefront6targetE1EEEvSJ_.num_named_barrier, 0
	.set _ZN7rocprim17ROCPRIM_400000_NS6detail17trampoline_kernelINS0_14default_configENS1_38merge_sort_block_merge_config_selectorIiiEEZZNS1_27merge_sort_block_merge_implIS3_N6thrust23THRUST_200600_302600_NS6detail15normal_iteratorINS8_10device_ptrIiEEEESD_jNS1_19radix_merge_compareILb0ELb1EiNS0_19identity_decomposerEEEEE10hipError_tT0_T1_T2_jT3_P12ihipStream_tbPNSt15iterator_traitsISI_E10value_typeEPNSO_ISJ_E10value_typeEPSK_NS1_7vsmem_tEENKUlT_SI_SJ_SK_E_clISD_PiSD_S10_EESH_SX_SI_SJ_SK_EUlSX_E1_NS1_11comp_targetILNS1_3genE2ELNS1_11target_archE906ELNS1_3gpuE6ELNS1_3repE0EEENS1_36merge_oddeven_config_static_selectorELNS0_4arch9wavefront6targetE1EEEvSJ_.private_seg_size, 0
	.set _ZN7rocprim17ROCPRIM_400000_NS6detail17trampoline_kernelINS0_14default_configENS1_38merge_sort_block_merge_config_selectorIiiEEZZNS1_27merge_sort_block_merge_implIS3_N6thrust23THRUST_200600_302600_NS6detail15normal_iteratorINS8_10device_ptrIiEEEESD_jNS1_19radix_merge_compareILb0ELb1EiNS0_19identity_decomposerEEEEE10hipError_tT0_T1_T2_jT3_P12ihipStream_tbPNSt15iterator_traitsISI_E10value_typeEPNSO_ISJ_E10value_typeEPSK_NS1_7vsmem_tEENKUlT_SI_SJ_SK_E_clISD_PiSD_S10_EESH_SX_SI_SJ_SK_EUlSX_E1_NS1_11comp_targetILNS1_3genE2ELNS1_11target_archE906ELNS1_3gpuE6ELNS1_3repE0EEENS1_36merge_oddeven_config_static_selectorELNS0_4arch9wavefront6targetE1EEEvSJ_.uses_vcc, 0
	.set _ZN7rocprim17ROCPRIM_400000_NS6detail17trampoline_kernelINS0_14default_configENS1_38merge_sort_block_merge_config_selectorIiiEEZZNS1_27merge_sort_block_merge_implIS3_N6thrust23THRUST_200600_302600_NS6detail15normal_iteratorINS8_10device_ptrIiEEEESD_jNS1_19radix_merge_compareILb0ELb1EiNS0_19identity_decomposerEEEEE10hipError_tT0_T1_T2_jT3_P12ihipStream_tbPNSt15iterator_traitsISI_E10value_typeEPNSO_ISJ_E10value_typeEPSK_NS1_7vsmem_tEENKUlT_SI_SJ_SK_E_clISD_PiSD_S10_EESH_SX_SI_SJ_SK_EUlSX_E1_NS1_11comp_targetILNS1_3genE2ELNS1_11target_archE906ELNS1_3gpuE6ELNS1_3repE0EEENS1_36merge_oddeven_config_static_selectorELNS0_4arch9wavefront6targetE1EEEvSJ_.uses_flat_scratch, 0
	.set _ZN7rocprim17ROCPRIM_400000_NS6detail17trampoline_kernelINS0_14default_configENS1_38merge_sort_block_merge_config_selectorIiiEEZZNS1_27merge_sort_block_merge_implIS3_N6thrust23THRUST_200600_302600_NS6detail15normal_iteratorINS8_10device_ptrIiEEEESD_jNS1_19radix_merge_compareILb0ELb1EiNS0_19identity_decomposerEEEEE10hipError_tT0_T1_T2_jT3_P12ihipStream_tbPNSt15iterator_traitsISI_E10value_typeEPNSO_ISJ_E10value_typeEPSK_NS1_7vsmem_tEENKUlT_SI_SJ_SK_E_clISD_PiSD_S10_EESH_SX_SI_SJ_SK_EUlSX_E1_NS1_11comp_targetILNS1_3genE2ELNS1_11target_archE906ELNS1_3gpuE6ELNS1_3repE0EEENS1_36merge_oddeven_config_static_selectorELNS0_4arch9wavefront6targetE1EEEvSJ_.has_dyn_sized_stack, 0
	.set _ZN7rocprim17ROCPRIM_400000_NS6detail17trampoline_kernelINS0_14default_configENS1_38merge_sort_block_merge_config_selectorIiiEEZZNS1_27merge_sort_block_merge_implIS3_N6thrust23THRUST_200600_302600_NS6detail15normal_iteratorINS8_10device_ptrIiEEEESD_jNS1_19radix_merge_compareILb0ELb1EiNS0_19identity_decomposerEEEEE10hipError_tT0_T1_T2_jT3_P12ihipStream_tbPNSt15iterator_traitsISI_E10value_typeEPNSO_ISJ_E10value_typeEPSK_NS1_7vsmem_tEENKUlT_SI_SJ_SK_E_clISD_PiSD_S10_EESH_SX_SI_SJ_SK_EUlSX_E1_NS1_11comp_targetILNS1_3genE2ELNS1_11target_archE906ELNS1_3gpuE6ELNS1_3repE0EEENS1_36merge_oddeven_config_static_selectorELNS0_4arch9wavefront6targetE1EEEvSJ_.has_recursion, 0
	.set _ZN7rocprim17ROCPRIM_400000_NS6detail17trampoline_kernelINS0_14default_configENS1_38merge_sort_block_merge_config_selectorIiiEEZZNS1_27merge_sort_block_merge_implIS3_N6thrust23THRUST_200600_302600_NS6detail15normal_iteratorINS8_10device_ptrIiEEEESD_jNS1_19radix_merge_compareILb0ELb1EiNS0_19identity_decomposerEEEEE10hipError_tT0_T1_T2_jT3_P12ihipStream_tbPNSt15iterator_traitsISI_E10value_typeEPNSO_ISJ_E10value_typeEPSK_NS1_7vsmem_tEENKUlT_SI_SJ_SK_E_clISD_PiSD_S10_EESH_SX_SI_SJ_SK_EUlSX_E1_NS1_11comp_targetILNS1_3genE2ELNS1_11target_archE906ELNS1_3gpuE6ELNS1_3repE0EEENS1_36merge_oddeven_config_static_selectorELNS0_4arch9wavefront6targetE1EEEvSJ_.has_indirect_call, 0
	.section	.AMDGPU.csdata,"",@progbits
; Kernel info:
; codeLenInByte = 0
; TotalNumSgprs: 6
; NumVgprs: 0
; NumAgprs: 0
; TotalNumVgprs: 0
; ScratchSize: 0
; MemoryBound: 0
; FloatMode: 240
; IeeeMode: 1
; LDSByteSize: 0 bytes/workgroup (compile time only)
; SGPRBlocks: 0
; VGPRBlocks: 0
; NumSGPRsForWavesPerEU: 6
; NumVGPRsForWavesPerEU: 1
; AccumOffset: 4
; Occupancy: 8
; WaveLimiterHint : 0
; COMPUTE_PGM_RSRC2:SCRATCH_EN: 0
; COMPUTE_PGM_RSRC2:USER_SGPR: 2
; COMPUTE_PGM_RSRC2:TRAP_HANDLER: 0
; COMPUTE_PGM_RSRC2:TGID_X_EN: 1
; COMPUTE_PGM_RSRC2:TGID_Y_EN: 0
; COMPUTE_PGM_RSRC2:TGID_Z_EN: 0
; COMPUTE_PGM_RSRC2:TIDIG_COMP_CNT: 0
; COMPUTE_PGM_RSRC3_GFX90A:ACCUM_OFFSET: 0
; COMPUTE_PGM_RSRC3_GFX90A:TG_SPLIT: 0
	.section	.text._ZN7rocprim17ROCPRIM_400000_NS6detail17trampoline_kernelINS0_14default_configENS1_38merge_sort_block_merge_config_selectorIiiEEZZNS1_27merge_sort_block_merge_implIS3_N6thrust23THRUST_200600_302600_NS6detail15normal_iteratorINS8_10device_ptrIiEEEESD_jNS1_19radix_merge_compareILb0ELb1EiNS0_19identity_decomposerEEEEE10hipError_tT0_T1_T2_jT3_P12ihipStream_tbPNSt15iterator_traitsISI_E10value_typeEPNSO_ISJ_E10value_typeEPSK_NS1_7vsmem_tEENKUlT_SI_SJ_SK_E_clISD_PiSD_S10_EESH_SX_SI_SJ_SK_EUlSX_E1_NS1_11comp_targetILNS1_3genE9ELNS1_11target_archE1100ELNS1_3gpuE3ELNS1_3repE0EEENS1_36merge_oddeven_config_static_selectorELNS0_4arch9wavefront6targetE1EEEvSJ_,"axG",@progbits,_ZN7rocprim17ROCPRIM_400000_NS6detail17trampoline_kernelINS0_14default_configENS1_38merge_sort_block_merge_config_selectorIiiEEZZNS1_27merge_sort_block_merge_implIS3_N6thrust23THRUST_200600_302600_NS6detail15normal_iteratorINS8_10device_ptrIiEEEESD_jNS1_19radix_merge_compareILb0ELb1EiNS0_19identity_decomposerEEEEE10hipError_tT0_T1_T2_jT3_P12ihipStream_tbPNSt15iterator_traitsISI_E10value_typeEPNSO_ISJ_E10value_typeEPSK_NS1_7vsmem_tEENKUlT_SI_SJ_SK_E_clISD_PiSD_S10_EESH_SX_SI_SJ_SK_EUlSX_E1_NS1_11comp_targetILNS1_3genE9ELNS1_11target_archE1100ELNS1_3gpuE3ELNS1_3repE0EEENS1_36merge_oddeven_config_static_selectorELNS0_4arch9wavefront6targetE1EEEvSJ_,comdat
	.protected	_ZN7rocprim17ROCPRIM_400000_NS6detail17trampoline_kernelINS0_14default_configENS1_38merge_sort_block_merge_config_selectorIiiEEZZNS1_27merge_sort_block_merge_implIS3_N6thrust23THRUST_200600_302600_NS6detail15normal_iteratorINS8_10device_ptrIiEEEESD_jNS1_19radix_merge_compareILb0ELb1EiNS0_19identity_decomposerEEEEE10hipError_tT0_T1_T2_jT3_P12ihipStream_tbPNSt15iterator_traitsISI_E10value_typeEPNSO_ISJ_E10value_typeEPSK_NS1_7vsmem_tEENKUlT_SI_SJ_SK_E_clISD_PiSD_S10_EESH_SX_SI_SJ_SK_EUlSX_E1_NS1_11comp_targetILNS1_3genE9ELNS1_11target_archE1100ELNS1_3gpuE3ELNS1_3repE0EEENS1_36merge_oddeven_config_static_selectorELNS0_4arch9wavefront6targetE1EEEvSJ_ ; -- Begin function _ZN7rocprim17ROCPRIM_400000_NS6detail17trampoline_kernelINS0_14default_configENS1_38merge_sort_block_merge_config_selectorIiiEEZZNS1_27merge_sort_block_merge_implIS3_N6thrust23THRUST_200600_302600_NS6detail15normal_iteratorINS8_10device_ptrIiEEEESD_jNS1_19radix_merge_compareILb0ELb1EiNS0_19identity_decomposerEEEEE10hipError_tT0_T1_T2_jT3_P12ihipStream_tbPNSt15iterator_traitsISI_E10value_typeEPNSO_ISJ_E10value_typeEPSK_NS1_7vsmem_tEENKUlT_SI_SJ_SK_E_clISD_PiSD_S10_EESH_SX_SI_SJ_SK_EUlSX_E1_NS1_11comp_targetILNS1_3genE9ELNS1_11target_archE1100ELNS1_3gpuE3ELNS1_3repE0EEENS1_36merge_oddeven_config_static_selectorELNS0_4arch9wavefront6targetE1EEEvSJ_
	.globl	_ZN7rocprim17ROCPRIM_400000_NS6detail17trampoline_kernelINS0_14default_configENS1_38merge_sort_block_merge_config_selectorIiiEEZZNS1_27merge_sort_block_merge_implIS3_N6thrust23THRUST_200600_302600_NS6detail15normal_iteratorINS8_10device_ptrIiEEEESD_jNS1_19radix_merge_compareILb0ELb1EiNS0_19identity_decomposerEEEEE10hipError_tT0_T1_T2_jT3_P12ihipStream_tbPNSt15iterator_traitsISI_E10value_typeEPNSO_ISJ_E10value_typeEPSK_NS1_7vsmem_tEENKUlT_SI_SJ_SK_E_clISD_PiSD_S10_EESH_SX_SI_SJ_SK_EUlSX_E1_NS1_11comp_targetILNS1_3genE9ELNS1_11target_archE1100ELNS1_3gpuE3ELNS1_3repE0EEENS1_36merge_oddeven_config_static_selectorELNS0_4arch9wavefront6targetE1EEEvSJ_
	.p2align	8
	.type	_ZN7rocprim17ROCPRIM_400000_NS6detail17trampoline_kernelINS0_14default_configENS1_38merge_sort_block_merge_config_selectorIiiEEZZNS1_27merge_sort_block_merge_implIS3_N6thrust23THRUST_200600_302600_NS6detail15normal_iteratorINS8_10device_ptrIiEEEESD_jNS1_19radix_merge_compareILb0ELb1EiNS0_19identity_decomposerEEEEE10hipError_tT0_T1_T2_jT3_P12ihipStream_tbPNSt15iterator_traitsISI_E10value_typeEPNSO_ISJ_E10value_typeEPSK_NS1_7vsmem_tEENKUlT_SI_SJ_SK_E_clISD_PiSD_S10_EESH_SX_SI_SJ_SK_EUlSX_E1_NS1_11comp_targetILNS1_3genE9ELNS1_11target_archE1100ELNS1_3gpuE3ELNS1_3repE0EEENS1_36merge_oddeven_config_static_selectorELNS0_4arch9wavefront6targetE1EEEvSJ_,@function
_ZN7rocprim17ROCPRIM_400000_NS6detail17trampoline_kernelINS0_14default_configENS1_38merge_sort_block_merge_config_selectorIiiEEZZNS1_27merge_sort_block_merge_implIS3_N6thrust23THRUST_200600_302600_NS6detail15normal_iteratorINS8_10device_ptrIiEEEESD_jNS1_19radix_merge_compareILb0ELb1EiNS0_19identity_decomposerEEEEE10hipError_tT0_T1_T2_jT3_P12ihipStream_tbPNSt15iterator_traitsISI_E10value_typeEPNSO_ISJ_E10value_typeEPSK_NS1_7vsmem_tEENKUlT_SI_SJ_SK_E_clISD_PiSD_S10_EESH_SX_SI_SJ_SK_EUlSX_E1_NS1_11comp_targetILNS1_3genE9ELNS1_11target_archE1100ELNS1_3gpuE3ELNS1_3repE0EEENS1_36merge_oddeven_config_static_selectorELNS0_4arch9wavefront6targetE1EEEvSJ_: ; @_ZN7rocprim17ROCPRIM_400000_NS6detail17trampoline_kernelINS0_14default_configENS1_38merge_sort_block_merge_config_selectorIiiEEZZNS1_27merge_sort_block_merge_implIS3_N6thrust23THRUST_200600_302600_NS6detail15normal_iteratorINS8_10device_ptrIiEEEESD_jNS1_19radix_merge_compareILb0ELb1EiNS0_19identity_decomposerEEEEE10hipError_tT0_T1_T2_jT3_P12ihipStream_tbPNSt15iterator_traitsISI_E10value_typeEPNSO_ISJ_E10value_typeEPSK_NS1_7vsmem_tEENKUlT_SI_SJ_SK_E_clISD_PiSD_S10_EESH_SX_SI_SJ_SK_EUlSX_E1_NS1_11comp_targetILNS1_3genE9ELNS1_11target_archE1100ELNS1_3gpuE3ELNS1_3repE0EEENS1_36merge_oddeven_config_static_selectorELNS0_4arch9wavefront6targetE1EEEvSJ_
; %bb.0:
	.section	.rodata,"a",@progbits
	.p2align	6, 0x0
	.amdhsa_kernel _ZN7rocprim17ROCPRIM_400000_NS6detail17trampoline_kernelINS0_14default_configENS1_38merge_sort_block_merge_config_selectorIiiEEZZNS1_27merge_sort_block_merge_implIS3_N6thrust23THRUST_200600_302600_NS6detail15normal_iteratorINS8_10device_ptrIiEEEESD_jNS1_19radix_merge_compareILb0ELb1EiNS0_19identity_decomposerEEEEE10hipError_tT0_T1_T2_jT3_P12ihipStream_tbPNSt15iterator_traitsISI_E10value_typeEPNSO_ISJ_E10value_typeEPSK_NS1_7vsmem_tEENKUlT_SI_SJ_SK_E_clISD_PiSD_S10_EESH_SX_SI_SJ_SK_EUlSX_E1_NS1_11comp_targetILNS1_3genE9ELNS1_11target_archE1100ELNS1_3gpuE3ELNS1_3repE0EEENS1_36merge_oddeven_config_static_selectorELNS0_4arch9wavefront6targetE1EEEvSJ_
		.amdhsa_group_segment_fixed_size 0
		.amdhsa_private_segment_fixed_size 0
		.amdhsa_kernarg_size 48
		.amdhsa_user_sgpr_count 2
		.amdhsa_user_sgpr_dispatch_ptr 0
		.amdhsa_user_sgpr_queue_ptr 0
		.amdhsa_user_sgpr_kernarg_segment_ptr 1
		.amdhsa_user_sgpr_dispatch_id 0
		.amdhsa_user_sgpr_kernarg_preload_length 0
		.amdhsa_user_sgpr_kernarg_preload_offset 0
		.amdhsa_user_sgpr_private_segment_size 0
		.amdhsa_uses_dynamic_stack 0
		.amdhsa_enable_private_segment 0
		.amdhsa_system_sgpr_workgroup_id_x 1
		.amdhsa_system_sgpr_workgroup_id_y 0
		.amdhsa_system_sgpr_workgroup_id_z 0
		.amdhsa_system_sgpr_workgroup_info 0
		.amdhsa_system_vgpr_workitem_id 0
		.amdhsa_next_free_vgpr 1
		.amdhsa_next_free_sgpr 0
		.amdhsa_accum_offset 4
		.amdhsa_reserve_vcc 0
		.amdhsa_float_round_mode_32 0
		.amdhsa_float_round_mode_16_64 0
		.amdhsa_float_denorm_mode_32 3
		.amdhsa_float_denorm_mode_16_64 3
		.amdhsa_dx10_clamp 1
		.amdhsa_ieee_mode 1
		.amdhsa_fp16_overflow 0
		.amdhsa_tg_split 0
		.amdhsa_exception_fp_ieee_invalid_op 0
		.amdhsa_exception_fp_denorm_src 0
		.amdhsa_exception_fp_ieee_div_zero 0
		.amdhsa_exception_fp_ieee_overflow 0
		.amdhsa_exception_fp_ieee_underflow 0
		.amdhsa_exception_fp_ieee_inexact 0
		.amdhsa_exception_int_div_zero 0
	.end_amdhsa_kernel
	.section	.text._ZN7rocprim17ROCPRIM_400000_NS6detail17trampoline_kernelINS0_14default_configENS1_38merge_sort_block_merge_config_selectorIiiEEZZNS1_27merge_sort_block_merge_implIS3_N6thrust23THRUST_200600_302600_NS6detail15normal_iteratorINS8_10device_ptrIiEEEESD_jNS1_19radix_merge_compareILb0ELb1EiNS0_19identity_decomposerEEEEE10hipError_tT0_T1_T2_jT3_P12ihipStream_tbPNSt15iterator_traitsISI_E10value_typeEPNSO_ISJ_E10value_typeEPSK_NS1_7vsmem_tEENKUlT_SI_SJ_SK_E_clISD_PiSD_S10_EESH_SX_SI_SJ_SK_EUlSX_E1_NS1_11comp_targetILNS1_3genE9ELNS1_11target_archE1100ELNS1_3gpuE3ELNS1_3repE0EEENS1_36merge_oddeven_config_static_selectorELNS0_4arch9wavefront6targetE1EEEvSJ_,"axG",@progbits,_ZN7rocprim17ROCPRIM_400000_NS6detail17trampoline_kernelINS0_14default_configENS1_38merge_sort_block_merge_config_selectorIiiEEZZNS1_27merge_sort_block_merge_implIS3_N6thrust23THRUST_200600_302600_NS6detail15normal_iteratorINS8_10device_ptrIiEEEESD_jNS1_19radix_merge_compareILb0ELb1EiNS0_19identity_decomposerEEEEE10hipError_tT0_T1_T2_jT3_P12ihipStream_tbPNSt15iterator_traitsISI_E10value_typeEPNSO_ISJ_E10value_typeEPSK_NS1_7vsmem_tEENKUlT_SI_SJ_SK_E_clISD_PiSD_S10_EESH_SX_SI_SJ_SK_EUlSX_E1_NS1_11comp_targetILNS1_3genE9ELNS1_11target_archE1100ELNS1_3gpuE3ELNS1_3repE0EEENS1_36merge_oddeven_config_static_selectorELNS0_4arch9wavefront6targetE1EEEvSJ_,comdat
.Lfunc_end802:
	.size	_ZN7rocprim17ROCPRIM_400000_NS6detail17trampoline_kernelINS0_14default_configENS1_38merge_sort_block_merge_config_selectorIiiEEZZNS1_27merge_sort_block_merge_implIS3_N6thrust23THRUST_200600_302600_NS6detail15normal_iteratorINS8_10device_ptrIiEEEESD_jNS1_19radix_merge_compareILb0ELb1EiNS0_19identity_decomposerEEEEE10hipError_tT0_T1_T2_jT3_P12ihipStream_tbPNSt15iterator_traitsISI_E10value_typeEPNSO_ISJ_E10value_typeEPSK_NS1_7vsmem_tEENKUlT_SI_SJ_SK_E_clISD_PiSD_S10_EESH_SX_SI_SJ_SK_EUlSX_E1_NS1_11comp_targetILNS1_3genE9ELNS1_11target_archE1100ELNS1_3gpuE3ELNS1_3repE0EEENS1_36merge_oddeven_config_static_selectorELNS0_4arch9wavefront6targetE1EEEvSJ_, .Lfunc_end802-_ZN7rocprim17ROCPRIM_400000_NS6detail17trampoline_kernelINS0_14default_configENS1_38merge_sort_block_merge_config_selectorIiiEEZZNS1_27merge_sort_block_merge_implIS3_N6thrust23THRUST_200600_302600_NS6detail15normal_iteratorINS8_10device_ptrIiEEEESD_jNS1_19radix_merge_compareILb0ELb1EiNS0_19identity_decomposerEEEEE10hipError_tT0_T1_T2_jT3_P12ihipStream_tbPNSt15iterator_traitsISI_E10value_typeEPNSO_ISJ_E10value_typeEPSK_NS1_7vsmem_tEENKUlT_SI_SJ_SK_E_clISD_PiSD_S10_EESH_SX_SI_SJ_SK_EUlSX_E1_NS1_11comp_targetILNS1_3genE9ELNS1_11target_archE1100ELNS1_3gpuE3ELNS1_3repE0EEENS1_36merge_oddeven_config_static_selectorELNS0_4arch9wavefront6targetE1EEEvSJ_
                                        ; -- End function
	.set _ZN7rocprim17ROCPRIM_400000_NS6detail17trampoline_kernelINS0_14default_configENS1_38merge_sort_block_merge_config_selectorIiiEEZZNS1_27merge_sort_block_merge_implIS3_N6thrust23THRUST_200600_302600_NS6detail15normal_iteratorINS8_10device_ptrIiEEEESD_jNS1_19radix_merge_compareILb0ELb1EiNS0_19identity_decomposerEEEEE10hipError_tT0_T1_T2_jT3_P12ihipStream_tbPNSt15iterator_traitsISI_E10value_typeEPNSO_ISJ_E10value_typeEPSK_NS1_7vsmem_tEENKUlT_SI_SJ_SK_E_clISD_PiSD_S10_EESH_SX_SI_SJ_SK_EUlSX_E1_NS1_11comp_targetILNS1_3genE9ELNS1_11target_archE1100ELNS1_3gpuE3ELNS1_3repE0EEENS1_36merge_oddeven_config_static_selectorELNS0_4arch9wavefront6targetE1EEEvSJ_.num_vgpr, 0
	.set _ZN7rocprim17ROCPRIM_400000_NS6detail17trampoline_kernelINS0_14default_configENS1_38merge_sort_block_merge_config_selectorIiiEEZZNS1_27merge_sort_block_merge_implIS3_N6thrust23THRUST_200600_302600_NS6detail15normal_iteratorINS8_10device_ptrIiEEEESD_jNS1_19radix_merge_compareILb0ELb1EiNS0_19identity_decomposerEEEEE10hipError_tT0_T1_T2_jT3_P12ihipStream_tbPNSt15iterator_traitsISI_E10value_typeEPNSO_ISJ_E10value_typeEPSK_NS1_7vsmem_tEENKUlT_SI_SJ_SK_E_clISD_PiSD_S10_EESH_SX_SI_SJ_SK_EUlSX_E1_NS1_11comp_targetILNS1_3genE9ELNS1_11target_archE1100ELNS1_3gpuE3ELNS1_3repE0EEENS1_36merge_oddeven_config_static_selectorELNS0_4arch9wavefront6targetE1EEEvSJ_.num_agpr, 0
	.set _ZN7rocprim17ROCPRIM_400000_NS6detail17trampoline_kernelINS0_14default_configENS1_38merge_sort_block_merge_config_selectorIiiEEZZNS1_27merge_sort_block_merge_implIS3_N6thrust23THRUST_200600_302600_NS6detail15normal_iteratorINS8_10device_ptrIiEEEESD_jNS1_19radix_merge_compareILb0ELb1EiNS0_19identity_decomposerEEEEE10hipError_tT0_T1_T2_jT3_P12ihipStream_tbPNSt15iterator_traitsISI_E10value_typeEPNSO_ISJ_E10value_typeEPSK_NS1_7vsmem_tEENKUlT_SI_SJ_SK_E_clISD_PiSD_S10_EESH_SX_SI_SJ_SK_EUlSX_E1_NS1_11comp_targetILNS1_3genE9ELNS1_11target_archE1100ELNS1_3gpuE3ELNS1_3repE0EEENS1_36merge_oddeven_config_static_selectorELNS0_4arch9wavefront6targetE1EEEvSJ_.numbered_sgpr, 0
	.set _ZN7rocprim17ROCPRIM_400000_NS6detail17trampoline_kernelINS0_14default_configENS1_38merge_sort_block_merge_config_selectorIiiEEZZNS1_27merge_sort_block_merge_implIS3_N6thrust23THRUST_200600_302600_NS6detail15normal_iteratorINS8_10device_ptrIiEEEESD_jNS1_19radix_merge_compareILb0ELb1EiNS0_19identity_decomposerEEEEE10hipError_tT0_T1_T2_jT3_P12ihipStream_tbPNSt15iterator_traitsISI_E10value_typeEPNSO_ISJ_E10value_typeEPSK_NS1_7vsmem_tEENKUlT_SI_SJ_SK_E_clISD_PiSD_S10_EESH_SX_SI_SJ_SK_EUlSX_E1_NS1_11comp_targetILNS1_3genE9ELNS1_11target_archE1100ELNS1_3gpuE3ELNS1_3repE0EEENS1_36merge_oddeven_config_static_selectorELNS0_4arch9wavefront6targetE1EEEvSJ_.num_named_barrier, 0
	.set _ZN7rocprim17ROCPRIM_400000_NS6detail17trampoline_kernelINS0_14default_configENS1_38merge_sort_block_merge_config_selectorIiiEEZZNS1_27merge_sort_block_merge_implIS3_N6thrust23THRUST_200600_302600_NS6detail15normal_iteratorINS8_10device_ptrIiEEEESD_jNS1_19radix_merge_compareILb0ELb1EiNS0_19identity_decomposerEEEEE10hipError_tT0_T1_T2_jT3_P12ihipStream_tbPNSt15iterator_traitsISI_E10value_typeEPNSO_ISJ_E10value_typeEPSK_NS1_7vsmem_tEENKUlT_SI_SJ_SK_E_clISD_PiSD_S10_EESH_SX_SI_SJ_SK_EUlSX_E1_NS1_11comp_targetILNS1_3genE9ELNS1_11target_archE1100ELNS1_3gpuE3ELNS1_3repE0EEENS1_36merge_oddeven_config_static_selectorELNS0_4arch9wavefront6targetE1EEEvSJ_.private_seg_size, 0
	.set _ZN7rocprim17ROCPRIM_400000_NS6detail17trampoline_kernelINS0_14default_configENS1_38merge_sort_block_merge_config_selectorIiiEEZZNS1_27merge_sort_block_merge_implIS3_N6thrust23THRUST_200600_302600_NS6detail15normal_iteratorINS8_10device_ptrIiEEEESD_jNS1_19radix_merge_compareILb0ELb1EiNS0_19identity_decomposerEEEEE10hipError_tT0_T1_T2_jT3_P12ihipStream_tbPNSt15iterator_traitsISI_E10value_typeEPNSO_ISJ_E10value_typeEPSK_NS1_7vsmem_tEENKUlT_SI_SJ_SK_E_clISD_PiSD_S10_EESH_SX_SI_SJ_SK_EUlSX_E1_NS1_11comp_targetILNS1_3genE9ELNS1_11target_archE1100ELNS1_3gpuE3ELNS1_3repE0EEENS1_36merge_oddeven_config_static_selectorELNS0_4arch9wavefront6targetE1EEEvSJ_.uses_vcc, 0
	.set _ZN7rocprim17ROCPRIM_400000_NS6detail17trampoline_kernelINS0_14default_configENS1_38merge_sort_block_merge_config_selectorIiiEEZZNS1_27merge_sort_block_merge_implIS3_N6thrust23THRUST_200600_302600_NS6detail15normal_iteratorINS8_10device_ptrIiEEEESD_jNS1_19radix_merge_compareILb0ELb1EiNS0_19identity_decomposerEEEEE10hipError_tT0_T1_T2_jT3_P12ihipStream_tbPNSt15iterator_traitsISI_E10value_typeEPNSO_ISJ_E10value_typeEPSK_NS1_7vsmem_tEENKUlT_SI_SJ_SK_E_clISD_PiSD_S10_EESH_SX_SI_SJ_SK_EUlSX_E1_NS1_11comp_targetILNS1_3genE9ELNS1_11target_archE1100ELNS1_3gpuE3ELNS1_3repE0EEENS1_36merge_oddeven_config_static_selectorELNS0_4arch9wavefront6targetE1EEEvSJ_.uses_flat_scratch, 0
	.set _ZN7rocprim17ROCPRIM_400000_NS6detail17trampoline_kernelINS0_14default_configENS1_38merge_sort_block_merge_config_selectorIiiEEZZNS1_27merge_sort_block_merge_implIS3_N6thrust23THRUST_200600_302600_NS6detail15normal_iteratorINS8_10device_ptrIiEEEESD_jNS1_19radix_merge_compareILb0ELb1EiNS0_19identity_decomposerEEEEE10hipError_tT0_T1_T2_jT3_P12ihipStream_tbPNSt15iterator_traitsISI_E10value_typeEPNSO_ISJ_E10value_typeEPSK_NS1_7vsmem_tEENKUlT_SI_SJ_SK_E_clISD_PiSD_S10_EESH_SX_SI_SJ_SK_EUlSX_E1_NS1_11comp_targetILNS1_3genE9ELNS1_11target_archE1100ELNS1_3gpuE3ELNS1_3repE0EEENS1_36merge_oddeven_config_static_selectorELNS0_4arch9wavefront6targetE1EEEvSJ_.has_dyn_sized_stack, 0
	.set _ZN7rocprim17ROCPRIM_400000_NS6detail17trampoline_kernelINS0_14default_configENS1_38merge_sort_block_merge_config_selectorIiiEEZZNS1_27merge_sort_block_merge_implIS3_N6thrust23THRUST_200600_302600_NS6detail15normal_iteratorINS8_10device_ptrIiEEEESD_jNS1_19radix_merge_compareILb0ELb1EiNS0_19identity_decomposerEEEEE10hipError_tT0_T1_T2_jT3_P12ihipStream_tbPNSt15iterator_traitsISI_E10value_typeEPNSO_ISJ_E10value_typeEPSK_NS1_7vsmem_tEENKUlT_SI_SJ_SK_E_clISD_PiSD_S10_EESH_SX_SI_SJ_SK_EUlSX_E1_NS1_11comp_targetILNS1_3genE9ELNS1_11target_archE1100ELNS1_3gpuE3ELNS1_3repE0EEENS1_36merge_oddeven_config_static_selectorELNS0_4arch9wavefront6targetE1EEEvSJ_.has_recursion, 0
	.set _ZN7rocprim17ROCPRIM_400000_NS6detail17trampoline_kernelINS0_14default_configENS1_38merge_sort_block_merge_config_selectorIiiEEZZNS1_27merge_sort_block_merge_implIS3_N6thrust23THRUST_200600_302600_NS6detail15normal_iteratorINS8_10device_ptrIiEEEESD_jNS1_19radix_merge_compareILb0ELb1EiNS0_19identity_decomposerEEEEE10hipError_tT0_T1_T2_jT3_P12ihipStream_tbPNSt15iterator_traitsISI_E10value_typeEPNSO_ISJ_E10value_typeEPSK_NS1_7vsmem_tEENKUlT_SI_SJ_SK_E_clISD_PiSD_S10_EESH_SX_SI_SJ_SK_EUlSX_E1_NS1_11comp_targetILNS1_3genE9ELNS1_11target_archE1100ELNS1_3gpuE3ELNS1_3repE0EEENS1_36merge_oddeven_config_static_selectorELNS0_4arch9wavefront6targetE1EEEvSJ_.has_indirect_call, 0
	.section	.AMDGPU.csdata,"",@progbits
; Kernel info:
; codeLenInByte = 0
; TotalNumSgprs: 6
; NumVgprs: 0
; NumAgprs: 0
; TotalNumVgprs: 0
; ScratchSize: 0
; MemoryBound: 0
; FloatMode: 240
; IeeeMode: 1
; LDSByteSize: 0 bytes/workgroup (compile time only)
; SGPRBlocks: 0
; VGPRBlocks: 0
; NumSGPRsForWavesPerEU: 6
; NumVGPRsForWavesPerEU: 1
; AccumOffset: 4
; Occupancy: 8
; WaveLimiterHint : 0
; COMPUTE_PGM_RSRC2:SCRATCH_EN: 0
; COMPUTE_PGM_RSRC2:USER_SGPR: 2
; COMPUTE_PGM_RSRC2:TRAP_HANDLER: 0
; COMPUTE_PGM_RSRC2:TGID_X_EN: 1
; COMPUTE_PGM_RSRC2:TGID_Y_EN: 0
; COMPUTE_PGM_RSRC2:TGID_Z_EN: 0
; COMPUTE_PGM_RSRC2:TIDIG_COMP_CNT: 0
; COMPUTE_PGM_RSRC3_GFX90A:ACCUM_OFFSET: 0
; COMPUTE_PGM_RSRC3_GFX90A:TG_SPLIT: 0
	.section	.text._ZN7rocprim17ROCPRIM_400000_NS6detail17trampoline_kernelINS0_14default_configENS1_38merge_sort_block_merge_config_selectorIiiEEZZNS1_27merge_sort_block_merge_implIS3_N6thrust23THRUST_200600_302600_NS6detail15normal_iteratorINS8_10device_ptrIiEEEESD_jNS1_19radix_merge_compareILb0ELb1EiNS0_19identity_decomposerEEEEE10hipError_tT0_T1_T2_jT3_P12ihipStream_tbPNSt15iterator_traitsISI_E10value_typeEPNSO_ISJ_E10value_typeEPSK_NS1_7vsmem_tEENKUlT_SI_SJ_SK_E_clISD_PiSD_S10_EESH_SX_SI_SJ_SK_EUlSX_E1_NS1_11comp_targetILNS1_3genE8ELNS1_11target_archE1030ELNS1_3gpuE2ELNS1_3repE0EEENS1_36merge_oddeven_config_static_selectorELNS0_4arch9wavefront6targetE1EEEvSJ_,"axG",@progbits,_ZN7rocprim17ROCPRIM_400000_NS6detail17trampoline_kernelINS0_14default_configENS1_38merge_sort_block_merge_config_selectorIiiEEZZNS1_27merge_sort_block_merge_implIS3_N6thrust23THRUST_200600_302600_NS6detail15normal_iteratorINS8_10device_ptrIiEEEESD_jNS1_19radix_merge_compareILb0ELb1EiNS0_19identity_decomposerEEEEE10hipError_tT0_T1_T2_jT3_P12ihipStream_tbPNSt15iterator_traitsISI_E10value_typeEPNSO_ISJ_E10value_typeEPSK_NS1_7vsmem_tEENKUlT_SI_SJ_SK_E_clISD_PiSD_S10_EESH_SX_SI_SJ_SK_EUlSX_E1_NS1_11comp_targetILNS1_3genE8ELNS1_11target_archE1030ELNS1_3gpuE2ELNS1_3repE0EEENS1_36merge_oddeven_config_static_selectorELNS0_4arch9wavefront6targetE1EEEvSJ_,comdat
	.protected	_ZN7rocprim17ROCPRIM_400000_NS6detail17trampoline_kernelINS0_14default_configENS1_38merge_sort_block_merge_config_selectorIiiEEZZNS1_27merge_sort_block_merge_implIS3_N6thrust23THRUST_200600_302600_NS6detail15normal_iteratorINS8_10device_ptrIiEEEESD_jNS1_19radix_merge_compareILb0ELb1EiNS0_19identity_decomposerEEEEE10hipError_tT0_T1_T2_jT3_P12ihipStream_tbPNSt15iterator_traitsISI_E10value_typeEPNSO_ISJ_E10value_typeEPSK_NS1_7vsmem_tEENKUlT_SI_SJ_SK_E_clISD_PiSD_S10_EESH_SX_SI_SJ_SK_EUlSX_E1_NS1_11comp_targetILNS1_3genE8ELNS1_11target_archE1030ELNS1_3gpuE2ELNS1_3repE0EEENS1_36merge_oddeven_config_static_selectorELNS0_4arch9wavefront6targetE1EEEvSJ_ ; -- Begin function _ZN7rocprim17ROCPRIM_400000_NS6detail17trampoline_kernelINS0_14default_configENS1_38merge_sort_block_merge_config_selectorIiiEEZZNS1_27merge_sort_block_merge_implIS3_N6thrust23THRUST_200600_302600_NS6detail15normal_iteratorINS8_10device_ptrIiEEEESD_jNS1_19radix_merge_compareILb0ELb1EiNS0_19identity_decomposerEEEEE10hipError_tT0_T1_T2_jT3_P12ihipStream_tbPNSt15iterator_traitsISI_E10value_typeEPNSO_ISJ_E10value_typeEPSK_NS1_7vsmem_tEENKUlT_SI_SJ_SK_E_clISD_PiSD_S10_EESH_SX_SI_SJ_SK_EUlSX_E1_NS1_11comp_targetILNS1_3genE8ELNS1_11target_archE1030ELNS1_3gpuE2ELNS1_3repE0EEENS1_36merge_oddeven_config_static_selectorELNS0_4arch9wavefront6targetE1EEEvSJ_
	.globl	_ZN7rocprim17ROCPRIM_400000_NS6detail17trampoline_kernelINS0_14default_configENS1_38merge_sort_block_merge_config_selectorIiiEEZZNS1_27merge_sort_block_merge_implIS3_N6thrust23THRUST_200600_302600_NS6detail15normal_iteratorINS8_10device_ptrIiEEEESD_jNS1_19radix_merge_compareILb0ELb1EiNS0_19identity_decomposerEEEEE10hipError_tT0_T1_T2_jT3_P12ihipStream_tbPNSt15iterator_traitsISI_E10value_typeEPNSO_ISJ_E10value_typeEPSK_NS1_7vsmem_tEENKUlT_SI_SJ_SK_E_clISD_PiSD_S10_EESH_SX_SI_SJ_SK_EUlSX_E1_NS1_11comp_targetILNS1_3genE8ELNS1_11target_archE1030ELNS1_3gpuE2ELNS1_3repE0EEENS1_36merge_oddeven_config_static_selectorELNS0_4arch9wavefront6targetE1EEEvSJ_
	.p2align	8
	.type	_ZN7rocprim17ROCPRIM_400000_NS6detail17trampoline_kernelINS0_14default_configENS1_38merge_sort_block_merge_config_selectorIiiEEZZNS1_27merge_sort_block_merge_implIS3_N6thrust23THRUST_200600_302600_NS6detail15normal_iteratorINS8_10device_ptrIiEEEESD_jNS1_19radix_merge_compareILb0ELb1EiNS0_19identity_decomposerEEEEE10hipError_tT0_T1_T2_jT3_P12ihipStream_tbPNSt15iterator_traitsISI_E10value_typeEPNSO_ISJ_E10value_typeEPSK_NS1_7vsmem_tEENKUlT_SI_SJ_SK_E_clISD_PiSD_S10_EESH_SX_SI_SJ_SK_EUlSX_E1_NS1_11comp_targetILNS1_3genE8ELNS1_11target_archE1030ELNS1_3gpuE2ELNS1_3repE0EEENS1_36merge_oddeven_config_static_selectorELNS0_4arch9wavefront6targetE1EEEvSJ_,@function
_ZN7rocprim17ROCPRIM_400000_NS6detail17trampoline_kernelINS0_14default_configENS1_38merge_sort_block_merge_config_selectorIiiEEZZNS1_27merge_sort_block_merge_implIS3_N6thrust23THRUST_200600_302600_NS6detail15normal_iteratorINS8_10device_ptrIiEEEESD_jNS1_19radix_merge_compareILb0ELb1EiNS0_19identity_decomposerEEEEE10hipError_tT0_T1_T2_jT3_P12ihipStream_tbPNSt15iterator_traitsISI_E10value_typeEPNSO_ISJ_E10value_typeEPSK_NS1_7vsmem_tEENKUlT_SI_SJ_SK_E_clISD_PiSD_S10_EESH_SX_SI_SJ_SK_EUlSX_E1_NS1_11comp_targetILNS1_3genE8ELNS1_11target_archE1030ELNS1_3gpuE2ELNS1_3repE0EEENS1_36merge_oddeven_config_static_selectorELNS0_4arch9wavefront6targetE1EEEvSJ_: ; @_ZN7rocprim17ROCPRIM_400000_NS6detail17trampoline_kernelINS0_14default_configENS1_38merge_sort_block_merge_config_selectorIiiEEZZNS1_27merge_sort_block_merge_implIS3_N6thrust23THRUST_200600_302600_NS6detail15normal_iteratorINS8_10device_ptrIiEEEESD_jNS1_19radix_merge_compareILb0ELb1EiNS0_19identity_decomposerEEEEE10hipError_tT0_T1_T2_jT3_P12ihipStream_tbPNSt15iterator_traitsISI_E10value_typeEPNSO_ISJ_E10value_typeEPSK_NS1_7vsmem_tEENKUlT_SI_SJ_SK_E_clISD_PiSD_S10_EESH_SX_SI_SJ_SK_EUlSX_E1_NS1_11comp_targetILNS1_3genE8ELNS1_11target_archE1030ELNS1_3gpuE2ELNS1_3repE0EEENS1_36merge_oddeven_config_static_selectorELNS0_4arch9wavefront6targetE1EEEvSJ_
; %bb.0:
	.section	.rodata,"a",@progbits
	.p2align	6, 0x0
	.amdhsa_kernel _ZN7rocprim17ROCPRIM_400000_NS6detail17trampoline_kernelINS0_14default_configENS1_38merge_sort_block_merge_config_selectorIiiEEZZNS1_27merge_sort_block_merge_implIS3_N6thrust23THRUST_200600_302600_NS6detail15normal_iteratorINS8_10device_ptrIiEEEESD_jNS1_19radix_merge_compareILb0ELb1EiNS0_19identity_decomposerEEEEE10hipError_tT0_T1_T2_jT3_P12ihipStream_tbPNSt15iterator_traitsISI_E10value_typeEPNSO_ISJ_E10value_typeEPSK_NS1_7vsmem_tEENKUlT_SI_SJ_SK_E_clISD_PiSD_S10_EESH_SX_SI_SJ_SK_EUlSX_E1_NS1_11comp_targetILNS1_3genE8ELNS1_11target_archE1030ELNS1_3gpuE2ELNS1_3repE0EEENS1_36merge_oddeven_config_static_selectorELNS0_4arch9wavefront6targetE1EEEvSJ_
		.amdhsa_group_segment_fixed_size 0
		.amdhsa_private_segment_fixed_size 0
		.amdhsa_kernarg_size 48
		.amdhsa_user_sgpr_count 2
		.amdhsa_user_sgpr_dispatch_ptr 0
		.amdhsa_user_sgpr_queue_ptr 0
		.amdhsa_user_sgpr_kernarg_segment_ptr 1
		.amdhsa_user_sgpr_dispatch_id 0
		.amdhsa_user_sgpr_kernarg_preload_length 0
		.amdhsa_user_sgpr_kernarg_preload_offset 0
		.amdhsa_user_sgpr_private_segment_size 0
		.amdhsa_uses_dynamic_stack 0
		.amdhsa_enable_private_segment 0
		.amdhsa_system_sgpr_workgroup_id_x 1
		.amdhsa_system_sgpr_workgroup_id_y 0
		.amdhsa_system_sgpr_workgroup_id_z 0
		.amdhsa_system_sgpr_workgroup_info 0
		.amdhsa_system_vgpr_workitem_id 0
		.amdhsa_next_free_vgpr 1
		.amdhsa_next_free_sgpr 0
		.amdhsa_accum_offset 4
		.amdhsa_reserve_vcc 0
		.amdhsa_float_round_mode_32 0
		.amdhsa_float_round_mode_16_64 0
		.amdhsa_float_denorm_mode_32 3
		.amdhsa_float_denorm_mode_16_64 3
		.amdhsa_dx10_clamp 1
		.amdhsa_ieee_mode 1
		.amdhsa_fp16_overflow 0
		.amdhsa_tg_split 0
		.amdhsa_exception_fp_ieee_invalid_op 0
		.amdhsa_exception_fp_denorm_src 0
		.amdhsa_exception_fp_ieee_div_zero 0
		.amdhsa_exception_fp_ieee_overflow 0
		.amdhsa_exception_fp_ieee_underflow 0
		.amdhsa_exception_fp_ieee_inexact 0
		.amdhsa_exception_int_div_zero 0
	.end_amdhsa_kernel
	.section	.text._ZN7rocprim17ROCPRIM_400000_NS6detail17trampoline_kernelINS0_14default_configENS1_38merge_sort_block_merge_config_selectorIiiEEZZNS1_27merge_sort_block_merge_implIS3_N6thrust23THRUST_200600_302600_NS6detail15normal_iteratorINS8_10device_ptrIiEEEESD_jNS1_19radix_merge_compareILb0ELb1EiNS0_19identity_decomposerEEEEE10hipError_tT0_T1_T2_jT3_P12ihipStream_tbPNSt15iterator_traitsISI_E10value_typeEPNSO_ISJ_E10value_typeEPSK_NS1_7vsmem_tEENKUlT_SI_SJ_SK_E_clISD_PiSD_S10_EESH_SX_SI_SJ_SK_EUlSX_E1_NS1_11comp_targetILNS1_3genE8ELNS1_11target_archE1030ELNS1_3gpuE2ELNS1_3repE0EEENS1_36merge_oddeven_config_static_selectorELNS0_4arch9wavefront6targetE1EEEvSJ_,"axG",@progbits,_ZN7rocprim17ROCPRIM_400000_NS6detail17trampoline_kernelINS0_14default_configENS1_38merge_sort_block_merge_config_selectorIiiEEZZNS1_27merge_sort_block_merge_implIS3_N6thrust23THRUST_200600_302600_NS6detail15normal_iteratorINS8_10device_ptrIiEEEESD_jNS1_19radix_merge_compareILb0ELb1EiNS0_19identity_decomposerEEEEE10hipError_tT0_T1_T2_jT3_P12ihipStream_tbPNSt15iterator_traitsISI_E10value_typeEPNSO_ISJ_E10value_typeEPSK_NS1_7vsmem_tEENKUlT_SI_SJ_SK_E_clISD_PiSD_S10_EESH_SX_SI_SJ_SK_EUlSX_E1_NS1_11comp_targetILNS1_3genE8ELNS1_11target_archE1030ELNS1_3gpuE2ELNS1_3repE0EEENS1_36merge_oddeven_config_static_selectorELNS0_4arch9wavefront6targetE1EEEvSJ_,comdat
.Lfunc_end803:
	.size	_ZN7rocprim17ROCPRIM_400000_NS6detail17trampoline_kernelINS0_14default_configENS1_38merge_sort_block_merge_config_selectorIiiEEZZNS1_27merge_sort_block_merge_implIS3_N6thrust23THRUST_200600_302600_NS6detail15normal_iteratorINS8_10device_ptrIiEEEESD_jNS1_19radix_merge_compareILb0ELb1EiNS0_19identity_decomposerEEEEE10hipError_tT0_T1_T2_jT3_P12ihipStream_tbPNSt15iterator_traitsISI_E10value_typeEPNSO_ISJ_E10value_typeEPSK_NS1_7vsmem_tEENKUlT_SI_SJ_SK_E_clISD_PiSD_S10_EESH_SX_SI_SJ_SK_EUlSX_E1_NS1_11comp_targetILNS1_3genE8ELNS1_11target_archE1030ELNS1_3gpuE2ELNS1_3repE0EEENS1_36merge_oddeven_config_static_selectorELNS0_4arch9wavefront6targetE1EEEvSJ_, .Lfunc_end803-_ZN7rocprim17ROCPRIM_400000_NS6detail17trampoline_kernelINS0_14default_configENS1_38merge_sort_block_merge_config_selectorIiiEEZZNS1_27merge_sort_block_merge_implIS3_N6thrust23THRUST_200600_302600_NS6detail15normal_iteratorINS8_10device_ptrIiEEEESD_jNS1_19radix_merge_compareILb0ELb1EiNS0_19identity_decomposerEEEEE10hipError_tT0_T1_T2_jT3_P12ihipStream_tbPNSt15iterator_traitsISI_E10value_typeEPNSO_ISJ_E10value_typeEPSK_NS1_7vsmem_tEENKUlT_SI_SJ_SK_E_clISD_PiSD_S10_EESH_SX_SI_SJ_SK_EUlSX_E1_NS1_11comp_targetILNS1_3genE8ELNS1_11target_archE1030ELNS1_3gpuE2ELNS1_3repE0EEENS1_36merge_oddeven_config_static_selectorELNS0_4arch9wavefront6targetE1EEEvSJ_
                                        ; -- End function
	.set _ZN7rocprim17ROCPRIM_400000_NS6detail17trampoline_kernelINS0_14default_configENS1_38merge_sort_block_merge_config_selectorIiiEEZZNS1_27merge_sort_block_merge_implIS3_N6thrust23THRUST_200600_302600_NS6detail15normal_iteratorINS8_10device_ptrIiEEEESD_jNS1_19radix_merge_compareILb0ELb1EiNS0_19identity_decomposerEEEEE10hipError_tT0_T1_T2_jT3_P12ihipStream_tbPNSt15iterator_traitsISI_E10value_typeEPNSO_ISJ_E10value_typeEPSK_NS1_7vsmem_tEENKUlT_SI_SJ_SK_E_clISD_PiSD_S10_EESH_SX_SI_SJ_SK_EUlSX_E1_NS1_11comp_targetILNS1_3genE8ELNS1_11target_archE1030ELNS1_3gpuE2ELNS1_3repE0EEENS1_36merge_oddeven_config_static_selectorELNS0_4arch9wavefront6targetE1EEEvSJ_.num_vgpr, 0
	.set _ZN7rocprim17ROCPRIM_400000_NS6detail17trampoline_kernelINS0_14default_configENS1_38merge_sort_block_merge_config_selectorIiiEEZZNS1_27merge_sort_block_merge_implIS3_N6thrust23THRUST_200600_302600_NS6detail15normal_iteratorINS8_10device_ptrIiEEEESD_jNS1_19radix_merge_compareILb0ELb1EiNS0_19identity_decomposerEEEEE10hipError_tT0_T1_T2_jT3_P12ihipStream_tbPNSt15iterator_traitsISI_E10value_typeEPNSO_ISJ_E10value_typeEPSK_NS1_7vsmem_tEENKUlT_SI_SJ_SK_E_clISD_PiSD_S10_EESH_SX_SI_SJ_SK_EUlSX_E1_NS1_11comp_targetILNS1_3genE8ELNS1_11target_archE1030ELNS1_3gpuE2ELNS1_3repE0EEENS1_36merge_oddeven_config_static_selectorELNS0_4arch9wavefront6targetE1EEEvSJ_.num_agpr, 0
	.set _ZN7rocprim17ROCPRIM_400000_NS6detail17trampoline_kernelINS0_14default_configENS1_38merge_sort_block_merge_config_selectorIiiEEZZNS1_27merge_sort_block_merge_implIS3_N6thrust23THRUST_200600_302600_NS6detail15normal_iteratorINS8_10device_ptrIiEEEESD_jNS1_19radix_merge_compareILb0ELb1EiNS0_19identity_decomposerEEEEE10hipError_tT0_T1_T2_jT3_P12ihipStream_tbPNSt15iterator_traitsISI_E10value_typeEPNSO_ISJ_E10value_typeEPSK_NS1_7vsmem_tEENKUlT_SI_SJ_SK_E_clISD_PiSD_S10_EESH_SX_SI_SJ_SK_EUlSX_E1_NS1_11comp_targetILNS1_3genE8ELNS1_11target_archE1030ELNS1_3gpuE2ELNS1_3repE0EEENS1_36merge_oddeven_config_static_selectorELNS0_4arch9wavefront6targetE1EEEvSJ_.numbered_sgpr, 0
	.set _ZN7rocprim17ROCPRIM_400000_NS6detail17trampoline_kernelINS0_14default_configENS1_38merge_sort_block_merge_config_selectorIiiEEZZNS1_27merge_sort_block_merge_implIS3_N6thrust23THRUST_200600_302600_NS6detail15normal_iteratorINS8_10device_ptrIiEEEESD_jNS1_19radix_merge_compareILb0ELb1EiNS0_19identity_decomposerEEEEE10hipError_tT0_T1_T2_jT3_P12ihipStream_tbPNSt15iterator_traitsISI_E10value_typeEPNSO_ISJ_E10value_typeEPSK_NS1_7vsmem_tEENKUlT_SI_SJ_SK_E_clISD_PiSD_S10_EESH_SX_SI_SJ_SK_EUlSX_E1_NS1_11comp_targetILNS1_3genE8ELNS1_11target_archE1030ELNS1_3gpuE2ELNS1_3repE0EEENS1_36merge_oddeven_config_static_selectorELNS0_4arch9wavefront6targetE1EEEvSJ_.num_named_barrier, 0
	.set _ZN7rocprim17ROCPRIM_400000_NS6detail17trampoline_kernelINS0_14default_configENS1_38merge_sort_block_merge_config_selectorIiiEEZZNS1_27merge_sort_block_merge_implIS3_N6thrust23THRUST_200600_302600_NS6detail15normal_iteratorINS8_10device_ptrIiEEEESD_jNS1_19radix_merge_compareILb0ELb1EiNS0_19identity_decomposerEEEEE10hipError_tT0_T1_T2_jT3_P12ihipStream_tbPNSt15iterator_traitsISI_E10value_typeEPNSO_ISJ_E10value_typeEPSK_NS1_7vsmem_tEENKUlT_SI_SJ_SK_E_clISD_PiSD_S10_EESH_SX_SI_SJ_SK_EUlSX_E1_NS1_11comp_targetILNS1_3genE8ELNS1_11target_archE1030ELNS1_3gpuE2ELNS1_3repE0EEENS1_36merge_oddeven_config_static_selectorELNS0_4arch9wavefront6targetE1EEEvSJ_.private_seg_size, 0
	.set _ZN7rocprim17ROCPRIM_400000_NS6detail17trampoline_kernelINS0_14default_configENS1_38merge_sort_block_merge_config_selectorIiiEEZZNS1_27merge_sort_block_merge_implIS3_N6thrust23THRUST_200600_302600_NS6detail15normal_iteratorINS8_10device_ptrIiEEEESD_jNS1_19radix_merge_compareILb0ELb1EiNS0_19identity_decomposerEEEEE10hipError_tT0_T1_T2_jT3_P12ihipStream_tbPNSt15iterator_traitsISI_E10value_typeEPNSO_ISJ_E10value_typeEPSK_NS1_7vsmem_tEENKUlT_SI_SJ_SK_E_clISD_PiSD_S10_EESH_SX_SI_SJ_SK_EUlSX_E1_NS1_11comp_targetILNS1_3genE8ELNS1_11target_archE1030ELNS1_3gpuE2ELNS1_3repE0EEENS1_36merge_oddeven_config_static_selectorELNS0_4arch9wavefront6targetE1EEEvSJ_.uses_vcc, 0
	.set _ZN7rocprim17ROCPRIM_400000_NS6detail17trampoline_kernelINS0_14default_configENS1_38merge_sort_block_merge_config_selectorIiiEEZZNS1_27merge_sort_block_merge_implIS3_N6thrust23THRUST_200600_302600_NS6detail15normal_iteratorINS8_10device_ptrIiEEEESD_jNS1_19radix_merge_compareILb0ELb1EiNS0_19identity_decomposerEEEEE10hipError_tT0_T1_T2_jT3_P12ihipStream_tbPNSt15iterator_traitsISI_E10value_typeEPNSO_ISJ_E10value_typeEPSK_NS1_7vsmem_tEENKUlT_SI_SJ_SK_E_clISD_PiSD_S10_EESH_SX_SI_SJ_SK_EUlSX_E1_NS1_11comp_targetILNS1_3genE8ELNS1_11target_archE1030ELNS1_3gpuE2ELNS1_3repE0EEENS1_36merge_oddeven_config_static_selectorELNS0_4arch9wavefront6targetE1EEEvSJ_.uses_flat_scratch, 0
	.set _ZN7rocprim17ROCPRIM_400000_NS6detail17trampoline_kernelINS0_14default_configENS1_38merge_sort_block_merge_config_selectorIiiEEZZNS1_27merge_sort_block_merge_implIS3_N6thrust23THRUST_200600_302600_NS6detail15normal_iteratorINS8_10device_ptrIiEEEESD_jNS1_19radix_merge_compareILb0ELb1EiNS0_19identity_decomposerEEEEE10hipError_tT0_T1_T2_jT3_P12ihipStream_tbPNSt15iterator_traitsISI_E10value_typeEPNSO_ISJ_E10value_typeEPSK_NS1_7vsmem_tEENKUlT_SI_SJ_SK_E_clISD_PiSD_S10_EESH_SX_SI_SJ_SK_EUlSX_E1_NS1_11comp_targetILNS1_3genE8ELNS1_11target_archE1030ELNS1_3gpuE2ELNS1_3repE0EEENS1_36merge_oddeven_config_static_selectorELNS0_4arch9wavefront6targetE1EEEvSJ_.has_dyn_sized_stack, 0
	.set _ZN7rocprim17ROCPRIM_400000_NS6detail17trampoline_kernelINS0_14default_configENS1_38merge_sort_block_merge_config_selectorIiiEEZZNS1_27merge_sort_block_merge_implIS3_N6thrust23THRUST_200600_302600_NS6detail15normal_iteratorINS8_10device_ptrIiEEEESD_jNS1_19radix_merge_compareILb0ELb1EiNS0_19identity_decomposerEEEEE10hipError_tT0_T1_T2_jT3_P12ihipStream_tbPNSt15iterator_traitsISI_E10value_typeEPNSO_ISJ_E10value_typeEPSK_NS1_7vsmem_tEENKUlT_SI_SJ_SK_E_clISD_PiSD_S10_EESH_SX_SI_SJ_SK_EUlSX_E1_NS1_11comp_targetILNS1_3genE8ELNS1_11target_archE1030ELNS1_3gpuE2ELNS1_3repE0EEENS1_36merge_oddeven_config_static_selectorELNS0_4arch9wavefront6targetE1EEEvSJ_.has_recursion, 0
	.set _ZN7rocprim17ROCPRIM_400000_NS6detail17trampoline_kernelINS0_14default_configENS1_38merge_sort_block_merge_config_selectorIiiEEZZNS1_27merge_sort_block_merge_implIS3_N6thrust23THRUST_200600_302600_NS6detail15normal_iteratorINS8_10device_ptrIiEEEESD_jNS1_19radix_merge_compareILb0ELb1EiNS0_19identity_decomposerEEEEE10hipError_tT0_T1_T2_jT3_P12ihipStream_tbPNSt15iterator_traitsISI_E10value_typeEPNSO_ISJ_E10value_typeEPSK_NS1_7vsmem_tEENKUlT_SI_SJ_SK_E_clISD_PiSD_S10_EESH_SX_SI_SJ_SK_EUlSX_E1_NS1_11comp_targetILNS1_3genE8ELNS1_11target_archE1030ELNS1_3gpuE2ELNS1_3repE0EEENS1_36merge_oddeven_config_static_selectorELNS0_4arch9wavefront6targetE1EEEvSJ_.has_indirect_call, 0
	.section	.AMDGPU.csdata,"",@progbits
; Kernel info:
; codeLenInByte = 0
; TotalNumSgprs: 6
; NumVgprs: 0
; NumAgprs: 0
; TotalNumVgprs: 0
; ScratchSize: 0
; MemoryBound: 0
; FloatMode: 240
; IeeeMode: 1
; LDSByteSize: 0 bytes/workgroup (compile time only)
; SGPRBlocks: 0
; VGPRBlocks: 0
; NumSGPRsForWavesPerEU: 6
; NumVGPRsForWavesPerEU: 1
; AccumOffset: 4
; Occupancy: 8
; WaveLimiterHint : 0
; COMPUTE_PGM_RSRC2:SCRATCH_EN: 0
; COMPUTE_PGM_RSRC2:USER_SGPR: 2
; COMPUTE_PGM_RSRC2:TRAP_HANDLER: 0
; COMPUTE_PGM_RSRC2:TGID_X_EN: 1
; COMPUTE_PGM_RSRC2:TGID_Y_EN: 0
; COMPUTE_PGM_RSRC2:TGID_Z_EN: 0
; COMPUTE_PGM_RSRC2:TIDIG_COMP_CNT: 0
; COMPUTE_PGM_RSRC3_GFX90A:ACCUM_OFFSET: 0
; COMPUTE_PGM_RSRC3_GFX90A:TG_SPLIT: 0
	.section	.text._ZN7rocprim17ROCPRIM_400000_NS6detail17trampoline_kernelINS0_14default_configENS1_35radix_sort_onesweep_config_selectorIiiEEZNS1_34radix_sort_onesweep_global_offsetsIS3_Lb0EN6thrust23THRUST_200600_302600_NS6detail15normal_iteratorINS8_10device_ptrIiEEEESD_jNS0_19identity_decomposerEEE10hipError_tT1_T2_PT3_SI_jT4_jjP12ihipStream_tbEUlT_E_NS1_11comp_targetILNS1_3genE0ELNS1_11target_archE4294967295ELNS1_3gpuE0ELNS1_3repE0EEENS1_52radix_sort_onesweep_histogram_config_static_selectorELNS0_4arch9wavefront6targetE1EEEvSG_,"axG",@progbits,_ZN7rocprim17ROCPRIM_400000_NS6detail17trampoline_kernelINS0_14default_configENS1_35radix_sort_onesweep_config_selectorIiiEEZNS1_34radix_sort_onesweep_global_offsetsIS3_Lb0EN6thrust23THRUST_200600_302600_NS6detail15normal_iteratorINS8_10device_ptrIiEEEESD_jNS0_19identity_decomposerEEE10hipError_tT1_T2_PT3_SI_jT4_jjP12ihipStream_tbEUlT_E_NS1_11comp_targetILNS1_3genE0ELNS1_11target_archE4294967295ELNS1_3gpuE0ELNS1_3repE0EEENS1_52radix_sort_onesweep_histogram_config_static_selectorELNS0_4arch9wavefront6targetE1EEEvSG_,comdat
	.protected	_ZN7rocprim17ROCPRIM_400000_NS6detail17trampoline_kernelINS0_14default_configENS1_35radix_sort_onesweep_config_selectorIiiEEZNS1_34radix_sort_onesweep_global_offsetsIS3_Lb0EN6thrust23THRUST_200600_302600_NS6detail15normal_iteratorINS8_10device_ptrIiEEEESD_jNS0_19identity_decomposerEEE10hipError_tT1_T2_PT3_SI_jT4_jjP12ihipStream_tbEUlT_E_NS1_11comp_targetILNS1_3genE0ELNS1_11target_archE4294967295ELNS1_3gpuE0ELNS1_3repE0EEENS1_52radix_sort_onesweep_histogram_config_static_selectorELNS0_4arch9wavefront6targetE1EEEvSG_ ; -- Begin function _ZN7rocprim17ROCPRIM_400000_NS6detail17trampoline_kernelINS0_14default_configENS1_35radix_sort_onesweep_config_selectorIiiEEZNS1_34radix_sort_onesweep_global_offsetsIS3_Lb0EN6thrust23THRUST_200600_302600_NS6detail15normal_iteratorINS8_10device_ptrIiEEEESD_jNS0_19identity_decomposerEEE10hipError_tT1_T2_PT3_SI_jT4_jjP12ihipStream_tbEUlT_E_NS1_11comp_targetILNS1_3genE0ELNS1_11target_archE4294967295ELNS1_3gpuE0ELNS1_3repE0EEENS1_52radix_sort_onesweep_histogram_config_static_selectorELNS0_4arch9wavefront6targetE1EEEvSG_
	.globl	_ZN7rocprim17ROCPRIM_400000_NS6detail17trampoline_kernelINS0_14default_configENS1_35radix_sort_onesweep_config_selectorIiiEEZNS1_34radix_sort_onesweep_global_offsetsIS3_Lb0EN6thrust23THRUST_200600_302600_NS6detail15normal_iteratorINS8_10device_ptrIiEEEESD_jNS0_19identity_decomposerEEE10hipError_tT1_T2_PT3_SI_jT4_jjP12ihipStream_tbEUlT_E_NS1_11comp_targetILNS1_3genE0ELNS1_11target_archE4294967295ELNS1_3gpuE0ELNS1_3repE0EEENS1_52radix_sort_onesweep_histogram_config_static_selectorELNS0_4arch9wavefront6targetE1EEEvSG_
	.p2align	8
	.type	_ZN7rocprim17ROCPRIM_400000_NS6detail17trampoline_kernelINS0_14default_configENS1_35radix_sort_onesweep_config_selectorIiiEEZNS1_34radix_sort_onesweep_global_offsetsIS3_Lb0EN6thrust23THRUST_200600_302600_NS6detail15normal_iteratorINS8_10device_ptrIiEEEESD_jNS0_19identity_decomposerEEE10hipError_tT1_T2_PT3_SI_jT4_jjP12ihipStream_tbEUlT_E_NS1_11comp_targetILNS1_3genE0ELNS1_11target_archE4294967295ELNS1_3gpuE0ELNS1_3repE0EEENS1_52radix_sort_onesweep_histogram_config_static_selectorELNS0_4arch9wavefront6targetE1EEEvSG_,@function
_ZN7rocprim17ROCPRIM_400000_NS6detail17trampoline_kernelINS0_14default_configENS1_35radix_sort_onesweep_config_selectorIiiEEZNS1_34radix_sort_onesweep_global_offsetsIS3_Lb0EN6thrust23THRUST_200600_302600_NS6detail15normal_iteratorINS8_10device_ptrIiEEEESD_jNS0_19identity_decomposerEEE10hipError_tT1_T2_PT3_SI_jT4_jjP12ihipStream_tbEUlT_E_NS1_11comp_targetILNS1_3genE0ELNS1_11target_archE4294967295ELNS1_3gpuE0ELNS1_3repE0EEENS1_52radix_sort_onesweep_histogram_config_static_selectorELNS0_4arch9wavefront6targetE1EEEvSG_: ; @_ZN7rocprim17ROCPRIM_400000_NS6detail17trampoline_kernelINS0_14default_configENS1_35radix_sort_onesweep_config_selectorIiiEEZNS1_34radix_sort_onesweep_global_offsetsIS3_Lb0EN6thrust23THRUST_200600_302600_NS6detail15normal_iteratorINS8_10device_ptrIiEEEESD_jNS0_19identity_decomposerEEE10hipError_tT1_T2_PT3_SI_jT4_jjP12ihipStream_tbEUlT_E_NS1_11comp_targetILNS1_3genE0ELNS1_11target_archE4294967295ELNS1_3gpuE0ELNS1_3repE0EEENS1_52radix_sort_onesweep_histogram_config_static_selectorELNS0_4arch9wavefront6targetE1EEEvSG_
; %bb.0:
	.section	.rodata,"a",@progbits
	.p2align	6, 0x0
	.amdhsa_kernel _ZN7rocprim17ROCPRIM_400000_NS6detail17trampoline_kernelINS0_14default_configENS1_35radix_sort_onesweep_config_selectorIiiEEZNS1_34radix_sort_onesweep_global_offsetsIS3_Lb0EN6thrust23THRUST_200600_302600_NS6detail15normal_iteratorINS8_10device_ptrIiEEEESD_jNS0_19identity_decomposerEEE10hipError_tT1_T2_PT3_SI_jT4_jjP12ihipStream_tbEUlT_E_NS1_11comp_targetILNS1_3genE0ELNS1_11target_archE4294967295ELNS1_3gpuE0ELNS1_3repE0EEENS1_52radix_sort_onesweep_histogram_config_static_selectorELNS0_4arch9wavefront6targetE1EEEvSG_
		.amdhsa_group_segment_fixed_size 0
		.amdhsa_private_segment_fixed_size 0
		.amdhsa_kernarg_size 40
		.amdhsa_user_sgpr_count 2
		.amdhsa_user_sgpr_dispatch_ptr 0
		.amdhsa_user_sgpr_queue_ptr 0
		.amdhsa_user_sgpr_kernarg_segment_ptr 1
		.amdhsa_user_sgpr_dispatch_id 0
		.amdhsa_user_sgpr_kernarg_preload_length 0
		.amdhsa_user_sgpr_kernarg_preload_offset 0
		.amdhsa_user_sgpr_private_segment_size 0
		.amdhsa_uses_dynamic_stack 0
		.amdhsa_enable_private_segment 0
		.amdhsa_system_sgpr_workgroup_id_x 1
		.amdhsa_system_sgpr_workgroup_id_y 0
		.amdhsa_system_sgpr_workgroup_id_z 0
		.amdhsa_system_sgpr_workgroup_info 0
		.amdhsa_system_vgpr_workitem_id 0
		.amdhsa_next_free_vgpr 1
		.amdhsa_next_free_sgpr 0
		.amdhsa_accum_offset 4
		.amdhsa_reserve_vcc 0
		.amdhsa_float_round_mode_32 0
		.amdhsa_float_round_mode_16_64 0
		.amdhsa_float_denorm_mode_32 3
		.amdhsa_float_denorm_mode_16_64 3
		.amdhsa_dx10_clamp 1
		.amdhsa_ieee_mode 1
		.amdhsa_fp16_overflow 0
		.amdhsa_tg_split 0
		.amdhsa_exception_fp_ieee_invalid_op 0
		.amdhsa_exception_fp_denorm_src 0
		.amdhsa_exception_fp_ieee_div_zero 0
		.amdhsa_exception_fp_ieee_overflow 0
		.amdhsa_exception_fp_ieee_underflow 0
		.amdhsa_exception_fp_ieee_inexact 0
		.amdhsa_exception_int_div_zero 0
	.end_amdhsa_kernel
	.section	.text._ZN7rocprim17ROCPRIM_400000_NS6detail17trampoline_kernelINS0_14default_configENS1_35radix_sort_onesweep_config_selectorIiiEEZNS1_34radix_sort_onesweep_global_offsetsIS3_Lb0EN6thrust23THRUST_200600_302600_NS6detail15normal_iteratorINS8_10device_ptrIiEEEESD_jNS0_19identity_decomposerEEE10hipError_tT1_T2_PT3_SI_jT4_jjP12ihipStream_tbEUlT_E_NS1_11comp_targetILNS1_3genE0ELNS1_11target_archE4294967295ELNS1_3gpuE0ELNS1_3repE0EEENS1_52radix_sort_onesweep_histogram_config_static_selectorELNS0_4arch9wavefront6targetE1EEEvSG_,"axG",@progbits,_ZN7rocprim17ROCPRIM_400000_NS6detail17trampoline_kernelINS0_14default_configENS1_35radix_sort_onesweep_config_selectorIiiEEZNS1_34radix_sort_onesweep_global_offsetsIS3_Lb0EN6thrust23THRUST_200600_302600_NS6detail15normal_iteratorINS8_10device_ptrIiEEEESD_jNS0_19identity_decomposerEEE10hipError_tT1_T2_PT3_SI_jT4_jjP12ihipStream_tbEUlT_E_NS1_11comp_targetILNS1_3genE0ELNS1_11target_archE4294967295ELNS1_3gpuE0ELNS1_3repE0EEENS1_52radix_sort_onesweep_histogram_config_static_selectorELNS0_4arch9wavefront6targetE1EEEvSG_,comdat
.Lfunc_end804:
	.size	_ZN7rocprim17ROCPRIM_400000_NS6detail17trampoline_kernelINS0_14default_configENS1_35radix_sort_onesweep_config_selectorIiiEEZNS1_34radix_sort_onesweep_global_offsetsIS3_Lb0EN6thrust23THRUST_200600_302600_NS6detail15normal_iteratorINS8_10device_ptrIiEEEESD_jNS0_19identity_decomposerEEE10hipError_tT1_T2_PT3_SI_jT4_jjP12ihipStream_tbEUlT_E_NS1_11comp_targetILNS1_3genE0ELNS1_11target_archE4294967295ELNS1_3gpuE0ELNS1_3repE0EEENS1_52radix_sort_onesweep_histogram_config_static_selectorELNS0_4arch9wavefront6targetE1EEEvSG_, .Lfunc_end804-_ZN7rocprim17ROCPRIM_400000_NS6detail17trampoline_kernelINS0_14default_configENS1_35radix_sort_onesweep_config_selectorIiiEEZNS1_34radix_sort_onesweep_global_offsetsIS3_Lb0EN6thrust23THRUST_200600_302600_NS6detail15normal_iteratorINS8_10device_ptrIiEEEESD_jNS0_19identity_decomposerEEE10hipError_tT1_T2_PT3_SI_jT4_jjP12ihipStream_tbEUlT_E_NS1_11comp_targetILNS1_3genE0ELNS1_11target_archE4294967295ELNS1_3gpuE0ELNS1_3repE0EEENS1_52radix_sort_onesweep_histogram_config_static_selectorELNS0_4arch9wavefront6targetE1EEEvSG_
                                        ; -- End function
	.set _ZN7rocprim17ROCPRIM_400000_NS6detail17trampoline_kernelINS0_14default_configENS1_35radix_sort_onesweep_config_selectorIiiEEZNS1_34radix_sort_onesweep_global_offsetsIS3_Lb0EN6thrust23THRUST_200600_302600_NS6detail15normal_iteratorINS8_10device_ptrIiEEEESD_jNS0_19identity_decomposerEEE10hipError_tT1_T2_PT3_SI_jT4_jjP12ihipStream_tbEUlT_E_NS1_11comp_targetILNS1_3genE0ELNS1_11target_archE4294967295ELNS1_3gpuE0ELNS1_3repE0EEENS1_52radix_sort_onesweep_histogram_config_static_selectorELNS0_4arch9wavefront6targetE1EEEvSG_.num_vgpr, 0
	.set _ZN7rocprim17ROCPRIM_400000_NS6detail17trampoline_kernelINS0_14default_configENS1_35radix_sort_onesweep_config_selectorIiiEEZNS1_34radix_sort_onesweep_global_offsetsIS3_Lb0EN6thrust23THRUST_200600_302600_NS6detail15normal_iteratorINS8_10device_ptrIiEEEESD_jNS0_19identity_decomposerEEE10hipError_tT1_T2_PT3_SI_jT4_jjP12ihipStream_tbEUlT_E_NS1_11comp_targetILNS1_3genE0ELNS1_11target_archE4294967295ELNS1_3gpuE0ELNS1_3repE0EEENS1_52radix_sort_onesweep_histogram_config_static_selectorELNS0_4arch9wavefront6targetE1EEEvSG_.num_agpr, 0
	.set _ZN7rocprim17ROCPRIM_400000_NS6detail17trampoline_kernelINS0_14default_configENS1_35radix_sort_onesweep_config_selectorIiiEEZNS1_34radix_sort_onesweep_global_offsetsIS3_Lb0EN6thrust23THRUST_200600_302600_NS6detail15normal_iteratorINS8_10device_ptrIiEEEESD_jNS0_19identity_decomposerEEE10hipError_tT1_T2_PT3_SI_jT4_jjP12ihipStream_tbEUlT_E_NS1_11comp_targetILNS1_3genE0ELNS1_11target_archE4294967295ELNS1_3gpuE0ELNS1_3repE0EEENS1_52radix_sort_onesweep_histogram_config_static_selectorELNS0_4arch9wavefront6targetE1EEEvSG_.numbered_sgpr, 0
	.set _ZN7rocprim17ROCPRIM_400000_NS6detail17trampoline_kernelINS0_14default_configENS1_35radix_sort_onesweep_config_selectorIiiEEZNS1_34radix_sort_onesweep_global_offsetsIS3_Lb0EN6thrust23THRUST_200600_302600_NS6detail15normal_iteratorINS8_10device_ptrIiEEEESD_jNS0_19identity_decomposerEEE10hipError_tT1_T2_PT3_SI_jT4_jjP12ihipStream_tbEUlT_E_NS1_11comp_targetILNS1_3genE0ELNS1_11target_archE4294967295ELNS1_3gpuE0ELNS1_3repE0EEENS1_52radix_sort_onesweep_histogram_config_static_selectorELNS0_4arch9wavefront6targetE1EEEvSG_.num_named_barrier, 0
	.set _ZN7rocprim17ROCPRIM_400000_NS6detail17trampoline_kernelINS0_14default_configENS1_35radix_sort_onesweep_config_selectorIiiEEZNS1_34radix_sort_onesweep_global_offsetsIS3_Lb0EN6thrust23THRUST_200600_302600_NS6detail15normal_iteratorINS8_10device_ptrIiEEEESD_jNS0_19identity_decomposerEEE10hipError_tT1_T2_PT3_SI_jT4_jjP12ihipStream_tbEUlT_E_NS1_11comp_targetILNS1_3genE0ELNS1_11target_archE4294967295ELNS1_3gpuE0ELNS1_3repE0EEENS1_52radix_sort_onesweep_histogram_config_static_selectorELNS0_4arch9wavefront6targetE1EEEvSG_.private_seg_size, 0
	.set _ZN7rocprim17ROCPRIM_400000_NS6detail17trampoline_kernelINS0_14default_configENS1_35radix_sort_onesweep_config_selectorIiiEEZNS1_34radix_sort_onesweep_global_offsetsIS3_Lb0EN6thrust23THRUST_200600_302600_NS6detail15normal_iteratorINS8_10device_ptrIiEEEESD_jNS0_19identity_decomposerEEE10hipError_tT1_T2_PT3_SI_jT4_jjP12ihipStream_tbEUlT_E_NS1_11comp_targetILNS1_3genE0ELNS1_11target_archE4294967295ELNS1_3gpuE0ELNS1_3repE0EEENS1_52radix_sort_onesweep_histogram_config_static_selectorELNS0_4arch9wavefront6targetE1EEEvSG_.uses_vcc, 0
	.set _ZN7rocprim17ROCPRIM_400000_NS6detail17trampoline_kernelINS0_14default_configENS1_35radix_sort_onesweep_config_selectorIiiEEZNS1_34radix_sort_onesweep_global_offsetsIS3_Lb0EN6thrust23THRUST_200600_302600_NS6detail15normal_iteratorINS8_10device_ptrIiEEEESD_jNS0_19identity_decomposerEEE10hipError_tT1_T2_PT3_SI_jT4_jjP12ihipStream_tbEUlT_E_NS1_11comp_targetILNS1_3genE0ELNS1_11target_archE4294967295ELNS1_3gpuE0ELNS1_3repE0EEENS1_52radix_sort_onesweep_histogram_config_static_selectorELNS0_4arch9wavefront6targetE1EEEvSG_.uses_flat_scratch, 0
	.set _ZN7rocprim17ROCPRIM_400000_NS6detail17trampoline_kernelINS0_14default_configENS1_35radix_sort_onesweep_config_selectorIiiEEZNS1_34radix_sort_onesweep_global_offsetsIS3_Lb0EN6thrust23THRUST_200600_302600_NS6detail15normal_iteratorINS8_10device_ptrIiEEEESD_jNS0_19identity_decomposerEEE10hipError_tT1_T2_PT3_SI_jT4_jjP12ihipStream_tbEUlT_E_NS1_11comp_targetILNS1_3genE0ELNS1_11target_archE4294967295ELNS1_3gpuE0ELNS1_3repE0EEENS1_52radix_sort_onesweep_histogram_config_static_selectorELNS0_4arch9wavefront6targetE1EEEvSG_.has_dyn_sized_stack, 0
	.set _ZN7rocprim17ROCPRIM_400000_NS6detail17trampoline_kernelINS0_14default_configENS1_35radix_sort_onesweep_config_selectorIiiEEZNS1_34radix_sort_onesweep_global_offsetsIS3_Lb0EN6thrust23THRUST_200600_302600_NS6detail15normal_iteratorINS8_10device_ptrIiEEEESD_jNS0_19identity_decomposerEEE10hipError_tT1_T2_PT3_SI_jT4_jjP12ihipStream_tbEUlT_E_NS1_11comp_targetILNS1_3genE0ELNS1_11target_archE4294967295ELNS1_3gpuE0ELNS1_3repE0EEENS1_52radix_sort_onesweep_histogram_config_static_selectorELNS0_4arch9wavefront6targetE1EEEvSG_.has_recursion, 0
	.set _ZN7rocprim17ROCPRIM_400000_NS6detail17trampoline_kernelINS0_14default_configENS1_35radix_sort_onesweep_config_selectorIiiEEZNS1_34radix_sort_onesweep_global_offsetsIS3_Lb0EN6thrust23THRUST_200600_302600_NS6detail15normal_iteratorINS8_10device_ptrIiEEEESD_jNS0_19identity_decomposerEEE10hipError_tT1_T2_PT3_SI_jT4_jjP12ihipStream_tbEUlT_E_NS1_11comp_targetILNS1_3genE0ELNS1_11target_archE4294967295ELNS1_3gpuE0ELNS1_3repE0EEENS1_52radix_sort_onesweep_histogram_config_static_selectorELNS0_4arch9wavefront6targetE1EEEvSG_.has_indirect_call, 0
	.section	.AMDGPU.csdata,"",@progbits
; Kernel info:
; codeLenInByte = 0
; TotalNumSgprs: 6
; NumVgprs: 0
; NumAgprs: 0
; TotalNumVgprs: 0
; ScratchSize: 0
; MemoryBound: 0
; FloatMode: 240
; IeeeMode: 1
; LDSByteSize: 0 bytes/workgroup (compile time only)
; SGPRBlocks: 0
; VGPRBlocks: 0
; NumSGPRsForWavesPerEU: 6
; NumVGPRsForWavesPerEU: 1
; AccumOffset: 4
; Occupancy: 8
; WaveLimiterHint : 0
; COMPUTE_PGM_RSRC2:SCRATCH_EN: 0
; COMPUTE_PGM_RSRC2:USER_SGPR: 2
; COMPUTE_PGM_RSRC2:TRAP_HANDLER: 0
; COMPUTE_PGM_RSRC2:TGID_X_EN: 1
; COMPUTE_PGM_RSRC2:TGID_Y_EN: 0
; COMPUTE_PGM_RSRC2:TGID_Z_EN: 0
; COMPUTE_PGM_RSRC2:TIDIG_COMP_CNT: 0
; COMPUTE_PGM_RSRC3_GFX90A:ACCUM_OFFSET: 0
; COMPUTE_PGM_RSRC3_GFX90A:TG_SPLIT: 0
	.section	.text._ZN7rocprim17ROCPRIM_400000_NS6detail17trampoline_kernelINS0_14default_configENS1_35radix_sort_onesweep_config_selectorIiiEEZNS1_34radix_sort_onesweep_global_offsetsIS3_Lb0EN6thrust23THRUST_200600_302600_NS6detail15normal_iteratorINS8_10device_ptrIiEEEESD_jNS0_19identity_decomposerEEE10hipError_tT1_T2_PT3_SI_jT4_jjP12ihipStream_tbEUlT_E_NS1_11comp_targetILNS1_3genE6ELNS1_11target_archE950ELNS1_3gpuE13ELNS1_3repE0EEENS1_52radix_sort_onesweep_histogram_config_static_selectorELNS0_4arch9wavefront6targetE1EEEvSG_,"axG",@progbits,_ZN7rocprim17ROCPRIM_400000_NS6detail17trampoline_kernelINS0_14default_configENS1_35radix_sort_onesweep_config_selectorIiiEEZNS1_34radix_sort_onesweep_global_offsetsIS3_Lb0EN6thrust23THRUST_200600_302600_NS6detail15normal_iteratorINS8_10device_ptrIiEEEESD_jNS0_19identity_decomposerEEE10hipError_tT1_T2_PT3_SI_jT4_jjP12ihipStream_tbEUlT_E_NS1_11comp_targetILNS1_3genE6ELNS1_11target_archE950ELNS1_3gpuE13ELNS1_3repE0EEENS1_52radix_sort_onesweep_histogram_config_static_selectorELNS0_4arch9wavefront6targetE1EEEvSG_,comdat
	.protected	_ZN7rocprim17ROCPRIM_400000_NS6detail17trampoline_kernelINS0_14default_configENS1_35radix_sort_onesweep_config_selectorIiiEEZNS1_34radix_sort_onesweep_global_offsetsIS3_Lb0EN6thrust23THRUST_200600_302600_NS6detail15normal_iteratorINS8_10device_ptrIiEEEESD_jNS0_19identity_decomposerEEE10hipError_tT1_T2_PT3_SI_jT4_jjP12ihipStream_tbEUlT_E_NS1_11comp_targetILNS1_3genE6ELNS1_11target_archE950ELNS1_3gpuE13ELNS1_3repE0EEENS1_52radix_sort_onesweep_histogram_config_static_selectorELNS0_4arch9wavefront6targetE1EEEvSG_ ; -- Begin function _ZN7rocprim17ROCPRIM_400000_NS6detail17trampoline_kernelINS0_14default_configENS1_35radix_sort_onesweep_config_selectorIiiEEZNS1_34radix_sort_onesweep_global_offsetsIS3_Lb0EN6thrust23THRUST_200600_302600_NS6detail15normal_iteratorINS8_10device_ptrIiEEEESD_jNS0_19identity_decomposerEEE10hipError_tT1_T2_PT3_SI_jT4_jjP12ihipStream_tbEUlT_E_NS1_11comp_targetILNS1_3genE6ELNS1_11target_archE950ELNS1_3gpuE13ELNS1_3repE0EEENS1_52radix_sort_onesweep_histogram_config_static_selectorELNS0_4arch9wavefront6targetE1EEEvSG_
	.globl	_ZN7rocprim17ROCPRIM_400000_NS6detail17trampoline_kernelINS0_14default_configENS1_35radix_sort_onesweep_config_selectorIiiEEZNS1_34radix_sort_onesweep_global_offsetsIS3_Lb0EN6thrust23THRUST_200600_302600_NS6detail15normal_iteratorINS8_10device_ptrIiEEEESD_jNS0_19identity_decomposerEEE10hipError_tT1_T2_PT3_SI_jT4_jjP12ihipStream_tbEUlT_E_NS1_11comp_targetILNS1_3genE6ELNS1_11target_archE950ELNS1_3gpuE13ELNS1_3repE0EEENS1_52radix_sort_onesweep_histogram_config_static_selectorELNS0_4arch9wavefront6targetE1EEEvSG_
	.p2align	8
	.type	_ZN7rocprim17ROCPRIM_400000_NS6detail17trampoline_kernelINS0_14default_configENS1_35radix_sort_onesweep_config_selectorIiiEEZNS1_34radix_sort_onesweep_global_offsetsIS3_Lb0EN6thrust23THRUST_200600_302600_NS6detail15normal_iteratorINS8_10device_ptrIiEEEESD_jNS0_19identity_decomposerEEE10hipError_tT1_T2_PT3_SI_jT4_jjP12ihipStream_tbEUlT_E_NS1_11comp_targetILNS1_3genE6ELNS1_11target_archE950ELNS1_3gpuE13ELNS1_3repE0EEENS1_52radix_sort_onesweep_histogram_config_static_selectorELNS0_4arch9wavefront6targetE1EEEvSG_,@function
_ZN7rocprim17ROCPRIM_400000_NS6detail17trampoline_kernelINS0_14default_configENS1_35radix_sort_onesweep_config_selectorIiiEEZNS1_34radix_sort_onesweep_global_offsetsIS3_Lb0EN6thrust23THRUST_200600_302600_NS6detail15normal_iteratorINS8_10device_ptrIiEEEESD_jNS0_19identity_decomposerEEE10hipError_tT1_T2_PT3_SI_jT4_jjP12ihipStream_tbEUlT_E_NS1_11comp_targetILNS1_3genE6ELNS1_11target_archE950ELNS1_3gpuE13ELNS1_3repE0EEENS1_52radix_sort_onesweep_histogram_config_static_selectorELNS0_4arch9wavefront6targetE1EEEvSG_: ; @_ZN7rocprim17ROCPRIM_400000_NS6detail17trampoline_kernelINS0_14default_configENS1_35radix_sort_onesweep_config_selectorIiiEEZNS1_34radix_sort_onesweep_global_offsetsIS3_Lb0EN6thrust23THRUST_200600_302600_NS6detail15normal_iteratorINS8_10device_ptrIiEEEESD_jNS0_19identity_decomposerEEE10hipError_tT1_T2_PT3_SI_jT4_jjP12ihipStream_tbEUlT_E_NS1_11comp_targetILNS1_3genE6ELNS1_11target_archE950ELNS1_3gpuE13ELNS1_3repE0EEENS1_52radix_sort_onesweep_histogram_config_static_selectorELNS0_4arch9wavefront6targetE1EEEvSG_
; %bb.0:
	s_load_dword s11, s[0:1], 0x14
	s_load_dwordx4 s[4:7], s[0:1], 0x0
	s_load_dwordx2 s[8:9], s[0:1], 0x1c
	s_lshl_b32 s10, s2, 14
	s_waitcnt lgkmcnt(0)
	s_cmp_ge_u32 s2, s11
	s_mov_b64 s[2:3], -1
	s_cbranch_scc0 .LBB805_311
; %bb.1:
	s_load_dword s2, s[0:1], 0x10
	s_lshl_b32 s3, s11, 14
	s_mov_b32 s11, 0
	s_lshl_b64 s[0:1], s[10:11], 2
                                        ; implicit-def: $vgpr32
	s_waitcnt lgkmcnt(0)
	s_sub_i32 s11, s2, s3
	s_add_u32 s0, s4, s0
	s_addc_u32 s1, s5, s1
	v_cmp_gt_u32_e32 vcc, s11, v0
	s_and_saveexec_b64 s[2:3], vcc
	s_cbranch_execz .LBB805_3
; %bb.2:
	v_lshlrev_b32_e32 v1, 2, v0
	global_load_dword v1, v1, s[0:1]
	s_waitcnt vmcnt(0)
	v_xor_b32_e32 v32, 0x80000000, v1
.LBB805_3:
	s_or_b64 exec, exec, s[2:3]
	v_or_b32_e32 v33, 0x400, v0
	v_cmp_gt_u32_e32 vcc, s11, v33
                                        ; implicit-def: $vgpr31
	s_and_saveexec_b64 s[2:3], vcc
	s_cbranch_execz .LBB805_5
; %bb.4:
	v_lshlrev_b32_e32 v1, 2, v33
	global_load_dword v1, v1, s[0:1]
	s_waitcnt vmcnt(0)
	v_xor_b32_e32 v31, 0x80000000, v1
.LBB805_5:
	s_or_b64 exec, exec, s[2:3]
	v_or_b32_e32 v30, 0x800, v0
	v_cmp_gt_u32_e32 vcc, s11, v30
                                        ; implicit-def: $vgpr29
	s_and_saveexec_b64 s[2:3], vcc
	s_cbranch_execz .LBB805_7
; %bb.6:
	v_lshlrev_b32_e32 v1, 2, v30
	global_load_dword v1, v1, s[0:1]
	s_waitcnt vmcnt(0)
	v_xor_b32_e32 v29, 0x80000000, v1
.LBB805_7:
	s_or_b64 exec, exec, s[2:3]
	v_or_b32_e32 v28, 0xc00, v0
	v_cmp_gt_u32_e32 vcc, s11, v28
                                        ; implicit-def: $vgpr27
	s_and_saveexec_b64 s[2:3], vcc
	s_cbranch_execz .LBB805_9
; %bb.8:
	v_lshlrev_b32_e32 v1, 2, v28
	global_load_dword v1, v1, s[0:1]
	s_waitcnt vmcnt(0)
	v_xor_b32_e32 v27, 0x80000000, v1
.LBB805_9:
	s_or_b64 exec, exec, s[2:3]
	v_or_b32_e32 v26, 0x1000, v0
	v_cmp_gt_u32_e32 vcc, s11, v26
                                        ; implicit-def: $vgpr25
	s_and_saveexec_b64 s[2:3], vcc
	s_cbranch_execz .LBB805_11
; %bb.10:
	v_lshlrev_b32_e32 v1, 2, v26
	global_load_dword v1, v1, s[0:1]
	s_waitcnt vmcnt(0)
	v_xor_b32_e32 v25, 0x80000000, v1
.LBB805_11:
	s_or_b64 exec, exec, s[2:3]
	v_or_b32_e32 v24, 0x1400, v0
	v_cmp_gt_u32_e32 vcc, s11, v24
                                        ; implicit-def: $vgpr23
	s_and_saveexec_b64 s[2:3], vcc
	s_cbranch_execz .LBB805_13
; %bb.12:
	v_lshlrev_b32_e32 v1, 2, v24
	global_load_dword v1, v1, s[0:1]
	s_waitcnt vmcnt(0)
	v_xor_b32_e32 v23, 0x80000000, v1
.LBB805_13:
	s_or_b64 exec, exec, s[2:3]
	v_or_b32_e32 v22, 0x1800, v0
	v_cmp_gt_u32_e32 vcc, s11, v22
                                        ; implicit-def: $vgpr21
	s_and_saveexec_b64 s[2:3], vcc
	s_cbranch_execz .LBB805_15
; %bb.14:
	v_lshlrev_b32_e32 v1, 2, v22
	global_load_dword v1, v1, s[0:1]
	s_waitcnt vmcnt(0)
	v_xor_b32_e32 v21, 0x80000000, v1
.LBB805_15:
	s_or_b64 exec, exec, s[2:3]
	v_or_b32_e32 v20, 0x1c00, v0
	v_cmp_gt_u32_e32 vcc, s11, v20
                                        ; implicit-def: $vgpr19
	s_and_saveexec_b64 s[2:3], vcc
	s_cbranch_execz .LBB805_17
; %bb.16:
	v_lshlrev_b32_e32 v1, 2, v20
	global_load_dword v1, v1, s[0:1]
	s_waitcnt vmcnt(0)
	v_xor_b32_e32 v19, 0x80000000, v1
.LBB805_17:
	s_or_b64 exec, exec, s[2:3]
	v_or_b32_e32 v18, 0x2000, v0
	v_cmp_gt_u32_e32 vcc, s11, v18
                                        ; implicit-def: $vgpr17
	s_and_saveexec_b64 s[2:3], vcc
	s_cbranch_execz .LBB805_19
; %bb.18:
	v_lshlrev_b32_e32 v1, 2, v18
	global_load_dword v1, v1, s[0:1]
	s_waitcnt vmcnt(0)
	v_xor_b32_e32 v17, 0x80000000, v1
.LBB805_19:
	s_or_b64 exec, exec, s[2:3]
	v_or_b32_e32 v16, 0x2400, v0
	v_cmp_gt_u32_e32 vcc, s11, v16
                                        ; implicit-def: $vgpr15
	s_and_saveexec_b64 s[2:3], vcc
	s_cbranch_execz .LBB805_21
; %bb.20:
	v_lshlrev_b32_e32 v1, 2, v16
	global_load_dword v1, v1, s[0:1]
	s_waitcnt vmcnt(0)
	v_xor_b32_e32 v15, 0x80000000, v1
.LBB805_21:
	s_or_b64 exec, exec, s[2:3]
	v_or_b32_e32 v14, 0x2800, v0
	v_cmp_gt_u32_e32 vcc, s11, v14
                                        ; implicit-def: $vgpr13
	s_and_saveexec_b64 s[2:3], vcc
	s_cbranch_execz .LBB805_23
; %bb.22:
	v_lshlrev_b32_e32 v1, 2, v14
	global_load_dword v1, v1, s[0:1]
	s_waitcnt vmcnt(0)
	v_xor_b32_e32 v13, 0x80000000, v1
.LBB805_23:
	s_or_b64 exec, exec, s[2:3]
	v_or_b32_e32 v12, 0x2c00, v0
	v_cmp_gt_u32_e32 vcc, s11, v12
                                        ; implicit-def: $vgpr11
	s_and_saveexec_b64 s[2:3], vcc
	s_cbranch_execz .LBB805_25
; %bb.24:
	v_lshlrev_b32_e32 v1, 2, v12
	global_load_dword v1, v1, s[0:1]
	s_waitcnt vmcnt(0)
	v_xor_b32_e32 v11, 0x80000000, v1
.LBB805_25:
	s_or_b64 exec, exec, s[2:3]
	v_or_b32_e32 v10, 0x3000, v0
	v_cmp_gt_u32_e32 vcc, s11, v10
                                        ; implicit-def: $vgpr9
	s_and_saveexec_b64 s[2:3], vcc
	s_cbranch_execz .LBB805_27
; %bb.26:
	v_lshlrev_b32_e32 v1, 2, v10
	global_load_dword v1, v1, s[0:1]
	s_waitcnt vmcnt(0)
	v_xor_b32_e32 v9, 0x80000000, v1
.LBB805_27:
	s_or_b64 exec, exec, s[2:3]
	v_or_b32_e32 v8, 0x3400, v0
	v_cmp_gt_u32_e32 vcc, s11, v8
                                        ; implicit-def: $vgpr7
	s_and_saveexec_b64 s[2:3], vcc
	s_cbranch_execz .LBB805_29
; %bb.28:
	v_lshlrev_b32_e32 v1, 2, v8
	global_load_dword v1, v1, s[0:1]
	s_waitcnt vmcnt(0)
	v_xor_b32_e32 v7, 0x80000000, v1
.LBB805_29:
	s_or_b64 exec, exec, s[2:3]
	v_or_b32_e32 v6, 0x3800, v0
	v_cmp_gt_u32_e32 vcc, s11, v6
                                        ; implicit-def: $vgpr5
	s_and_saveexec_b64 s[2:3], vcc
	s_cbranch_execz .LBB805_31
; %bb.30:
	v_lshlrev_b32_e32 v1, 2, v6
	global_load_dword v1, v1, s[0:1]
	s_waitcnt vmcnt(0)
	v_xor_b32_e32 v5, 0x80000000, v1
.LBB805_31:
	s_or_b64 exec, exec, s[2:3]
	v_or_b32_e32 v4, 0x3c00, v0
	v_cmp_gt_u32_e32 vcc, s11, v4
                                        ; implicit-def: $vgpr2
	s_and_saveexec_b64 s[2:3], vcc
	s_cbranch_execz .LBB805_33
; %bb.32:
	v_lshlrev_b32_e32 v1, 2, v4
	global_load_dword v1, v1, s[0:1]
	s_waitcnt vmcnt(0)
	v_xor_b32_e32 v2, 0x80000000, v1
.LBB805_33:
	s_or_b64 exec, exec, s[2:3]
	s_cmp_ge_u32 s8, s9
	s_cselect_b64 s[2:3], -1, 0
	s_and_b64 s[0:1], s[2:3], exec
	v_lshlrev_b32_e32 v1, 2, v0
	v_mov_b32_e32 v34, 0
	v_cmp_le_u32_e32 vcc, s11, v0
	s_cselect_b32 s18, 8, 10
	v_and_b32_e32 v3, 3, v0
	ds_write2st64_b32 v1, v34, v34 offset1:16
	ds_write2st64_b32 v1, v34, v34 offset0:32 offset1:48
	s_nor_b64 s[12:13], s[2:3], vcc
	v_mov_b32_e32 v34, s18
	s_waitcnt lgkmcnt(0)
	s_barrier
	s_and_saveexec_b64 s[0:1], s[12:13]
	s_cbranch_execz .LBB805_35
; %bb.34:
	s_sub_i32 s12, s9, s8
	s_min_u32 s12, s12, 8
	v_lshrrev_b32_e32 v34, s8, v32
	v_bfe_u32 v34, v34, 0, s12
	v_lshlrev_b32_e32 v35, 2, v3
	v_lshl_or_b32 v34, v34, 4, v35
	v_mov_b32_e32 v35, 1
	ds_add_u32 v34, v35
	v_mov_b32_e32 v34, 0
.LBB805_35:
	s_or_b64 exec, exec, s[0:1]
	v_cmp_gt_i32_e64 s[0:1], 10, v34
	s_mov_b64 s[14:15], -1
	s_and_saveexec_b64 s[12:13], s[0:1]
; %bb.36:
	v_cmp_eq_u32_e64 s[0:1], 0, v34
	s_orn2_b64 s[14:15], s[0:1], exec
; %bb.37:
	s_or_b64 exec, exec, s[12:13]
	s_and_saveexec_b64 s[12:13], s[14:15]
	s_cbranch_execz .LBB805_50
; %bb.38:
	s_add_i32 s14, s8, 8
	s_cmp_le_u32 s9, s14
	s_cselect_b64 s[0:1], -1, 0
	s_and_b64 s[16:17], s[0:1], exec
	s_cselect_b32 s15, 8, 10
	s_nor_b64 s[16:17], s[0:1], vcc
	v_mov_b32_e32 v34, s15
	s_and_saveexec_b64 s[0:1], s[16:17]
	s_cbranch_execz .LBB805_40
; %bb.39:
	s_sub_i32 s15, s9, s14
	s_min_u32 s15, s15, 8
	v_lshrrev_b32_e32 v34, s14, v32
	v_bfe_u32 v34, v34, 0, s15
	v_lshlrev_b32_e32 v35, 2, v3
	v_lshl_or_b32 v34, v34, 4, v35
	v_mov_b32_e32 v35, 1
	ds_add_u32 v34, v35 offset:4096
	v_mov_b32_e32 v34, 0
.LBB805_40:
	s_or_b64 exec, exec, s[0:1]
	v_cmp_gt_i32_e64 s[0:1], 10, v34
	s_mov_b64 s[14:15], -1
	s_and_saveexec_b64 s[16:17], s[0:1]
; %bb.41:
	v_cmp_eq_u32_e64 s[0:1], 0, v34
	s_orn2_b64 s[14:15], s[0:1], exec
; %bb.42:
	s_or_b64 exec, exec, s[16:17]
	s_and_b64 exec, exec, s[14:15]
	s_cbranch_execz .LBB805_50
; %bb.43:
	s_add_i32 s14, s8, 16
	s_cmp_le_u32 s9, s14
	s_cselect_b64 s[0:1], -1, 0
	s_and_b64 s[16:17], s[0:1], exec
	s_cselect_b32 s15, 8, 10
	s_nor_b64 s[16:17], s[0:1], vcc
	v_mov_b32_e32 v34, s15
	s_and_saveexec_b64 s[0:1], s[16:17]
	s_cbranch_execz .LBB805_45
; %bb.44:
	s_sub_i32 s15, s9, s14
	s_min_u32 s15, s15, 8
	v_lshrrev_b32_e32 v34, s14, v32
	v_bfe_u32 v34, v34, 0, s15
	v_lshlrev_b32_e32 v35, 2, v3
	v_lshl_or_b32 v34, v34, 4, v35
	v_mov_b32_e32 v35, 1
	ds_add_u32 v34, v35 offset:8192
	v_mov_b32_e32 v34, 0
.LBB805_45:
	s_or_b64 exec, exec, s[0:1]
	v_cmp_gt_i32_e64 s[0:1], 10, v34
	s_mov_b64 s[14:15], -1
	s_and_saveexec_b64 s[16:17], s[0:1]
; %bb.46:
	v_cmp_eq_u32_e64 s[0:1], 0, v34
	s_orn2_b64 s[14:15], s[0:1], exec
; %bb.47:
	s_or_b64 exec, exec, s[16:17]
	s_and_b64 exec, exec, s[14:15]
	s_cbranch_execz .LBB805_50
; %bb.48:
	s_add_i32 s0, s8, 24
	s_cmp_gt_u32 s9, s0
	s_cselect_b64 s[14:15], -1, 0
	s_xor_b64 s[16:17], vcc, -1
	s_and_b64 s[14:15], s[14:15], s[16:17]
	s_and_b64 exec, exec, s[14:15]
	s_cbranch_execz .LBB805_50
; %bb.49:
	s_sub_i32 s1, s9, s0
	s_min_u32 s1, s1, 8
	v_lshrrev_b32_e32 v32, s0, v32
	v_bfe_u32 v32, v32, 0, s1
	v_lshlrev_b32_e32 v34, 2, v3
	v_lshl_or_b32 v32, v32, 4, v34
	v_mov_b32_e32 v34, 1
	ds_add_u32 v32, v34 offset:12288
.LBB805_50:
	s_or_b64 exec, exec, s[12:13]
	v_cmp_le_u32_e32 vcc, s11, v33
	s_nor_b64 s[12:13], s[2:3], vcc
	v_mov_b32_e32 v32, s18
	s_and_saveexec_b64 s[0:1], s[12:13]
	s_cbranch_execz .LBB805_52
; %bb.51:
	s_sub_i32 s12, s9, s8
	s_min_u32 s12, s12, 8
	v_lshrrev_b32_e32 v32, s8, v31
	v_bfe_u32 v32, v32, 0, s12
	v_lshlrev_b32_e32 v33, 2, v3
	v_lshl_or_b32 v32, v32, 4, v33
	v_mov_b32_e32 v33, 1
	ds_add_u32 v32, v33
	v_mov_b32_e32 v32, 0
.LBB805_52:
	s_or_b64 exec, exec, s[0:1]
	v_cmp_gt_i32_e64 s[0:1], 10, v32
	s_mov_b64 s[14:15], -1
	s_and_saveexec_b64 s[12:13], s[0:1]
; %bb.53:
	v_cmp_eq_u32_e64 s[0:1], 0, v32
	s_orn2_b64 s[14:15], s[0:1], exec
; %bb.54:
	s_or_b64 exec, exec, s[12:13]
	s_and_saveexec_b64 s[12:13], s[14:15]
	s_cbranch_execz .LBB805_67
; %bb.55:
	s_add_i32 s14, s8, 8
	s_cmp_le_u32 s9, s14
	s_cselect_b64 s[0:1], -1, 0
	s_and_b64 s[16:17], s[0:1], exec
	s_cselect_b32 s15, 8, 10
	s_nor_b64 s[16:17], s[0:1], vcc
	v_mov_b32_e32 v32, s15
	s_and_saveexec_b64 s[0:1], s[16:17]
	s_cbranch_execz .LBB805_57
; %bb.56:
	s_sub_i32 s15, s9, s14
	s_min_u32 s15, s15, 8
	v_lshrrev_b32_e32 v32, s14, v31
	v_bfe_u32 v32, v32, 0, s15
	v_lshlrev_b32_e32 v33, 2, v3
	v_lshl_or_b32 v32, v32, 4, v33
	v_mov_b32_e32 v33, 1
	ds_add_u32 v32, v33 offset:4096
	v_mov_b32_e32 v32, 0
.LBB805_57:
	s_or_b64 exec, exec, s[0:1]
	v_cmp_gt_i32_e64 s[0:1], 10, v32
	s_mov_b64 s[14:15], -1
	s_and_saveexec_b64 s[16:17], s[0:1]
; %bb.58:
	v_cmp_eq_u32_e64 s[0:1], 0, v32
	s_orn2_b64 s[14:15], s[0:1], exec
; %bb.59:
	s_or_b64 exec, exec, s[16:17]
	s_and_b64 exec, exec, s[14:15]
	s_cbranch_execz .LBB805_67
; %bb.60:
	s_add_i32 s14, s8, 16
	s_cmp_le_u32 s9, s14
	s_cselect_b64 s[0:1], -1, 0
	s_and_b64 s[16:17], s[0:1], exec
	s_cselect_b32 s15, 8, 10
	s_nor_b64 s[16:17], s[0:1], vcc
	v_mov_b32_e32 v32, s15
	s_and_saveexec_b64 s[0:1], s[16:17]
	s_cbranch_execz .LBB805_62
; %bb.61:
	s_sub_i32 s15, s9, s14
	s_min_u32 s15, s15, 8
	v_lshrrev_b32_e32 v32, s14, v31
	v_bfe_u32 v32, v32, 0, s15
	v_lshlrev_b32_e32 v33, 2, v3
	v_lshl_or_b32 v32, v32, 4, v33
	v_mov_b32_e32 v33, 1
	ds_add_u32 v32, v33 offset:8192
	v_mov_b32_e32 v32, 0
.LBB805_62:
	s_or_b64 exec, exec, s[0:1]
	v_cmp_gt_i32_e64 s[0:1], 10, v32
	s_mov_b64 s[14:15], -1
	s_and_saveexec_b64 s[16:17], s[0:1]
; %bb.63:
	v_cmp_eq_u32_e64 s[0:1], 0, v32
	s_orn2_b64 s[14:15], s[0:1], exec
; %bb.64:
	s_or_b64 exec, exec, s[16:17]
	s_and_b64 exec, exec, s[14:15]
	s_cbranch_execz .LBB805_67
; %bb.65:
	s_add_i32 s0, s8, 24
	s_cmp_gt_u32 s9, s0
	s_cselect_b64 s[14:15], -1, 0
	s_xor_b64 s[16:17], vcc, -1
	s_and_b64 s[14:15], s[14:15], s[16:17]
	s_and_b64 exec, exec, s[14:15]
	s_cbranch_execz .LBB805_67
; %bb.66:
	s_sub_i32 s1, s9, s0
	s_min_u32 s1, s1, 8
	v_lshrrev_b32_e32 v31, s0, v31
	v_bfe_u32 v31, v31, 0, s1
	v_lshlrev_b32_e32 v32, 2, v3
	v_lshl_or_b32 v31, v31, 4, v32
	v_mov_b32_e32 v32, 1
	ds_add_u32 v31, v32 offset:12288
.LBB805_67:
	s_or_b64 exec, exec, s[12:13]
	v_cmp_le_u32_e32 vcc, s11, v30
	s_nor_b64 s[12:13], s[2:3], vcc
	v_mov_b32_e32 v30, s18
	s_and_saveexec_b64 s[0:1], s[12:13]
	s_cbranch_execz .LBB805_69
; %bb.68:
	s_sub_i32 s12, s9, s8
	s_min_u32 s12, s12, 8
	v_lshrrev_b32_e32 v30, s8, v29
	v_bfe_u32 v30, v30, 0, s12
	v_lshlrev_b32_e32 v31, 2, v3
	v_lshl_or_b32 v30, v30, 4, v31
	v_mov_b32_e32 v31, 1
	ds_add_u32 v30, v31
	v_mov_b32_e32 v30, 0
.LBB805_69:
	s_or_b64 exec, exec, s[0:1]
	v_cmp_gt_i32_e64 s[0:1], 10, v30
	s_mov_b64 s[14:15], -1
	s_and_saveexec_b64 s[12:13], s[0:1]
; %bb.70:
	v_cmp_eq_u32_e64 s[0:1], 0, v30
	s_orn2_b64 s[14:15], s[0:1], exec
; %bb.71:
	s_or_b64 exec, exec, s[12:13]
	s_and_saveexec_b64 s[12:13], s[14:15]
	s_cbranch_execz .LBB805_84
; %bb.72:
	s_add_i32 s14, s8, 8
	s_cmp_le_u32 s9, s14
	s_cselect_b64 s[0:1], -1, 0
	s_and_b64 s[16:17], s[0:1], exec
	s_cselect_b32 s15, 8, 10
	s_nor_b64 s[16:17], s[0:1], vcc
	v_mov_b32_e32 v30, s15
	s_and_saveexec_b64 s[0:1], s[16:17]
	s_cbranch_execz .LBB805_74
; %bb.73:
	s_sub_i32 s15, s9, s14
	s_min_u32 s15, s15, 8
	v_lshrrev_b32_e32 v30, s14, v29
	v_bfe_u32 v30, v30, 0, s15
	v_lshlrev_b32_e32 v31, 2, v3
	v_lshl_or_b32 v30, v30, 4, v31
	v_mov_b32_e32 v31, 1
	ds_add_u32 v30, v31 offset:4096
	v_mov_b32_e32 v30, 0
.LBB805_74:
	s_or_b64 exec, exec, s[0:1]
	v_cmp_gt_i32_e64 s[0:1], 10, v30
	s_mov_b64 s[14:15], -1
	s_and_saveexec_b64 s[16:17], s[0:1]
; %bb.75:
	v_cmp_eq_u32_e64 s[0:1], 0, v30
	s_orn2_b64 s[14:15], s[0:1], exec
; %bb.76:
	s_or_b64 exec, exec, s[16:17]
	s_and_b64 exec, exec, s[14:15]
	s_cbranch_execz .LBB805_84
; %bb.77:
	s_add_i32 s14, s8, 16
	s_cmp_le_u32 s9, s14
	s_cselect_b64 s[0:1], -1, 0
	s_and_b64 s[16:17], s[0:1], exec
	s_cselect_b32 s15, 8, 10
	s_nor_b64 s[16:17], s[0:1], vcc
	v_mov_b32_e32 v30, s15
	s_and_saveexec_b64 s[0:1], s[16:17]
	s_cbranch_execz .LBB805_79
; %bb.78:
	s_sub_i32 s15, s9, s14
	s_min_u32 s15, s15, 8
	v_lshrrev_b32_e32 v30, s14, v29
	v_bfe_u32 v30, v30, 0, s15
	v_lshlrev_b32_e32 v31, 2, v3
	v_lshl_or_b32 v30, v30, 4, v31
	v_mov_b32_e32 v31, 1
	ds_add_u32 v30, v31 offset:8192
	v_mov_b32_e32 v30, 0
.LBB805_79:
	s_or_b64 exec, exec, s[0:1]
	v_cmp_gt_i32_e64 s[0:1], 10, v30
	s_mov_b64 s[14:15], -1
	s_and_saveexec_b64 s[16:17], s[0:1]
; %bb.80:
	v_cmp_eq_u32_e64 s[0:1], 0, v30
	s_orn2_b64 s[14:15], s[0:1], exec
; %bb.81:
	s_or_b64 exec, exec, s[16:17]
	s_and_b64 exec, exec, s[14:15]
	s_cbranch_execz .LBB805_84
; %bb.82:
	s_add_i32 s0, s8, 24
	s_cmp_gt_u32 s9, s0
	s_cselect_b64 s[14:15], -1, 0
	s_xor_b64 s[16:17], vcc, -1
	s_and_b64 s[14:15], s[14:15], s[16:17]
	s_and_b64 exec, exec, s[14:15]
	s_cbranch_execz .LBB805_84
; %bb.83:
	s_sub_i32 s1, s9, s0
	s_min_u32 s1, s1, 8
	v_lshrrev_b32_e32 v29, s0, v29
	v_bfe_u32 v29, v29, 0, s1
	v_lshlrev_b32_e32 v30, 2, v3
	v_lshl_or_b32 v29, v29, 4, v30
	v_mov_b32_e32 v30, 1
	ds_add_u32 v29, v30 offset:12288
.LBB805_84:
	s_or_b64 exec, exec, s[12:13]
	v_cmp_le_u32_e32 vcc, s11, v28
	s_nor_b64 s[12:13], s[2:3], vcc
	v_mov_b32_e32 v28, s18
	s_and_saveexec_b64 s[0:1], s[12:13]
	s_cbranch_execz .LBB805_86
; %bb.85:
	s_sub_i32 s12, s9, s8
	s_min_u32 s12, s12, 8
	v_lshrrev_b32_e32 v28, s8, v27
	v_bfe_u32 v28, v28, 0, s12
	v_lshlrev_b32_e32 v29, 2, v3
	v_lshl_or_b32 v28, v28, 4, v29
	v_mov_b32_e32 v29, 1
	ds_add_u32 v28, v29
	v_mov_b32_e32 v28, 0
.LBB805_86:
	s_or_b64 exec, exec, s[0:1]
	v_cmp_gt_i32_e64 s[0:1], 10, v28
	s_mov_b64 s[14:15], -1
	s_and_saveexec_b64 s[12:13], s[0:1]
; %bb.87:
	v_cmp_eq_u32_e64 s[0:1], 0, v28
	s_orn2_b64 s[14:15], s[0:1], exec
; %bb.88:
	s_or_b64 exec, exec, s[12:13]
	s_and_saveexec_b64 s[12:13], s[14:15]
	s_cbranch_execz .LBB805_101
; %bb.89:
	s_add_i32 s14, s8, 8
	s_cmp_le_u32 s9, s14
	s_cselect_b64 s[0:1], -1, 0
	s_and_b64 s[16:17], s[0:1], exec
	s_cselect_b32 s15, 8, 10
	s_nor_b64 s[16:17], s[0:1], vcc
	v_mov_b32_e32 v28, s15
	s_and_saveexec_b64 s[0:1], s[16:17]
	s_cbranch_execz .LBB805_91
; %bb.90:
	s_sub_i32 s15, s9, s14
	s_min_u32 s15, s15, 8
	v_lshrrev_b32_e32 v28, s14, v27
	v_bfe_u32 v28, v28, 0, s15
	v_lshlrev_b32_e32 v29, 2, v3
	v_lshl_or_b32 v28, v28, 4, v29
	v_mov_b32_e32 v29, 1
	ds_add_u32 v28, v29 offset:4096
	v_mov_b32_e32 v28, 0
.LBB805_91:
	s_or_b64 exec, exec, s[0:1]
	v_cmp_gt_i32_e64 s[0:1], 10, v28
	s_mov_b64 s[14:15], -1
	s_and_saveexec_b64 s[16:17], s[0:1]
; %bb.92:
	v_cmp_eq_u32_e64 s[0:1], 0, v28
	s_orn2_b64 s[14:15], s[0:1], exec
; %bb.93:
	s_or_b64 exec, exec, s[16:17]
	s_and_b64 exec, exec, s[14:15]
	s_cbranch_execz .LBB805_101
; %bb.94:
	s_add_i32 s14, s8, 16
	s_cmp_le_u32 s9, s14
	s_cselect_b64 s[0:1], -1, 0
	s_and_b64 s[16:17], s[0:1], exec
	s_cselect_b32 s15, 8, 10
	s_nor_b64 s[16:17], s[0:1], vcc
	v_mov_b32_e32 v28, s15
	s_and_saveexec_b64 s[0:1], s[16:17]
	s_cbranch_execz .LBB805_96
; %bb.95:
	s_sub_i32 s15, s9, s14
	s_min_u32 s15, s15, 8
	v_lshrrev_b32_e32 v28, s14, v27
	v_bfe_u32 v28, v28, 0, s15
	v_lshlrev_b32_e32 v29, 2, v3
	v_lshl_or_b32 v28, v28, 4, v29
	v_mov_b32_e32 v29, 1
	ds_add_u32 v28, v29 offset:8192
	v_mov_b32_e32 v28, 0
.LBB805_96:
	s_or_b64 exec, exec, s[0:1]
	v_cmp_gt_i32_e64 s[0:1], 10, v28
	s_mov_b64 s[14:15], -1
	s_and_saveexec_b64 s[16:17], s[0:1]
; %bb.97:
	v_cmp_eq_u32_e64 s[0:1], 0, v28
	s_orn2_b64 s[14:15], s[0:1], exec
; %bb.98:
	s_or_b64 exec, exec, s[16:17]
	s_and_b64 exec, exec, s[14:15]
	s_cbranch_execz .LBB805_101
; %bb.99:
	s_add_i32 s0, s8, 24
	s_cmp_gt_u32 s9, s0
	s_cselect_b64 s[14:15], -1, 0
	s_xor_b64 s[16:17], vcc, -1
	s_and_b64 s[14:15], s[14:15], s[16:17]
	s_and_b64 exec, exec, s[14:15]
	s_cbranch_execz .LBB805_101
; %bb.100:
	s_sub_i32 s1, s9, s0
	s_min_u32 s1, s1, 8
	v_lshrrev_b32_e32 v27, s0, v27
	v_bfe_u32 v27, v27, 0, s1
	v_lshlrev_b32_e32 v28, 2, v3
	v_lshl_or_b32 v27, v27, 4, v28
	v_mov_b32_e32 v28, 1
	ds_add_u32 v27, v28 offset:12288
.LBB805_101:
	s_or_b64 exec, exec, s[12:13]
	v_cmp_le_u32_e32 vcc, s11, v26
	s_nor_b64 s[12:13], s[2:3], vcc
	v_mov_b32_e32 v26, s18
	s_and_saveexec_b64 s[0:1], s[12:13]
	s_cbranch_execz .LBB805_103
; %bb.102:
	s_sub_i32 s12, s9, s8
	s_min_u32 s12, s12, 8
	v_lshrrev_b32_e32 v26, s8, v25
	v_bfe_u32 v26, v26, 0, s12
	v_lshlrev_b32_e32 v27, 2, v3
	v_lshl_or_b32 v26, v26, 4, v27
	v_mov_b32_e32 v27, 1
	ds_add_u32 v26, v27
	v_mov_b32_e32 v26, 0
.LBB805_103:
	s_or_b64 exec, exec, s[0:1]
	v_cmp_gt_i32_e64 s[0:1], 10, v26
	s_mov_b64 s[14:15], -1
	s_and_saveexec_b64 s[12:13], s[0:1]
; %bb.104:
	v_cmp_eq_u32_e64 s[0:1], 0, v26
	s_orn2_b64 s[14:15], s[0:1], exec
; %bb.105:
	s_or_b64 exec, exec, s[12:13]
	s_and_saveexec_b64 s[12:13], s[14:15]
	s_cbranch_execz .LBB805_118
; %bb.106:
	s_add_i32 s14, s8, 8
	s_cmp_le_u32 s9, s14
	s_cselect_b64 s[0:1], -1, 0
	s_and_b64 s[16:17], s[0:1], exec
	s_cselect_b32 s15, 8, 10
	s_nor_b64 s[16:17], s[0:1], vcc
	v_mov_b32_e32 v26, s15
	s_and_saveexec_b64 s[0:1], s[16:17]
	s_cbranch_execz .LBB805_108
; %bb.107:
	s_sub_i32 s15, s9, s14
	s_min_u32 s15, s15, 8
	v_lshrrev_b32_e32 v26, s14, v25
	v_bfe_u32 v26, v26, 0, s15
	v_lshlrev_b32_e32 v27, 2, v3
	v_lshl_or_b32 v26, v26, 4, v27
	v_mov_b32_e32 v27, 1
	ds_add_u32 v26, v27 offset:4096
	v_mov_b32_e32 v26, 0
.LBB805_108:
	s_or_b64 exec, exec, s[0:1]
	v_cmp_gt_i32_e64 s[0:1], 10, v26
	s_mov_b64 s[14:15], -1
	s_and_saveexec_b64 s[16:17], s[0:1]
; %bb.109:
	v_cmp_eq_u32_e64 s[0:1], 0, v26
	s_orn2_b64 s[14:15], s[0:1], exec
; %bb.110:
	s_or_b64 exec, exec, s[16:17]
	s_and_b64 exec, exec, s[14:15]
	s_cbranch_execz .LBB805_118
; %bb.111:
	s_add_i32 s14, s8, 16
	s_cmp_le_u32 s9, s14
	s_cselect_b64 s[0:1], -1, 0
	s_and_b64 s[16:17], s[0:1], exec
	s_cselect_b32 s15, 8, 10
	s_nor_b64 s[16:17], s[0:1], vcc
	v_mov_b32_e32 v26, s15
	s_and_saveexec_b64 s[0:1], s[16:17]
	s_cbranch_execz .LBB805_113
; %bb.112:
	s_sub_i32 s15, s9, s14
	s_min_u32 s15, s15, 8
	v_lshrrev_b32_e32 v26, s14, v25
	v_bfe_u32 v26, v26, 0, s15
	v_lshlrev_b32_e32 v27, 2, v3
	v_lshl_or_b32 v26, v26, 4, v27
	v_mov_b32_e32 v27, 1
	ds_add_u32 v26, v27 offset:8192
	v_mov_b32_e32 v26, 0
.LBB805_113:
	s_or_b64 exec, exec, s[0:1]
	v_cmp_gt_i32_e64 s[0:1], 10, v26
	s_mov_b64 s[14:15], -1
	s_and_saveexec_b64 s[16:17], s[0:1]
; %bb.114:
	v_cmp_eq_u32_e64 s[0:1], 0, v26
	s_orn2_b64 s[14:15], s[0:1], exec
; %bb.115:
	s_or_b64 exec, exec, s[16:17]
	s_and_b64 exec, exec, s[14:15]
	s_cbranch_execz .LBB805_118
; %bb.116:
	s_add_i32 s0, s8, 24
	s_cmp_gt_u32 s9, s0
	s_cselect_b64 s[14:15], -1, 0
	s_xor_b64 s[16:17], vcc, -1
	s_and_b64 s[14:15], s[14:15], s[16:17]
	s_and_b64 exec, exec, s[14:15]
	s_cbranch_execz .LBB805_118
; %bb.117:
	s_sub_i32 s1, s9, s0
	s_min_u32 s1, s1, 8
	v_lshrrev_b32_e32 v25, s0, v25
	v_bfe_u32 v25, v25, 0, s1
	v_lshlrev_b32_e32 v26, 2, v3
	v_lshl_or_b32 v25, v25, 4, v26
	v_mov_b32_e32 v26, 1
	ds_add_u32 v25, v26 offset:12288
.LBB805_118:
	s_or_b64 exec, exec, s[12:13]
	v_cmp_le_u32_e32 vcc, s11, v24
	s_nor_b64 s[12:13], s[2:3], vcc
	v_mov_b32_e32 v24, s18
	s_and_saveexec_b64 s[0:1], s[12:13]
	s_cbranch_execz .LBB805_120
; %bb.119:
	s_sub_i32 s12, s9, s8
	s_min_u32 s12, s12, 8
	v_lshrrev_b32_e32 v24, s8, v23
	v_bfe_u32 v24, v24, 0, s12
	v_lshlrev_b32_e32 v25, 2, v3
	v_lshl_or_b32 v24, v24, 4, v25
	v_mov_b32_e32 v25, 1
	ds_add_u32 v24, v25
	v_mov_b32_e32 v24, 0
.LBB805_120:
	s_or_b64 exec, exec, s[0:1]
	v_cmp_gt_i32_e64 s[0:1], 10, v24
	s_mov_b64 s[14:15], -1
	s_and_saveexec_b64 s[12:13], s[0:1]
; %bb.121:
	v_cmp_eq_u32_e64 s[0:1], 0, v24
	s_orn2_b64 s[14:15], s[0:1], exec
; %bb.122:
	s_or_b64 exec, exec, s[12:13]
	s_and_saveexec_b64 s[12:13], s[14:15]
	s_cbranch_execz .LBB805_135
; %bb.123:
	s_add_i32 s14, s8, 8
	s_cmp_le_u32 s9, s14
	s_cselect_b64 s[0:1], -1, 0
	s_and_b64 s[16:17], s[0:1], exec
	s_cselect_b32 s15, 8, 10
	s_nor_b64 s[16:17], s[0:1], vcc
	v_mov_b32_e32 v24, s15
	s_and_saveexec_b64 s[0:1], s[16:17]
	s_cbranch_execz .LBB805_125
; %bb.124:
	s_sub_i32 s15, s9, s14
	s_min_u32 s15, s15, 8
	v_lshrrev_b32_e32 v24, s14, v23
	v_bfe_u32 v24, v24, 0, s15
	v_lshlrev_b32_e32 v25, 2, v3
	v_lshl_or_b32 v24, v24, 4, v25
	v_mov_b32_e32 v25, 1
	ds_add_u32 v24, v25 offset:4096
	v_mov_b32_e32 v24, 0
.LBB805_125:
	s_or_b64 exec, exec, s[0:1]
	v_cmp_gt_i32_e64 s[0:1], 10, v24
	s_mov_b64 s[14:15], -1
	s_and_saveexec_b64 s[16:17], s[0:1]
; %bb.126:
	v_cmp_eq_u32_e64 s[0:1], 0, v24
	s_orn2_b64 s[14:15], s[0:1], exec
; %bb.127:
	s_or_b64 exec, exec, s[16:17]
	s_and_b64 exec, exec, s[14:15]
	s_cbranch_execz .LBB805_135
; %bb.128:
	s_add_i32 s14, s8, 16
	s_cmp_le_u32 s9, s14
	s_cselect_b64 s[0:1], -1, 0
	s_and_b64 s[16:17], s[0:1], exec
	s_cselect_b32 s15, 8, 10
	s_nor_b64 s[16:17], s[0:1], vcc
	v_mov_b32_e32 v24, s15
	s_and_saveexec_b64 s[0:1], s[16:17]
	s_cbranch_execz .LBB805_130
; %bb.129:
	s_sub_i32 s15, s9, s14
	s_min_u32 s15, s15, 8
	v_lshrrev_b32_e32 v24, s14, v23
	v_bfe_u32 v24, v24, 0, s15
	v_lshlrev_b32_e32 v25, 2, v3
	v_lshl_or_b32 v24, v24, 4, v25
	v_mov_b32_e32 v25, 1
	ds_add_u32 v24, v25 offset:8192
	v_mov_b32_e32 v24, 0
.LBB805_130:
	s_or_b64 exec, exec, s[0:1]
	v_cmp_gt_i32_e64 s[0:1], 10, v24
	s_mov_b64 s[14:15], -1
	s_and_saveexec_b64 s[16:17], s[0:1]
; %bb.131:
	v_cmp_eq_u32_e64 s[0:1], 0, v24
	s_orn2_b64 s[14:15], s[0:1], exec
; %bb.132:
	s_or_b64 exec, exec, s[16:17]
	s_and_b64 exec, exec, s[14:15]
	s_cbranch_execz .LBB805_135
; %bb.133:
	s_add_i32 s0, s8, 24
	s_cmp_gt_u32 s9, s0
	s_cselect_b64 s[14:15], -1, 0
	s_xor_b64 s[16:17], vcc, -1
	s_and_b64 s[14:15], s[14:15], s[16:17]
	s_and_b64 exec, exec, s[14:15]
	s_cbranch_execz .LBB805_135
; %bb.134:
	s_sub_i32 s1, s9, s0
	s_min_u32 s1, s1, 8
	v_lshrrev_b32_e32 v23, s0, v23
	v_bfe_u32 v23, v23, 0, s1
	v_lshlrev_b32_e32 v24, 2, v3
	v_lshl_or_b32 v23, v23, 4, v24
	v_mov_b32_e32 v24, 1
	ds_add_u32 v23, v24 offset:12288
.LBB805_135:
	s_or_b64 exec, exec, s[12:13]
	v_cmp_le_u32_e32 vcc, s11, v22
	s_nor_b64 s[12:13], s[2:3], vcc
	v_mov_b32_e32 v22, s18
	s_and_saveexec_b64 s[0:1], s[12:13]
	s_cbranch_execz .LBB805_137
; %bb.136:
	s_sub_i32 s12, s9, s8
	s_min_u32 s12, s12, 8
	v_lshrrev_b32_e32 v22, s8, v21
	v_bfe_u32 v22, v22, 0, s12
	v_lshlrev_b32_e32 v23, 2, v3
	v_lshl_or_b32 v22, v22, 4, v23
	v_mov_b32_e32 v23, 1
	ds_add_u32 v22, v23
	v_mov_b32_e32 v22, 0
.LBB805_137:
	s_or_b64 exec, exec, s[0:1]
	v_cmp_gt_i32_e64 s[0:1], 10, v22
	s_mov_b64 s[14:15], -1
	s_and_saveexec_b64 s[12:13], s[0:1]
; %bb.138:
	v_cmp_eq_u32_e64 s[0:1], 0, v22
	s_orn2_b64 s[14:15], s[0:1], exec
; %bb.139:
	s_or_b64 exec, exec, s[12:13]
	s_and_saveexec_b64 s[12:13], s[14:15]
	s_cbranch_execz .LBB805_152
; %bb.140:
	s_add_i32 s14, s8, 8
	s_cmp_le_u32 s9, s14
	s_cselect_b64 s[0:1], -1, 0
	s_and_b64 s[16:17], s[0:1], exec
	s_cselect_b32 s15, 8, 10
	s_nor_b64 s[16:17], s[0:1], vcc
	v_mov_b32_e32 v22, s15
	s_and_saveexec_b64 s[0:1], s[16:17]
	s_cbranch_execz .LBB805_142
; %bb.141:
	s_sub_i32 s15, s9, s14
	s_min_u32 s15, s15, 8
	v_lshrrev_b32_e32 v22, s14, v21
	v_bfe_u32 v22, v22, 0, s15
	v_lshlrev_b32_e32 v23, 2, v3
	v_lshl_or_b32 v22, v22, 4, v23
	v_mov_b32_e32 v23, 1
	ds_add_u32 v22, v23 offset:4096
	v_mov_b32_e32 v22, 0
.LBB805_142:
	s_or_b64 exec, exec, s[0:1]
	v_cmp_gt_i32_e64 s[0:1], 10, v22
	s_mov_b64 s[14:15], -1
	s_and_saveexec_b64 s[16:17], s[0:1]
; %bb.143:
	v_cmp_eq_u32_e64 s[0:1], 0, v22
	s_orn2_b64 s[14:15], s[0:1], exec
; %bb.144:
	s_or_b64 exec, exec, s[16:17]
	s_and_b64 exec, exec, s[14:15]
	s_cbranch_execz .LBB805_152
; %bb.145:
	s_add_i32 s14, s8, 16
	s_cmp_le_u32 s9, s14
	s_cselect_b64 s[0:1], -1, 0
	s_and_b64 s[16:17], s[0:1], exec
	s_cselect_b32 s15, 8, 10
	s_nor_b64 s[16:17], s[0:1], vcc
	v_mov_b32_e32 v22, s15
	s_and_saveexec_b64 s[0:1], s[16:17]
	s_cbranch_execz .LBB805_147
; %bb.146:
	s_sub_i32 s15, s9, s14
	s_min_u32 s15, s15, 8
	v_lshrrev_b32_e32 v22, s14, v21
	v_bfe_u32 v22, v22, 0, s15
	v_lshlrev_b32_e32 v23, 2, v3
	v_lshl_or_b32 v22, v22, 4, v23
	v_mov_b32_e32 v23, 1
	ds_add_u32 v22, v23 offset:8192
	v_mov_b32_e32 v22, 0
.LBB805_147:
	s_or_b64 exec, exec, s[0:1]
	v_cmp_gt_i32_e64 s[0:1], 10, v22
	s_mov_b64 s[14:15], -1
	s_and_saveexec_b64 s[16:17], s[0:1]
; %bb.148:
	v_cmp_eq_u32_e64 s[0:1], 0, v22
	s_orn2_b64 s[14:15], s[0:1], exec
; %bb.149:
	s_or_b64 exec, exec, s[16:17]
	s_and_b64 exec, exec, s[14:15]
	s_cbranch_execz .LBB805_152
; %bb.150:
	s_add_i32 s0, s8, 24
	s_cmp_gt_u32 s9, s0
	s_cselect_b64 s[14:15], -1, 0
	s_xor_b64 s[16:17], vcc, -1
	s_and_b64 s[14:15], s[14:15], s[16:17]
	s_and_b64 exec, exec, s[14:15]
	s_cbranch_execz .LBB805_152
; %bb.151:
	s_sub_i32 s1, s9, s0
	s_min_u32 s1, s1, 8
	v_lshrrev_b32_e32 v21, s0, v21
	v_bfe_u32 v21, v21, 0, s1
	v_lshlrev_b32_e32 v22, 2, v3
	v_lshl_or_b32 v21, v21, 4, v22
	v_mov_b32_e32 v22, 1
	ds_add_u32 v21, v22 offset:12288
.LBB805_152:
	s_or_b64 exec, exec, s[12:13]
	v_cmp_le_u32_e32 vcc, s11, v20
	s_nor_b64 s[12:13], s[2:3], vcc
	v_mov_b32_e32 v20, s18
	s_and_saveexec_b64 s[0:1], s[12:13]
	s_cbranch_execz .LBB805_154
; %bb.153:
	s_sub_i32 s12, s9, s8
	s_min_u32 s12, s12, 8
	v_lshrrev_b32_e32 v20, s8, v19
	v_bfe_u32 v20, v20, 0, s12
	v_lshlrev_b32_e32 v21, 2, v3
	v_lshl_or_b32 v20, v20, 4, v21
	v_mov_b32_e32 v21, 1
	ds_add_u32 v20, v21
	v_mov_b32_e32 v20, 0
.LBB805_154:
	s_or_b64 exec, exec, s[0:1]
	v_cmp_gt_i32_e64 s[0:1], 10, v20
	s_mov_b64 s[14:15], -1
	s_and_saveexec_b64 s[12:13], s[0:1]
; %bb.155:
	v_cmp_eq_u32_e64 s[0:1], 0, v20
	s_orn2_b64 s[14:15], s[0:1], exec
; %bb.156:
	s_or_b64 exec, exec, s[12:13]
	s_and_saveexec_b64 s[12:13], s[14:15]
	s_cbranch_execz .LBB805_169
; %bb.157:
	s_add_i32 s14, s8, 8
	s_cmp_le_u32 s9, s14
	s_cselect_b64 s[0:1], -1, 0
	s_and_b64 s[16:17], s[0:1], exec
	s_cselect_b32 s15, 8, 10
	s_nor_b64 s[16:17], s[0:1], vcc
	v_mov_b32_e32 v20, s15
	s_and_saveexec_b64 s[0:1], s[16:17]
	s_cbranch_execz .LBB805_159
; %bb.158:
	s_sub_i32 s15, s9, s14
	s_min_u32 s15, s15, 8
	v_lshrrev_b32_e32 v20, s14, v19
	v_bfe_u32 v20, v20, 0, s15
	v_lshlrev_b32_e32 v21, 2, v3
	v_lshl_or_b32 v20, v20, 4, v21
	v_mov_b32_e32 v21, 1
	ds_add_u32 v20, v21 offset:4096
	v_mov_b32_e32 v20, 0
.LBB805_159:
	s_or_b64 exec, exec, s[0:1]
	v_cmp_gt_i32_e64 s[0:1], 10, v20
	s_mov_b64 s[14:15], -1
	s_and_saveexec_b64 s[16:17], s[0:1]
; %bb.160:
	v_cmp_eq_u32_e64 s[0:1], 0, v20
	s_orn2_b64 s[14:15], s[0:1], exec
; %bb.161:
	s_or_b64 exec, exec, s[16:17]
	s_and_b64 exec, exec, s[14:15]
	s_cbranch_execz .LBB805_169
; %bb.162:
	s_add_i32 s14, s8, 16
	s_cmp_le_u32 s9, s14
	s_cselect_b64 s[0:1], -1, 0
	s_and_b64 s[16:17], s[0:1], exec
	s_cselect_b32 s15, 8, 10
	s_nor_b64 s[16:17], s[0:1], vcc
	v_mov_b32_e32 v20, s15
	s_and_saveexec_b64 s[0:1], s[16:17]
	s_cbranch_execz .LBB805_164
; %bb.163:
	s_sub_i32 s15, s9, s14
	s_min_u32 s15, s15, 8
	v_lshrrev_b32_e32 v20, s14, v19
	v_bfe_u32 v20, v20, 0, s15
	v_lshlrev_b32_e32 v21, 2, v3
	v_lshl_or_b32 v20, v20, 4, v21
	v_mov_b32_e32 v21, 1
	ds_add_u32 v20, v21 offset:8192
	v_mov_b32_e32 v20, 0
.LBB805_164:
	s_or_b64 exec, exec, s[0:1]
	v_cmp_gt_i32_e64 s[0:1], 10, v20
	s_mov_b64 s[14:15], -1
	s_and_saveexec_b64 s[16:17], s[0:1]
; %bb.165:
	v_cmp_eq_u32_e64 s[0:1], 0, v20
	s_orn2_b64 s[14:15], s[0:1], exec
; %bb.166:
	s_or_b64 exec, exec, s[16:17]
	s_and_b64 exec, exec, s[14:15]
	s_cbranch_execz .LBB805_169
; %bb.167:
	s_add_i32 s0, s8, 24
	s_cmp_gt_u32 s9, s0
	s_cselect_b64 s[14:15], -1, 0
	s_xor_b64 s[16:17], vcc, -1
	s_and_b64 s[14:15], s[14:15], s[16:17]
	s_and_b64 exec, exec, s[14:15]
	s_cbranch_execz .LBB805_169
; %bb.168:
	s_sub_i32 s1, s9, s0
	s_min_u32 s1, s1, 8
	v_lshrrev_b32_e32 v19, s0, v19
	v_bfe_u32 v19, v19, 0, s1
	v_lshlrev_b32_e32 v20, 2, v3
	v_lshl_or_b32 v19, v19, 4, v20
	v_mov_b32_e32 v20, 1
	ds_add_u32 v19, v20 offset:12288
.LBB805_169:
	s_or_b64 exec, exec, s[12:13]
	v_cmp_le_u32_e32 vcc, s11, v18
	s_nor_b64 s[12:13], s[2:3], vcc
	v_mov_b32_e32 v18, s18
	s_and_saveexec_b64 s[0:1], s[12:13]
	s_cbranch_execz .LBB805_171
; %bb.170:
	s_sub_i32 s12, s9, s8
	s_min_u32 s12, s12, 8
	v_lshrrev_b32_e32 v18, s8, v17
	v_bfe_u32 v18, v18, 0, s12
	v_lshlrev_b32_e32 v19, 2, v3
	v_lshl_or_b32 v18, v18, 4, v19
	v_mov_b32_e32 v19, 1
	ds_add_u32 v18, v19
	v_mov_b32_e32 v18, 0
.LBB805_171:
	s_or_b64 exec, exec, s[0:1]
	v_cmp_gt_i32_e64 s[0:1], 10, v18
	s_mov_b64 s[14:15], -1
	s_and_saveexec_b64 s[12:13], s[0:1]
; %bb.172:
	v_cmp_eq_u32_e64 s[0:1], 0, v18
	s_orn2_b64 s[14:15], s[0:1], exec
; %bb.173:
	s_or_b64 exec, exec, s[12:13]
	s_and_saveexec_b64 s[12:13], s[14:15]
	s_cbranch_execz .LBB805_186
; %bb.174:
	s_add_i32 s14, s8, 8
	s_cmp_le_u32 s9, s14
	s_cselect_b64 s[0:1], -1, 0
	s_and_b64 s[16:17], s[0:1], exec
	s_cselect_b32 s15, 8, 10
	s_nor_b64 s[16:17], s[0:1], vcc
	v_mov_b32_e32 v18, s15
	s_and_saveexec_b64 s[0:1], s[16:17]
	s_cbranch_execz .LBB805_176
; %bb.175:
	s_sub_i32 s15, s9, s14
	s_min_u32 s15, s15, 8
	v_lshrrev_b32_e32 v18, s14, v17
	v_bfe_u32 v18, v18, 0, s15
	v_lshlrev_b32_e32 v19, 2, v3
	v_lshl_or_b32 v18, v18, 4, v19
	v_mov_b32_e32 v19, 1
	ds_add_u32 v18, v19 offset:4096
	v_mov_b32_e32 v18, 0
.LBB805_176:
	s_or_b64 exec, exec, s[0:1]
	v_cmp_gt_i32_e64 s[0:1], 10, v18
	s_mov_b64 s[14:15], -1
	s_and_saveexec_b64 s[16:17], s[0:1]
; %bb.177:
	v_cmp_eq_u32_e64 s[0:1], 0, v18
	s_orn2_b64 s[14:15], s[0:1], exec
; %bb.178:
	s_or_b64 exec, exec, s[16:17]
	s_and_b64 exec, exec, s[14:15]
	s_cbranch_execz .LBB805_186
; %bb.179:
	s_add_i32 s14, s8, 16
	s_cmp_le_u32 s9, s14
	s_cselect_b64 s[0:1], -1, 0
	s_and_b64 s[16:17], s[0:1], exec
	s_cselect_b32 s15, 8, 10
	s_nor_b64 s[16:17], s[0:1], vcc
	v_mov_b32_e32 v18, s15
	s_and_saveexec_b64 s[0:1], s[16:17]
	s_cbranch_execz .LBB805_181
; %bb.180:
	s_sub_i32 s15, s9, s14
	s_min_u32 s15, s15, 8
	v_lshrrev_b32_e32 v18, s14, v17
	v_bfe_u32 v18, v18, 0, s15
	v_lshlrev_b32_e32 v19, 2, v3
	v_lshl_or_b32 v18, v18, 4, v19
	v_mov_b32_e32 v19, 1
	ds_add_u32 v18, v19 offset:8192
	v_mov_b32_e32 v18, 0
.LBB805_181:
	s_or_b64 exec, exec, s[0:1]
	v_cmp_gt_i32_e64 s[0:1], 10, v18
	s_mov_b64 s[14:15], -1
	s_and_saveexec_b64 s[16:17], s[0:1]
; %bb.182:
	v_cmp_eq_u32_e64 s[0:1], 0, v18
	s_orn2_b64 s[14:15], s[0:1], exec
; %bb.183:
	s_or_b64 exec, exec, s[16:17]
	s_and_b64 exec, exec, s[14:15]
	s_cbranch_execz .LBB805_186
; %bb.184:
	s_add_i32 s0, s8, 24
	s_cmp_gt_u32 s9, s0
	s_cselect_b64 s[14:15], -1, 0
	s_xor_b64 s[16:17], vcc, -1
	s_and_b64 s[14:15], s[14:15], s[16:17]
	s_and_b64 exec, exec, s[14:15]
	s_cbranch_execz .LBB805_186
; %bb.185:
	s_sub_i32 s1, s9, s0
	s_min_u32 s1, s1, 8
	v_lshrrev_b32_e32 v17, s0, v17
	v_bfe_u32 v17, v17, 0, s1
	v_lshlrev_b32_e32 v18, 2, v3
	v_lshl_or_b32 v17, v17, 4, v18
	v_mov_b32_e32 v18, 1
	ds_add_u32 v17, v18 offset:12288
.LBB805_186:
	s_or_b64 exec, exec, s[12:13]
	v_cmp_le_u32_e32 vcc, s11, v16
	s_nor_b64 s[12:13], s[2:3], vcc
	v_mov_b32_e32 v16, s18
	s_and_saveexec_b64 s[0:1], s[12:13]
	s_cbranch_execz .LBB805_188
; %bb.187:
	s_sub_i32 s12, s9, s8
	s_min_u32 s12, s12, 8
	v_lshrrev_b32_e32 v16, s8, v15
	v_bfe_u32 v16, v16, 0, s12
	v_lshlrev_b32_e32 v17, 2, v3
	v_lshl_or_b32 v16, v16, 4, v17
	v_mov_b32_e32 v17, 1
	ds_add_u32 v16, v17
	v_mov_b32_e32 v16, 0
.LBB805_188:
	s_or_b64 exec, exec, s[0:1]
	v_cmp_gt_i32_e64 s[0:1], 10, v16
	s_mov_b64 s[14:15], -1
	s_and_saveexec_b64 s[12:13], s[0:1]
; %bb.189:
	v_cmp_eq_u32_e64 s[0:1], 0, v16
	s_orn2_b64 s[14:15], s[0:1], exec
; %bb.190:
	s_or_b64 exec, exec, s[12:13]
	s_and_saveexec_b64 s[12:13], s[14:15]
	s_cbranch_execz .LBB805_203
; %bb.191:
	s_add_i32 s14, s8, 8
	s_cmp_le_u32 s9, s14
	s_cselect_b64 s[0:1], -1, 0
	s_and_b64 s[16:17], s[0:1], exec
	s_cselect_b32 s15, 8, 10
	s_nor_b64 s[16:17], s[0:1], vcc
	v_mov_b32_e32 v16, s15
	s_and_saveexec_b64 s[0:1], s[16:17]
	s_cbranch_execz .LBB805_193
; %bb.192:
	s_sub_i32 s15, s9, s14
	s_min_u32 s15, s15, 8
	v_lshrrev_b32_e32 v16, s14, v15
	v_bfe_u32 v16, v16, 0, s15
	v_lshlrev_b32_e32 v17, 2, v3
	v_lshl_or_b32 v16, v16, 4, v17
	v_mov_b32_e32 v17, 1
	ds_add_u32 v16, v17 offset:4096
	v_mov_b32_e32 v16, 0
.LBB805_193:
	s_or_b64 exec, exec, s[0:1]
	v_cmp_gt_i32_e64 s[0:1], 10, v16
	s_mov_b64 s[14:15], -1
	s_and_saveexec_b64 s[16:17], s[0:1]
; %bb.194:
	v_cmp_eq_u32_e64 s[0:1], 0, v16
	s_orn2_b64 s[14:15], s[0:1], exec
; %bb.195:
	s_or_b64 exec, exec, s[16:17]
	s_and_b64 exec, exec, s[14:15]
	s_cbranch_execz .LBB805_203
; %bb.196:
	s_add_i32 s14, s8, 16
	s_cmp_le_u32 s9, s14
	s_cselect_b64 s[0:1], -1, 0
	s_and_b64 s[16:17], s[0:1], exec
	s_cselect_b32 s15, 8, 10
	s_nor_b64 s[16:17], s[0:1], vcc
	v_mov_b32_e32 v16, s15
	s_and_saveexec_b64 s[0:1], s[16:17]
	s_cbranch_execz .LBB805_198
; %bb.197:
	s_sub_i32 s15, s9, s14
	s_min_u32 s15, s15, 8
	v_lshrrev_b32_e32 v16, s14, v15
	v_bfe_u32 v16, v16, 0, s15
	v_lshlrev_b32_e32 v17, 2, v3
	v_lshl_or_b32 v16, v16, 4, v17
	v_mov_b32_e32 v17, 1
	ds_add_u32 v16, v17 offset:8192
	v_mov_b32_e32 v16, 0
.LBB805_198:
	s_or_b64 exec, exec, s[0:1]
	v_cmp_gt_i32_e64 s[0:1], 10, v16
	s_mov_b64 s[14:15], -1
	s_and_saveexec_b64 s[16:17], s[0:1]
; %bb.199:
	v_cmp_eq_u32_e64 s[0:1], 0, v16
	s_orn2_b64 s[14:15], s[0:1], exec
; %bb.200:
	s_or_b64 exec, exec, s[16:17]
	s_and_b64 exec, exec, s[14:15]
	s_cbranch_execz .LBB805_203
; %bb.201:
	s_add_i32 s0, s8, 24
	s_cmp_gt_u32 s9, s0
	s_cselect_b64 s[14:15], -1, 0
	s_xor_b64 s[16:17], vcc, -1
	s_and_b64 s[14:15], s[14:15], s[16:17]
	s_and_b64 exec, exec, s[14:15]
	s_cbranch_execz .LBB805_203
; %bb.202:
	s_sub_i32 s1, s9, s0
	s_min_u32 s1, s1, 8
	v_lshrrev_b32_e32 v15, s0, v15
	v_bfe_u32 v15, v15, 0, s1
	v_lshlrev_b32_e32 v16, 2, v3
	v_lshl_or_b32 v15, v15, 4, v16
	v_mov_b32_e32 v16, 1
	ds_add_u32 v15, v16 offset:12288
.LBB805_203:
	s_or_b64 exec, exec, s[12:13]
	v_cmp_le_u32_e32 vcc, s11, v14
	s_nor_b64 s[12:13], s[2:3], vcc
	v_mov_b32_e32 v14, s18
	s_and_saveexec_b64 s[0:1], s[12:13]
	s_cbranch_execz .LBB805_205
; %bb.204:
	s_sub_i32 s12, s9, s8
	s_min_u32 s12, s12, 8
	v_lshrrev_b32_e32 v14, s8, v13
	v_bfe_u32 v14, v14, 0, s12
	v_lshlrev_b32_e32 v15, 2, v3
	v_lshl_or_b32 v14, v14, 4, v15
	v_mov_b32_e32 v15, 1
	ds_add_u32 v14, v15
	v_mov_b32_e32 v14, 0
.LBB805_205:
	s_or_b64 exec, exec, s[0:1]
	v_cmp_gt_i32_e64 s[0:1], 10, v14
	s_mov_b64 s[14:15], -1
	s_and_saveexec_b64 s[12:13], s[0:1]
; %bb.206:
	v_cmp_eq_u32_e64 s[0:1], 0, v14
	s_orn2_b64 s[14:15], s[0:1], exec
; %bb.207:
	s_or_b64 exec, exec, s[12:13]
	s_and_saveexec_b64 s[12:13], s[14:15]
	s_cbranch_execz .LBB805_220
; %bb.208:
	s_add_i32 s14, s8, 8
	s_cmp_le_u32 s9, s14
	s_cselect_b64 s[0:1], -1, 0
	s_and_b64 s[16:17], s[0:1], exec
	s_cselect_b32 s15, 8, 10
	s_nor_b64 s[16:17], s[0:1], vcc
	v_mov_b32_e32 v14, s15
	s_and_saveexec_b64 s[0:1], s[16:17]
	s_cbranch_execz .LBB805_210
; %bb.209:
	s_sub_i32 s15, s9, s14
	s_min_u32 s15, s15, 8
	v_lshrrev_b32_e32 v14, s14, v13
	v_bfe_u32 v14, v14, 0, s15
	v_lshlrev_b32_e32 v15, 2, v3
	v_lshl_or_b32 v14, v14, 4, v15
	v_mov_b32_e32 v15, 1
	ds_add_u32 v14, v15 offset:4096
	v_mov_b32_e32 v14, 0
.LBB805_210:
	s_or_b64 exec, exec, s[0:1]
	v_cmp_gt_i32_e64 s[0:1], 10, v14
	s_mov_b64 s[14:15], -1
	s_and_saveexec_b64 s[16:17], s[0:1]
; %bb.211:
	v_cmp_eq_u32_e64 s[0:1], 0, v14
	s_orn2_b64 s[14:15], s[0:1], exec
; %bb.212:
	s_or_b64 exec, exec, s[16:17]
	s_and_b64 exec, exec, s[14:15]
	s_cbranch_execz .LBB805_220
; %bb.213:
	s_add_i32 s14, s8, 16
	s_cmp_le_u32 s9, s14
	s_cselect_b64 s[0:1], -1, 0
	s_and_b64 s[16:17], s[0:1], exec
	s_cselect_b32 s15, 8, 10
	s_nor_b64 s[16:17], s[0:1], vcc
	v_mov_b32_e32 v14, s15
	s_and_saveexec_b64 s[0:1], s[16:17]
	s_cbranch_execz .LBB805_215
; %bb.214:
	s_sub_i32 s15, s9, s14
	s_min_u32 s15, s15, 8
	v_lshrrev_b32_e32 v14, s14, v13
	v_bfe_u32 v14, v14, 0, s15
	v_lshlrev_b32_e32 v15, 2, v3
	v_lshl_or_b32 v14, v14, 4, v15
	v_mov_b32_e32 v15, 1
	ds_add_u32 v14, v15 offset:8192
	v_mov_b32_e32 v14, 0
.LBB805_215:
	s_or_b64 exec, exec, s[0:1]
	v_cmp_gt_i32_e64 s[0:1], 10, v14
	s_mov_b64 s[14:15], -1
	s_and_saveexec_b64 s[16:17], s[0:1]
; %bb.216:
	v_cmp_eq_u32_e64 s[0:1], 0, v14
	s_orn2_b64 s[14:15], s[0:1], exec
; %bb.217:
	s_or_b64 exec, exec, s[16:17]
	s_and_b64 exec, exec, s[14:15]
	s_cbranch_execz .LBB805_220
; %bb.218:
	s_add_i32 s0, s8, 24
	s_cmp_gt_u32 s9, s0
	s_cselect_b64 s[14:15], -1, 0
	s_xor_b64 s[16:17], vcc, -1
	s_and_b64 s[14:15], s[14:15], s[16:17]
	s_and_b64 exec, exec, s[14:15]
	s_cbranch_execz .LBB805_220
; %bb.219:
	s_sub_i32 s1, s9, s0
	s_min_u32 s1, s1, 8
	v_lshrrev_b32_e32 v13, s0, v13
	v_bfe_u32 v13, v13, 0, s1
	v_lshlrev_b32_e32 v14, 2, v3
	v_lshl_or_b32 v13, v13, 4, v14
	v_mov_b32_e32 v14, 1
	ds_add_u32 v13, v14 offset:12288
.LBB805_220:
	s_or_b64 exec, exec, s[12:13]
	v_cmp_le_u32_e32 vcc, s11, v12
	s_nor_b64 s[12:13], s[2:3], vcc
	v_mov_b32_e32 v12, s18
	s_and_saveexec_b64 s[0:1], s[12:13]
	s_cbranch_execz .LBB805_222
; %bb.221:
	s_sub_i32 s12, s9, s8
	s_min_u32 s12, s12, 8
	v_lshrrev_b32_e32 v12, s8, v11
	v_bfe_u32 v12, v12, 0, s12
	v_lshlrev_b32_e32 v13, 2, v3
	v_lshl_or_b32 v12, v12, 4, v13
	v_mov_b32_e32 v13, 1
	ds_add_u32 v12, v13
	v_mov_b32_e32 v12, 0
.LBB805_222:
	s_or_b64 exec, exec, s[0:1]
	v_cmp_gt_i32_e64 s[0:1], 10, v12
	s_mov_b64 s[14:15], -1
	s_and_saveexec_b64 s[12:13], s[0:1]
; %bb.223:
	v_cmp_eq_u32_e64 s[0:1], 0, v12
	s_orn2_b64 s[14:15], s[0:1], exec
; %bb.224:
	s_or_b64 exec, exec, s[12:13]
	s_and_saveexec_b64 s[12:13], s[14:15]
	s_cbranch_execz .LBB805_237
; %bb.225:
	s_add_i32 s14, s8, 8
	s_cmp_le_u32 s9, s14
	s_cselect_b64 s[0:1], -1, 0
	s_and_b64 s[16:17], s[0:1], exec
	s_cselect_b32 s15, 8, 10
	s_nor_b64 s[16:17], s[0:1], vcc
	v_mov_b32_e32 v12, s15
	s_and_saveexec_b64 s[0:1], s[16:17]
	s_cbranch_execz .LBB805_227
; %bb.226:
	s_sub_i32 s15, s9, s14
	s_min_u32 s15, s15, 8
	v_lshrrev_b32_e32 v12, s14, v11
	v_bfe_u32 v12, v12, 0, s15
	v_lshlrev_b32_e32 v13, 2, v3
	v_lshl_or_b32 v12, v12, 4, v13
	v_mov_b32_e32 v13, 1
	ds_add_u32 v12, v13 offset:4096
	v_mov_b32_e32 v12, 0
.LBB805_227:
	s_or_b64 exec, exec, s[0:1]
	v_cmp_gt_i32_e64 s[0:1], 10, v12
	s_mov_b64 s[14:15], -1
	s_and_saveexec_b64 s[16:17], s[0:1]
; %bb.228:
	v_cmp_eq_u32_e64 s[0:1], 0, v12
	s_orn2_b64 s[14:15], s[0:1], exec
; %bb.229:
	s_or_b64 exec, exec, s[16:17]
	s_and_b64 exec, exec, s[14:15]
	s_cbranch_execz .LBB805_237
; %bb.230:
	s_add_i32 s14, s8, 16
	s_cmp_le_u32 s9, s14
	s_cselect_b64 s[0:1], -1, 0
	s_and_b64 s[16:17], s[0:1], exec
	s_cselect_b32 s15, 8, 10
	s_nor_b64 s[16:17], s[0:1], vcc
	v_mov_b32_e32 v12, s15
	s_and_saveexec_b64 s[0:1], s[16:17]
	s_cbranch_execz .LBB805_232
; %bb.231:
	s_sub_i32 s15, s9, s14
	s_min_u32 s15, s15, 8
	v_lshrrev_b32_e32 v12, s14, v11
	v_bfe_u32 v12, v12, 0, s15
	v_lshlrev_b32_e32 v13, 2, v3
	v_lshl_or_b32 v12, v12, 4, v13
	v_mov_b32_e32 v13, 1
	ds_add_u32 v12, v13 offset:8192
	v_mov_b32_e32 v12, 0
.LBB805_232:
	s_or_b64 exec, exec, s[0:1]
	v_cmp_gt_i32_e64 s[0:1], 10, v12
	s_mov_b64 s[14:15], -1
	s_and_saveexec_b64 s[16:17], s[0:1]
; %bb.233:
	v_cmp_eq_u32_e64 s[0:1], 0, v12
	s_orn2_b64 s[14:15], s[0:1], exec
; %bb.234:
	s_or_b64 exec, exec, s[16:17]
	s_and_b64 exec, exec, s[14:15]
	s_cbranch_execz .LBB805_237
; %bb.235:
	s_add_i32 s0, s8, 24
	s_cmp_gt_u32 s9, s0
	s_cselect_b64 s[14:15], -1, 0
	s_xor_b64 s[16:17], vcc, -1
	s_and_b64 s[14:15], s[14:15], s[16:17]
	s_and_b64 exec, exec, s[14:15]
	s_cbranch_execz .LBB805_237
; %bb.236:
	s_sub_i32 s1, s9, s0
	s_min_u32 s1, s1, 8
	v_lshrrev_b32_e32 v11, s0, v11
	v_bfe_u32 v11, v11, 0, s1
	v_lshlrev_b32_e32 v12, 2, v3
	v_lshl_or_b32 v11, v11, 4, v12
	v_mov_b32_e32 v12, 1
	ds_add_u32 v11, v12 offset:12288
.LBB805_237:
	s_or_b64 exec, exec, s[12:13]
	v_cmp_le_u32_e32 vcc, s11, v10
	s_nor_b64 s[12:13], s[2:3], vcc
	v_mov_b32_e32 v10, s18
	s_and_saveexec_b64 s[0:1], s[12:13]
	s_cbranch_execz .LBB805_239
; %bb.238:
	s_sub_i32 s12, s9, s8
	s_min_u32 s12, s12, 8
	v_lshrrev_b32_e32 v10, s8, v9
	v_bfe_u32 v10, v10, 0, s12
	v_lshlrev_b32_e32 v11, 2, v3
	v_lshl_or_b32 v10, v10, 4, v11
	v_mov_b32_e32 v11, 1
	ds_add_u32 v10, v11
	v_mov_b32_e32 v10, 0
.LBB805_239:
	s_or_b64 exec, exec, s[0:1]
	v_cmp_gt_i32_e64 s[0:1], 10, v10
	s_mov_b64 s[14:15], -1
	s_and_saveexec_b64 s[12:13], s[0:1]
; %bb.240:
	v_cmp_eq_u32_e64 s[0:1], 0, v10
	s_orn2_b64 s[14:15], s[0:1], exec
; %bb.241:
	s_or_b64 exec, exec, s[12:13]
	s_and_saveexec_b64 s[12:13], s[14:15]
	s_cbranch_execz .LBB805_254
; %bb.242:
	s_add_i32 s14, s8, 8
	s_cmp_le_u32 s9, s14
	s_cselect_b64 s[0:1], -1, 0
	s_and_b64 s[16:17], s[0:1], exec
	s_cselect_b32 s15, 8, 10
	s_nor_b64 s[16:17], s[0:1], vcc
	v_mov_b32_e32 v10, s15
	s_and_saveexec_b64 s[0:1], s[16:17]
	s_cbranch_execz .LBB805_244
; %bb.243:
	s_sub_i32 s15, s9, s14
	s_min_u32 s15, s15, 8
	v_lshrrev_b32_e32 v10, s14, v9
	v_bfe_u32 v10, v10, 0, s15
	v_lshlrev_b32_e32 v11, 2, v3
	v_lshl_or_b32 v10, v10, 4, v11
	v_mov_b32_e32 v11, 1
	ds_add_u32 v10, v11 offset:4096
	v_mov_b32_e32 v10, 0
.LBB805_244:
	s_or_b64 exec, exec, s[0:1]
	v_cmp_gt_i32_e64 s[0:1], 10, v10
	s_mov_b64 s[14:15], -1
	s_and_saveexec_b64 s[16:17], s[0:1]
; %bb.245:
	v_cmp_eq_u32_e64 s[0:1], 0, v10
	s_orn2_b64 s[14:15], s[0:1], exec
; %bb.246:
	s_or_b64 exec, exec, s[16:17]
	s_and_b64 exec, exec, s[14:15]
	s_cbranch_execz .LBB805_254
; %bb.247:
	s_add_i32 s14, s8, 16
	s_cmp_le_u32 s9, s14
	s_cselect_b64 s[0:1], -1, 0
	s_and_b64 s[16:17], s[0:1], exec
	s_cselect_b32 s15, 8, 10
	s_nor_b64 s[16:17], s[0:1], vcc
	v_mov_b32_e32 v10, s15
	s_and_saveexec_b64 s[0:1], s[16:17]
	s_cbranch_execz .LBB805_249
; %bb.248:
	s_sub_i32 s15, s9, s14
	s_min_u32 s15, s15, 8
	v_lshrrev_b32_e32 v10, s14, v9
	v_bfe_u32 v10, v10, 0, s15
	v_lshlrev_b32_e32 v11, 2, v3
	v_lshl_or_b32 v10, v10, 4, v11
	v_mov_b32_e32 v11, 1
	ds_add_u32 v10, v11 offset:8192
	v_mov_b32_e32 v10, 0
.LBB805_249:
	s_or_b64 exec, exec, s[0:1]
	v_cmp_gt_i32_e64 s[0:1], 10, v10
	s_mov_b64 s[14:15], -1
	s_and_saveexec_b64 s[16:17], s[0:1]
; %bb.250:
	v_cmp_eq_u32_e64 s[0:1], 0, v10
	s_orn2_b64 s[14:15], s[0:1], exec
; %bb.251:
	s_or_b64 exec, exec, s[16:17]
	s_and_b64 exec, exec, s[14:15]
	s_cbranch_execz .LBB805_254
; %bb.252:
	s_add_i32 s0, s8, 24
	s_cmp_gt_u32 s9, s0
	s_cselect_b64 s[14:15], -1, 0
	s_xor_b64 s[16:17], vcc, -1
	s_and_b64 s[14:15], s[14:15], s[16:17]
	s_and_b64 exec, exec, s[14:15]
	s_cbranch_execz .LBB805_254
; %bb.253:
	s_sub_i32 s1, s9, s0
	s_min_u32 s1, s1, 8
	v_lshrrev_b32_e32 v9, s0, v9
	v_bfe_u32 v9, v9, 0, s1
	v_lshlrev_b32_e32 v10, 2, v3
	v_lshl_or_b32 v9, v9, 4, v10
	v_mov_b32_e32 v10, 1
	ds_add_u32 v9, v10 offset:12288
.LBB805_254:
	s_or_b64 exec, exec, s[12:13]
	v_cmp_le_u32_e32 vcc, s11, v8
	s_nor_b64 s[12:13], s[2:3], vcc
	v_mov_b32_e32 v8, s18
	s_and_saveexec_b64 s[0:1], s[12:13]
	s_cbranch_execz .LBB805_256
; %bb.255:
	s_sub_i32 s12, s9, s8
	s_min_u32 s12, s12, 8
	v_lshrrev_b32_e32 v8, s8, v7
	v_bfe_u32 v8, v8, 0, s12
	v_lshlrev_b32_e32 v9, 2, v3
	v_lshl_or_b32 v8, v8, 4, v9
	v_mov_b32_e32 v9, 1
	ds_add_u32 v8, v9
	v_mov_b32_e32 v8, 0
.LBB805_256:
	s_or_b64 exec, exec, s[0:1]
	v_cmp_gt_i32_e64 s[0:1], 10, v8
	s_mov_b64 s[14:15], -1
	s_and_saveexec_b64 s[12:13], s[0:1]
; %bb.257:
	v_cmp_eq_u32_e64 s[0:1], 0, v8
	s_orn2_b64 s[14:15], s[0:1], exec
; %bb.258:
	s_or_b64 exec, exec, s[12:13]
	s_and_saveexec_b64 s[12:13], s[14:15]
	s_cbranch_execz .LBB805_271
; %bb.259:
	s_add_i32 s14, s8, 8
	s_cmp_le_u32 s9, s14
	s_cselect_b64 s[0:1], -1, 0
	s_and_b64 s[16:17], s[0:1], exec
	s_cselect_b32 s15, 8, 10
	s_nor_b64 s[16:17], s[0:1], vcc
	v_mov_b32_e32 v8, s15
	s_and_saveexec_b64 s[0:1], s[16:17]
	s_cbranch_execz .LBB805_261
; %bb.260:
	s_sub_i32 s15, s9, s14
	s_min_u32 s15, s15, 8
	v_lshrrev_b32_e32 v8, s14, v7
	v_bfe_u32 v8, v8, 0, s15
	v_lshlrev_b32_e32 v9, 2, v3
	v_lshl_or_b32 v8, v8, 4, v9
	v_mov_b32_e32 v9, 1
	ds_add_u32 v8, v9 offset:4096
	v_mov_b32_e32 v8, 0
.LBB805_261:
	s_or_b64 exec, exec, s[0:1]
	v_cmp_gt_i32_e64 s[0:1], 10, v8
	s_mov_b64 s[14:15], -1
	s_and_saveexec_b64 s[16:17], s[0:1]
; %bb.262:
	v_cmp_eq_u32_e64 s[0:1], 0, v8
	s_orn2_b64 s[14:15], s[0:1], exec
; %bb.263:
	s_or_b64 exec, exec, s[16:17]
	s_and_b64 exec, exec, s[14:15]
	s_cbranch_execz .LBB805_271
; %bb.264:
	s_add_i32 s14, s8, 16
	s_cmp_le_u32 s9, s14
	s_cselect_b64 s[0:1], -1, 0
	s_and_b64 s[16:17], s[0:1], exec
	s_cselect_b32 s15, 8, 10
	s_nor_b64 s[16:17], s[0:1], vcc
	v_mov_b32_e32 v8, s15
	s_and_saveexec_b64 s[0:1], s[16:17]
	s_cbranch_execz .LBB805_266
; %bb.265:
	s_sub_i32 s15, s9, s14
	s_min_u32 s15, s15, 8
	v_lshrrev_b32_e32 v8, s14, v7
	v_bfe_u32 v8, v8, 0, s15
	v_lshlrev_b32_e32 v9, 2, v3
	v_lshl_or_b32 v8, v8, 4, v9
	v_mov_b32_e32 v9, 1
	ds_add_u32 v8, v9 offset:8192
	v_mov_b32_e32 v8, 0
.LBB805_266:
	s_or_b64 exec, exec, s[0:1]
	v_cmp_gt_i32_e64 s[0:1], 10, v8
	s_mov_b64 s[14:15], -1
	s_and_saveexec_b64 s[16:17], s[0:1]
; %bb.267:
	v_cmp_eq_u32_e64 s[0:1], 0, v8
	s_orn2_b64 s[14:15], s[0:1], exec
; %bb.268:
	s_or_b64 exec, exec, s[16:17]
	s_and_b64 exec, exec, s[14:15]
	s_cbranch_execz .LBB805_271
; %bb.269:
	s_add_i32 s0, s8, 24
	s_cmp_gt_u32 s9, s0
	s_cselect_b64 s[14:15], -1, 0
	s_xor_b64 s[16:17], vcc, -1
	s_and_b64 s[14:15], s[14:15], s[16:17]
	s_and_b64 exec, exec, s[14:15]
	s_cbranch_execz .LBB805_271
; %bb.270:
	s_sub_i32 s1, s9, s0
	s_min_u32 s1, s1, 8
	v_lshrrev_b32_e32 v7, s0, v7
	v_bfe_u32 v7, v7, 0, s1
	v_lshlrev_b32_e32 v8, 2, v3
	v_lshl_or_b32 v7, v7, 4, v8
	v_mov_b32_e32 v8, 1
	ds_add_u32 v7, v8 offset:12288
.LBB805_271:
	s_or_b64 exec, exec, s[12:13]
	v_cmp_le_u32_e32 vcc, s11, v6
	s_nor_b64 s[12:13], s[2:3], vcc
	v_mov_b32_e32 v6, s18
	s_and_saveexec_b64 s[0:1], s[12:13]
	s_cbranch_execz .LBB805_273
; %bb.272:
	s_sub_i32 s12, s9, s8
	s_min_u32 s12, s12, 8
	v_lshrrev_b32_e32 v6, s8, v5
	v_bfe_u32 v6, v6, 0, s12
	v_lshlrev_b32_e32 v7, 2, v3
	v_lshl_or_b32 v6, v6, 4, v7
	v_mov_b32_e32 v7, 1
	ds_add_u32 v6, v7
	v_mov_b32_e32 v6, 0
.LBB805_273:
	s_or_b64 exec, exec, s[0:1]
	v_cmp_gt_i32_e64 s[0:1], 10, v6
	s_mov_b64 s[14:15], -1
	s_and_saveexec_b64 s[12:13], s[0:1]
; %bb.274:
	v_cmp_eq_u32_e64 s[0:1], 0, v6
	s_orn2_b64 s[14:15], s[0:1], exec
; %bb.275:
	s_or_b64 exec, exec, s[12:13]
	s_and_saveexec_b64 s[12:13], s[14:15]
	s_cbranch_execz .LBB805_288
; %bb.276:
	s_add_i32 s14, s8, 8
	s_cmp_le_u32 s9, s14
	s_cselect_b64 s[0:1], -1, 0
	s_and_b64 s[16:17], s[0:1], exec
	s_cselect_b32 s15, 8, 10
	s_nor_b64 s[16:17], s[0:1], vcc
	v_mov_b32_e32 v6, s15
	s_and_saveexec_b64 s[0:1], s[16:17]
	s_cbranch_execz .LBB805_278
; %bb.277:
	s_sub_i32 s15, s9, s14
	s_min_u32 s15, s15, 8
	v_lshrrev_b32_e32 v6, s14, v5
	v_bfe_u32 v6, v6, 0, s15
	v_lshlrev_b32_e32 v7, 2, v3
	v_lshl_or_b32 v6, v6, 4, v7
	v_mov_b32_e32 v7, 1
	ds_add_u32 v6, v7 offset:4096
	v_mov_b32_e32 v6, 0
.LBB805_278:
	s_or_b64 exec, exec, s[0:1]
	v_cmp_gt_i32_e64 s[0:1], 10, v6
	s_mov_b64 s[14:15], -1
	s_and_saveexec_b64 s[16:17], s[0:1]
; %bb.279:
	v_cmp_eq_u32_e64 s[0:1], 0, v6
	s_orn2_b64 s[14:15], s[0:1], exec
; %bb.280:
	s_or_b64 exec, exec, s[16:17]
	s_and_b64 exec, exec, s[14:15]
	s_cbranch_execz .LBB805_288
; %bb.281:
	s_add_i32 s14, s8, 16
	s_cmp_le_u32 s9, s14
	s_cselect_b64 s[0:1], -1, 0
	s_and_b64 s[16:17], s[0:1], exec
	s_cselect_b32 s15, 8, 10
	s_nor_b64 s[16:17], s[0:1], vcc
	v_mov_b32_e32 v6, s15
	s_and_saveexec_b64 s[0:1], s[16:17]
	s_cbranch_execz .LBB805_283
; %bb.282:
	s_sub_i32 s15, s9, s14
	s_min_u32 s15, s15, 8
	v_lshrrev_b32_e32 v6, s14, v5
	v_bfe_u32 v6, v6, 0, s15
	v_lshlrev_b32_e32 v7, 2, v3
	v_lshl_or_b32 v6, v6, 4, v7
	v_mov_b32_e32 v7, 1
	ds_add_u32 v6, v7 offset:8192
	v_mov_b32_e32 v6, 0
.LBB805_283:
	s_or_b64 exec, exec, s[0:1]
	v_cmp_gt_i32_e64 s[0:1], 10, v6
	s_mov_b64 s[14:15], -1
	s_and_saveexec_b64 s[16:17], s[0:1]
; %bb.284:
	v_cmp_eq_u32_e64 s[0:1], 0, v6
	s_orn2_b64 s[14:15], s[0:1], exec
; %bb.285:
	s_or_b64 exec, exec, s[16:17]
	s_and_b64 exec, exec, s[14:15]
	s_cbranch_execz .LBB805_288
; %bb.286:
	s_add_i32 s0, s8, 24
	s_cmp_gt_u32 s9, s0
	s_cselect_b64 s[14:15], -1, 0
	s_xor_b64 s[16:17], vcc, -1
	s_and_b64 s[14:15], s[14:15], s[16:17]
	s_and_b64 exec, exec, s[14:15]
	s_cbranch_execz .LBB805_288
; %bb.287:
	s_sub_i32 s1, s9, s0
	s_min_u32 s1, s1, 8
	v_lshrrev_b32_e32 v5, s0, v5
	v_bfe_u32 v5, v5, 0, s1
	v_lshlrev_b32_e32 v6, 2, v3
	v_lshl_or_b32 v5, v5, 4, v6
	v_mov_b32_e32 v6, 1
	ds_add_u32 v5, v6 offset:12288
.LBB805_288:
	s_or_b64 exec, exec, s[12:13]
	v_cmp_le_u32_e32 vcc, s11, v4
	s_nor_b64 s[2:3], s[2:3], vcc
	v_mov_b32_e32 v4, s18
	s_and_saveexec_b64 s[0:1], s[2:3]
	s_cbranch_execz .LBB805_290
; %bb.289:
	s_sub_i32 s2, s9, s8
	s_min_u32 s2, s2, 8
	v_lshrrev_b32_e32 v4, s8, v2
	v_bfe_u32 v4, v4, 0, s2
	v_lshlrev_b32_e32 v5, 2, v3
	v_lshl_or_b32 v4, v4, 4, v5
	v_mov_b32_e32 v5, 1
	ds_add_u32 v4, v5
	v_mov_b32_e32 v4, 0
.LBB805_290:
	s_or_b64 exec, exec, s[0:1]
	v_cmp_gt_i32_e64 s[0:1], 10, v4
	s_mov_b64 s[12:13], -1
	s_and_saveexec_b64 s[2:3], s[0:1]
; %bb.291:
	v_cmp_eq_u32_e64 s[0:1], 0, v4
	s_orn2_b64 s[12:13], s[0:1], exec
; %bb.292:
	s_or_b64 exec, exec, s[2:3]
	s_and_saveexec_b64 s[2:3], s[12:13]
	s_cbranch_execz .LBB805_305
; %bb.293:
	s_add_i32 s11, s8, 8
	s_cmp_le_u32 s9, s11
	s_cselect_b64 s[0:1], -1, 0
	s_and_b64 s[12:13], s[0:1], exec
	s_cselect_b32 s14, 8, 10
	s_nor_b64 s[12:13], s[0:1], vcc
	v_mov_b32_e32 v4, s14
	s_and_saveexec_b64 s[0:1], s[12:13]
	s_cbranch_execz .LBB805_295
; %bb.294:
	s_sub_i32 s12, s9, s11
	s_min_u32 s12, s12, 8
	v_lshrrev_b32_e32 v4, s11, v2
	v_bfe_u32 v4, v4, 0, s12
	v_lshlrev_b32_e32 v5, 2, v3
	v_lshl_or_b32 v4, v4, 4, v5
	v_mov_b32_e32 v5, 1
	ds_add_u32 v4, v5 offset:4096
	v_mov_b32_e32 v4, 0
.LBB805_295:
	s_or_b64 exec, exec, s[0:1]
	v_cmp_gt_i32_e64 s[0:1], 10, v4
	s_mov_b64 s[12:13], -1
	s_and_saveexec_b64 s[14:15], s[0:1]
; %bb.296:
	v_cmp_eq_u32_e64 s[0:1], 0, v4
	s_orn2_b64 s[12:13], s[0:1], exec
; %bb.297:
	s_or_b64 exec, exec, s[14:15]
	s_and_b64 exec, exec, s[12:13]
	s_cbranch_execz .LBB805_305
; %bb.298:
	s_add_i32 s11, s8, 16
	s_cmp_le_u32 s9, s11
	s_cselect_b64 s[0:1], -1, 0
	s_and_b64 s[12:13], s[0:1], exec
	s_cselect_b32 s14, 8, 10
	s_nor_b64 s[12:13], s[0:1], vcc
	v_mov_b32_e32 v4, s14
	s_and_saveexec_b64 s[0:1], s[12:13]
	s_cbranch_execz .LBB805_300
; %bb.299:
	s_sub_i32 s12, s9, s11
	s_min_u32 s12, s12, 8
	v_lshrrev_b32_e32 v4, s11, v2
	v_bfe_u32 v4, v4, 0, s12
	v_lshlrev_b32_e32 v5, 2, v3
	v_lshl_or_b32 v4, v4, 4, v5
	v_mov_b32_e32 v5, 1
	ds_add_u32 v4, v5 offset:8192
	v_mov_b32_e32 v4, 0
.LBB805_300:
	s_or_b64 exec, exec, s[0:1]
	v_cmp_gt_i32_e64 s[0:1], 10, v4
	s_mov_b64 s[12:13], -1
	s_and_saveexec_b64 s[14:15], s[0:1]
; %bb.301:
	v_cmp_eq_u32_e64 s[0:1], 0, v4
	s_orn2_b64 s[12:13], s[0:1], exec
; %bb.302:
	s_or_b64 exec, exec, s[14:15]
	s_and_b64 exec, exec, s[12:13]
	s_cbranch_execz .LBB805_305
; %bb.303:
	s_add_i32 s0, s8, 24
	s_cmp_gt_u32 s9, s0
	s_cselect_b64 s[12:13], -1, 0
	s_xor_b64 s[14:15], vcc, -1
	s_and_b64 s[12:13], s[12:13], s[14:15]
	s_and_b64 exec, exec, s[12:13]
	s_cbranch_execz .LBB805_305
; %bb.304:
	s_sub_i32 s1, s9, s0
	s_min_u32 s1, s1, 8
	v_lshrrev_b32_e32 v2, s0, v2
	v_bfe_u32 v2, v2, 0, s1
	v_lshlrev_b32_e32 v3, 2, v3
	v_lshl_or_b32 v2, v2, 4, v3
	v_mov_b32_e32 v3, 1
	ds_add_u32 v2, v3 offset:12288
.LBB805_305:
	s_or_b64 exec, exec, s[2:3]
	s_cmp_lt_u32 s8, s9
	s_waitcnt lgkmcnt(0)
	s_barrier
	s_cbranch_scc0 .LBB805_310
; %bb.306:
	s_movk_i32 s0, 0x100
	v_cmp_gt_u32_e32 vcc, s0, v0
	v_mad_u32_u24 v1, v0, 12, v1
	v_mov_b32_e32 v3, 0
	v_mov_b32_e32 v2, v0
	s_mov_b32 s2, s8
	s_branch .LBB805_308
.LBB805_307:                            ;   in Loop: Header=BB805_308 Depth=1
	s_or_b64 exec, exec, s[0:1]
	s_add_i32 s2, s2, 8
	v_add_u32_e32 v2, 0x100, v2
	s_cmp_lt_u32 s2, s9
	v_add_u32_e32 v1, 0x1000, v1
	s_cbranch_scc0 .LBB805_310
.LBB805_308:                            ; =>This Inner Loop Header: Depth=1
	s_and_saveexec_b64 s[0:1], vcc
	s_cbranch_execz .LBB805_307
; %bb.309:                              ;   in Loop: Header=BB805_308 Depth=1
	ds_read2_b32 v[4:5], v1 offset1:1
	ds_read2_b32 v[6:7], v1 offset0:2 offset1:3
	s_waitcnt lgkmcnt(1)
	v_add_u32_e32 v4, v5, v4
	s_waitcnt lgkmcnt(0)
	v_add3_u32 v6, v4, v6, v7
	v_lshl_add_u64 v[4:5], v[2:3], 2, s[6:7]
	global_atomic_add v[4:5], v6, off
	s_branch .LBB805_307
.LBB805_310:
	s_mov_b64 s[2:3], 0
.LBB805_311:
	s_and_b64 vcc, exec, s[2:3]
	s_cbranch_vccz .LBB805_419
; %bb.312:
	s_cmp_eq_u32 s8, 0
	s_cselect_b64 s[0:1], -1, 0
	s_cmp_eq_u32 s9, 32
	s_mov_b32 s11, 0
	s_cselect_b64 s[2:3], -1, 0
	s_and_b64 s[2:3], s[0:1], s[2:3]
	s_lshl_b64 s[0:1], s[10:11], 2
	s_add_u32 s0, s4, s0
	s_addc_u32 s1, s5, s1
	v_mov_b32_e32 v3, 0
	v_lshlrev_b32_e32 v2, 2, v0
	v_lshl_add_u64 v[4:5], s[0:1], 0, v[2:3]
	s_movk_i32 s4, 0x2000
	v_add_co_u32_e32 v22, vcc, s4, v4
	s_movk_i32 s4, 0x4000
	s_nop 0
	v_addc_co_u32_e32 v23, vcc, 0, v5, vcc
	v_add_co_u32_e32 v24, vcc, s4, v4
	s_movk_i32 s4, 0x6000
	s_nop 0
	v_addc_co_u32_e32 v25, vcc, 0, v5, vcc
	v_add_co_u32_e32 v16, vcc, s4, v4
	s_mov_b32 s4, 0x8000
	s_nop 0
	v_addc_co_u32_e32 v17, vcc, 0, v5, vcc
	v_add_co_u32_e32 v18, vcc, s4, v4
	s_mov_b32 s4, 0xa000
	;; [unrolled: 4-line block ×4, first 2 shown]
	s_nop 0
	v_addc_co_u32_e32 v27, vcc, 0, v5, vcc
	global_load_dword v15, v[16:17], off offset:-4096
	global_load_dword v14, v[16:17], off
	global_load_dword v13, v[18:19], off offset:-4096
	global_load_dword v12, v[18:19], off
	;; [unrolled: 2-line block ×4, first 2 shown]
	v_add_co_u32_e32 v26, vcc, s4, v4
	s_nop 1
	v_addc_co_u32_e32 v27, vcc, 0, v5, vcc
	v_add_co_u32_e32 v28, vcc, 0xe000, v4
	s_nop 1
	v_addc_co_u32_e32 v29, vcc, 0, v5, vcc
	;; [unrolled: 3-line block ×3, first 2 shown]
	global_load_dword v20, v2, s[0:1]
	global_load_dword v19, v[22:23], off offset:-4096
	global_load_dword v18, v[22:23], off
	global_load_dword v17, v[24:25], off offset:-4096
	global_load_dword v16, v[24:25], off
	global_load_dword v9, v[26:27], off
	;; [unrolled: 1-line block ×4, first 2 shown]
	s_mov_b64 s[0:1], -1
	s_and_b64 vcc, exec, s[2:3]
	s_cbranch_vccnz .LBB805_416
; %bb.313:
	s_cmp_lt_u32 s8, s9
	s_cselect_b64 s[0:1], -1, 0
	s_and_b64 vcc, exec, s[0:1]
	ds_write2st64_b32 v2, v3, v3 offset1:16
	ds_write2st64_b32 v2, v3, v3 offset0:32 offset1:48
	s_waitcnt lgkmcnt(0)
	s_barrier
	s_cbranch_vccz .LBB805_410
; %bb.314:
	s_sub_i32 s2, s9, s8
	s_waitcnt vmcnt(7)
	v_xor_b32_e32 v21, 0x80000000, v20
	s_min_u32 s2, s2, 8
	v_and_b32_e32 v3, 3, v0
	s_lshl_b32 s2, -1, s2
	v_lshrrev_b32_e32 v4, s8, v21
	v_bitop3_b32 v22, v4, s2, v4 bitop3:0x30
	v_lshlrev_b32_e32 v4, 2, v3
	v_lshl_or_b32 v22, v22, 4, v4
	v_mov_b32_e32 v23, 1
	s_not_b32 s13, s2
	ds_add_u32 v22, v23
	s_add_i32 s12, s8, 8
	s_waitcnt vmcnt(6)
	v_xor_b32_e32 v5, 0x80000000, v19
	s_cmp_le_u32 s9, s12
	s_cselect_b64 s[2:3], -1, 0
	v_lshrrev_b32_e32 v22, s8, v5
	s_and_b64 vcc, exec, s[2:3]
	v_and_b32_e32 v22, s13, v22
	s_cbranch_vccz .LBB805_316
; %bb.315:
	v_lshlrev_b32_e32 v23, 4, v22
	s_mov_b64 s[4:5], -1
	s_cbranch_execz .LBB805_317
	s_branch .LBB805_324
.LBB805_316:
	s_mov_b64 s[4:5], 0
                                        ; implicit-def: $vgpr23
.LBB805_317:
	s_sub_i32 s10, s9, s12
	s_min_u32 s10, s10, 8
	s_lshl_b32 s10, -1, s10
	v_lshrrev_b32_e32 v23, s12, v21
	v_bitop3_b32 v23, v23, s10, v23 bitop3:0x30
	v_lshl_or_b32 v24, v23, 4, v4
	v_mov_b32_e32 v23, 1
	ds_add_u32 v24, v23 offset:4096
	s_not_b32 s15, s10
	s_add_i32 s14, s8, 16
	s_cmp_gt_u32 s9, s14
	s_cselect_b64 s[10:11], -1, 0
	s_cmp_le_u32 s9, s14
	s_cbranch_scc1 .LBB805_320
; %bb.318:
	s_sub_i32 s16, s9, s14
	s_min_u32 s16, s16, 8
	v_lshrrev_b32_e32 v24, s14, v21
	v_bfe_u32 v24, v24, 0, s16
	v_lshl_or_b32 v24, v24, 4, v4
	ds_add_u32 v24, v23 offset:8192
	s_add_i32 s16, s8, 24
	s_cmp_le_u32 s9, s16
	s_cbranch_scc1 .LBB805_320
; %bb.319:
	s_sub_i32 s17, s9, s16
	s_min_u32 s17, s17, 8
	v_lshrrev_b32_e32 v21, s16, v21
	v_bfe_u32 v21, v21, 0, s17
	v_lshl_or_b32 v21, v21, 4, v4
	v_mov_b32_e32 v24, 1
	ds_add_u32 v21, v24 offset:12288
.LBB805_320:
	v_lshl_or_b32 v21, v22, 4, v4
	ds_add_u32 v21, v23
	v_lshrrev_b32_e32 v21, s12, v5
	v_and_b32_e32 v21, s15, v21
	v_lshl_or_b32 v21, v21, 4, v4
	ds_add_u32 v21, v23 offset:4096
	s_andn2_b64 vcc, exec, s[10:11]
	s_cbranch_vccnz .LBB805_323
; %bb.321:
	s_sub_i32 s10, s9, s14
	s_min_u32 s10, s10, 8
	v_lshrrev_b32_e32 v21, s14, v5
	v_bfe_u32 v21, v21, 0, s10
	v_lshl_or_b32 v21, v21, 4, v4
	v_mov_b32_e32 v22, 1
	ds_add_u32 v21, v22 offset:8192
	s_add_i32 s10, s8, 24
	s_cmp_gt_u32 s9, s10
                                        ; implicit-def: $vgpr23
	s_cbranch_scc0 .LBB805_324
; %bb.322:
	s_sub_i32 s4, s9, s10
	s_min_u32 s4, s4, 8
	v_lshrrev_b32_e32 v5, s10, v5
	v_bfe_u32 v5, v5, 0, s4
	v_mov_b32_e32 v21, 0x3000
	v_lshl_add_u32 v23, v5, 4, v21
	s_mov_b64 s[4:5], -1
	s_branch .LBB805_324
.LBB805_323:
                                        ; implicit-def: $vgpr23
.LBB805_324:
	s_and_b64 vcc, exec, s[4:5]
	s_cbranch_vccz .LBB805_326
; %bb.325:
	v_lshl_add_u32 v5, v3, 2, v23
	v_mov_b32_e32 v21, 1
	ds_add_u32 v5, v21
.LBB805_326:
	s_waitcnt vmcnt(5)
	v_xor_b32_e32 v21, 0x80000000, v18
	v_lshrrev_b32_e32 v22, s8, v21
	v_and_b32_e32 v22, s13, v22
	v_lshl_or_b32 v22, v22, 4, v4
	v_mov_b32_e32 v23, 1
	ds_add_u32 v22, v23
	s_waitcnt vmcnt(4)
	v_xor_b32_e32 v5, 0x80000000, v17
	v_lshrrev_b32_e32 v22, s8, v5
	s_and_b64 vcc, exec, s[2:3]
	v_and_b32_e32 v22, s13, v22
	s_cbranch_vccz .LBB805_328
; %bb.327:
	v_lshlrev_b32_e32 v23, 4, v22
	s_mov_b64 s[4:5], -1
	s_cbranch_execz .LBB805_329
	s_branch .LBB805_336
.LBB805_328:
	s_mov_b64 s[4:5], 0
                                        ; implicit-def: $vgpr23
.LBB805_329:
	s_sub_i32 s10, s9, s12
	s_min_u32 s10, s10, 8
	s_lshl_b32 s10, -1, s10
	v_lshrrev_b32_e32 v23, s12, v21
	v_bitop3_b32 v23, v23, s10, v23 bitop3:0x30
	v_lshl_or_b32 v24, v23, 4, v4
	v_mov_b32_e32 v23, 1
	ds_add_u32 v24, v23 offset:4096
	s_not_b32 s15, s10
	s_add_i32 s14, s8, 16
	s_cmp_gt_u32 s9, s14
	s_cselect_b64 s[10:11], -1, 0
	s_cmp_le_u32 s9, s14
	s_cbranch_scc1 .LBB805_332
; %bb.330:
	s_sub_i32 s16, s9, s14
	s_min_u32 s16, s16, 8
	v_lshrrev_b32_e32 v24, s14, v21
	v_bfe_u32 v24, v24, 0, s16
	v_lshl_or_b32 v24, v24, 4, v4
	ds_add_u32 v24, v23 offset:8192
	s_add_i32 s16, s8, 24
	s_cmp_le_u32 s9, s16
	s_cbranch_scc1 .LBB805_332
; %bb.331:
	s_sub_i32 s17, s9, s16
	s_min_u32 s17, s17, 8
	v_lshrrev_b32_e32 v21, s16, v21
	v_bfe_u32 v21, v21, 0, s17
	v_lshl_or_b32 v21, v21, 4, v4
	v_mov_b32_e32 v24, 1
	ds_add_u32 v21, v24 offset:12288
.LBB805_332:
	v_lshl_or_b32 v21, v22, 4, v4
	ds_add_u32 v21, v23
	v_lshrrev_b32_e32 v21, s12, v5
	v_and_b32_e32 v21, s15, v21
	v_lshl_or_b32 v21, v21, 4, v4
	ds_add_u32 v21, v23 offset:4096
	s_andn2_b64 vcc, exec, s[10:11]
	s_cbranch_vccnz .LBB805_335
; %bb.333:
	s_sub_i32 s10, s9, s14
	s_min_u32 s10, s10, 8
	v_lshrrev_b32_e32 v21, s14, v5
	v_bfe_u32 v21, v21, 0, s10
	v_lshl_or_b32 v21, v21, 4, v4
	v_mov_b32_e32 v22, 1
	ds_add_u32 v21, v22 offset:8192
	s_add_i32 s10, s8, 24
	s_cmp_gt_u32 s9, s10
                                        ; implicit-def: $vgpr23
	s_cbranch_scc0 .LBB805_336
; %bb.334:
	s_sub_i32 s4, s9, s10
	s_min_u32 s4, s4, 8
	v_lshrrev_b32_e32 v5, s10, v5
	v_bfe_u32 v5, v5, 0, s4
	v_mov_b32_e32 v21, 0x3000
	v_lshl_add_u32 v23, v5, 4, v21
	s_mov_b64 s[4:5], -1
	s_branch .LBB805_336
.LBB805_335:
                                        ; implicit-def: $vgpr23
.LBB805_336:
	s_and_b64 vcc, exec, s[4:5]
	s_cbranch_vccz .LBB805_338
; %bb.337:
	v_lshl_add_u32 v5, v3, 2, v23
	v_mov_b32_e32 v21, 1
	ds_add_u32 v5, v21
.LBB805_338:
	s_waitcnt vmcnt(3)
	v_xor_b32_e32 v21, 0x80000000, v16
	v_lshrrev_b32_e32 v22, s8, v21
	v_and_b32_e32 v22, s13, v22
	v_lshl_or_b32 v22, v22, 4, v4
	v_mov_b32_e32 v23, 1
	ds_add_u32 v22, v23
	v_xor_b32_e32 v5, 0x80000000, v15
	v_lshrrev_b32_e32 v22, s8, v5
	s_and_b64 vcc, exec, s[2:3]
	v_and_b32_e32 v22, s13, v22
	s_cbranch_vccz .LBB805_340
; %bb.339:
	v_lshlrev_b32_e32 v23, 4, v22
	s_mov_b64 s[4:5], -1
	s_cbranch_execz .LBB805_341
	s_branch .LBB805_348
.LBB805_340:
	s_mov_b64 s[4:5], 0
                                        ; implicit-def: $vgpr23
.LBB805_341:
	s_sub_i32 s10, s9, s12
	s_min_u32 s10, s10, 8
	s_lshl_b32 s10, -1, s10
	v_lshrrev_b32_e32 v23, s12, v21
	v_bitop3_b32 v23, v23, s10, v23 bitop3:0x30
	v_lshl_or_b32 v24, v23, 4, v4
	v_mov_b32_e32 v23, 1
	ds_add_u32 v24, v23 offset:4096
	s_not_b32 s15, s10
	s_add_i32 s14, s8, 16
	s_cmp_gt_u32 s9, s14
	s_cselect_b64 s[10:11], -1, 0
	s_cmp_le_u32 s9, s14
	s_cbranch_scc1 .LBB805_344
; %bb.342:
	s_sub_i32 s16, s9, s14
	s_min_u32 s16, s16, 8
	v_lshrrev_b32_e32 v24, s14, v21
	v_bfe_u32 v24, v24, 0, s16
	v_lshl_or_b32 v24, v24, 4, v4
	ds_add_u32 v24, v23 offset:8192
	s_add_i32 s16, s8, 24
	s_cmp_le_u32 s9, s16
	s_cbranch_scc1 .LBB805_344
; %bb.343:
	s_sub_i32 s17, s9, s16
	s_min_u32 s17, s17, 8
	v_lshrrev_b32_e32 v21, s16, v21
	v_bfe_u32 v21, v21, 0, s17
	v_lshl_or_b32 v21, v21, 4, v4
	v_mov_b32_e32 v24, 1
	ds_add_u32 v21, v24 offset:12288
.LBB805_344:
	v_lshl_or_b32 v21, v22, 4, v4
	ds_add_u32 v21, v23
	v_lshrrev_b32_e32 v21, s12, v5
	v_and_b32_e32 v21, s15, v21
	v_lshl_or_b32 v21, v21, 4, v4
	ds_add_u32 v21, v23 offset:4096
	s_andn2_b64 vcc, exec, s[10:11]
	s_cbranch_vccnz .LBB805_347
; %bb.345:
	s_sub_i32 s10, s9, s14
	s_min_u32 s10, s10, 8
	v_lshrrev_b32_e32 v21, s14, v5
	v_bfe_u32 v21, v21, 0, s10
	v_lshl_or_b32 v21, v21, 4, v4
	v_mov_b32_e32 v22, 1
	ds_add_u32 v21, v22 offset:8192
	s_add_i32 s10, s8, 24
	s_cmp_gt_u32 s9, s10
                                        ; implicit-def: $vgpr23
	s_cbranch_scc0 .LBB805_348
; %bb.346:
	s_sub_i32 s4, s9, s10
	s_min_u32 s4, s4, 8
	v_lshrrev_b32_e32 v5, s10, v5
	v_bfe_u32 v5, v5, 0, s4
	v_mov_b32_e32 v21, 0x3000
	v_lshl_add_u32 v23, v5, 4, v21
	s_mov_b64 s[4:5], -1
	s_branch .LBB805_348
.LBB805_347:
                                        ; implicit-def: $vgpr23
.LBB805_348:
	s_and_b64 vcc, exec, s[4:5]
	s_cbranch_vccz .LBB805_350
; %bb.349:
	v_lshl_add_u32 v5, v3, 2, v23
	v_mov_b32_e32 v21, 1
	ds_add_u32 v5, v21
.LBB805_350:
	v_xor_b32_e32 v21, 0x80000000, v14
	v_lshrrev_b32_e32 v22, s8, v21
	v_and_b32_e32 v22, s13, v22
	v_lshl_or_b32 v22, v22, 4, v4
	v_mov_b32_e32 v23, 1
	ds_add_u32 v22, v23
	v_xor_b32_e32 v5, 0x80000000, v13
	v_lshrrev_b32_e32 v22, s8, v5
	s_and_b64 vcc, exec, s[2:3]
	v_and_b32_e32 v22, s13, v22
	s_cbranch_vccz .LBB805_352
; %bb.351:
	v_lshlrev_b32_e32 v23, 4, v22
	s_mov_b64 s[4:5], -1
	s_cbranch_execz .LBB805_353
	s_branch .LBB805_360
.LBB805_352:
	s_mov_b64 s[4:5], 0
                                        ; implicit-def: $vgpr23
.LBB805_353:
	s_sub_i32 s10, s9, s12
	s_min_u32 s10, s10, 8
	s_lshl_b32 s10, -1, s10
	v_lshrrev_b32_e32 v23, s12, v21
	v_bitop3_b32 v23, v23, s10, v23 bitop3:0x30
	v_lshl_or_b32 v24, v23, 4, v4
	v_mov_b32_e32 v23, 1
	ds_add_u32 v24, v23 offset:4096
	s_not_b32 s15, s10
	s_add_i32 s14, s8, 16
	s_cmp_gt_u32 s9, s14
	s_cselect_b64 s[10:11], -1, 0
	s_cmp_le_u32 s9, s14
	s_cbranch_scc1 .LBB805_356
; %bb.354:
	s_sub_i32 s16, s9, s14
	s_min_u32 s16, s16, 8
	v_lshrrev_b32_e32 v24, s14, v21
	v_bfe_u32 v24, v24, 0, s16
	v_lshl_or_b32 v24, v24, 4, v4
	ds_add_u32 v24, v23 offset:8192
	s_add_i32 s16, s8, 24
	s_cmp_le_u32 s9, s16
	s_cbranch_scc1 .LBB805_356
; %bb.355:
	s_sub_i32 s17, s9, s16
	s_min_u32 s17, s17, 8
	v_lshrrev_b32_e32 v21, s16, v21
	v_bfe_u32 v21, v21, 0, s17
	v_lshl_or_b32 v21, v21, 4, v4
	v_mov_b32_e32 v24, 1
	ds_add_u32 v21, v24 offset:12288
.LBB805_356:
	v_lshl_or_b32 v21, v22, 4, v4
	ds_add_u32 v21, v23
	v_lshrrev_b32_e32 v21, s12, v5
	v_and_b32_e32 v21, s15, v21
	v_lshl_or_b32 v21, v21, 4, v4
	ds_add_u32 v21, v23 offset:4096
	s_andn2_b64 vcc, exec, s[10:11]
	s_cbranch_vccnz .LBB805_359
; %bb.357:
	s_sub_i32 s10, s9, s14
	s_min_u32 s10, s10, 8
	v_lshrrev_b32_e32 v21, s14, v5
	v_bfe_u32 v21, v21, 0, s10
	v_lshl_or_b32 v21, v21, 4, v4
	v_mov_b32_e32 v22, 1
	ds_add_u32 v21, v22 offset:8192
	s_add_i32 s10, s8, 24
	s_cmp_gt_u32 s9, s10
                                        ; implicit-def: $vgpr23
	s_cbranch_scc0 .LBB805_360
; %bb.358:
	s_sub_i32 s4, s9, s10
	s_min_u32 s4, s4, 8
	v_lshrrev_b32_e32 v5, s10, v5
	v_bfe_u32 v5, v5, 0, s4
	v_mov_b32_e32 v21, 0x3000
	v_lshl_add_u32 v23, v5, 4, v21
	s_mov_b64 s[4:5], -1
	s_branch .LBB805_360
.LBB805_359:
                                        ; implicit-def: $vgpr23
.LBB805_360:
	s_and_b64 vcc, exec, s[4:5]
	s_cbranch_vccz .LBB805_362
; %bb.361:
	v_lshl_add_u32 v5, v3, 2, v23
	v_mov_b32_e32 v21, 1
	ds_add_u32 v5, v21
.LBB805_362:
	v_xor_b32_e32 v21, 0x80000000, v12
	v_lshrrev_b32_e32 v22, s8, v21
	v_and_b32_e32 v22, s13, v22
	v_lshl_or_b32 v22, v22, 4, v4
	v_mov_b32_e32 v23, 1
	ds_add_u32 v22, v23
	v_xor_b32_e32 v5, 0x80000000, v11
	v_lshrrev_b32_e32 v22, s8, v5
	s_and_b64 vcc, exec, s[2:3]
	v_and_b32_e32 v22, s13, v22
	s_cbranch_vccz .LBB805_364
; %bb.363:
	v_lshlrev_b32_e32 v23, 4, v22
	s_mov_b64 s[4:5], -1
	s_cbranch_execz .LBB805_365
	s_branch .LBB805_372
.LBB805_364:
	s_mov_b64 s[4:5], 0
                                        ; implicit-def: $vgpr23
.LBB805_365:
	s_sub_i32 s10, s9, s12
	s_min_u32 s10, s10, 8
	s_lshl_b32 s10, -1, s10
	v_lshrrev_b32_e32 v23, s12, v21
	v_bitop3_b32 v23, v23, s10, v23 bitop3:0x30
	v_lshl_or_b32 v24, v23, 4, v4
	v_mov_b32_e32 v23, 1
	ds_add_u32 v24, v23 offset:4096
	s_not_b32 s15, s10
	s_add_i32 s14, s8, 16
	s_cmp_gt_u32 s9, s14
	s_cselect_b64 s[10:11], -1, 0
	s_cmp_le_u32 s9, s14
	s_cbranch_scc1 .LBB805_368
; %bb.366:
	s_sub_i32 s16, s9, s14
	s_min_u32 s16, s16, 8
	v_lshrrev_b32_e32 v24, s14, v21
	v_bfe_u32 v24, v24, 0, s16
	v_lshl_or_b32 v24, v24, 4, v4
	ds_add_u32 v24, v23 offset:8192
	s_add_i32 s16, s8, 24
	s_cmp_le_u32 s9, s16
	s_cbranch_scc1 .LBB805_368
; %bb.367:
	s_sub_i32 s17, s9, s16
	s_min_u32 s17, s17, 8
	v_lshrrev_b32_e32 v21, s16, v21
	v_bfe_u32 v21, v21, 0, s17
	v_lshl_or_b32 v21, v21, 4, v4
	v_mov_b32_e32 v24, 1
	ds_add_u32 v21, v24 offset:12288
.LBB805_368:
	v_lshl_or_b32 v21, v22, 4, v4
	ds_add_u32 v21, v23
	v_lshrrev_b32_e32 v21, s12, v5
	v_and_b32_e32 v21, s15, v21
	v_lshl_or_b32 v21, v21, 4, v4
	ds_add_u32 v21, v23 offset:4096
	s_andn2_b64 vcc, exec, s[10:11]
	s_cbranch_vccnz .LBB805_371
; %bb.369:
	s_sub_i32 s10, s9, s14
	s_min_u32 s10, s10, 8
	v_lshrrev_b32_e32 v21, s14, v5
	v_bfe_u32 v21, v21, 0, s10
	v_lshl_or_b32 v21, v21, 4, v4
	v_mov_b32_e32 v22, 1
	ds_add_u32 v21, v22 offset:8192
	s_add_i32 s10, s8, 24
	s_cmp_gt_u32 s9, s10
                                        ; implicit-def: $vgpr23
	s_cbranch_scc0 .LBB805_372
; %bb.370:
	s_sub_i32 s4, s9, s10
	s_min_u32 s4, s4, 8
	v_lshrrev_b32_e32 v5, s10, v5
	v_bfe_u32 v5, v5, 0, s4
	v_mov_b32_e32 v21, 0x3000
	v_lshl_add_u32 v23, v5, 4, v21
	s_mov_b64 s[4:5], -1
	s_branch .LBB805_372
.LBB805_371:
                                        ; implicit-def: $vgpr23
.LBB805_372:
	s_and_b64 vcc, exec, s[4:5]
	s_cbranch_vccz .LBB805_374
; %bb.373:
	v_lshl_add_u32 v5, v3, 2, v23
	v_mov_b32_e32 v21, 1
	ds_add_u32 v5, v21
.LBB805_374:
	v_xor_b32_e32 v21, 0x80000000, v10
	v_lshrrev_b32_e32 v22, s8, v21
	v_and_b32_e32 v22, s13, v22
	v_lshl_or_b32 v22, v22, 4, v4
	v_mov_b32_e32 v23, 1
	ds_add_u32 v22, v23
	v_xor_b32_e32 v5, 0x80000000, v8
	v_lshrrev_b32_e32 v22, s8, v5
	s_and_b64 vcc, exec, s[2:3]
	v_and_b32_e32 v22, s13, v22
	s_cbranch_vccz .LBB805_376
; %bb.375:
	v_lshlrev_b32_e32 v23, 4, v22
	s_mov_b64 s[4:5], -1
	s_cbranch_execz .LBB805_377
	s_branch .LBB805_384
.LBB805_376:
	s_mov_b64 s[4:5], 0
                                        ; implicit-def: $vgpr23
.LBB805_377:
	s_sub_i32 s10, s9, s12
	s_min_u32 s10, s10, 8
	s_lshl_b32 s10, -1, s10
	v_lshrrev_b32_e32 v23, s12, v21
	v_bitop3_b32 v23, v23, s10, v23 bitop3:0x30
	v_lshl_or_b32 v24, v23, 4, v4
	v_mov_b32_e32 v23, 1
	ds_add_u32 v24, v23 offset:4096
	s_not_b32 s15, s10
	s_add_i32 s14, s8, 16
	s_cmp_gt_u32 s9, s14
	s_cselect_b64 s[10:11], -1, 0
	s_cmp_le_u32 s9, s14
	s_cbranch_scc1 .LBB805_380
; %bb.378:
	s_sub_i32 s16, s9, s14
	s_min_u32 s16, s16, 8
	v_lshrrev_b32_e32 v24, s14, v21
	v_bfe_u32 v24, v24, 0, s16
	v_lshl_or_b32 v24, v24, 4, v4
	ds_add_u32 v24, v23 offset:8192
	s_add_i32 s16, s8, 24
	s_cmp_le_u32 s9, s16
	s_cbranch_scc1 .LBB805_380
; %bb.379:
	s_sub_i32 s17, s9, s16
	s_min_u32 s17, s17, 8
	v_lshrrev_b32_e32 v21, s16, v21
	v_bfe_u32 v21, v21, 0, s17
	v_lshl_or_b32 v21, v21, 4, v4
	v_mov_b32_e32 v24, 1
	ds_add_u32 v21, v24 offset:12288
.LBB805_380:
	v_lshl_or_b32 v21, v22, 4, v4
	ds_add_u32 v21, v23
	v_lshrrev_b32_e32 v21, s12, v5
	v_and_b32_e32 v21, s15, v21
	v_lshl_or_b32 v21, v21, 4, v4
	ds_add_u32 v21, v23 offset:4096
	s_andn2_b64 vcc, exec, s[10:11]
	s_cbranch_vccnz .LBB805_383
; %bb.381:
	s_sub_i32 s10, s9, s14
	s_min_u32 s10, s10, 8
	v_lshrrev_b32_e32 v21, s14, v5
	v_bfe_u32 v21, v21, 0, s10
	v_lshl_or_b32 v21, v21, 4, v4
	v_mov_b32_e32 v22, 1
	ds_add_u32 v21, v22 offset:8192
	s_add_i32 s10, s8, 24
	s_cmp_gt_u32 s9, s10
                                        ; implicit-def: $vgpr23
	s_cbranch_scc0 .LBB805_384
; %bb.382:
	s_sub_i32 s4, s9, s10
	s_min_u32 s4, s4, 8
	v_lshrrev_b32_e32 v5, s10, v5
	v_bfe_u32 v5, v5, 0, s4
	v_mov_b32_e32 v21, 0x3000
	v_lshl_add_u32 v23, v5, 4, v21
	s_mov_b64 s[4:5], -1
	s_branch .LBB805_384
.LBB805_383:
                                        ; implicit-def: $vgpr23
.LBB805_384:
	s_and_b64 vcc, exec, s[4:5]
	s_cbranch_vccz .LBB805_386
; %bb.385:
	v_lshl_add_u32 v5, v3, 2, v23
	v_mov_b32_e32 v21, 1
	ds_add_u32 v5, v21
.LBB805_386:
	v_xor_b32_e32 v21, 0x80000000, v6
	v_lshrrev_b32_e32 v22, s8, v21
	v_and_b32_e32 v22, s13, v22
	v_lshl_or_b32 v22, v22, 4, v4
	v_mov_b32_e32 v23, 1
	ds_add_u32 v22, v23
	s_waitcnt vmcnt(2)
	v_xor_b32_e32 v5, 0x80000000, v9
	v_lshrrev_b32_e32 v22, s8, v5
	s_and_b64 vcc, exec, s[2:3]
	v_and_b32_e32 v22, s13, v22
	s_cbranch_vccz .LBB805_388
; %bb.387:
	v_lshlrev_b32_e32 v23, 4, v22
	s_mov_b64 s[4:5], -1
	s_cbranch_execz .LBB805_389
	s_branch .LBB805_396
.LBB805_388:
	s_mov_b64 s[4:5], 0
                                        ; implicit-def: $vgpr23
.LBB805_389:
	s_sub_i32 s10, s9, s12
	s_min_u32 s10, s10, 8
	s_lshl_b32 s10, -1, s10
	v_lshrrev_b32_e32 v23, s12, v21
	v_bitop3_b32 v23, v23, s10, v23 bitop3:0x30
	v_lshl_or_b32 v24, v23, 4, v4
	v_mov_b32_e32 v23, 1
	ds_add_u32 v24, v23 offset:4096
	s_not_b32 s15, s10
	s_add_i32 s14, s8, 16
	s_cmp_gt_u32 s9, s14
	s_cselect_b64 s[10:11], -1, 0
	s_cmp_le_u32 s9, s14
	s_cbranch_scc1 .LBB805_392
; %bb.390:
	s_sub_i32 s16, s9, s14
	s_min_u32 s16, s16, 8
	v_lshrrev_b32_e32 v24, s14, v21
	v_bfe_u32 v24, v24, 0, s16
	v_lshl_or_b32 v24, v24, 4, v4
	ds_add_u32 v24, v23 offset:8192
	s_add_i32 s16, s8, 24
	s_cmp_le_u32 s9, s16
	s_cbranch_scc1 .LBB805_392
; %bb.391:
	s_sub_i32 s17, s9, s16
	s_min_u32 s17, s17, 8
	v_lshrrev_b32_e32 v21, s16, v21
	v_bfe_u32 v21, v21, 0, s17
	v_lshl_or_b32 v21, v21, 4, v4
	v_mov_b32_e32 v24, 1
	ds_add_u32 v21, v24 offset:12288
.LBB805_392:
	v_lshl_or_b32 v21, v22, 4, v4
	ds_add_u32 v21, v23
	v_lshrrev_b32_e32 v21, s12, v5
	v_and_b32_e32 v21, s15, v21
	v_lshl_or_b32 v21, v21, 4, v4
	ds_add_u32 v21, v23 offset:4096
	s_andn2_b64 vcc, exec, s[10:11]
	s_cbranch_vccnz .LBB805_395
; %bb.393:
	s_sub_i32 s10, s9, s14
	s_min_u32 s10, s10, 8
	v_lshrrev_b32_e32 v21, s14, v5
	v_bfe_u32 v21, v21, 0, s10
	v_lshl_or_b32 v21, v21, 4, v4
	v_mov_b32_e32 v22, 1
	ds_add_u32 v21, v22 offset:8192
	s_add_i32 s10, s8, 24
	s_cmp_gt_u32 s9, s10
                                        ; implicit-def: $vgpr23
	s_cbranch_scc0 .LBB805_396
; %bb.394:
	s_sub_i32 s4, s9, s10
	s_min_u32 s4, s4, 8
	v_lshrrev_b32_e32 v5, s10, v5
	v_bfe_u32 v5, v5, 0, s4
	v_mov_b32_e32 v21, 0x3000
	v_lshl_add_u32 v23, v5, 4, v21
	s_mov_b64 s[4:5], -1
	s_branch .LBB805_396
.LBB805_395:
                                        ; implicit-def: $vgpr23
.LBB805_396:
	s_and_b64 vcc, exec, s[4:5]
	s_cbranch_vccz .LBB805_398
; %bb.397:
	v_lshl_add_u32 v5, v3, 2, v23
	v_mov_b32_e32 v21, 1
	ds_add_u32 v5, v21
.LBB805_398:
	s_waitcnt vmcnt(1)
	v_xor_b32_e32 v21, 0x80000000, v7
	v_lshrrev_b32_e32 v22, s8, v21
	v_and_b32_e32 v22, s13, v22
	v_lshl_or_b32 v22, v22, 4, v4
	v_mov_b32_e32 v23, 1
	ds_add_u32 v22, v23
	s_waitcnt vmcnt(0)
	v_xor_b32_e32 v5, 0x80000000, v1
	v_lshrrev_b32_e32 v22, s8, v5
	s_and_b64 vcc, exec, s[2:3]
	v_and_b32_e32 v22, s13, v22
	s_cbranch_vccz .LBB805_400
; %bb.399:
	v_lshlrev_b32_e32 v23, 4, v22
	s_mov_b64 s[2:3], -1
	s_cbranch_execz .LBB805_401
	s_branch .LBB805_408
.LBB805_400:
	s_mov_b64 s[2:3], 0
                                        ; implicit-def: $vgpr23
.LBB805_401:
	s_sub_i32 s4, s9, s12
	s_min_u32 s4, s4, 8
	s_lshl_b32 s4, -1, s4
	v_lshrrev_b32_e32 v23, s12, v21
	v_bitop3_b32 v23, v23, s4, v23 bitop3:0x30
	v_lshl_or_b32 v24, v23, 4, v4
	v_mov_b32_e32 v23, 1
	ds_add_u32 v24, v23 offset:4096
	s_not_b32 s11, s4
	s_add_i32 s10, s8, 16
	s_cmp_gt_u32 s9, s10
	s_cselect_b64 s[4:5], -1, 0
	s_cmp_le_u32 s9, s10
	s_cbranch_scc1 .LBB805_404
; %bb.402:
	s_sub_i32 s13, s9, s10
	s_min_u32 s13, s13, 8
	v_lshrrev_b32_e32 v24, s10, v21
	v_bfe_u32 v24, v24, 0, s13
	v_lshl_or_b32 v24, v24, 4, v4
	ds_add_u32 v24, v23 offset:8192
	s_add_i32 s13, s8, 24
	s_cmp_le_u32 s9, s13
	s_cbranch_scc1 .LBB805_404
; %bb.403:
	s_sub_i32 s14, s9, s13
	s_min_u32 s14, s14, 8
	v_lshrrev_b32_e32 v21, s13, v21
	v_bfe_u32 v21, v21, 0, s14
	v_lshl_or_b32 v21, v21, 4, v4
	v_mov_b32_e32 v24, 1
	ds_add_u32 v21, v24 offset:12288
.LBB805_404:
	v_lshl_or_b32 v21, v22, 4, v4
	ds_add_u32 v21, v23
	v_lshrrev_b32_e32 v21, s12, v5
	v_and_b32_e32 v21, s11, v21
	v_lshl_or_b32 v21, v21, 4, v4
	ds_add_u32 v21, v23 offset:4096
	s_andn2_b64 vcc, exec, s[4:5]
	s_cbranch_vccnz .LBB805_407
; %bb.405:
	s_sub_i32 s4, s9, s10
	s_min_u32 s4, s4, 8
	v_lshrrev_b32_e32 v21, s10, v5
	v_bfe_u32 v21, v21, 0, s4
	v_lshl_or_b32 v4, v21, 4, v4
	v_mov_b32_e32 v21, 1
	ds_add_u32 v4, v21 offset:8192
	s_add_i32 s4, s8, 24
	s_cmp_gt_u32 s9, s4
                                        ; implicit-def: $vgpr23
	s_cbranch_scc0 .LBB805_408
; %bb.406:
	s_sub_i32 s2, s9, s4
	s_min_u32 s2, s2, 8
	v_lshrrev_b32_e32 v4, s4, v5
	v_bfe_u32 v4, v4, 0, s2
	v_mov_b32_e32 v5, 0x3000
	v_lshl_add_u32 v23, v4, 4, v5
	s_mov_b64 s[2:3], -1
	s_branch .LBB805_408
.LBB805_407:
                                        ; implicit-def: $vgpr23
.LBB805_408:
	s_and_b64 vcc, exec, s[2:3]
	s_cbranch_vccz .LBB805_410
; %bb.409:
	v_lshl_add_u32 v3, v3, 2, v23
	v_mov_b32_e32 v4, 1
	ds_add_u32 v3, v4
.LBB805_410:
	s_and_b64 vcc, exec, s[0:1]
	s_waitcnt lgkmcnt(0)
	s_barrier
	s_cbranch_vccz .LBB805_415
; %bb.411:
	s_movk_i32 s0, 0x100
	v_cmp_gt_u32_e32 vcc, s0, v0
	v_lshlrev_b32_e32 v3, 4, v0
	v_mov_b32_e32 v5, 0
	v_mov_b32_e32 v4, v0
	s_branch .LBB805_413
.LBB805_412:                            ;   in Loop: Header=BB805_413 Depth=1
	s_or_b64 exec, exec, s[0:1]
	s_add_i32 s8, s8, 8
	v_add_u32_e32 v4, 0x100, v4
	s_cmp_ge_u32 s8, s9
	v_add_u32_e32 v3, 0x1000, v3
	s_cbranch_scc1 .LBB805_415
.LBB805_413:                            ; =>This Inner Loop Header: Depth=1
	s_and_saveexec_b64 s[0:1], vcc
	s_cbranch_execz .LBB805_412
; %bb.414:                              ;   in Loop: Header=BB805_413 Depth=1
	ds_read2_b32 v[22:23], v3 offset1:1
	ds_read2_b32 v[24:25], v3 offset0:2 offset1:3
	s_waitcnt lgkmcnt(1)
	v_add_u32_e32 v21, v23, v22
	s_waitcnt lgkmcnt(0)
	v_add3_u32 v21, v21, v24, v25
	v_lshl_add_u64 v[22:23], v[4:5], 2, s[6:7]
	global_atomic_add v[22:23], v21, off
	s_branch .LBB805_412
.LBB805_415:
	s_mov_b64 s[0:1], 0
.LBB805_416:
	s_and_b64 vcc, exec, s[0:1]
	s_cbranch_vccz .LBB805_419
; %bb.417:
	v_mov_b32_e32 v3, 0
	ds_write2st64_b32 v2, v3, v3 offset1:16
	ds_write2st64_b32 v2, v3, v3 offset0:32 offset1:48
	v_and_b32_e32 v3, 3, v0
	s_waitcnt vmcnt(7)
	v_lshlrev_b32_e32 v4, 4, v20
	v_lshlrev_b32_e32 v3, 2, v3
	s_movk_i32 s0, 0xff0
	v_and_or_b32 v4, v4, s0, v3
	v_mov_b32_e32 v5, 1
	s_waitcnt lgkmcnt(0)
	s_barrier
	ds_add_u32 v4, v5
	v_bfe_u32 v4, v20, 8, 8
	v_lshl_or_b32 v4, v4, 4, v3
	ds_add_u32 v4, v5 offset:4096
	v_bfe_u32 v4, v20, 16, 8
	v_lshl_or_b32 v4, v4, 4, v3
	ds_add_u32 v4, v5 offset:8192
	v_mov_b32_e32 v4, 2
	v_lshlrev_b32_sdwa v20, v4, v20 dst_sel:DWORD dst_unused:UNUSED_PAD src0_sel:DWORD src1_sel:BYTE_3
	v_xor_b32_e32 v20, 0x200, v20
	v_lshl_or_b32 v20, v20, 2, v3
	ds_add_u32 v20, v5 offset:12288
	s_waitcnt vmcnt(6)
	v_lshlrev_b32_e32 v20, 4, v19
	v_and_or_b32 v20, v20, s0, v3
	ds_add_u32 v20, v5
	v_bfe_u32 v20, v19, 8, 8
	v_lshl_or_b32 v20, v20, 4, v3
	ds_add_u32 v20, v5 offset:4096
	v_bfe_u32 v20, v19, 16, 8
	v_lshlrev_b32_sdwa v19, v4, v19 dst_sel:DWORD dst_unused:UNUSED_PAD src0_sel:DWORD src1_sel:BYTE_3
	v_lshl_or_b32 v20, v20, 4, v3
	v_xor_b32_e32 v19, 0x200, v19
	ds_add_u32 v20, v5 offset:8192
	v_lshl_or_b32 v19, v19, 2, v3
	ds_add_u32 v19, v5 offset:12288
	s_waitcnt vmcnt(5)
	v_lshlrev_b32_e32 v19, 4, v18
	v_and_or_b32 v19, v19, s0, v3
	ds_add_u32 v19, v5
	v_bfe_u32 v19, v18, 8, 8
	v_lshl_or_b32 v19, v19, 4, v3
	ds_add_u32 v19, v5 offset:4096
	v_bfe_u32 v19, v18, 16, 8
	v_lshlrev_b32_sdwa v18, v4, v18 dst_sel:DWORD dst_unused:UNUSED_PAD src0_sel:DWORD src1_sel:BYTE_3
	v_lshl_or_b32 v19, v19, 4, v3
	v_xor_b32_e32 v18, 0x200, v18
	ds_add_u32 v19, v5 offset:8192
	;; [unrolled: 14-line block ×4, first 2 shown]
	v_lshl_or_b32 v16, v16, 2, v3
	ds_add_u32 v16, v5 offset:12288
	v_lshlrev_b32_e32 v16, 4, v15
	v_and_or_b32 v16, v16, s0, v3
	ds_add_u32 v16, v5
	v_bfe_u32 v16, v15, 8, 8
	v_lshl_or_b32 v16, v16, 4, v3
	ds_add_u32 v16, v5 offset:4096
	v_bfe_u32 v16, v15, 16, 8
	v_lshlrev_b32_sdwa v15, v4, v15 dst_sel:DWORD dst_unused:UNUSED_PAD src0_sel:DWORD src1_sel:BYTE_3
	v_lshl_or_b32 v16, v16, 4, v3
	v_xor_b32_e32 v15, 0x200, v15
	ds_add_u32 v16, v5 offset:8192
	v_lshl_or_b32 v15, v15, 2, v3
	ds_add_u32 v15, v5 offset:12288
	v_lshlrev_b32_e32 v15, 4, v14
	v_and_or_b32 v15, v15, s0, v3
	ds_add_u32 v15, v5
	v_bfe_u32 v15, v14, 8, 8
	v_lshl_or_b32 v15, v15, 4, v3
	ds_add_u32 v15, v5 offset:4096
	v_bfe_u32 v15, v14, 16, 8
	v_lshlrev_b32_sdwa v14, v4, v14 dst_sel:DWORD dst_unused:UNUSED_PAD src0_sel:DWORD src1_sel:BYTE_3
	v_lshl_or_b32 v15, v15, 4, v3
	v_xor_b32_e32 v14, 0x200, v14
	ds_add_u32 v15, v5 offset:8192
	;; [unrolled: 13-line block ×8, first 2 shown]
	v_lshl_or_b32 v6, v6, 2, v3
	ds_add_u32 v6, v5 offset:12288
	s_waitcnt vmcnt(2)
	v_lshlrev_b32_e32 v6, 4, v9
	v_and_or_b32 v6, v6, s0, v3
	ds_add_u32 v6, v5
	v_bfe_u32 v6, v9, 8, 8
	v_lshl_or_b32 v6, v6, 4, v3
	ds_add_u32 v6, v5 offset:4096
	v_bfe_u32 v6, v9, 16, 8
	v_lshl_or_b32 v6, v6, 4, v3
	ds_add_u32 v6, v5 offset:8192
	v_lshlrev_b32_sdwa v6, v4, v9 dst_sel:DWORD dst_unused:UNUSED_PAD src0_sel:DWORD src1_sel:BYTE_3
	v_xor_b32_e32 v6, 0x200, v6
	v_lshl_or_b32 v6, v6, 2, v3
	ds_add_u32 v6, v5 offset:12288
	s_waitcnt vmcnt(1)
	v_lshlrev_b32_e32 v6, 4, v7
	v_and_or_b32 v6, v6, s0, v3
	ds_add_u32 v6, v5
	v_bfe_u32 v6, v7, 8, 8
	v_lshl_or_b32 v6, v6, 4, v3
	ds_add_u32 v6, v5 offset:4096
	v_bfe_u32 v6, v7, 16, 8
	v_lshl_or_b32 v6, v6, 4, v3
	ds_add_u32 v6, v5 offset:8192
	v_lshlrev_b32_sdwa v6, v4, v7 dst_sel:DWORD dst_unused:UNUSED_PAD src0_sel:DWORD src1_sel:BYTE_3
	v_xor_b32_e32 v6, 0x200, v6
	v_lshl_or_b32 v6, v6, 2, v3
	ds_add_u32 v6, v5 offset:12288
	s_waitcnt vmcnt(0)
	v_lshlrev_b32_e32 v6, 4, v1
	v_and_or_b32 v6, v6, s0, v3
	ds_add_u32 v6, v5
	v_bfe_u32 v6, v1, 8, 8
	v_lshl_or_b32 v6, v6, 4, v3
	ds_add_u32 v6, v5 offset:4096
	v_bfe_u32 v6, v1, 16, 8
	v_lshlrev_b32_sdwa v1, v4, v1 dst_sel:DWORD dst_unused:UNUSED_PAD src0_sel:DWORD src1_sel:BYTE_3
	v_lshl_or_b32 v6, v6, 4, v3
	v_xor_b32_e32 v1, 0x200, v1
	ds_add_u32 v6, v5 offset:8192
	v_lshl_or_b32 v1, v1, 2, v3
	ds_add_u32 v1, v5 offset:12288
	s_movk_i32 s0, 0x100
	v_cmp_gt_u32_e32 vcc, s0, v0
	s_waitcnt lgkmcnt(0)
	s_barrier
	s_and_saveexec_b64 s[0:1], vcc
	s_cbranch_execz .LBB805_419
; %bb.418:
	v_lshlrev_b32_e32 v3, 4, v0
	ds_read2_b32 v[0:1], v3 offset1:1
	ds_read2_b32 v[4:5], v3 offset0:2 offset1:3
	v_add_u32_e32 v6, 0x1000, v3
	v_add_u32_e32 v7, 0x1008, v3
	s_waitcnt lgkmcnt(1)
	v_add_u32_e32 v0, v1, v0
	s_waitcnt lgkmcnt(0)
	v_add3_u32 v0, v0, v4, v5
	global_atomic_add v2, v0, s[6:7]
	ds_read2_b32 v[0:1], v6 offset1:1
	ds_read2_b32 v[4:5], v7 offset1:1
	v_add_u32_e32 v6, 0x2000, v3
	v_add_u32_e32 v7, 0x2008, v3
	s_waitcnt lgkmcnt(1)
	v_add_u32_e32 v0, v1, v0
	s_waitcnt lgkmcnt(0)
	v_add3_u32 v0, v0, v4, v5
	global_atomic_add v2, v0, s[6:7] offset:1024
	ds_read2_b32 v[0:1], v6 offset1:1
	ds_read2_b32 v[4:5], v7 offset1:1
	v_add_u32_e32 v6, 0x3000, v3
	v_add_u32_e32 v3, 0x3008, v3
	s_waitcnt lgkmcnt(1)
	v_add_u32_e32 v0, v1, v0
	s_waitcnt lgkmcnt(0)
	v_add3_u32 v0, v0, v4, v5
	global_atomic_add v2, v0, s[6:7] offset:2048
	ds_read2_b32 v[0:1], v6 offset1:1
	ds_read2_b32 v[4:5], v3 offset1:1
	s_waitcnt lgkmcnt(1)
	v_add_u32_e32 v0, v1, v0
	s_waitcnt lgkmcnt(0)
	v_add3_u32 v0, v0, v4, v5
	global_atomic_add v2, v0, s[6:7] offset:3072
.LBB805_419:
	s_endpgm
	.section	.rodata,"a",@progbits
	.p2align	6, 0x0
	.amdhsa_kernel _ZN7rocprim17ROCPRIM_400000_NS6detail17trampoline_kernelINS0_14default_configENS1_35radix_sort_onesweep_config_selectorIiiEEZNS1_34radix_sort_onesweep_global_offsetsIS3_Lb0EN6thrust23THRUST_200600_302600_NS6detail15normal_iteratorINS8_10device_ptrIiEEEESD_jNS0_19identity_decomposerEEE10hipError_tT1_T2_PT3_SI_jT4_jjP12ihipStream_tbEUlT_E_NS1_11comp_targetILNS1_3genE6ELNS1_11target_archE950ELNS1_3gpuE13ELNS1_3repE0EEENS1_52radix_sort_onesweep_histogram_config_static_selectorELNS0_4arch9wavefront6targetE1EEEvSG_
		.amdhsa_group_segment_fixed_size 16384
		.amdhsa_private_segment_fixed_size 0
		.amdhsa_kernarg_size 40
		.amdhsa_user_sgpr_count 2
		.amdhsa_user_sgpr_dispatch_ptr 0
		.amdhsa_user_sgpr_queue_ptr 0
		.amdhsa_user_sgpr_kernarg_segment_ptr 1
		.amdhsa_user_sgpr_dispatch_id 0
		.amdhsa_user_sgpr_kernarg_preload_length 0
		.amdhsa_user_sgpr_kernarg_preload_offset 0
		.amdhsa_user_sgpr_private_segment_size 0
		.amdhsa_uses_dynamic_stack 0
		.amdhsa_enable_private_segment 0
		.amdhsa_system_sgpr_workgroup_id_x 1
		.amdhsa_system_sgpr_workgroup_id_y 0
		.amdhsa_system_sgpr_workgroup_id_z 0
		.amdhsa_system_sgpr_workgroup_info 0
		.amdhsa_system_vgpr_workitem_id 0
		.amdhsa_next_free_vgpr 36
		.amdhsa_next_free_sgpr 19
		.amdhsa_accum_offset 36
		.amdhsa_reserve_vcc 1
		.amdhsa_float_round_mode_32 0
		.amdhsa_float_round_mode_16_64 0
		.amdhsa_float_denorm_mode_32 3
		.amdhsa_float_denorm_mode_16_64 3
		.amdhsa_dx10_clamp 1
		.amdhsa_ieee_mode 1
		.amdhsa_fp16_overflow 0
		.amdhsa_tg_split 0
		.amdhsa_exception_fp_ieee_invalid_op 0
		.amdhsa_exception_fp_denorm_src 0
		.amdhsa_exception_fp_ieee_div_zero 0
		.amdhsa_exception_fp_ieee_overflow 0
		.amdhsa_exception_fp_ieee_underflow 0
		.amdhsa_exception_fp_ieee_inexact 0
		.amdhsa_exception_int_div_zero 0
	.end_amdhsa_kernel
	.section	.text._ZN7rocprim17ROCPRIM_400000_NS6detail17trampoline_kernelINS0_14default_configENS1_35radix_sort_onesweep_config_selectorIiiEEZNS1_34radix_sort_onesweep_global_offsetsIS3_Lb0EN6thrust23THRUST_200600_302600_NS6detail15normal_iteratorINS8_10device_ptrIiEEEESD_jNS0_19identity_decomposerEEE10hipError_tT1_T2_PT3_SI_jT4_jjP12ihipStream_tbEUlT_E_NS1_11comp_targetILNS1_3genE6ELNS1_11target_archE950ELNS1_3gpuE13ELNS1_3repE0EEENS1_52radix_sort_onesweep_histogram_config_static_selectorELNS0_4arch9wavefront6targetE1EEEvSG_,"axG",@progbits,_ZN7rocprim17ROCPRIM_400000_NS6detail17trampoline_kernelINS0_14default_configENS1_35radix_sort_onesweep_config_selectorIiiEEZNS1_34radix_sort_onesweep_global_offsetsIS3_Lb0EN6thrust23THRUST_200600_302600_NS6detail15normal_iteratorINS8_10device_ptrIiEEEESD_jNS0_19identity_decomposerEEE10hipError_tT1_T2_PT3_SI_jT4_jjP12ihipStream_tbEUlT_E_NS1_11comp_targetILNS1_3genE6ELNS1_11target_archE950ELNS1_3gpuE13ELNS1_3repE0EEENS1_52radix_sort_onesweep_histogram_config_static_selectorELNS0_4arch9wavefront6targetE1EEEvSG_,comdat
.Lfunc_end805:
	.size	_ZN7rocprim17ROCPRIM_400000_NS6detail17trampoline_kernelINS0_14default_configENS1_35radix_sort_onesweep_config_selectorIiiEEZNS1_34radix_sort_onesweep_global_offsetsIS3_Lb0EN6thrust23THRUST_200600_302600_NS6detail15normal_iteratorINS8_10device_ptrIiEEEESD_jNS0_19identity_decomposerEEE10hipError_tT1_T2_PT3_SI_jT4_jjP12ihipStream_tbEUlT_E_NS1_11comp_targetILNS1_3genE6ELNS1_11target_archE950ELNS1_3gpuE13ELNS1_3repE0EEENS1_52radix_sort_onesweep_histogram_config_static_selectorELNS0_4arch9wavefront6targetE1EEEvSG_, .Lfunc_end805-_ZN7rocprim17ROCPRIM_400000_NS6detail17trampoline_kernelINS0_14default_configENS1_35radix_sort_onesweep_config_selectorIiiEEZNS1_34radix_sort_onesweep_global_offsetsIS3_Lb0EN6thrust23THRUST_200600_302600_NS6detail15normal_iteratorINS8_10device_ptrIiEEEESD_jNS0_19identity_decomposerEEE10hipError_tT1_T2_PT3_SI_jT4_jjP12ihipStream_tbEUlT_E_NS1_11comp_targetILNS1_3genE6ELNS1_11target_archE950ELNS1_3gpuE13ELNS1_3repE0EEENS1_52radix_sort_onesweep_histogram_config_static_selectorELNS0_4arch9wavefront6targetE1EEEvSG_
                                        ; -- End function
	.set _ZN7rocprim17ROCPRIM_400000_NS6detail17trampoline_kernelINS0_14default_configENS1_35radix_sort_onesweep_config_selectorIiiEEZNS1_34radix_sort_onesweep_global_offsetsIS3_Lb0EN6thrust23THRUST_200600_302600_NS6detail15normal_iteratorINS8_10device_ptrIiEEEESD_jNS0_19identity_decomposerEEE10hipError_tT1_T2_PT3_SI_jT4_jjP12ihipStream_tbEUlT_E_NS1_11comp_targetILNS1_3genE6ELNS1_11target_archE950ELNS1_3gpuE13ELNS1_3repE0EEENS1_52radix_sort_onesweep_histogram_config_static_selectorELNS0_4arch9wavefront6targetE1EEEvSG_.num_vgpr, 36
	.set _ZN7rocprim17ROCPRIM_400000_NS6detail17trampoline_kernelINS0_14default_configENS1_35radix_sort_onesweep_config_selectorIiiEEZNS1_34radix_sort_onesweep_global_offsetsIS3_Lb0EN6thrust23THRUST_200600_302600_NS6detail15normal_iteratorINS8_10device_ptrIiEEEESD_jNS0_19identity_decomposerEEE10hipError_tT1_T2_PT3_SI_jT4_jjP12ihipStream_tbEUlT_E_NS1_11comp_targetILNS1_3genE6ELNS1_11target_archE950ELNS1_3gpuE13ELNS1_3repE0EEENS1_52radix_sort_onesweep_histogram_config_static_selectorELNS0_4arch9wavefront6targetE1EEEvSG_.num_agpr, 0
	.set _ZN7rocprim17ROCPRIM_400000_NS6detail17trampoline_kernelINS0_14default_configENS1_35radix_sort_onesweep_config_selectorIiiEEZNS1_34radix_sort_onesweep_global_offsetsIS3_Lb0EN6thrust23THRUST_200600_302600_NS6detail15normal_iteratorINS8_10device_ptrIiEEEESD_jNS0_19identity_decomposerEEE10hipError_tT1_T2_PT3_SI_jT4_jjP12ihipStream_tbEUlT_E_NS1_11comp_targetILNS1_3genE6ELNS1_11target_archE950ELNS1_3gpuE13ELNS1_3repE0EEENS1_52radix_sort_onesweep_histogram_config_static_selectorELNS0_4arch9wavefront6targetE1EEEvSG_.numbered_sgpr, 19
	.set _ZN7rocprim17ROCPRIM_400000_NS6detail17trampoline_kernelINS0_14default_configENS1_35radix_sort_onesweep_config_selectorIiiEEZNS1_34radix_sort_onesweep_global_offsetsIS3_Lb0EN6thrust23THRUST_200600_302600_NS6detail15normal_iteratorINS8_10device_ptrIiEEEESD_jNS0_19identity_decomposerEEE10hipError_tT1_T2_PT3_SI_jT4_jjP12ihipStream_tbEUlT_E_NS1_11comp_targetILNS1_3genE6ELNS1_11target_archE950ELNS1_3gpuE13ELNS1_3repE0EEENS1_52radix_sort_onesweep_histogram_config_static_selectorELNS0_4arch9wavefront6targetE1EEEvSG_.num_named_barrier, 0
	.set _ZN7rocprim17ROCPRIM_400000_NS6detail17trampoline_kernelINS0_14default_configENS1_35radix_sort_onesweep_config_selectorIiiEEZNS1_34radix_sort_onesweep_global_offsetsIS3_Lb0EN6thrust23THRUST_200600_302600_NS6detail15normal_iteratorINS8_10device_ptrIiEEEESD_jNS0_19identity_decomposerEEE10hipError_tT1_T2_PT3_SI_jT4_jjP12ihipStream_tbEUlT_E_NS1_11comp_targetILNS1_3genE6ELNS1_11target_archE950ELNS1_3gpuE13ELNS1_3repE0EEENS1_52radix_sort_onesweep_histogram_config_static_selectorELNS0_4arch9wavefront6targetE1EEEvSG_.private_seg_size, 0
	.set _ZN7rocprim17ROCPRIM_400000_NS6detail17trampoline_kernelINS0_14default_configENS1_35radix_sort_onesweep_config_selectorIiiEEZNS1_34radix_sort_onesweep_global_offsetsIS3_Lb0EN6thrust23THRUST_200600_302600_NS6detail15normal_iteratorINS8_10device_ptrIiEEEESD_jNS0_19identity_decomposerEEE10hipError_tT1_T2_PT3_SI_jT4_jjP12ihipStream_tbEUlT_E_NS1_11comp_targetILNS1_3genE6ELNS1_11target_archE950ELNS1_3gpuE13ELNS1_3repE0EEENS1_52radix_sort_onesweep_histogram_config_static_selectorELNS0_4arch9wavefront6targetE1EEEvSG_.uses_vcc, 1
	.set _ZN7rocprim17ROCPRIM_400000_NS6detail17trampoline_kernelINS0_14default_configENS1_35radix_sort_onesweep_config_selectorIiiEEZNS1_34radix_sort_onesweep_global_offsetsIS3_Lb0EN6thrust23THRUST_200600_302600_NS6detail15normal_iteratorINS8_10device_ptrIiEEEESD_jNS0_19identity_decomposerEEE10hipError_tT1_T2_PT3_SI_jT4_jjP12ihipStream_tbEUlT_E_NS1_11comp_targetILNS1_3genE6ELNS1_11target_archE950ELNS1_3gpuE13ELNS1_3repE0EEENS1_52radix_sort_onesweep_histogram_config_static_selectorELNS0_4arch9wavefront6targetE1EEEvSG_.uses_flat_scratch, 0
	.set _ZN7rocprim17ROCPRIM_400000_NS6detail17trampoline_kernelINS0_14default_configENS1_35radix_sort_onesweep_config_selectorIiiEEZNS1_34radix_sort_onesweep_global_offsetsIS3_Lb0EN6thrust23THRUST_200600_302600_NS6detail15normal_iteratorINS8_10device_ptrIiEEEESD_jNS0_19identity_decomposerEEE10hipError_tT1_T2_PT3_SI_jT4_jjP12ihipStream_tbEUlT_E_NS1_11comp_targetILNS1_3genE6ELNS1_11target_archE950ELNS1_3gpuE13ELNS1_3repE0EEENS1_52radix_sort_onesweep_histogram_config_static_selectorELNS0_4arch9wavefront6targetE1EEEvSG_.has_dyn_sized_stack, 0
	.set _ZN7rocprim17ROCPRIM_400000_NS6detail17trampoline_kernelINS0_14default_configENS1_35radix_sort_onesweep_config_selectorIiiEEZNS1_34radix_sort_onesweep_global_offsetsIS3_Lb0EN6thrust23THRUST_200600_302600_NS6detail15normal_iteratorINS8_10device_ptrIiEEEESD_jNS0_19identity_decomposerEEE10hipError_tT1_T2_PT3_SI_jT4_jjP12ihipStream_tbEUlT_E_NS1_11comp_targetILNS1_3genE6ELNS1_11target_archE950ELNS1_3gpuE13ELNS1_3repE0EEENS1_52radix_sort_onesweep_histogram_config_static_selectorELNS0_4arch9wavefront6targetE1EEEvSG_.has_recursion, 0
	.set _ZN7rocprim17ROCPRIM_400000_NS6detail17trampoline_kernelINS0_14default_configENS1_35radix_sort_onesweep_config_selectorIiiEEZNS1_34radix_sort_onesweep_global_offsetsIS3_Lb0EN6thrust23THRUST_200600_302600_NS6detail15normal_iteratorINS8_10device_ptrIiEEEESD_jNS0_19identity_decomposerEEE10hipError_tT1_T2_PT3_SI_jT4_jjP12ihipStream_tbEUlT_E_NS1_11comp_targetILNS1_3genE6ELNS1_11target_archE950ELNS1_3gpuE13ELNS1_3repE0EEENS1_52radix_sort_onesweep_histogram_config_static_selectorELNS0_4arch9wavefront6targetE1EEEvSG_.has_indirect_call, 0
	.section	.AMDGPU.csdata,"",@progbits
; Kernel info:
; codeLenInByte = 13964
; TotalNumSgprs: 25
; NumVgprs: 36
; NumAgprs: 0
; TotalNumVgprs: 36
; ScratchSize: 0
; MemoryBound: 0
; FloatMode: 240
; IeeeMode: 1
; LDSByteSize: 16384 bytes/workgroup (compile time only)
; SGPRBlocks: 3
; VGPRBlocks: 4
; NumSGPRsForWavesPerEU: 25
; NumVGPRsForWavesPerEU: 36
; AccumOffset: 36
; Occupancy: 8
; WaveLimiterHint : 1
; COMPUTE_PGM_RSRC2:SCRATCH_EN: 0
; COMPUTE_PGM_RSRC2:USER_SGPR: 2
; COMPUTE_PGM_RSRC2:TRAP_HANDLER: 0
; COMPUTE_PGM_RSRC2:TGID_X_EN: 1
; COMPUTE_PGM_RSRC2:TGID_Y_EN: 0
; COMPUTE_PGM_RSRC2:TGID_Z_EN: 0
; COMPUTE_PGM_RSRC2:TIDIG_COMP_CNT: 0
; COMPUTE_PGM_RSRC3_GFX90A:ACCUM_OFFSET: 8
; COMPUTE_PGM_RSRC3_GFX90A:TG_SPLIT: 0
	.section	.text._ZN7rocprim17ROCPRIM_400000_NS6detail17trampoline_kernelINS0_14default_configENS1_35radix_sort_onesweep_config_selectorIiiEEZNS1_34radix_sort_onesweep_global_offsetsIS3_Lb0EN6thrust23THRUST_200600_302600_NS6detail15normal_iteratorINS8_10device_ptrIiEEEESD_jNS0_19identity_decomposerEEE10hipError_tT1_T2_PT3_SI_jT4_jjP12ihipStream_tbEUlT_E_NS1_11comp_targetILNS1_3genE5ELNS1_11target_archE942ELNS1_3gpuE9ELNS1_3repE0EEENS1_52radix_sort_onesweep_histogram_config_static_selectorELNS0_4arch9wavefront6targetE1EEEvSG_,"axG",@progbits,_ZN7rocprim17ROCPRIM_400000_NS6detail17trampoline_kernelINS0_14default_configENS1_35radix_sort_onesweep_config_selectorIiiEEZNS1_34radix_sort_onesweep_global_offsetsIS3_Lb0EN6thrust23THRUST_200600_302600_NS6detail15normal_iteratorINS8_10device_ptrIiEEEESD_jNS0_19identity_decomposerEEE10hipError_tT1_T2_PT3_SI_jT4_jjP12ihipStream_tbEUlT_E_NS1_11comp_targetILNS1_3genE5ELNS1_11target_archE942ELNS1_3gpuE9ELNS1_3repE0EEENS1_52radix_sort_onesweep_histogram_config_static_selectorELNS0_4arch9wavefront6targetE1EEEvSG_,comdat
	.protected	_ZN7rocprim17ROCPRIM_400000_NS6detail17trampoline_kernelINS0_14default_configENS1_35radix_sort_onesweep_config_selectorIiiEEZNS1_34radix_sort_onesweep_global_offsetsIS3_Lb0EN6thrust23THRUST_200600_302600_NS6detail15normal_iteratorINS8_10device_ptrIiEEEESD_jNS0_19identity_decomposerEEE10hipError_tT1_T2_PT3_SI_jT4_jjP12ihipStream_tbEUlT_E_NS1_11comp_targetILNS1_3genE5ELNS1_11target_archE942ELNS1_3gpuE9ELNS1_3repE0EEENS1_52radix_sort_onesweep_histogram_config_static_selectorELNS0_4arch9wavefront6targetE1EEEvSG_ ; -- Begin function _ZN7rocprim17ROCPRIM_400000_NS6detail17trampoline_kernelINS0_14default_configENS1_35radix_sort_onesweep_config_selectorIiiEEZNS1_34radix_sort_onesweep_global_offsetsIS3_Lb0EN6thrust23THRUST_200600_302600_NS6detail15normal_iteratorINS8_10device_ptrIiEEEESD_jNS0_19identity_decomposerEEE10hipError_tT1_T2_PT3_SI_jT4_jjP12ihipStream_tbEUlT_E_NS1_11comp_targetILNS1_3genE5ELNS1_11target_archE942ELNS1_3gpuE9ELNS1_3repE0EEENS1_52radix_sort_onesweep_histogram_config_static_selectorELNS0_4arch9wavefront6targetE1EEEvSG_
	.globl	_ZN7rocprim17ROCPRIM_400000_NS6detail17trampoline_kernelINS0_14default_configENS1_35radix_sort_onesweep_config_selectorIiiEEZNS1_34radix_sort_onesweep_global_offsetsIS3_Lb0EN6thrust23THRUST_200600_302600_NS6detail15normal_iteratorINS8_10device_ptrIiEEEESD_jNS0_19identity_decomposerEEE10hipError_tT1_T2_PT3_SI_jT4_jjP12ihipStream_tbEUlT_E_NS1_11comp_targetILNS1_3genE5ELNS1_11target_archE942ELNS1_3gpuE9ELNS1_3repE0EEENS1_52radix_sort_onesweep_histogram_config_static_selectorELNS0_4arch9wavefront6targetE1EEEvSG_
	.p2align	8
	.type	_ZN7rocprim17ROCPRIM_400000_NS6detail17trampoline_kernelINS0_14default_configENS1_35radix_sort_onesweep_config_selectorIiiEEZNS1_34radix_sort_onesweep_global_offsetsIS3_Lb0EN6thrust23THRUST_200600_302600_NS6detail15normal_iteratorINS8_10device_ptrIiEEEESD_jNS0_19identity_decomposerEEE10hipError_tT1_T2_PT3_SI_jT4_jjP12ihipStream_tbEUlT_E_NS1_11comp_targetILNS1_3genE5ELNS1_11target_archE942ELNS1_3gpuE9ELNS1_3repE0EEENS1_52radix_sort_onesweep_histogram_config_static_selectorELNS0_4arch9wavefront6targetE1EEEvSG_,@function
_ZN7rocprim17ROCPRIM_400000_NS6detail17trampoline_kernelINS0_14default_configENS1_35radix_sort_onesweep_config_selectorIiiEEZNS1_34radix_sort_onesweep_global_offsetsIS3_Lb0EN6thrust23THRUST_200600_302600_NS6detail15normal_iteratorINS8_10device_ptrIiEEEESD_jNS0_19identity_decomposerEEE10hipError_tT1_T2_PT3_SI_jT4_jjP12ihipStream_tbEUlT_E_NS1_11comp_targetILNS1_3genE5ELNS1_11target_archE942ELNS1_3gpuE9ELNS1_3repE0EEENS1_52radix_sort_onesweep_histogram_config_static_selectorELNS0_4arch9wavefront6targetE1EEEvSG_: ; @_ZN7rocprim17ROCPRIM_400000_NS6detail17trampoline_kernelINS0_14default_configENS1_35radix_sort_onesweep_config_selectorIiiEEZNS1_34radix_sort_onesweep_global_offsetsIS3_Lb0EN6thrust23THRUST_200600_302600_NS6detail15normal_iteratorINS8_10device_ptrIiEEEESD_jNS0_19identity_decomposerEEE10hipError_tT1_T2_PT3_SI_jT4_jjP12ihipStream_tbEUlT_E_NS1_11comp_targetILNS1_3genE5ELNS1_11target_archE942ELNS1_3gpuE9ELNS1_3repE0EEENS1_52radix_sort_onesweep_histogram_config_static_selectorELNS0_4arch9wavefront6targetE1EEEvSG_
; %bb.0:
	.section	.rodata,"a",@progbits
	.p2align	6, 0x0
	.amdhsa_kernel _ZN7rocprim17ROCPRIM_400000_NS6detail17trampoline_kernelINS0_14default_configENS1_35radix_sort_onesweep_config_selectorIiiEEZNS1_34radix_sort_onesweep_global_offsetsIS3_Lb0EN6thrust23THRUST_200600_302600_NS6detail15normal_iteratorINS8_10device_ptrIiEEEESD_jNS0_19identity_decomposerEEE10hipError_tT1_T2_PT3_SI_jT4_jjP12ihipStream_tbEUlT_E_NS1_11comp_targetILNS1_3genE5ELNS1_11target_archE942ELNS1_3gpuE9ELNS1_3repE0EEENS1_52radix_sort_onesweep_histogram_config_static_selectorELNS0_4arch9wavefront6targetE1EEEvSG_
		.amdhsa_group_segment_fixed_size 0
		.amdhsa_private_segment_fixed_size 0
		.amdhsa_kernarg_size 40
		.amdhsa_user_sgpr_count 2
		.amdhsa_user_sgpr_dispatch_ptr 0
		.amdhsa_user_sgpr_queue_ptr 0
		.amdhsa_user_sgpr_kernarg_segment_ptr 1
		.amdhsa_user_sgpr_dispatch_id 0
		.amdhsa_user_sgpr_kernarg_preload_length 0
		.amdhsa_user_sgpr_kernarg_preload_offset 0
		.amdhsa_user_sgpr_private_segment_size 0
		.amdhsa_uses_dynamic_stack 0
		.amdhsa_enable_private_segment 0
		.amdhsa_system_sgpr_workgroup_id_x 1
		.amdhsa_system_sgpr_workgroup_id_y 0
		.amdhsa_system_sgpr_workgroup_id_z 0
		.amdhsa_system_sgpr_workgroup_info 0
		.amdhsa_system_vgpr_workitem_id 0
		.amdhsa_next_free_vgpr 1
		.amdhsa_next_free_sgpr 0
		.amdhsa_accum_offset 4
		.amdhsa_reserve_vcc 0
		.amdhsa_float_round_mode_32 0
		.amdhsa_float_round_mode_16_64 0
		.amdhsa_float_denorm_mode_32 3
		.amdhsa_float_denorm_mode_16_64 3
		.amdhsa_dx10_clamp 1
		.amdhsa_ieee_mode 1
		.amdhsa_fp16_overflow 0
		.amdhsa_tg_split 0
		.amdhsa_exception_fp_ieee_invalid_op 0
		.amdhsa_exception_fp_denorm_src 0
		.amdhsa_exception_fp_ieee_div_zero 0
		.amdhsa_exception_fp_ieee_overflow 0
		.amdhsa_exception_fp_ieee_underflow 0
		.amdhsa_exception_fp_ieee_inexact 0
		.amdhsa_exception_int_div_zero 0
	.end_amdhsa_kernel
	.section	.text._ZN7rocprim17ROCPRIM_400000_NS6detail17trampoline_kernelINS0_14default_configENS1_35radix_sort_onesweep_config_selectorIiiEEZNS1_34radix_sort_onesweep_global_offsetsIS3_Lb0EN6thrust23THRUST_200600_302600_NS6detail15normal_iteratorINS8_10device_ptrIiEEEESD_jNS0_19identity_decomposerEEE10hipError_tT1_T2_PT3_SI_jT4_jjP12ihipStream_tbEUlT_E_NS1_11comp_targetILNS1_3genE5ELNS1_11target_archE942ELNS1_3gpuE9ELNS1_3repE0EEENS1_52radix_sort_onesweep_histogram_config_static_selectorELNS0_4arch9wavefront6targetE1EEEvSG_,"axG",@progbits,_ZN7rocprim17ROCPRIM_400000_NS6detail17trampoline_kernelINS0_14default_configENS1_35radix_sort_onesweep_config_selectorIiiEEZNS1_34radix_sort_onesweep_global_offsetsIS3_Lb0EN6thrust23THRUST_200600_302600_NS6detail15normal_iteratorINS8_10device_ptrIiEEEESD_jNS0_19identity_decomposerEEE10hipError_tT1_T2_PT3_SI_jT4_jjP12ihipStream_tbEUlT_E_NS1_11comp_targetILNS1_3genE5ELNS1_11target_archE942ELNS1_3gpuE9ELNS1_3repE0EEENS1_52radix_sort_onesweep_histogram_config_static_selectorELNS0_4arch9wavefront6targetE1EEEvSG_,comdat
.Lfunc_end806:
	.size	_ZN7rocprim17ROCPRIM_400000_NS6detail17trampoline_kernelINS0_14default_configENS1_35radix_sort_onesweep_config_selectorIiiEEZNS1_34radix_sort_onesweep_global_offsetsIS3_Lb0EN6thrust23THRUST_200600_302600_NS6detail15normal_iteratorINS8_10device_ptrIiEEEESD_jNS0_19identity_decomposerEEE10hipError_tT1_T2_PT3_SI_jT4_jjP12ihipStream_tbEUlT_E_NS1_11comp_targetILNS1_3genE5ELNS1_11target_archE942ELNS1_3gpuE9ELNS1_3repE0EEENS1_52radix_sort_onesweep_histogram_config_static_selectorELNS0_4arch9wavefront6targetE1EEEvSG_, .Lfunc_end806-_ZN7rocprim17ROCPRIM_400000_NS6detail17trampoline_kernelINS0_14default_configENS1_35radix_sort_onesweep_config_selectorIiiEEZNS1_34radix_sort_onesweep_global_offsetsIS3_Lb0EN6thrust23THRUST_200600_302600_NS6detail15normal_iteratorINS8_10device_ptrIiEEEESD_jNS0_19identity_decomposerEEE10hipError_tT1_T2_PT3_SI_jT4_jjP12ihipStream_tbEUlT_E_NS1_11comp_targetILNS1_3genE5ELNS1_11target_archE942ELNS1_3gpuE9ELNS1_3repE0EEENS1_52radix_sort_onesweep_histogram_config_static_selectorELNS0_4arch9wavefront6targetE1EEEvSG_
                                        ; -- End function
	.set _ZN7rocprim17ROCPRIM_400000_NS6detail17trampoline_kernelINS0_14default_configENS1_35radix_sort_onesweep_config_selectorIiiEEZNS1_34radix_sort_onesweep_global_offsetsIS3_Lb0EN6thrust23THRUST_200600_302600_NS6detail15normal_iteratorINS8_10device_ptrIiEEEESD_jNS0_19identity_decomposerEEE10hipError_tT1_T2_PT3_SI_jT4_jjP12ihipStream_tbEUlT_E_NS1_11comp_targetILNS1_3genE5ELNS1_11target_archE942ELNS1_3gpuE9ELNS1_3repE0EEENS1_52radix_sort_onesweep_histogram_config_static_selectorELNS0_4arch9wavefront6targetE1EEEvSG_.num_vgpr, 0
	.set _ZN7rocprim17ROCPRIM_400000_NS6detail17trampoline_kernelINS0_14default_configENS1_35radix_sort_onesweep_config_selectorIiiEEZNS1_34radix_sort_onesweep_global_offsetsIS3_Lb0EN6thrust23THRUST_200600_302600_NS6detail15normal_iteratorINS8_10device_ptrIiEEEESD_jNS0_19identity_decomposerEEE10hipError_tT1_T2_PT3_SI_jT4_jjP12ihipStream_tbEUlT_E_NS1_11comp_targetILNS1_3genE5ELNS1_11target_archE942ELNS1_3gpuE9ELNS1_3repE0EEENS1_52radix_sort_onesweep_histogram_config_static_selectorELNS0_4arch9wavefront6targetE1EEEvSG_.num_agpr, 0
	.set _ZN7rocprim17ROCPRIM_400000_NS6detail17trampoline_kernelINS0_14default_configENS1_35radix_sort_onesweep_config_selectorIiiEEZNS1_34radix_sort_onesweep_global_offsetsIS3_Lb0EN6thrust23THRUST_200600_302600_NS6detail15normal_iteratorINS8_10device_ptrIiEEEESD_jNS0_19identity_decomposerEEE10hipError_tT1_T2_PT3_SI_jT4_jjP12ihipStream_tbEUlT_E_NS1_11comp_targetILNS1_3genE5ELNS1_11target_archE942ELNS1_3gpuE9ELNS1_3repE0EEENS1_52radix_sort_onesweep_histogram_config_static_selectorELNS0_4arch9wavefront6targetE1EEEvSG_.numbered_sgpr, 0
	.set _ZN7rocprim17ROCPRIM_400000_NS6detail17trampoline_kernelINS0_14default_configENS1_35radix_sort_onesweep_config_selectorIiiEEZNS1_34radix_sort_onesweep_global_offsetsIS3_Lb0EN6thrust23THRUST_200600_302600_NS6detail15normal_iteratorINS8_10device_ptrIiEEEESD_jNS0_19identity_decomposerEEE10hipError_tT1_T2_PT3_SI_jT4_jjP12ihipStream_tbEUlT_E_NS1_11comp_targetILNS1_3genE5ELNS1_11target_archE942ELNS1_3gpuE9ELNS1_3repE0EEENS1_52radix_sort_onesweep_histogram_config_static_selectorELNS0_4arch9wavefront6targetE1EEEvSG_.num_named_barrier, 0
	.set _ZN7rocprim17ROCPRIM_400000_NS6detail17trampoline_kernelINS0_14default_configENS1_35radix_sort_onesweep_config_selectorIiiEEZNS1_34radix_sort_onesweep_global_offsetsIS3_Lb0EN6thrust23THRUST_200600_302600_NS6detail15normal_iteratorINS8_10device_ptrIiEEEESD_jNS0_19identity_decomposerEEE10hipError_tT1_T2_PT3_SI_jT4_jjP12ihipStream_tbEUlT_E_NS1_11comp_targetILNS1_3genE5ELNS1_11target_archE942ELNS1_3gpuE9ELNS1_3repE0EEENS1_52radix_sort_onesweep_histogram_config_static_selectorELNS0_4arch9wavefront6targetE1EEEvSG_.private_seg_size, 0
	.set _ZN7rocprim17ROCPRIM_400000_NS6detail17trampoline_kernelINS0_14default_configENS1_35radix_sort_onesweep_config_selectorIiiEEZNS1_34radix_sort_onesweep_global_offsetsIS3_Lb0EN6thrust23THRUST_200600_302600_NS6detail15normal_iteratorINS8_10device_ptrIiEEEESD_jNS0_19identity_decomposerEEE10hipError_tT1_T2_PT3_SI_jT4_jjP12ihipStream_tbEUlT_E_NS1_11comp_targetILNS1_3genE5ELNS1_11target_archE942ELNS1_3gpuE9ELNS1_3repE0EEENS1_52radix_sort_onesweep_histogram_config_static_selectorELNS0_4arch9wavefront6targetE1EEEvSG_.uses_vcc, 0
	.set _ZN7rocprim17ROCPRIM_400000_NS6detail17trampoline_kernelINS0_14default_configENS1_35radix_sort_onesweep_config_selectorIiiEEZNS1_34radix_sort_onesweep_global_offsetsIS3_Lb0EN6thrust23THRUST_200600_302600_NS6detail15normal_iteratorINS8_10device_ptrIiEEEESD_jNS0_19identity_decomposerEEE10hipError_tT1_T2_PT3_SI_jT4_jjP12ihipStream_tbEUlT_E_NS1_11comp_targetILNS1_3genE5ELNS1_11target_archE942ELNS1_3gpuE9ELNS1_3repE0EEENS1_52radix_sort_onesweep_histogram_config_static_selectorELNS0_4arch9wavefront6targetE1EEEvSG_.uses_flat_scratch, 0
	.set _ZN7rocprim17ROCPRIM_400000_NS6detail17trampoline_kernelINS0_14default_configENS1_35radix_sort_onesweep_config_selectorIiiEEZNS1_34radix_sort_onesweep_global_offsetsIS3_Lb0EN6thrust23THRUST_200600_302600_NS6detail15normal_iteratorINS8_10device_ptrIiEEEESD_jNS0_19identity_decomposerEEE10hipError_tT1_T2_PT3_SI_jT4_jjP12ihipStream_tbEUlT_E_NS1_11comp_targetILNS1_3genE5ELNS1_11target_archE942ELNS1_3gpuE9ELNS1_3repE0EEENS1_52radix_sort_onesweep_histogram_config_static_selectorELNS0_4arch9wavefront6targetE1EEEvSG_.has_dyn_sized_stack, 0
	.set _ZN7rocprim17ROCPRIM_400000_NS6detail17trampoline_kernelINS0_14default_configENS1_35radix_sort_onesweep_config_selectorIiiEEZNS1_34radix_sort_onesweep_global_offsetsIS3_Lb0EN6thrust23THRUST_200600_302600_NS6detail15normal_iteratorINS8_10device_ptrIiEEEESD_jNS0_19identity_decomposerEEE10hipError_tT1_T2_PT3_SI_jT4_jjP12ihipStream_tbEUlT_E_NS1_11comp_targetILNS1_3genE5ELNS1_11target_archE942ELNS1_3gpuE9ELNS1_3repE0EEENS1_52radix_sort_onesweep_histogram_config_static_selectorELNS0_4arch9wavefront6targetE1EEEvSG_.has_recursion, 0
	.set _ZN7rocprim17ROCPRIM_400000_NS6detail17trampoline_kernelINS0_14default_configENS1_35radix_sort_onesweep_config_selectorIiiEEZNS1_34radix_sort_onesweep_global_offsetsIS3_Lb0EN6thrust23THRUST_200600_302600_NS6detail15normal_iteratorINS8_10device_ptrIiEEEESD_jNS0_19identity_decomposerEEE10hipError_tT1_T2_PT3_SI_jT4_jjP12ihipStream_tbEUlT_E_NS1_11comp_targetILNS1_3genE5ELNS1_11target_archE942ELNS1_3gpuE9ELNS1_3repE0EEENS1_52radix_sort_onesweep_histogram_config_static_selectorELNS0_4arch9wavefront6targetE1EEEvSG_.has_indirect_call, 0
	.section	.AMDGPU.csdata,"",@progbits
; Kernel info:
; codeLenInByte = 0
; TotalNumSgprs: 6
; NumVgprs: 0
; NumAgprs: 0
; TotalNumVgprs: 0
; ScratchSize: 0
; MemoryBound: 0
; FloatMode: 240
; IeeeMode: 1
; LDSByteSize: 0 bytes/workgroup (compile time only)
; SGPRBlocks: 0
; VGPRBlocks: 0
; NumSGPRsForWavesPerEU: 6
; NumVGPRsForWavesPerEU: 1
; AccumOffset: 4
; Occupancy: 8
; WaveLimiterHint : 0
; COMPUTE_PGM_RSRC2:SCRATCH_EN: 0
; COMPUTE_PGM_RSRC2:USER_SGPR: 2
; COMPUTE_PGM_RSRC2:TRAP_HANDLER: 0
; COMPUTE_PGM_RSRC2:TGID_X_EN: 1
; COMPUTE_PGM_RSRC2:TGID_Y_EN: 0
; COMPUTE_PGM_RSRC2:TGID_Z_EN: 0
; COMPUTE_PGM_RSRC2:TIDIG_COMP_CNT: 0
; COMPUTE_PGM_RSRC3_GFX90A:ACCUM_OFFSET: 0
; COMPUTE_PGM_RSRC3_GFX90A:TG_SPLIT: 0
	.section	.text._ZN7rocprim17ROCPRIM_400000_NS6detail17trampoline_kernelINS0_14default_configENS1_35radix_sort_onesweep_config_selectorIiiEEZNS1_34radix_sort_onesweep_global_offsetsIS3_Lb0EN6thrust23THRUST_200600_302600_NS6detail15normal_iteratorINS8_10device_ptrIiEEEESD_jNS0_19identity_decomposerEEE10hipError_tT1_T2_PT3_SI_jT4_jjP12ihipStream_tbEUlT_E_NS1_11comp_targetILNS1_3genE2ELNS1_11target_archE906ELNS1_3gpuE6ELNS1_3repE0EEENS1_52radix_sort_onesweep_histogram_config_static_selectorELNS0_4arch9wavefront6targetE1EEEvSG_,"axG",@progbits,_ZN7rocprim17ROCPRIM_400000_NS6detail17trampoline_kernelINS0_14default_configENS1_35radix_sort_onesweep_config_selectorIiiEEZNS1_34radix_sort_onesweep_global_offsetsIS3_Lb0EN6thrust23THRUST_200600_302600_NS6detail15normal_iteratorINS8_10device_ptrIiEEEESD_jNS0_19identity_decomposerEEE10hipError_tT1_T2_PT3_SI_jT4_jjP12ihipStream_tbEUlT_E_NS1_11comp_targetILNS1_3genE2ELNS1_11target_archE906ELNS1_3gpuE6ELNS1_3repE0EEENS1_52radix_sort_onesweep_histogram_config_static_selectorELNS0_4arch9wavefront6targetE1EEEvSG_,comdat
	.protected	_ZN7rocprim17ROCPRIM_400000_NS6detail17trampoline_kernelINS0_14default_configENS1_35radix_sort_onesweep_config_selectorIiiEEZNS1_34radix_sort_onesweep_global_offsetsIS3_Lb0EN6thrust23THRUST_200600_302600_NS6detail15normal_iteratorINS8_10device_ptrIiEEEESD_jNS0_19identity_decomposerEEE10hipError_tT1_T2_PT3_SI_jT4_jjP12ihipStream_tbEUlT_E_NS1_11comp_targetILNS1_3genE2ELNS1_11target_archE906ELNS1_3gpuE6ELNS1_3repE0EEENS1_52radix_sort_onesweep_histogram_config_static_selectorELNS0_4arch9wavefront6targetE1EEEvSG_ ; -- Begin function _ZN7rocprim17ROCPRIM_400000_NS6detail17trampoline_kernelINS0_14default_configENS1_35radix_sort_onesweep_config_selectorIiiEEZNS1_34radix_sort_onesweep_global_offsetsIS3_Lb0EN6thrust23THRUST_200600_302600_NS6detail15normal_iteratorINS8_10device_ptrIiEEEESD_jNS0_19identity_decomposerEEE10hipError_tT1_T2_PT3_SI_jT4_jjP12ihipStream_tbEUlT_E_NS1_11comp_targetILNS1_3genE2ELNS1_11target_archE906ELNS1_3gpuE6ELNS1_3repE0EEENS1_52radix_sort_onesweep_histogram_config_static_selectorELNS0_4arch9wavefront6targetE1EEEvSG_
	.globl	_ZN7rocprim17ROCPRIM_400000_NS6detail17trampoline_kernelINS0_14default_configENS1_35radix_sort_onesweep_config_selectorIiiEEZNS1_34radix_sort_onesweep_global_offsetsIS3_Lb0EN6thrust23THRUST_200600_302600_NS6detail15normal_iteratorINS8_10device_ptrIiEEEESD_jNS0_19identity_decomposerEEE10hipError_tT1_T2_PT3_SI_jT4_jjP12ihipStream_tbEUlT_E_NS1_11comp_targetILNS1_3genE2ELNS1_11target_archE906ELNS1_3gpuE6ELNS1_3repE0EEENS1_52radix_sort_onesweep_histogram_config_static_selectorELNS0_4arch9wavefront6targetE1EEEvSG_
	.p2align	8
	.type	_ZN7rocprim17ROCPRIM_400000_NS6detail17trampoline_kernelINS0_14default_configENS1_35radix_sort_onesweep_config_selectorIiiEEZNS1_34radix_sort_onesweep_global_offsetsIS3_Lb0EN6thrust23THRUST_200600_302600_NS6detail15normal_iteratorINS8_10device_ptrIiEEEESD_jNS0_19identity_decomposerEEE10hipError_tT1_T2_PT3_SI_jT4_jjP12ihipStream_tbEUlT_E_NS1_11comp_targetILNS1_3genE2ELNS1_11target_archE906ELNS1_3gpuE6ELNS1_3repE0EEENS1_52radix_sort_onesweep_histogram_config_static_selectorELNS0_4arch9wavefront6targetE1EEEvSG_,@function
_ZN7rocprim17ROCPRIM_400000_NS6detail17trampoline_kernelINS0_14default_configENS1_35radix_sort_onesweep_config_selectorIiiEEZNS1_34radix_sort_onesweep_global_offsetsIS3_Lb0EN6thrust23THRUST_200600_302600_NS6detail15normal_iteratorINS8_10device_ptrIiEEEESD_jNS0_19identity_decomposerEEE10hipError_tT1_T2_PT3_SI_jT4_jjP12ihipStream_tbEUlT_E_NS1_11comp_targetILNS1_3genE2ELNS1_11target_archE906ELNS1_3gpuE6ELNS1_3repE0EEENS1_52radix_sort_onesweep_histogram_config_static_selectorELNS0_4arch9wavefront6targetE1EEEvSG_: ; @_ZN7rocprim17ROCPRIM_400000_NS6detail17trampoline_kernelINS0_14default_configENS1_35radix_sort_onesweep_config_selectorIiiEEZNS1_34radix_sort_onesweep_global_offsetsIS3_Lb0EN6thrust23THRUST_200600_302600_NS6detail15normal_iteratorINS8_10device_ptrIiEEEESD_jNS0_19identity_decomposerEEE10hipError_tT1_T2_PT3_SI_jT4_jjP12ihipStream_tbEUlT_E_NS1_11comp_targetILNS1_3genE2ELNS1_11target_archE906ELNS1_3gpuE6ELNS1_3repE0EEENS1_52radix_sort_onesweep_histogram_config_static_selectorELNS0_4arch9wavefront6targetE1EEEvSG_
; %bb.0:
	.section	.rodata,"a",@progbits
	.p2align	6, 0x0
	.amdhsa_kernel _ZN7rocprim17ROCPRIM_400000_NS6detail17trampoline_kernelINS0_14default_configENS1_35radix_sort_onesweep_config_selectorIiiEEZNS1_34radix_sort_onesweep_global_offsetsIS3_Lb0EN6thrust23THRUST_200600_302600_NS6detail15normal_iteratorINS8_10device_ptrIiEEEESD_jNS0_19identity_decomposerEEE10hipError_tT1_T2_PT3_SI_jT4_jjP12ihipStream_tbEUlT_E_NS1_11comp_targetILNS1_3genE2ELNS1_11target_archE906ELNS1_3gpuE6ELNS1_3repE0EEENS1_52radix_sort_onesweep_histogram_config_static_selectorELNS0_4arch9wavefront6targetE1EEEvSG_
		.amdhsa_group_segment_fixed_size 0
		.amdhsa_private_segment_fixed_size 0
		.amdhsa_kernarg_size 40
		.amdhsa_user_sgpr_count 2
		.amdhsa_user_sgpr_dispatch_ptr 0
		.amdhsa_user_sgpr_queue_ptr 0
		.amdhsa_user_sgpr_kernarg_segment_ptr 1
		.amdhsa_user_sgpr_dispatch_id 0
		.amdhsa_user_sgpr_kernarg_preload_length 0
		.amdhsa_user_sgpr_kernarg_preload_offset 0
		.amdhsa_user_sgpr_private_segment_size 0
		.amdhsa_uses_dynamic_stack 0
		.amdhsa_enable_private_segment 0
		.amdhsa_system_sgpr_workgroup_id_x 1
		.amdhsa_system_sgpr_workgroup_id_y 0
		.amdhsa_system_sgpr_workgroup_id_z 0
		.amdhsa_system_sgpr_workgroup_info 0
		.amdhsa_system_vgpr_workitem_id 0
		.amdhsa_next_free_vgpr 1
		.amdhsa_next_free_sgpr 0
		.amdhsa_accum_offset 4
		.amdhsa_reserve_vcc 0
		.amdhsa_float_round_mode_32 0
		.amdhsa_float_round_mode_16_64 0
		.amdhsa_float_denorm_mode_32 3
		.amdhsa_float_denorm_mode_16_64 3
		.amdhsa_dx10_clamp 1
		.amdhsa_ieee_mode 1
		.amdhsa_fp16_overflow 0
		.amdhsa_tg_split 0
		.amdhsa_exception_fp_ieee_invalid_op 0
		.amdhsa_exception_fp_denorm_src 0
		.amdhsa_exception_fp_ieee_div_zero 0
		.amdhsa_exception_fp_ieee_overflow 0
		.amdhsa_exception_fp_ieee_underflow 0
		.amdhsa_exception_fp_ieee_inexact 0
		.amdhsa_exception_int_div_zero 0
	.end_amdhsa_kernel
	.section	.text._ZN7rocprim17ROCPRIM_400000_NS6detail17trampoline_kernelINS0_14default_configENS1_35radix_sort_onesweep_config_selectorIiiEEZNS1_34radix_sort_onesweep_global_offsetsIS3_Lb0EN6thrust23THRUST_200600_302600_NS6detail15normal_iteratorINS8_10device_ptrIiEEEESD_jNS0_19identity_decomposerEEE10hipError_tT1_T2_PT3_SI_jT4_jjP12ihipStream_tbEUlT_E_NS1_11comp_targetILNS1_3genE2ELNS1_11target_archE906ELNS1_3gpuE6ELNS1_3repE0EEENS1_52radix_sort_onesweep_histogram_config_static_selectorELNS0_4arch9wavefront6targetE1EEEvSG_,"axG",@progbits,_ZN7rocprim17ROCPRIM_400000_NS6detail17trampoline_kernelINS0_14default_configENS1_35radix_sort_onesweep_config_selectorIiiEEZNS1_34radix_sort_onesweep_global_offsetsIS3_Lb0EN6thrust23THRUST_200600_302600_NS6detail15normal_iteratorINS8_10device_ptrIiEEEESD_jNS0_19identity_decomposerEEE10hipError_tT1_T2_PT3_SI_jT4_jjP12ihipStream_tbEUlT_E_NS1_11comp_targetILNS1_3genE2ELNS1_11target_archE906ELNS1_3gpuE6ELNS1_3repE0EEENS1_52radix_sort_onesweep_histogram_config_static_selectorELNS0_4arch9wavefront6targetE1EEEvSG_,comdat
.Lfunc_end807:
	.size	_ZN7rocprim17ROCPRIM_400000_NS6detail17trampoline_kernelINS0_14default_configENS1_35radix_sort_onesweep_config_selectorIiiEEZNS1_34radix_sort_onesweep_global_offsetsIS3_Lb0EN6thrust23THRUST_200600_302600_NS6detail15normal_iteratorINS8_10device_ptrIiEEEESD_jNS0_19identity_decomposerEEE10hipError_tT1_T2_PT3_SI_jT4_jjP12ihipStream_tbEUlT_E_NS1_11comp_targetILNS1_3genE2ELNS1_11target_archE906ELNS1_3gpuE6ELNS1_3repE0EEENS1_52radix_sort_onesweep_histogram_config_static_selectorELNS0_4arch9wavefront6targetE1EEEvSG_, .Lfunc_end807-_ZN7rocprim17ROCPRIM_400000_NS6detail17trampoline_kernelINS0_14default_configENS1_35radix_sort_onesweep_config_selectorIiiEEZNS1_34radix_sort_onesweep_global_offsetsIS3_Lb0EN6thrust23THRUST_200600_302600_NS6detail15normal_iteratorINS8_10device_ptrIiEEEESD_jNS0_19identity_decomposerEEE10hipError_tT1_T2_PT3_SI_jT4_jjP12ihipStream_tbEUlT_E_NS1_11comp_targetILNS1_3genE2ELNS1_11target_archE906ELNS1_3gpuE6ELNS1_3repE0EEENS1_52radix_sort_onesweep_histogram_config_static_selectorELNS0_4arch9wavefront6targetE1EEEvSG_
                                        ; -- End function
	.set _ZN7rocprim17ROCPRIM_400000_NS6detail17trampoline_kernelINS0_14default_configENS1_35radix_sort_onesweep_config_selectorIiiEEZNS1_34radix_sort_onesweep_global_offsetsIS3_Lb0EN6thrust23THRUST_200600_302600_NS6detail15normal_iteratorINS8_10device_ptrIiEEEESD_jNS0_19identity_decomposerEEE10hipError_tT1_T2_PT3_SI_jT4_jjP12ihipStream_tbEUlT_E_NS1_11comp_targetILNS1_3genE2ELNS1_11target_archE906ELNS1_3gpuE6ELNS1_3repE0EEENS1_52radix_sort_onesweep_histogram_config_static_selectorELNS0_4arch9wavefront6targetE1EEEvSG_.num_vgpr, 0
	.set _ZN7rocprim17ROCPRIM_400000_NS6detail17trampoline_kernelINS0_14default_configENS1_35radix_sort_onesweep_config_selectorIiiEEZNS1_34radix_sort_onesweep_global_offsetsIS3_Lb0EN6thrust23THRUST_200600_302600_NS6detail15normal_iteratorINS8_10device_ptrIiEEEESD_jNS0_19identity_decomposerEEE10hipError_tT1_T2_PT3_SI_jT4_jjP12ihipStream_tbEUlT_E_NS1_11comp_targetILNS1_3genE2ELNS1_11target_archE906ELNS1_3gpuE6ELNS1_3repE0EEENS1_52radix_sort_onesweep_histogram_config_static_selectorELNS0_4arch9wavefront6targetE1EEEvSG_.num_agpr, 0
	.set _ZN7rocprim17ROCPRIM_400000_NS6detail17trampoline_kernelINS0_14default_configENS1_35radix_sort_onesweep_config_selectorIiiEEZNS1_34radix_sort_onesweep_global_offsetsIS3_Lb0EN6thrust23THRUST_200600_302600_NS6detail15normal_iteratorINS8_10device_ptrIiEEEESD_jNS0_19identity_decomposerEEE10hipError_tT1_T2_PT3_SI_jT4_jjP12ihipStream_tbEUlT_E_NS1_11comp_targetILNS1_3genE2ELNS1_11target_archE906ELNS1_3gpuE6ELNS1_3repE0EEENS1_52radix_sort_onesweep_histogram_config_static_selectorELNS0_4arch9wavefront6targetE1EEEvSG_.numbered_sgpr, 0
	.set _ZN7rocprim17ROCPRIM_400000_NS6detail17trampoline_kernelINS0_14default_configENS1_35radix_sort_onesweep_config_selectorIiiEEZNS1_34radix_sort_onesweep_global_offsetsIS3_Lb0EN6thrust23THRUST_200600_302600_NS6detail15normal_iteratorINS8_10device_ptrIiEEEESD_jNS0_19identity_decomposerEEE10hipError_tT1_T2_PT3_SI_jT4_jjP12ihipStream_tbEUlT_E_NS1_11comp_targetILNS1_3genE2ELNS1_11target_archE906ELNS1_3gpuE6ELNS1_3repE0EEENS1_52radix_sort_onesweep_histogram_config_static_selectorELNS0_4arch9wavefront6targetE1EEEvSG_.num_named_barrier, 0
	.set _ZN7rocprim17ROCPRIM_400000_NS6detail17trampoline_kernelINS0_14default_configENS1_35radix_sort_onesweep_config_selectorIiiEEZNS1_34radix_sort_onesweep_global_offsetsIS3_Lb0EN6thrust23THRUST_200600_302600_NS6detail15normal_iteratorINS8_10device_ptrIiEEEESD_jNS0_19identity_decomposerEEE10hipError_tT1_T2_PT3_SI_jT4_jjP12ihipStream_tbEUlT_E_NS1_11comp_targetILNS1_3genE2ELNS1_11target_archE906ELNS1_3gpuE6ELNS1_3repE0EEENS1_52radix_sort_onesweep_histogram_config_static_selectorELNS0_4arch9wavefront6targetE1EEEvSG_.private_seg_size, 0
	.set _ZN7rocprim17ROCPRIM_400000_NS6detail17trampoline_kernelINS0_14default_configENS1_35radix_sort_onesweep_config_selectorIiiEEZNS1_34radix_sort_onesweep_global_offsetsIS3_Lb0EN6thrust23THRUST_200600_302600_NS6detail15normal_iteratorINS8_10device_ptrIiEEEESD_jNS0_19identity_decomposerEEE10hipError_tT1_T2_PT3_SI_jT4_jjP12ihipStream_tbEUlT_E_NS1_11comp_targetILNS1_3genE2ELNS1_11target_archE906ELNS1_3gpuE6ELNS1_3repE0EEENS1_52radix_sort_onesweep_histogram_config_static_selectorELNS0_4arch9wavefront6targetE1EEEvSG_.uses_vcc, 0
	.set _ZN7rocprim17ROCPRIM_400000_NS6detail17trampoline_kernelINS0_14default_configENS1_35radix_sort_onesweep_config_selectorIiiEEZNS1_34radix_sort_onesweep_global_offsetsIS3_Lb0EN6thrust23THRUST_200600_302600_NS6detail15normal_iteratorINS8_10device_ptrIiEEEESD_jNS0_19identity_decomposerEEE10hipError_tT1_T2_PT3_SI_jT4_jjP12ihipStream_tbEUlT_E_NS1_11comp_targetILNS1_3genE2ELNS1_11target_archE906ELNS1_3gpuE6ELNS1_3repE0EEENS1_52radix_sort_onesweep_histogram_config_static_selectorELNS0_4arch9wavefront6targetE1EEEvSG_.uses_flat_scratch, 0
	.set _ZN7rocprim17ROCPRIM_400000_NS6detail17trampoline_kernelINS0_14default_configENS1_35radix_sort_onesweep_config_selectorIiiEEZNS1_34radix_sort_onesweep_global_offsetsIS3_Lb0EN6thrust23THRUST_200600_302600_NS6detail15normal_iteratorINS8_10device_ptrIiEEEESD_jNS0_19identity_decomposerEEE10hipError_tT1_T2_PT3_SI_jT4_jjP12ihipStream_tbEUlT_E_NS1_11comp_targetILNS1_3genE2ELNS1_11target_archE906ELNS1_3gpuE6ELNS1_3repE0EEENS1_52radix_sort_onesweep_histogram_config_static_selectorELNS0_4arch9wavefront6targetE1EEEvSG_.has_dyn_sized_stack, 0
	.set _ZN7rocprim17ROCPRIM_400000_NS6detail17trampoline_kernelINS0_14default_configENS1_35radix_sort_onesweep_config_selectorIiiEEZNS1_34radix_sort_onesweep_global_offsetsIS3_Lb0EN6thrust23THRUST_200600_302600_NS6detail15normal_iteratorINS8_10device_ptrIiEEEESD_jNS0_19identity_decomposerEEE10hipError_tT1_T2_PT3_SI_jT4_jjP12ihipStream_tbEUlT_E_NS1_11comp_targetILNS1_3genE2ELNS1_11target_archE906ELNS1_3gpuE6ELNS1_3repE0EEENS1_52radix_sort_onesweep_histogram_config_static_selectorELNS0_4arch9wavefront6targetE1EEEvSG_.has_recursion, 0
	.set _ZN7rocprim17ROCPRIM_400000_NS6detail17trampoline_kernelINS0_14default_configENS1_35radix_sort_onesweep_config_selectorIiiEEZNS1_34radix_sort_onesweep_global_offsetsIS3_Lb0EN6thrust23THRUST_200600_302600_NS6detail15normal_iteratorINS8_10device_ptrIiEEEESD_jNS0_19identity_decomposerEEE10hipError_tT1_T2_PT3_SI_jT4_jjP12ihipStream_tbEUlT_E_NS1_11comp_targetILNS1_3genE2ELNS1_11target_archE906ELNS1_3gpuE6ELNS1_3repE0EEENS1_52radix_sort_onesweep_histogram_config_static_selectorELNS0_4arch9wavefront6targetE1EEEvSG_.has_indirect_call, 0
	.section	.AMDGPU.csdata,"",@progbits
; Kernel info:
; codeLenInByte = 0
; TotalNumSgprs: 6
; NumVgprs: 0
; NumAgprs: 0
; TotalNumVgprs: 0
; ScratchSize: 0
; MemoryBound: 0
; FloatMode: 240
; IeeeMode: 1
; LDSByteSize: 0 bytes/workgroup (compile time only)
; SGPRBlocks: 0
; VGPRBlocks: 0
; NumSGPRsForWavesPerEU: 6
; NumVGPRsForWavesPerEU: 1
; AccumOffset: 4
; Occupancy: 8
; WaveLimiterHint : 0
; COMPUTE_PGM_RSRC2:SCRATCH_EN: 0
; COMPUTE_PGM_RSRC2:USER_SGPR: 2
; COMPUTE_PGM_RSRC2:TRAP_HANDLER: 0
; COMPUTE_PGM_RSRC2:TGID_X_EN: 1
; COMPUTE_PGM_RSRC2:TGID_Y_EN: 0
; COMPUTE_PGM_RSRC2:TGID_Z_EN: 0
; COMPUTE_PGM_RSRC2:TIDIG_COMP_CNT: 0
; COMPUTE_PGM_RSRC3_GFX90A:ACCUM_OFFSET: 0
; COMPUTE_PGM_RSRC3_GFX90A:TG_SPLIT: 0
	.section	.text._ZN7rocprim17ROCPRIM_400000_NS6detail17trampoline_kernelINS0_14default_configENS1_35radix_sort_onesweep_config_selectorIiiEEZNS1_34radix_sort_onesweep_global_offsetsIS3_Lb0EN6thrust23THRUST_200600_302600_NS6detail15normal_iteratorINS8_10device_ptrIiEEEESD_jNS0_19identity_decomposerEEE10hipError_tT1_T2_PT3_SI_jT4_jjP12ihipStream_tbEUlT_E_NS1_11comp_targetILNS1_3genE4ELNS1_11target_archE910ELNS1_3gpuE8ELNS1_3repE0EEENS1_52radix_sort_onesweep_histogram_config_static_selectorELNS0_4arch9wavefront6targetE1EEEvSG_,"axG",@progbits,_ZN7rocprim17ROCPRIM_400000_NS6detail17trampoline_kernelINS0_14default_configENS1_35radix_sort_onesweep_config_selectorIiiEEZNS1_34radix_sort_onesweep_global_offsetsIS3_Lb0EN6thrust23THRUST_200600_302600_NS6detail15normal_iteratorINS8_10device_ptrIiEEEESD_jNS0_19identity_decomposerEEE10hipError_tT1_T2_PT3_SI_jT4_jjP12ihipStream_tbEUlT_E_NS1_11comp_targetILNS1_3genE4ELNS1_11target_archE910ELNS1_3gpuE8ELNS1_3repE0EEENS1_52radix_sort_onesweep_histogram_config_static_selectorELNS0_4arch9wavefront6targetE1EEEvSG_,comdat
	.protected	_ZN7rocprim17ROCPRIM_400000_NS6detail17trampoline_kernelINS0_14default_configENS1_35radix_sort_onesweep_config_selectorIiiEEZNS1_34radix_sort_onesweep_global_offsetsIS3_Lb0EN6thrust23THRUST_200600_302600_NS6detail15normal_iteratorINS8_10device_ptrIiEEEESD_jNS0_19identity_decomposerEEE10hipError_tT1_T2_PT3_SI_jT4_jjP12ihipStream_tbEUlT_E_NS1_11comp_targetILNS1_3genE4ELNS1_11target_archE910ELNS1_3gpuE8ELNS1_3repE0EEENS1_52radix_sort_onesweep_histogram_config_static_selectorELNS0_4arch9wavefront6targetE1EEEvSG_ ; -- Begin function _ZN7rocprim17ROCPRIM_400000_NS6detail17trampoline_kernelINS0_14default_configENS1_35radix_sort_onesweep_config_selectorIiiEEZNS1_34radix_sort_onesweep_global_offsetsIS3_Lb0EN6thrust23THRUST_200600_302600_NS6detail15normal_iteratorINS8_10device_ptrIiEEEESD_jNS0_19identity_decomposerEEE10hipError_tT1_T2_PT3_SI_jT4_jjP12ihipStream_tbEUlT_E_NS1_11comp_targetILNS1_3genE4ELNS1_11target_archE910ELNS1_3gpuE8ELNS1_3repE0EEENS1_52radix_sort_onesweep_histogram_config_static_selectorELNS0_4arch9wavefront6targetE1EEEvSG_
	.globl	_ZN7rocprim17ROCPRIM_400000_NS6detail17trampoline_kernelINS0_14default_configENS1_35radix_sort_onesweep_config_selectorIiiEEZNS1_34radix_sort_onesweep_global_offsetsIS3_Lb0EN6thrust23THRUST_200600_302600_NS6detail15normal_iteratorINS8_10device_ptrIiEEEESD_jNS0_19identity_decomposerEEE10hipError_tT1_T2_PT3_SI_jT4_jjP12ihipStream_tbEUlT_E_NS1_11comp_targetILNS1_3genE4ELNS1_11target_archE910ELNS1_3gpuE8ELNS1_3repE0EEENS1_52radix_sort_onesweep_histogram_config_static_selectorELNS0_4arch9wavefront6targetE1EEEvSG_
	.p2align	8
	.type	_ZN7rocprim17ROCPRIM_400000_NS6detail17trampoline_kernelINS0_14default_configENS1_35radix_sort_onesweep_config_selectorIiiEEZNS1_34radix_sort_onesweep_global_offsetsIS3_Lb0EN6thrust23THRUST_200600_302600_NS6detail15normal_iteratorINS8_10device_ptrIiEEEESD_jNS0_19identity_decomposerEEE10hipError_tT1_T2_PT3_SI_jT4_jjP12ihipStream_tbEUlT_E_NS1_11comp_targetILNS1_3genE4ELNS1_11target_archE910ELNS1_3gpuE8ELNS1_3repE0EEENS1_52radix_sort_onesweep_histogram_config_static_selectorELNS0_4arch9wavefront6targetE1EEEvSG_,@function
_ZN7rocprim17ROCPRIM_400000_NS6detail17trampoline_kernelINS0_14default_configENS1_35radix_sort_onesweep_config_selectorIiiEEZNS1_34radix_sort_onesweep_global_offsetsIS3_Lb0EN6thrust23THRUST_200600_302600_NS6detail15normal_iteratorINS8_10device_ptrIiEEEESD_jNS0_19identity_decomposerEEE10hipError_tT1_T2_PT3_SI_jT4_jjP12ihipStream_tbEUlT_E_NS1_11comp_targetILNS1_3genE4ELNS1_11target_archE910ELNS1_3gpuE8ELNS1_3repE0EEENS1_52radix_sort_onesweep_histogram_config_static_selectorELNS0_4arch9wavefront6targetE1EEEvSG_: ; @_ZN7rocprim17ROCPRIM_400000_NS6detail17trampoline_kernelINS0_14default_configENS1_35radix_sort_onesweep_config_selectorIiiEEZNS1_34radix_sort_onesweep_global_offsetsIS3_Lb0EN6thrust23THRUST_200600_302600_NS6detail15normal_iteratorINS8_10device_ptrIiEEEESD_jNS0_19identity_decomposerEEE10hipError_tT1_T2_PT3_SI_jT4_jjP12ihipStream_tbEUlT_E_NS1_11comp_targetILNS1_3genE4ELNS1_11target_archE910ELNS1_3gpuE8ELNS1_3repE0EEENS1_52radix_sort_onesweep_histogram_config_static_selectorELNS0_4arch9wavefront6targetE1EEEvSG_
; %bb.0:
	.section	.rodata,"a",@progbits
	.p2align	6, 0x0
	.amdhsa_kernel _ZN7rocprim17ROCPRIM_400000_NS6detail17trampoline_kernelINS0_14default_configENS1_35radix_sort_onesweep_config_selectorIiiEEZNS1_34radix_sort_onesweep_global_offsetsIS3_Lb0EN6thrust23THRUST_200600_302600_NS6detail15normal_iteratorINS8_10device_ptrIiEEEESD_jNS0_19identity_decomposerEEE10hipError_tT1_T2_PT3_SI_jT4_jjP12ihipStream_tbEUlT_E_NS1_11comp_targetILNS1_3genE4ELNS1_11target_archE910ELNS1_3gpuE8ELNS1_3repE0EEENS1_52radix_sort_onesweep_histogram_config_static_selectorELNS0_4arch9wavefront6targetE1EEEvSG_
		.amdhsa_group_segment_fixed_size 0
		.amdhsa_private_segment_fixed_size 0
		.amdhsa_kernarg_size 40
		.amdhsa_user_sgpr_count 2
		.amdhsa_user_sgpr_dispatch_ptr 0
		.amdhsa_user_sgpr_queue_ptr 0
		.amdhsa_user_sgpr_kernarg_segment_ptr 1
		.amdhsa_user_sgpr_dispatch_id 0
		.amdhsa_user_sgpr_kernarg_preload_length 0
		.amdhsa_user_sgpr_kernarg_preload_offset 0
		.amdhsa_user_sgpr_private_segment_size 0
		.amdhsa_uses_dynamic_stack 0
		.amdhsa_enable_private_segment 0
		.amdhsa_system_sgpr_workgroup_id_x 1
		.amdhsa_system_sgpr_workgroup_id_y 0
		.amdhsa_system_sgpr_workgroup_id_z 0
		.amdhsa_system_sgpr_workgroup_info 0
		.amdhsa_system_vgpr_workitem_id 0
		.amdhsa_next_free_vgpr 1
		.amdhsa_next_free_sgpr 0
		.amdhsa_accum_offset 4
		.amdhsa_reserve_vcc 0
		.amdhsa_float_round_mode_32 0
		.amdhsa_float_round_mode_16_64 0
		.amdhsa_float_denorm_mode_32 3
		.amdhsa_float_denorm_mode_16_64 3
		.amdhsa_dx10_clamp 1
		.amdhsa_ieee_mode 1
		.amdhsa_fp16_overflow 0
		.amdhsa_tg_split 0
		.amdhsa_exception_fp_ieee_invalid_op 0
		.amdhsa_exception_fp_denorm_src 0
		.amdhsa_exception_fp_ieee_div_zero 0
		.amdhsa_exception_fp_ieee_overflow 0
		.amdhsa_exception_fp_ieee_underflow 0
		.amdhsa_exception_fp_ieee_inexact 0
		.amdhsa_exception_int_div_zero 0
	.end_amdhsa_kernel
	.section	.text._ZN7rocprim17ROCPRIM_400000_NS6detail17trampoline_kernelINS0_14default_configENS1_35radix_sort_onesweep_config_selectorIiiEEZNS1_34radix_sort_onesweep_global_offsetsIS3_Lb0EN6thrust23THRUST_200600_302600_NS6detail15normal_iteratorINS8_10device_ptrIiEEEESD_jNS0_19identity_decomposerEEE10hipError_tT1_T2_PT3_SI_jT4_jjP12ihipStream_tbEUlT_E_NS1_11comp_targetILNS1_3genE4ELNS1_11target_archE910ELNS1_3gpuE8ELNS1_3repE0EEENS1_52radix_sort_onesweep_histogram_config_static_selectorELNS0_4arch9wavefront6targetE1EEEvSG_,"axG",@progbits,_ZN7rocprim17ROCPRIM_400000_NS6detail17trampoline_kernelINS0_14default_configENS1_35radix_sort_onesweep_config_selectorIiiEEZNS1_34radix_sort_onesweep_global_offsetsIS3_Lb0EN6thrust23THRUST_200600_302600_NS6detail15normal_iteratorINS8_10device_ptrIiEEEESD_jNS0_19identity_decomposerEEE10hipError_tT1_T2_PT3_SI_jT4_jjP12ihipStream_tbEUlT_E_NS1_11comp_targetILNS1_3genE4ELNS1_11target_archE910ELNS1_3gpuE8ELNS1_3repE0EEENS1_52radix_sort_onesweep_histogram_config_static_selectorELNS0_4arch9wavefront6targetE1EEEvSG_,comdat
.Lfunc_end808:
	.size	_ZN7rocprim17ROCPRIM_400000_NS6detail17trampoline_kernelINS0_14default_configENS1_35radix_sort_onesweep_config_selectorIiiEEZNS1_34radix_sort_onesweep_global_offsetsIS3_Lb0EN6thrust23THRUST_200600_302600_NS6detail15normal_iteratorINS8_10device_ptrIiEEEESD_jNS0_19identity_decomposerEEE10hipError_tT1_T2_PT3_SI_jT4_jjP12ihipStream_tbEUlT_E_NS1_11comp_targetILNS1_3genE4ELNS1_11target_archE910ELNS1_3gpuE8ELNS1_3repE0EEENS1_52radix_sort_onesweep_histogram_config_static_selectorELNS0_4arch9wavefront6targetE1EEEvSG_, .Lfunc_end808-_ZN7rocprim17ROCPRIM_400000_NS6detail17trampoline_kernelINS0_14default_configENS1_35radix_sort_onesweep_config_selectorIiiEEZNS1_34radix_sort_onesweep_global_offsetsIS3_Lb0EN6thrust23THRUST_200600_302600_NS6detail15normal_iteratorINS8_10device_ptrIiEEEESD_jNS0_19identity_decomposerEEE10hipError_tT1_T2_PT3_SI_jT4_jjP12ihipStream_tbEUlT_E_NS1_11comp_targetILNS1_3genE4ELNS1_11target_archE910ELNS1_3gpuE8ELNS1_3repE0EEENS1_52radix_sort_onesweep_histogram_config_static_selectorELNS0_4arch9wavefront6targetE1EEEvSG_
                                        ; -- End function
	.set _ZN7rocprim17ROCPRIM_400000_NS6detail17trampoline_kernelINS0_14default_configENS1_35radix_sort_onesweep_config_selectorIiiEEZNS1_34radix_sort_onesweep_global_offsetsIS3_Lb0EN6thrust23THRUST_200600_302600_NS6detail15normal_iteratorINS8_10device_ptrIiEEEESD_jNS0_19identity_decomposerEEE10hipError_tT1_T2_PT3_SI_jT4_jjP12ihipStream_tbEUlT_E_NS1_11comp_targetILNS1_3genE4ELNS1_11target_archE910ELNS1_3gpuE8ELNS1_3repE0EEENS1_52radix_sort_onesweep_histogram_config_static_selectorELNS0_4arch9wavefront6targetE1EEEvSG_.num_vgpr, 0
	.set _ZN7rocprim17ROCPRIM_400000_NS6detail17trampoline_kernelINS0_14default_configENS1_35radix_sort_onesweep_config_selectorIiiEEZNS1_34radix_sort_onesweep_global_offsetsIS3_Lb0EN6thrust23THRUST_200600_302600_NS6detail15normal_iteratorINS8_10device_ptrIiEEEESD_jNS0_19identity_decomposerEEE10hipError_tT1_T2_PT3_SI_jT4_jjP12ihipStream_tbEUlT_E_NS1_11comp_targetILNS1_3genE4ELNS1_11target_archE910ELNS1_3gpuE8ELNS1_3repE0EEENS1_52radix_sort_onesweep_histogram_config_static_selectorELNS0_4arch9wavefront6targetE1EEEvSG_.num_agpr, 0
	.set _ZN7rocprim17ROCPRIM_400000_NS6detail17trampoline_kernelINS0_14default_configENS1_35radix_sort_onesweep_config_selectorIiiEEZNS1_34radix_sort_onesweep_global_offsetsIS3_Lb0EN6thrust23THRUST_200600_302600_NS6detail15normal_iteratorINS8_10device_ptrIiEEEESD_jNS0_19identity_decomposerEEE10hipError_tT1_T2_PT3_SI_jT4_jjP12ihipStream_tbEUlT_E_NS1_11comp_targetILNS1_3genE4ELNS1_11target_archE910ELNS1_3gpuE8ELNS1_3repE0EEENS1_52radix_sort_onesweep_histogram_config_static_selectorELNS0_4arch9wavefront6targetE1EEEvSG_.numbered_sgpr, 0
	.set _ZN7rocprim17ROCPRIM_400000_NS6detail17trampoline_kernelINS0_14default_configENS1_35radix_sort_onesweep_config_selectorIiiEEZNS1_34radix_sort_onesweep_global_offsetsIS3_Lb0EN6thrust23THRUST_200600_302600_NS6detail15normal_iteratorINS8_10device_ptrIiEEEESD_jNS0_19identity_decomposerEEE10hipError_tT1_T2_PT3_SI_jT4_jjP12ihipStream_tbEUlT_E_NS1_11comp_targetILNS1_3genE4ELNS1_11target_archE910ELNS1_3gpuE8ELNS1_3repE0EEENS1_52radix_sort_onesweep_histogram_config_static_selectorELNS0_4arch9wavefront6targetE1EEEvSG_.num_named_barrier, 0
	.set _ZN7rocprim17ROCPRIM_400000_NS6detail17trampoline_kernelINS0_14default_configENS1_35radix_sort_onesweep_config_selectorIiiEEZNS1_34radix_sort_onesweep_global_offsetsIS3_Lb0EN6thrust23THRUST_200600_302600_NS6detail15normal_iteratorINS8_10device_ptrIiEEEESD_jNS0_19identity_decomposerEEE10hipError_tT1_T2_PT3_SI_jT4_jjP12ihipStream_tbEUlT_E_NS1_11comp_targetILNS1_3genE4ELNS1_11target_archE910ELNS1_3gpuE8ELNS1_3repE0EEENS1_52radix_sort_onesweep_histogram_config_static_selectorELNS0_4arch9wavefront6targetE1EEEvSG_.private_seg_size, 0
	.set _ZN7rocprim17ROCPRIM_400000_NS6detail17trampoline_kernelINS0_14default_configENS1_35radix_sort_onesweep_config_selectorIiiEEZNS1_34radix_sort_onesweep_global_offsetsIS3_Lb0EN6thrust23THRUST_200600_302600_NS6detail15normal_iteratorINS8_10device_ptrIiEEEESD_jNS0_19identity_decomposerEEE10hipError_tT1_T2_PT3_SI_jT4_jjP12ihipStream_tbEUlT_E_NS1_11comp_targetILNS1_3genE4ELNS1_11target_archE910ELNS1_3gpuE8ELNS1_3repE0EEENS1_52radix_sort_onesweep_histogram_config_static_selectorELNS0_4arch9wavefront6targetE1EEEvSG_.uses_vcc, 0
	.set _ZN7rocprim17ROCPRIM_400000_NS6detail17trampoline_kernelINS0_14default_configENS1_35radix_sort_onesweep_config_selectorIiiEEZNS1_34radix_sort_onesweep_global_offsetsIS3_Lb0EN6thrust23THRUST_200600_302600_NS6detail15normal_iteratorINS8_10device_ptrIiEEEESD_jNS0_19identity_decomposerEEE10hipError_tT1_T2_PT3_SI_jT4_jjP12ihipStream_tbEUlT_E_NS1_11comp_targetILNS1_3genE4ELNS1_11target_archE910ELNS1_3gpuE8ELNS1_3repE0EEENS1_52radix_sort_onesweep_histogram_config_static_selectorELNS0_4arch9wavefront6targetE1EEEvSG_.uses_flat_scratch, 0
	.set _ZN7rocprim17ROCPRIM_400000_NS6detail17trampoline_kernelINS0_14default_configENS1_35radix_sort_onesweep_config_selectorIiiEEZNS1_34radix_sort_onesweep_global_offsetsIS3_Lb0EN6thrust23THRUST_200600_302600_NS6detail15normal_iteratorINS8_10device_ptrIiEEEESD_jNS0_19identity_decomposerEEE10hipError_tT1_T2_PT3_SI_jT4_jjP12ihipStream_tbEUlT_E_NS1_11comp_targetILNS1_3genE4ELNS1_11target_archE910ELNS1_3gpuE8ELNS1_3repE0EEENS1_52radix_sort_onesweep_histogram_config_static_selectorELNS0_4arch9wavefront6targetE1EEEvSG_.has_dyn_sized_stack, 0
	.set _ZN7rocprim17ROCPRIM_400000_NS6detail17trampoline_kernelINS0_14default_configENS1_35radix_sort_onesweep_config_selectorIiiEEZNS1_34radix_sort_onesweep_global_offsetsIS3_Lb0EN6thrust23THRUST_200600_302600_NS6detail15normal_iteratorINS8_10device_ptrIiEEEESD_jNS0_19identity_decomposerEEE10hipError_tT1_T2_PT3_SI_jT4_jjP12ihipStream_tbEUlT_E_NS1_11comp_targetILNS1_3genE4ELNS1_11target_archE910ELNS1_3gpuE8ELNS1_3repE0EEENS1_52radix_sort_onesweep_histogram_config_static_selectorELNS0_4arch9wavefront6targetE1EEEvSG_.has_recursion, 0
	.set _ZN7rocprim17ROCPRIM_400000_NS6detail17trampoline_kernelINS0_14default_configENS1_35radix_sort_onesweep_config_selectorIiiEEZNS1_34radix_sort_onesweep_global_offsetsIS3_Lb0EN6thrust23THRUST_200600_302600_NS6detail15normal_iteratorINS8_10device_ptrIiEEEESD_jNS0_19identity_decomposerEEE10hipError_tT1_T2_PT3_SI_jT4_jjP12ihipStream_tbEUlT_E_NS1_11comp_targetILNS1_3genE4ELNS1_11target_archE910ELNS1_3gpuE8ELNS1_3repE0EEENS1_52radix_sort_onesweep_histogram_config_static_selectorELNS0_4arch9wavefront6targetE1EEEvSG_.has_indirect_call, 0
	.section	.AMDGPU.csdata,"",@progbits
; Kernel info:
; codeLenInByte = 0
; TotalNumSgprs: 6
; NumVgprs: 0
; NumAgprs: 0
; TotalNumVgprs: 0
; ScratchSize: 0
; MemoryBound: 0
; FloatMode: 240
; IeeeMode: 1
; LDSByteSize: 0 bytes/workgroup (compile time only)
; SGPRBlocks: 0
; VGPRBlocks: 0
; NumSGPRsForWavesPerEU: 6
; NumVGPRsForWavesPerEU: 1
; AccumOffset: 4
; Occupancy: 8
; WaveLimiterHint : 0
; COMPUTE_PGM_RSRC2:SCRATCH_EN: 0
; COMPUTE_PGM_RSRC2:USER_SGPR: 2
; COMPUTE_PGM_RSRC2:TRAP_HANDLER: 0
; COMPUTE_PGM_RSRC2:TGID_X_EN: 1
; COMPUTE_PGM_RSRC2:TGID_Y_EN: 0
; COMPUTE_PGM_RSRC2:TGID_Z_EN: 0
; COMPUTE_PGM_RSRC2:TIDIG_COMP_CNT: 0
; COMPUTE_PGM_RSRC3_GFX90A:ACCUM_OFFSET: 0
; COMPUTE_PGM_RSRC3_GFX90A:TG_SPLIT: 0
	.section	.text._ZN7rocprim17ROCPRIM_400000_NS6detail17trampoline_kernelINS0_14default_configENS1_35radix_sort_onesweep_config_selectorIiiEEZNS1_34radix_sort_onesweep_global_offsetsIS3_Lb0EN6thrust23THRUST_200600_302600_NS6detail15normal_iteratorINS8_10device_ptrIiEEEESD_jNS0_19identity_decomposerEEE10hipError_tT1_T2_PT3_SI_jT4_jjP12ihipStream_tbEUlT_E_NS1_11comp_targetILNS1_3genE3ELNS1_11target_archE908ELNS1_3gpuE7ELNS1_3repE0EEENS1_52radix_sort_onesweep_histogram_config_static_selectorELNS0_4arch9wavefront6targetE1EEEvSG_,"axG",@progbits,_ZN7rocprim17ROCPRIM_400000_NS6detail17trampoline_kernelINS0_14default_configENS1_35radix_sort_onesweep_config_selectorIiiEEZNS1_34radix_sort_onesweep_global_offsetsIS3_Lb0EN6thrust23THRUST_200600_302600_NS6detail15normal_iteratorINS8_10device_ptrIiEEEESD_jNS0_19identity_decomposerEEE10hipError_tT1_T2_PT3_SI_jT4_jjP12ihipStream_tbEUlT_E_NS1_11comp_targetILNS1_3genE3ELNS1_11target_archE908ELNS1_3gpuE7ELNS1_3repE0EEENS1_52radix_sort_onesweep_histogram_config_static_selectorELNS0_4arch9wavefront6targetE1EEEvSG_,comdat
	.protected	_ZN7rocprim17ROCPRIM_400000_NS6detail17trampoline_kernelINS0_14default_configENS1_35radix_sort_onesweep_config_selectorIiiEEZNS1_34radix_sort_onesweep_global_offsetsIS3_Lb0EN6thrust23THRUST_200600_302600_NS6detail15normal_iteratorINS8_10device_ptrIiEEEESD_jNS0_19identity_decomposerEEE10hipError_tT1_T2_PT3_SI_jT4_jjP12ihipStream_tbEUlT_E_NS1_11comp_targetILNS1_3genE3ELNS1_11target_archE908ELNS1_3gpuE7ELNS1_3repE0EEENS1_52radix_sort_onesweep_histogram_config_static_selectorELNS0_4arch9wavefront6targetE1EEEvSG_ ; -- Begin function _ZN7rocprim17ROCPRIM_400000_NS6detail17trampoline_kernelINS0_14default_configENS1_35radix_sort_onesweep_config_selectorIiiEEZNS1_34radix_sort_onesweep_global_offsetsIS3_Lb0EN6thrust23THRUST_200600_302600_NS6detail15normal_iteratorINS8_10device_ptrIiEEEESD_jNS0_19identity_decomposerEEE10hipError_tT1_T2_PT3_SI_jT4_jjP12ihipStream_tbEUlT_E_NS1_11comp_targetILNS1_3genE3ELNS1_11target_archE908ELNS1_3gpuE7ELNS1_3repE0EEENS1_52radix_sort_onesweep_histogram_config_static_selectorELNS0_4arch9wavefront6targetE1EEEvSG_
	.globl	_ZN7rocprim17ROCPRIM_400000_NS6detail17trampoline_kernelINS0_14default_configENS1_35radix_sort_onesweep_config_selectorIiiEEZNS1_34radix_sort_onesweep_global_offsetsIS3_Lb0EN6thrust23THRUST_200600_302600_NS6detail15normal_iteratorINS8_10device_ptrIiEEEESD_jNS0_19identity_decomposerEEE10hipError_tT1_T2_PT3_SI_jT4_jjP12ihipStream_tbEUlT_E_NS1_11comp_targetILNS1_3genE3ELNS1_11target_archE908ELNS1_3gpuE7ELNS1_3repE0EEENS1_52radix_sort_onesweep_histogram_config_static_selectorELNS0_4arch9wavefront6targetE1EEEvSG_
	.p2align	8
	.type	_ZN7rocprim17ROCPRIM_400000_NS6detail17trampoline_kernelINS0_14default_configENS1_35radix_sort_onesweep_config_selectorIiiEEZNS1_34radix_sort_onesweep_global_offsetsIS3_Lb0EN6thrust23THRUST_200600_302600_NS6detail15normal_iteratorINS8_10device_ptrIiEEEESD_jNS0_19identity_decomposerEEE10hipError_tT1_T2_PT3_SI_jT4_jjP12ihipStream_tbEUlT_E_NS1_11comp_targetILNS1_3genE3ELNS1_11target_archE908ELNS1_3gpuE7ELNS1_3repE0EEENS1_52radix_sort_onesweep_histogram_config_static_selectorELNS0_4arch9wavefront6targetE1EEEvSG_,@function
_ZN7rocprim17ROCPRIM_400000_NS6detail17trampoline_kernelINS0_14default_configENS1_35radix_sort_onesweep_config_selectorIiiEEZNS1_34radix_sort_onesweep_global_offsetsIS3_Lb0EN6thrust23THRUST_200600_302600_NS6detail15normal_iteratorINS8_10device_ptrIiEEEESD_jNS0_19identity_decomposerEEE10hipError_tT1_T2_PT3_SI_jT4_jjP12ihipStream_tbEUlT_E_NS1_11comp_targetILNS1_3genE3ELNS1_11target_archE908ELNS1_3gpuE7ELNS1_3repE0EEENS1_52radix_sort_onesweep_histogram_config_static_selectorELNS0_4arch9wavefront6targetE1EEEvSG_: ; @_ZN7rocprim17ROCPRIM_400000_NS6detail17trampoline_kernelINS0_14default_configENS1_35radix_sort_onesweep_config_selectorIiiEEZNS1_34radix_sort_onesweep_global_offsetsIS3_Lb0EN6thrust23THRUST_200600_302600_NS6detail15normal_iteratorINS8_10device_ptrIiEEEESD_jNS0_19identity_decomposerEEE10hipError_tT1_T2_PT3_SI_jT4_jjP12ihipStream_tbEUlT_E_NS1_11comp_targetILNS1_3genE3ELNS1_11target_archE908ELNS1_3gpuE7ELNS1_3repE0EEENS1_52radix_sort_onesweep_histogram_config_static_selectorELNS0_4arch9wavefront6targetE1EEEvSG_
; %bb.0:
	.section	.rodata,"a",@progbits
	.p2align	6, 0x0
	.amdhsa_kernel _ZN7rocprim17ROCPRIM_400000_NS6detail17trampoline_kernelINS0_14default_configENS1_35radix_sort_onesweep_config_selectorIiiEEZNS1_34radix_sort_onesweep_global_offsetsIS3_Lb0EN6thrust23THRUST_200600_302600_NS6detail15normal_iteratorINS8_10device_ptrIiEEEESD_jNS0_19identity_decomposerEEE10hipError_tT1_T2_PT3_SI_jT4_jjP12ihipStream_tbEUlT_E_NS1_11comp_targetILNS1_3genE3ELNS1_11target_archE908ELNS1_3gpuE7ELNS1_3repE0EEENS1_52radix_sort_onesweep_histogram_config_static_selectorELNS0_4arch9wavefront6targetE1EEEvSG_
		.amdhsa_group_segment_fixed_size 0
		.amdhsa_private_segment_fixed_size 0
		.amdhsa_kernarg_size 40
		.amdhsa_user_sgpr_count 2
		.amdhsa_user_sgpr_dispatch_ptr 0
		.amdhsa_user_sgpr_queue_ptr 0
		.amdhsa_user_sgpr_kernarg_segment_ptr 1
		.amdhsa_user_sgpr_dispatch_id 0
		.amdhsa_user_sgpr_kernarg_preload_length 0
		.amdhsa_user_sgpr_kernarg_preload_offset 0
		.amdhsa_user_sgpr_private_segment_size 0
		.amdhsa_uses_dynamic_stack 0
		.amdhsa_enable_private_segment 0
		.amdhsa_system_sgpr_workgroup_id_x 1
		.amdhsa_system_sgpr_workgroup_id_y 0
		.amdhsa_system_sgpr_workgroup_id_z 0
		.amdhsa_system_sgpr_workgroup_info 0
		.amdhsa_system_vgpr_workitem_id 0
		.amdhsa_next_free_vgpr 1
		.amdhsa_next_free_sgpr 0
		.amdhsa_accum_offset 4
		.amdhsa_reserve_vcc 0
		.amdhsa_float_round_mode_32 0
		.amdhsa_float_round_mode_16_64 0
		.amdhsa_float_denorm_mode_32 3
		.amdhsa_float_denorm_mode_16_64 3
		.amdhsa_dx10_clamp 1
		.amdhsa_ieee_mode 1
		.amdhsa_fp16_overflow 0
		.amdhsa_tg_split 0
		.amdhsa_exception_fp_ieee_invalid_op 0
		.amdhsa_exception_fp_denorm_src 0
		.amdhsa_exception_fp_ieee_div_zero 0
		.amdhsa_exception_fp_ieee_overflow 0
		.amdhsa_exception_fp_ieee_underflow 0
		.amdhsa_exception_fp_ieee_inexact 0
		.amdhsa_exception_int_div_zero 0
	.end_amdhsa_kernel
	.section	.text._ZN7rocprim17ROCPRIM_400000_NS6detail17trampoline_kernelINS0_14default_configENS1_35radix_sort_onesweep_config_selectorIiiEEZNS1_34radix_sort_onesweep_global_offsetsIS3_Lb0EN6thrust23THRUST_200600_302600_NS6detail15normal_iteratorINS8_10device_ptrIiEEEESD_jNS0_19identity_decomposerEEE10hipError_tT1_T2_PT3_SI_jT4_jjP12ihipStream_tbEUlT_E_NS1_11comp_targetILNS1_3genE3ELNS1_11target_archE908ELNS1_3gpuE7ELNS1_3repE0EEENS1_52radix_sort_onesweep_histogram_config_static_selectorELNS0_4arch9wavefront6targetE1EEEvSG_,"axG",@progbits,_ZN7rocprim17ROCPRIM_400000_NS6detail17trampoline_kernelINS0_14default_configENS1_35radix_sort_onesweep_config_selectorIiiEEZNS1_34radix_sort_onesweep_global_offsetsIS3_Lb0EN6thrust23THRUST_200600_302600_NS6detail15normal_iteratorINS8_10device_ptrIiEEEESD_jNS0_19identity_decomposerEEE10hipError_tT1_T2_PT3_SI_jT4_jjP12ihipStream_tbEUlT_E_NS1_11comp_targetILNS1_3genE3ELNS1_11target_archE908ELNS1_3gpuE7ELNS1_3repE0EEENS1_52radix_sort_onesweep_histogram_config_static_selectorELNS0_4arch9wavefront6targetE1EEEvSG_,comdat
.Lfunc_end809:
	.size	_ZN7rocprim17ROCPRIM_400000_NS6detail17trampoline_kernelINS0_14default_configENS1_35radix_sort_onesweep_config_selectorIiiEEZNS1_34radix_sort_onesweep_global_offsetsIS3_Lb0EN6thrust23THRUST_200600_302600_NS6detail15normal_iteratorINS8_10device_ptrIiEEEESD_jNS0_19identity_decomposerEEE10hipError_tT1_T2_PT3_SI_jT4_jjP12ihipStream_tbEUlT_E_NS1_11comp_targetILNS1_3genE3ELNS1_11target_archE908ELNS1_3gpuE7ELNS1_3repE0EEENS1_52radix_sort_onesweep_histogram_config_static_selectorELNS0_4arch9wavefront6targetE1EEEvSG_, .Lfunc_end809-_ZN7rocprim17ROCPRIM_400000_NS6detail17trampoline_kernelINS0_14default_configENS1_35radix_sort_onesweep_config_selectorIiiEEZNS1_34radix_sort_onesweep_global_offsetsIS3_Lb0EN6thrust23THRUST_200600_302600_NS6detail15normal_iteratorINS8_10device_ptrIiEEEESD_jNS0_19identity_decomposerEEE10hipError_tT1_T2_PT3_SI_jT4_jjP12ihipStream_tbEUlT_E_NS1_11comp_targetILNS1_3genE3ELNS1_11target_archE908ELNS1_3gpuE7ELNS1_3repE0EEENS1_52radix_sort_onesweep_histogram_config_static_selectorELNS0_4arch9wavefront6targetE1EEEvSG_
                                        ; -- End function
	.set _ZN7rocprim17ROCPRIM_400000_NS6detail17trampoline_kernelINS0_14default_configENS1_35radix_sort_onesweep_config_selectorIiiEEZNS1_34radix_sort_onesweep_global_offsetsIS3_Lb0EN6thrust23THRUST_200600_302600_NS6detail15normal_iteratorINS8_10device_ptrIiEEEESD_jNS0_19identity_decomposerEEE10hipError_tT1_T2_PT3_SI_jT4_jjP12ihipStream_tbEUlT_E_NS1_11comp_targetILNS1_3genE3ELNS1_11target_archE908ELNS1_3gpuE7ELNS1_3repE0EEENS1_52radix_sort_onesweep_histogram_config_static_selectorELNS0_4arch9wavefront6targetE1EEEvSG_.num_vgpr, 0
	.set _ZN7rocprim17ROCPRIM_400000_NS6detail17trampoline_kernelINS0_14default_configENS1_35radix_sort_onesweep_config_selectorIiiEEZNS1_34radix_sort_onesweep_global_offsetsIS3_Lb0EN6thrust23THRUST_200600_302600_NS6detail15normal_iteratorINS8_10device_ptrIiEEEESD_jNS0_19identity_decomposerEEE10hipError_tT1_T2_PT3_SI_jT4_jjP12ihipStream_tbEUlT_E_NS1_11comp_targetILNS1_3genE3ELNS1_11target_archE908ELNS1_3gpuE7ELNS1_3repE0EEENS1_52radix_sort_onesweep_histogram_config_static_selectorELNS0_4arch9wavefront6targetE1EEEvSG_.num_agpr, 0
	.set _ZN7rocprim17ROCPRIM_400000_NS6detail17trampoline_kernelINS0_14default_configENS1_35radix_sort_onesweep_config_selectorIiiEEZNS1_34radix_sort_onesweep_global_offsetsIS3_Lb0EN6thrust23THRUST_200600_302600_NS6detail15normal_iteratorINS8_10device_ptrIiEEEESD_jNS0_19identity_decomposerEEE10hipError_tT1_T2_PT3_SI_jT4_jjP12ihipStream_tbEUlT_E_NS1_11comp_targetILNS1_3genE3ELNS1_11target_archE908ELNS1_3gpuE7ELNS1_3repE0EEENS1_52radix_sort_onesweep_histogram_config_static_selectorELNS0_4arch9wavefront6targetE1EEEvSG_.numbered_sgpr, 0
	.set _ZN7rocprim17ROCPRIM_400000_NS6detail17trampoline_kernelINS0_14default_configENS1_35radix_sort_onesweep_config_selectorIiiEEZNS1_34radix_sort_onesweep_global_offsetsIS3_Lb0EN6thrust23THRUST_200600_302600_NS6detail15normal_iteratorINS8_10device_ptrIiEEEESD_jNS0_19identity_decomposerEEE10hipError_tT1_T2_PT3_SI_jT4_jjP12ihipStream_tbEUlT_E_NS1_11comp_targetILNS1_3genE3ELNS1_11target_archE908ELNS1_3gpuE7ELNS1_3repE0EEENS1_52radix_sort_onesweep_histogram_config_static_selectorELNS0_4arch9wavefront6targetE1EEEvSG_.num_named_barrier, 0
	.set _ZN7rocprim17ROCPRIM_400000_NS6detail17trampoline_kernelINS0_14default_configENS1_35radix_sort_onesweep_config_selectorIiiEEZNS1_34radix_sort_onesweep_global_offsetsIS3_Lb0EN6thrust23THRUST_200600_302600_NS6detail15normal_iteratorINS8_10device_ptrIiEEEESD_jNS0_19identity_decomposerEEE10hipError_tT1_T2_PT3_SI_jT4_jjP12ihipStream_tbEUlT_E_NS1_11comp_targetILNS1_3genE3ELNS1_11target_archE908ELNS1_3gpuE7ELNS1_3repE0EEENS1_52radix_sort_onesweep_histogram_config_static_selectorELNS0_4arch9wavefront6targetE1EEEvSG_.private_seg_size, 0
	.set _ZN7rocprim17ROCPRIM_400000_NS6detail17trampoline_kernelINS0_14default_configENS1_35radix_sort_onesweep_config_selectorIiiEEZNS1_34radix_sort_onesweep_global_offsetsIS3_Lb0EN6thrust23THRUST_200600_302600_NS6detail15normal_iteratorINS8_10device_ptrIiEEEESD_jNS0_19identity_decomposerEEE10hipError_tT1_T2_PT3_SI_jT4_jjP12ihipStream_tbEUlT_E_NS1_11comp_targetILNS1_3genE3ELNS1_11target_archE908ELNS1_3gpuE7ELNS1_3repE0EEENS1_52radix_sort_onesweep_histogram_config_static_selectorELNS0_4arch9wavefront6targetE1EEEvSG_.uses_vcc, 0
	.set _ZN7rocprim17ROCPRIM_400000_NS6detail17trampoline_kernelINS0_14default_configENS1_35radix_sort_onesweep_config_selectorIiiEEZNS1_34radix_sort_onesweep_global_offsetsIS3_Lb0EN6thrust23THRUST_200600_302600_NS6detail15normal_iteratorINS8_10device_ptrIiEEEESD_jNS0_19identity_decomposerEEE10hipError_tT1_T2_PT3_SI_jT4_jjP12ihipStream_tbEUlT_E_NS1_11comp_targetILNS1_3genE3ELNS1_11target_archE908ELNS1_3gpuE7ELNS1_3repE0EEENS1_52radix_sort_onesweep_histogram_config_static_selectorELNS0_4arch9wavefront6targetE1EEEvSG_.uses_flat_scratch, 0
	.set _ZN7rocprim17ROCPRIM_400000_NS6detail17trampoline_kernelINS0_14default_configENS1_35radix_sort_onesweep_config_selectorIiiEEZNS1_34radix_sort_onesweep_global_offsetsIS3_Lb0EN6thrust23THRUST_200600_302600_NS6detail15normal_iteratorINS8_10device_ptrIiEEEESD_jNS0_19identity_decomposerEEE10hipError_tT1_T2_PT3_SI_jT4_jjP12ihipStream_tbEUlT_E_NS1_11comp_targetILNS1_3genE3ELNS1_11target_archE908ELNS1_3gpuE7ELNS1_3repE0EEENS1_52radix_sort_onesweep_histogram_config_static_selectorELNS0_4arch9wavefront6targetE1EEEvSG_.has_dyn_sized_stack, 0
	.set _ZN7rocprim17ROCPRIM_400000_NS6detail17trampoline_kernelINS0_14default_configENS1_35radix_sort_onesweep_config_selectorIiiEEZNS1_34radix_sort_onesweep_global_offsetsIS3_Lb0EN6thrust23THRUST_200600_302600_NS6detail15normal_iteratorINS8_10device_ptrIiEEEESD_jNS0_19identity_decomposerEEE10hipError_tT1_T2_PT3_SI_jT4_jjP12ihipStream_tbEUlT_E_NS1_11comp_targetILNS1_3genE3ELNS1_11target_archE908ELNS1_3gpuE7ELNS1_3repE0EEENS1_52radix_sort_onesweep_histogram_config_static_selectorELNS0_4arch9wavefront6targetE1EEEvSG_.has_recursion, 0
	.set _ZN7rocprim17ROCPRIM_400000_NS6detail17trampoline_kernelINS0_14default_configENS1_35radix_sort_onesweep_config_selectorIiiEEZNS1_34radix_sort_onesweep_global_offsetsIS3_Lb0EN6thrust23THRUST_200600_302600_NS6detail15normal_iteratorINS8_10device_ptrIiEEEESD_jNS0_19identity_decomposerEEE10hipError_tT1_T2_PT3_SI_jT4_jjP12ihipStream_tbEUlT_E_NS1_11comp_targetILNS1_3genE3ELNS1_11target_archE908ELNS1_3gpuE7ELNS1_3repE0EEENS1_52radix_sort_onesweep_histogram_config_static_selectorELNS0_4arch9wavefront6targetE1EEEvSG_.has_indirect_call, 0
	.section	.AMDGPU.csdata,"",@progbits
; Kernel info:
; codeLenInByte = 0
; TotalNumSgprs: 6
; NumVgprs: 0
; NumAgprs: 0
; TotalNumVgprs: 0
; ScratchSize: 0
; MemoryBound: 0
; FloatMode: 240
; IeeeMode: 1
; LDSByteSize: 0 bytes/workgroup (compile time only)
; SGPRBlocks: 0
; VGPRBlocks: 0
; NumSGPRsForWavesPerEU: 6
; NumVGPRsForWavesPerEU: 1
; AccumOffset: 4
; Occupancy: 8
; WaveLimiterHint : 0
; COMPUTE_PGM_RSRC2:SCRATCH_EN: 0
; COMPUTE_PGM_RSRC2:USER_SGPR: 2
; COMPUTE_PGM_RSRC2:TRAP_HANDLER: 0
; COMPUTE_PGM_RSRC2:TGID_X_EN: 1
; COMPUTE_PGM_RSRC2:TGID_Y_EN: 0
; COMPUTE_PGM_RSRC2:TGID_Z_EN: 0
; COMPUTE_PGM_RSRC2:TIDIG_COMP_CNT: 0
; COMPUTE_PGM_RSRC3_GFX90A:ACCUM_OFFSET: 0
; COMPUTE_PGM_RSRC3_GFX90A:TG_SPLIT: 0
	.section	.text._ZN7rocprim17ROCPRIM_400000_NS6detail17trampoline_kernelINS0_14default_configENS1_35radix_sort_onesweep_config_selectorIiiEEZNS1_34radix_sort_onesweep_global_offsetsIS3_Lb0EN6thrust23THRUST_200600_302600_NS6detail15normal_iteratorINS8_10device_ptrIiEEEESD_jNS0_19identity_decomposerEEE10hipError_tT1_T2_PT3_SI_jT4_jjP12ihipStream_tbEUlT_E_NS1_11comp_targetILNS1_3genE10ELNS1_11target_archE1201ELNS1_3gpuE5ELNS1_3repE0EEENS1_52radix_sort_onesweep_histogram_config_static_selectorELNS0_4arch9wavefront6targetE1EEEvSG_,"axG",@progbits,_ZN7rocprim17ROCPRIM_400000_NS6detail17trampoline_kernelINS0_14default_configENS1_35radix_sort_onesweep_config_selectorIiiEEZNS1_34radix_sort_onesweep_global_offsetsIS3_Lb0EN6thrust23THRUST_200600_302600_NS6detail15normal_iteratorINS8_10device_ptrIiEEEESD_jNS0_19identity_decomposerEEE10hipError_tT1_T2_PT3_SI_jT4_jjP12ihipStream_tbEUlT_E_NS1_11comp_targetILNS1_3genE10ELNS1_11target_archE1201ELNS1_3gpuE5ELNS1_3repE0EEENS1_52radix_sort_onesweep_histogram_config_static_selectorELNS0_4arch9wavefront6targetE1EEEvSG_,comdat
	.protected	_ZN7rocprim17ROCPRIM_400000_NS6detail17trampoline_kernelINS0_14default_configENS1_35radix_sort_onesweep_config_selectorIiiEEZNS1_34radix_sort_onesweep_global_offsetsIS3_Lb0EN6thrust23THRUST_200600_302600_NS6detail15normal_iteratorINS8_10device_ptrIiEEEESD_jNS0_19identity_decomposerEEE10hipError_tT1_T2_PT3_SI_jT4_jjP12ihipStream_tbEUlT_E_NS1_11comp_targetILNS1_3genE10ELNS1_11target_archE1201ELNS1_3gpuE5ELNS1_3repE0EEENS1_52radix_sort_onesweep_histogram_config_static_selectorELNS0_4arch9wavefront6targetE1EEEvSG_ ; -- Begin function _ZN7rocprim17ROCPRIM_400000_NS6detail17trampoline_kernelINS0_14default_configENS1_35radix_sort_onesweep_config_selectorIiiEEZNS1_34radix_sort_onesweep_global_offsetsIS3_Lb0EN6thrust23THRUST_200600_302600_NS6detail15normal_iteratorINS8_10device_ptrIiEEEESD_jNS0_19identity_decomposerEEE10hipError_tT1_T2_PT3_SI_jT4_jjP12ihipStream_tbEUlT_E_NS1_11comp_targetILNS1_3genE10ELNS1_11target_archE1201ELNS1_3gpuE5ELNS1_3repE0EEENS1_52radix_sort_onesweep_histogram_config_static_selectorELNS0_4arch9wavefront6targetE1EEEvSG_
	.globl	_ZN7rocprim17ROCPRIM_400000_NS6detail17trampoline_kernelINS0_14default_configENS1_35radix_sort_onesweep_config_selectorIiiEEZNS1_34radix_sort_onesweep_global_offsetsIS3_Lb0EN6thrust23THRUST_200600_302600_NS6detail15normal_iteratorINS8_10device_ptrIiEEEESD_jNS0_19identity_decomposerEEE10hipError_tT1_T2_PT3_SI_jT4_jjP12ihipStream_tbEUlT_E_NS1_11comp_targetILNS1_3genE10ELNS1_11target_archE1201ELNS1_3gpuE5ELNS1_3repE0EEENS1_52radix_sort_onesweep_histogram_config_static_selectorELNS0_4arch9wavefront6targetE1EEEvSG_
	.p2align	8
	.type	_ZN7rocprim17ROCPRIM_400000_NS6detail17trampoline_kernelINS0_14default_configENS1_35radix_sort_onesweep_config_selectorIiiEEZNS1_34radix_sort_onesweep_global_offsetsIS3_Lb0EN6thrust23THRUST_200600_302600_NS6detail15normal_iteratorINS8_10device_ptrIiEEEESD_jNS0_19identity_decomposerEEE10hipError_tT1_T2_PT3_SI_jT4_jjP12ihipStream_tbEUlT_E_NS1_11comp_targetILNS1_3genE10ELNS1_11target_archE1201ELNS1_3gpuE5ELNS1_3repE0EEENS1_52radix_sort_onesweep_histogram_config_static_selectorELNS0_4arch9wavefront6targetE1EEEvSG_,@function
_ZN7rocprim17ROCPRIM_400000_NS6detail17trampoline_kernelINS0_14default_configENS1_35radix_sort_onesweep_config_selectorIiiEEZNS1_34radix_sort_onesweep_global_offsetsIS3_Lb0EN6thrust23THRUST_200600_302600_NS6detail15normal_iteratorINS8_10device_ptrIiEEEESD_jNS0_19identity_decomposerEEE10hipError_tT1_T2_PT3_SI_jT4_jjP12ihipStream_tbEUlT_E_NS1_11comp_targetILNS1_3genE10ELNS1_11target_archE1201ELNS1_3gpuE5ELNS1_3repE0EEENS1_52radix_sort_onesweep_histogram_config_static_selectorELNS0_4arch9wavefront6targetE1EEEvSG_: ; @_ZN7rocprim17ROCPRIM_400000_NS6detail17trampoline_kernelINS0_14default_configENS1_35radix_sort_onesweep_config_selectorIiiEEZNS1_34radix_sort_onesweep_global_offsetsIS3_Lb0EN6thrust23THRUST_200600_302600_NS6detail15normal_iteratorINS8_10device_ptrIiEEEESD_jNS0_19identity_decomposerEEE10hipError_tT1_T2_PT3_SI_jT4_jjP12ihipStream_tbEUlT_E_NS1_11comp_targetILNS1_3genE10ELNS1_11target_archE1201ELNS1_3gpuE5ELNS1_3repE0EEENS1_52radix_sort_onesweep_histogram_config_static_selectorELNS0_4arch9wavefront6targetE1EEEvSG_
; %bb.0:
	.section	.rodata,"a",@progbits
	.p2align	6, 0x0
	.amdhsa_kernel _ZN7rocprim17ROCPRIM_400000_NS6detail17trampoline_kernelINS0_14default_configENS1_35radix_sort_onesweep_config_selectorIiiEEZNS1_34radix_sort_onesweep_global_offsetsIS3_Lb0EN6thrust23THRUST_200600_302600_NS6detail15normal_iteratorINS8_10device_ptrIiEEEESD_jNS0_19identity_decomposerEEE10hipError_tT1_T2_PT3_SI_jT4_jjP12ihipStream_tbEUlT_E_NS1_11comp_targetILNS1_3genE10ELNS1_11target_archE1201ELNS1_3gpuE5ELNS1_3repE0EEENS1_52radix_sort_onesweep_histogram_config_static_selectorELNS0_4arch9wavefront6targetE1EEEvSG_
		.amdhsa_group_segment_fixed_size 0
		.amdhsa_private_segment_fixed_size 0
		.amdhsa_kernarg_size 40
		.amdhsa_user_sgpr_count 2
		.amdhsa_user_sgpr_dispatch_ptr 0
		.amdhsa_user_sgpr_queue_ptr 0
		.amdhsa_user_sgpr_kernarg_segment_ptr 1
		.amdhsa_user_sgpr_dispatch_id 0
		.amdhsa_user_sgpr_kernarg_preload_length 0
		.amdhsa_user_sgpr_kernarg_preload_offset 0
		.amdhsa_user_sgpr_private_segment_size 0
		.amdhsa_uses_dynamic_stack 0
		.amdhsa_enable_private_segment 0
		.amdhsa_system_sgpr_workgroup_id_x 1
		.amdhsa_system_sgpr_workgroup_id_y 0
		.amdhsa_system_sgpr_workgroup_id_z 0
		.amdhsa_system_sgpr_workgroup_info 0
		.amdhsa_system_vgpr_workitem_id 0
		.amdhsa_next_free_vgpr 1
		.amdhsa_next_free_sgpr 0
		.amdhsa_accum_offset 4
		.amdhsa_reserve_vcc 0
		.amdhsa_float_round_mode_32 0
		.amdhsa_float_round_mode_16_64 0
		.amdhsa_float_denorm_mode_32 3
		.amdhsa_float_denorm_mode_16_64 3
		.amdhsa_dx10_clamp 1
		.amdhsa_ieee_mode 1
		.amdhsa_fp16_overflow 0
		.amdhsa_tg_split 0
		.amdhsa_exception_fp_ieee_invalid_op 0
		.amdhsa_exception_fp_denorm_src 0
		.amdhsa_exception_fp_ieee_div_zero 0
		.amdhsa_exception_fp_ieee_overflow 0
		.amdhsa_exception_fp_ieee_underflow 0
		.amdhsa_exception_fp_ieee_inexact 0
		.amdhsa_exception_int_div_zero 0
	.end_amdhsa_kernel
	.section	.text._ZN7rocprim17ROCPRIM_400000_NS6detail17trampoline_kernelINS0_14default_configENS1_35radix_sort_onesweep_config_selectorIiiEEZNS1_34radix_sort_onesweep_global_offsetsIS3_Lb0EN6thrust23THRUST_200600_302600_NS6detail15normal_iteratorINS8_10device_ptrIiEEEESD_jNS0_19identity_decomposerEEE10hipError_tT1_T2_PT3_SI_jT4_jjP12ihipStream_tbEUlT_E_NS1_11comp_targetILNS1_3genE10ELNS1_11target_archE1201ELNS1_3gpuE5ELNS1_3repE0EEENS1_52radix_sort_onesweep_histogram_config_static_selectorELNS0_4arch9wavefront6targetE1EEEvSG_,"axG",@progbits,_ZN7rocprim17ROCPRIM_400000_NS6detail17trampoline_kernelINS0_14default_configENS1_35radix_sort_onesweep_config_selectorIiiEEZNS1_34radix_sort_onesweep_global_offsetsIS3_Lb0EN6thrust23THRUST_200600_302600_NS6detail15normal_iteratorINS8_10device_ptrIiEEEESD_jNS0_19identity_decomposerEEE10hipError_tT1_T2_PT3_SI_jT4_jjP12ihipStream_tbEUlT_E_NS1_11comp_targetILNS1_3genE10ELNS1_11target_archE1201ELNS1_3gpuE5ELNS1_3repE0EEENS1_52radix_sort_onesweep_histogram_config_static_selectorELNS0_4arch9wavefront6targetE1EEEvSG_,comdat
.Lfunc_end810:
	.size	_ZN7rocprim17ROCPRIM_400000_NS6detail17trampoline_kernelINS0_14default_configENS1_35radix_sort_onesweep_config_selectorIiiEEZNS1_34radix_sort_onesweep_global_offsetsIS3_Lb0EN6thrust23THRUST_200600_302600_NS6detail15normal_iteratorINS8_10device_ptrIiEEEESD_jNS0_19identity_decomposerEEE10hipError_tT1_T2_PT3_SI_jT4_jjP12ihipStream_tbEUlT_E_NS1_11comp_targetILNS1_3genE10ELNS1_11target_archE1201ELNS1_3gpuE5ELNS1_3repE0EEENS1_52radix_sort_onesweep_histogram_config_static_selectorELNS0_4arch9wavefront6targetE1EEEvSG_, .Lfunc_end810-_ZN7rocprim17ROCPRIM_400000_NS6detail17trampoline_kernelINS0_14default_configENS1_35radix_sort_onesweep_config_selectorIiiEEZNS1_34radix_sort_onesweep_global_offsetsIS3_Lb0EN6thrust23THRUST_200600_302600_NS6detail15normal_iteratorINS8_10device_ptrIiEEEESD_jNS0_19identity_decomposerEEE10hipError_tT1_T2_PT3_SI_jT4_jjP12ihipStream_tbEUlT_E_NS1_11comp_targetILNS1_3genE10ELNS1_11target_archE1201ELNS1_3gpuE5ELNS1_3repE0EEENS1_52radix_sort_onesweep_histogram_config_static_selectorELNS0_4arch9wavefront6targetE1EEEvSG_
                                        ; -- End function
	.set _ZN7rocprim17ROCPRIM_400000_NS6detail17trampoline_kernelINS0_14default_configENS1_35radix_sort_onesweep_config_selectorIiiEEZNS1_34radix_sort_onesweep_global_offsetsIS3_Lb0EN6thrust23THRUST_200600_302600_NS6detail15normal_iteratorINS8_10device_ptrIiEEEESD_jNS0_19identity_decomposerEEE10hipError_tT1_T2_PT3_SI_jT4_jjP12ihipStream_tbEUlT_E_NS1_11comp_targetILNS1_3genE10ELNS1_11target_archE1201ELNS1_3gpuE5ELNS1_3repE0EEENS1_52radix_sort_onesweep_histogram_config_static_selectorELNS0_4arch9wavefront6targetE1EEEvSG_.num_vgpr, 0
	.set _ZN7rocprim17ROCPRIM_400000_NS6detail17trampoline_kernelINS0_14default_configENS1_35radix_sort_onesweep_config_selectorIiiEEZNS1_34radix_sort_onesweep_global_offsetsIS3_Lb0EN6thrust23THRUST_200600_302600_NS6detail15normal_iteratorINS8_10device_ptrIiEEEESD_jNS0_19identity_decomposerEEE10hipError_tT1_T2_PT3_SI_jT4_jjP12ihipStream_tbEUlT_E_NS1_11comp_targetILNS1_3genE10ELNS1_11target_archE1201ELNS1_3gpuE5ELNS1_3repE0EEENS1_52radix_sort_onesweep_histogram_config_static_selectorELNS0_4arch9wavefront6targetE1EEEvSG_.num_agpr, 0
	.set _ZN7rocprim17ROCPRIM_400000_NS6detail17trampoline_kernelINS0_14default_configENS1_35radix_sort_onesweep_config_selectorIiiEEZNS1_34radix_sort_onesweep_global_offsetsIS3_Lb0EN6thrust23THRUST_200600_302600_NS6detail15normal_iteratorINS8_10device_ptrIiEEEESD_jNS0_19identity_decomposerEEE10hipError_tT1_T2_PT3_SI_jT4_jjP12ihipStream_tbEUlT_E_NS1_11comp_targetILNS1_3genE10ELNS1_11target_archE1201ELNS1_3gpuE5ELNS1_3repE0EEENS1_52radix_sort_onesweep_histogram_config_static_selectorELNS0_4arch9wavefront6targetE1EEEvSG_.numbered_sgpr, 0
	.set _ZN7rocprim17ROCPRIM_400000_NS6detail17trampoline_kernelINS0_14default_configENS1_35radix_sort_onesweep_config_selectorIiiEEZNS1_34radix_sort_onesweep_global_offsetsIS3_Lb0EN6thrust23THRUST_200600_302600_NS6detail15normal_iteratorINS8_10device_ptrIiEEEESD_jNS0_19identity_decomposerEEE10hipError_tT1_T2_PT3_SI_jT4_jjP12ihipStream_tbEUlT_E_NS1_11comp_targetILNS1_3genE10ELNS1_11target_archE1201ELNS1_3gpuE5ELNS1_3repE0EEENS1_52radix_sort_onesweep_histogram_config_static_selectorELNS0_4arch9wavefront6targetE1EEEvSG_.num_named_barrier, 0
	.set _ZN7rocprim17ROCPRIM_400000_NS6detail17trampoline_kernelINS0_14default_configENS1_35radix_sort_onesweep_config_selectorIiiEEZNS1_34radix_sort_onesweep_global_offsetsIS3_Lb0EN6thrust23THRUST_200600_302600_NS6detail15normal_iteratorINS8_10device_ptrIiEEEESD_jNS0_19identity_decomposerEEE10hipError_tT1_T2_PT3_SI_jT4_jjP12ihipStream_tbEUlT_E_NS1_11comp_targetILNS1_3genE10ELNS1_11target_archE1201ELNS1_3gpuE5ELNS1_3repE0EEENS1_52radix_sort_onesweep_histogram_config_static_selectorELNS0_4arch9wavefront6targetE1EEEvSG_.private_seg_size, 0
	.set _ZN7rocprim17ROCPRIM_400000_NS6detail17trampoline_kernelINS0_14default_configENS1_35radix_sort_onesweep_config_selectorIiiEEZNS1_34radix_sort_onesweep_global_offsetsIS3_Lb0EN6thrust23THRUST_200600_302600_NS6detail15normal_iteratorINS8_10device_ptrIiEEEESD_jNS0_19identity_decomposerEEE10hipError_tT1_T2_PT3_SI_jT4_jjP12ihipStream_tbEUlT_E_NS1_11comp_targetILNS1_3genE10ELNS1_11target_archE1201ELNS1_3gpuE5ELNS1_3repE0EEENS1_52radix_sort_onesweep_histogram_config_static_selectorELNS0_4arch9wavefront6targetE1EEEvSG_.uses_vcc, 0
	.set _ZN7rocprim17ROCPRIM_400000_NS6detail17trampoline_kernelINS0_14default_configENS1_35radix_sort_onesweep_config_selectorIiiEEZNS1_34radix_sort_onesweep_global_offsetsIS3_Lb0EN6thrust23THRUST_200600_302600_NS6detail15normal_iteratorINS8_10device_ptrIiEEEESD_jNS0_19identity_decomposerEEE10hipError_tT1_T2_PT3_SI_jT4_jjP12ihipStream_tbEUlT_E_NS1_11comp_targetILNS1_3genE10ELNS1_11target_archE1201ELNS1_3gpuE5ELNS1_3repE0EEENS1_52radix_sort_onesweep_histogram_config_static_selectorELNS0_4arch9wavefront6targetE1EEEvSG_.uses_flat_scratch, 0
	.set _ZN7rocprim17ROCPRIM_400000_NS6detail17trampoline_kernelINS0_14default_configENS1_35radix_sort_onesweep_config_selectorIiiEEZNS1_34radix_sort_onesweep_global_offsetsIS3_Lb0EN6thrust23THRUST_200600_302600_NS6detail15normal_iteratorINS8_10device_ptrIiEEEESD_jNS0_19identity_decomposerEEE10hipError_tT1_T2_PT3_SI_jT4_jjP12ihipStream_tbEUlT_E_NS1_11comp_targetILNS1_3genE10ELNS1_11target_archE1201ELNS1_3gpuE5ELNS1_3repE0EEENS1_52radix_sort_onesweep_histogram_config_static_selectorELNS0_4arch9wavefront6targetE1EEEvSG_.has_dyn_sized_stack, 0
	.set _ZN7rocprim17ROCPRIM_400000_NS6detail17trampoline_kernelINS0_14default_configENS1_35radix_sort_onesweep_config_selectorIiiEEZNS1_34radix_sort_onesweep_global_offsetsIS3_Lb0EN6thrust23THRUST_200600_302600_NS6detail15normal_iteratorINS8_10device_ptrIiEEEESD_jNS0_19identity_decomposerEEE10hipError_tT1_T2_PT3_SI_jT4_jjP12ihipStream_tbEUlT_E_NS1_11comp_targetILNS1_3genE10ELNS1_11target_archE1201ELNS1_3gpuE5ELNS1_3repE0EEENS1_52radix_sort_onesweep_histogram_config_static_selectorELNS0_4arch9wavefront6targetE1EEEvSG_.has_recursion, 0
	.set _ZN7rocprim17ROCPRIM_400000_NS6detail17trampoline_kernelINS0_14default_configENS1_35radix_sort_onesweep_config_selectorIiiEEZNS1_34radix_sort_onesweep_global_offsetsIS3_Lb0EN6thrust23THRUST_200600_302600_NS6detail15normal_iteratorINS8_10device_ptrIiEEEESD_jNS0_19identity_decomposerEEE10hipError_tT1_T2_PT3_SI_jT4_jjP12ihipStream_tbEUlT_E_NS1_11comp_targetILNS1_3genE10ELNS1_11target_archE1201ELNS1_3gpuE5ELNS1_3repE0EEENS1_52radix_sort_onesweep_histogram_config_static_selectorELNS0_4arch9wavefront6targetE1EEEvSG_.has_indirect_call, 0
	.section	.AMDGPU.csdata,"",@progbits
; Kernel info:
; codeLenInByte = 0
; TotalNumSgprs: 6
; NumVgprs: 0
; NumAgprs: 0
; TotalNumVgprs: 0
; ScratchSize: 0
; MemoryBound: 0
; FloatMode: 240
; IeeeMode: 1
; LDSByteSize: 0 bytes/workgroup (compile time only)
; SGPRBlocks: 0
; VGPRBlocks: 0
; NumSGPRsForWavesPerEU: 6
; NumVGPRsForWavesPerEU: 1
; AccumOffset: 4
; Occupancy: 8
; WaveLimiterHint : 0
; COMPUTE_PGM_RSRC2:SCRATCH_EN: 0
; COMPUTE_PGM_RSRC2:USER_SGPR: 2
; COMPUTE_PGM_RSRC2:TRAP_HANDLER: 0
; COMPUTE_PGM_RSRC2:TGID_X_EN: 1
; COMPUTE_PGM_RSRC2:TGID_Y_EN: 0
; COMPUTE_PGM_RSRC2:TGID_Z_EN: 0
; COMPUTE_PGM_RSRC2:TIDIG_COMP_CNT: 0
; COMPUTE_PGM_RSRC3_GFX90A:ACCUM_OFFSET: 0
; COMPUTE_PGM_RSRC3_GFX90A:TG_SPLIT: 0
	.section	.text._ZN7rocprim17ROCPRIM_400000_NS6detail17trampoline_kernelINS0_14default_configENS1_35radix_sort_onesweep_config_selectorIiiEEZNS1_34radix_sort_onesweep_global_offsetsIS3_Lb0EN6thrust23THRUST_200600_302600_NS6detail15normal_iteratorINS8_10device_ptrIiEEEESD_jNS0_19identity_decomposerEEE10hipError_tT1_T2_PT3_SI_jT4_jjP12ihipStream_tbEUlT_E_NS1_11comp_targetILNS1_3genE9ELNS1_11target_archE1100ELNS1_3gpuE3ELNS1_3repE0EEENS1_52radix_sort_onesweep_histogram_config_static_selectorELNS0_4arch9wavefront6targetE1EEEvSG_,"axG",@progbits,_ZN7rocprim17ROCPRIM_400000_NS6detail17trampoline_kernelINS0_14default_configENS1_35radix_sort_onesweep_config_selectorIiiEEZNS1_34radix_sort_onesweep_global_offsetsIS3_Lb0EN6thrust23THRUST_200600_302600_NS6detail15normal_iteratorINS8_10device_ptrIiEEEESD_jNS0_19identity_decomposerEEE10hipError_tT1_T2_PT3_SI_jT4_jjP12ihipStream_tbEUlT_E_NS1_11comp_targetILNS1_3genE9ELNS1_11target_archE1100ELNS1_3gpuE3ELNS1_3repE0EEENS1_52radix_sort_onesweep_histogram_config_static_selectorELNS0_4arch9wavefront6targetE1EEEvSG_,comdat
	.protected	_ZN7rocprim17ROCPRIM_400000_NS6detail17trampoline_kernelINS0_14default_configENS1_35radix_sort_onesweep_config_selectorIiiEEZNS1_34radix_sort_onesweep_global_offsetsIS3_Lb0EN6thrust23THRUST_200600_302600_NS6detail15normal_iteratorINS8_10device_ptrIiEEEESD_jNS0_19identity_decomposerEEE10hipError_tT1_T2_PT3_SI_jT4_jjP12ihipStream_tbEUlT_E_NS1_11comp_targetILNS1_3genE9ELNS1_11target_archE1100ELNS1_3gpuE3ELNS1_3repE0EEENS1_52radix_sort_onesweep_histogram_config_static_selectorELNS0_4arch9wavefront6targetE1EEEvSG_ ; -- Begin function _ZN7rocprim17ROCPRIM_400000_NS6detail17trampoline_kernelINS0_14default_configENS1_35radix_sort_onesweep_config_selectorIiiEEZNS1_34radix_sort_onesweep_global_offsetsIS3_Lb0EN6thrust23THRUST_200600_302600_NS6detail15normal_iteratorINS8_10device_ptrIiEEEESD_jNS0_19identity_decomposerEEE10hipError_tT1_T2_PT3_SI_jT4_jjP12ihipStream_tbEUlT_E_NS1_11comp_targetILNS1_3genE9ELNS1_11target_archE1100ELNS1_3gpuE3ELNS1_3repE0EEENS1_52radix_sort_onesweep_histogram_config_static_selectorELNS0_4arch9wavefront6targetE1EEEvSG_
	.globl	_ZN7rocprim17ROCPRIM_400000_NS6detail17trampoline_kernelINS0_14default_configENS1_35radix_sort_onesweep_config_selectorIiiEEZNS1_34radix_sort_onesweep_global_offsetsIS3_Lb0EN6thrust23THRUST_200600_302600_NS6detail15normal_iteratorINS8_10device_ptrIiEEEESD_jNS0_19identity_decomposerEEE10hipError_tT1_T2_PT3_SI_jT4_jjP12ihipStream_tbEUlT_E_NS1_11comp_targetILNS1_3genE9ELNS1_11target_archE1100ELNS1_3gpuE3ELNS1_3repE0EEENS1_52radix_sort_onesweep_histogram_config_static_selectorELNS0_4arch9wavefront6targetE1EEEvSG_
	.p2align	8
	.type	_ZN7rocprim17ROCPRIM_400000_NS6detail17trampoline_kernelINS0_14default_configENS1_35radix_sort_onesweep_config_selectorIiiEEZNS1_34radix_sort_onesweep_global_offsetsIS3_Lb0EN6thrust23THRUST_200600_302600_NS6detail15normal_iteratorINS8_10device_ptrIiEEEESD_jNS0_19identity_decomposerEEE10hipError_tT1_T2_PT3_SI_jT4_jjP12ihipStream_tbEUlT_E_NS1_11comp_targetILNS1_3genE9ELNS1_11target_archE1100ELNS1_3gpuE3ELNS1_3repE0EEENS1_52radix_sort_onesweep_histogram_config_static_selectorELNS0_4arch9wavefront6targetE1EEEvSG_,@function
_ZN7rocprim17ROCPRIM_400000_NS6detail17trampoline_kernelINS0_14default_configENS1_35radix_sort_onesweep_config_selectorIiiEEZNS1_34radix_sort_onesweep_global_offsetsIS3_Lb0EN6thrust23THRUST_200600_302600_NS6detail15normal_iteratorINS8_10device_ptrIiEEEESD_jNS0_19identity_decomposerEEE10hipError_tT1_T2_PT3_SI_jT4_jjP12ihipStream_tbEUlT_E_NS1_11comp_targetILNS1_3genE9ELNS1_11target_archE1100ELNS1_3gpuE3ELNS1_3repE0EEENS1_52radix_sort_onesweep_histogram_config_static_selectorELNS0_4arch9wavefront6targetE1EEEvSG_: ; @_ZN7rocprim17ROCPRIM_400000_NS6detail17trampoline_kernelINS0_14default_configENS1_35radix_sort_onesweep_config_selectorIiiEEZNS1_34radix_sort_onesweep_global_offsetsIS3_Lb0EN6thrust23THRUST_200600_302600_NS6detail15normal_iteratorINS8_10device_ptrIiEEEESD_jNS0_19identity_decomposerEEE10hipError_tT1_T2_PT3_SI_jT4_jjP12ihipStream_tbEUlT_E_NS1_11comp_targetILNS1_3genE9ELNS1_11target_archE1100ELNS1_3gpuE3ELNS1_3repE0EEENS1_52radix_sort_onesweep_histogram_config_static_selectorELNS0_4arch9wavefront6targetE1EEEvSG_
; %bb.0:
	.section	.rodata,"a",@progbits
	.p2align	6, 0x0
	.amdhsa_kernel _ZN7rocprim17ROCPRIM_400000_NS6detail17trampoline_kernelINS0_14default_configENS1_35radix_sort_onesweep_config_selectorIiiEEZNS1_34radix_sort_onesweep_global_offsetsIS3_Lb0EN6thrust23THRUST_200600_302600_NS6detail15normal_iteratorINS8_10device_ptrIiEEEESD_jNS0_19identity_decomposerEEE10hipError_tT1_T2_PT3_SI_jT4_jjP12ihipStream_tbEUlT_E_NS1_11comp_targetILNS1_3genE9ELNS1_11target_archE1100ELNS1_3gpuE3ELNS1_3repE0EEENS1_52radix_sort_onesweep_histogram_config_static_selectorELNS0_4arch9wavefront6targetE1EEEvSG_
		.amdhsa_group_segment_fixed_size 0
		.amdhsa_private_segment_fixed_size 0
		.amdhsa_kernarg_size 40
		.amdhsa_user_sgpr_count 2
		.amdhsa_user_sgpr_dispatch_ptr 0
		.amdhsa_user_sgpr_queue_ptr 0
		.amdhsa_user_sgpr_kernarg_segment_ptr 1
		.amdhsa_user_sgpr_dispatch_id 0
		.amdhsa_user_sgpr_kernarg_preload_length 0
		.amdhsa_user_sgpr_kernarg_preload_offset 0
		.amdhsa_user_sgpr_private_segment_size 0
		.amdhsa_uses_dynamic_stack 0
		.amdhsa_enable_private_segment 0
		.amdhsa_system_sgpr_workgroup_id_x 1
		.amdhsa_system_sgpr_workgroup_id_y 0
		.amdhsa_system_sgpr_workgroup_id_z 0
		.amdhsa_system_sgpr_workgroup_info 0
		.amdhsa_system_vgpr_workitem_id 0
		.amdhsa_next_free_vgpr 1
		.amdhsa_next_free_sgpr 0
		.amdhsa_accum_offset 4
		.amdhsa_reserve_vcc 0
		.amdhsa_float_round_mode_32 0
		.amdhsa_float_round_mode_16_64 0
		.amdhsa_float_denorm_mode_32 3
		.amdhsa_float_denorm_mode_16_64 3
		.amdhsa_dx10_clamp 1
		.amdhsa_ieee_mode 1
		.amdhsa_fp16_overflow 0
		.amdhsa_tg_split 0
		.amdhsa_exception_fp_ieee_invalid_op 0
		.amdhsa_exception_fp_denorm_src 0
		.amdhsa_exception_fp_ieee_div_zero 0
		.amdhsa_exception_fp_ieee_overflow 0
		.amdhsa_exception_fp_ieee_underflow 0
		.amdhsa_exception_fp_ieee_inexact 0
		.amdhsa_exception_int_div_zero 0
	.end_amdhsa_kernel
	.section	.text._ZN7rocprim17ROCPRIM_400000_NS6detail17trampoline_kernelINS0_14default_configENS1_35radix_sort_onesweep_config_selectorIiiEEZNS1_34radix_sort_onesweep_global_offsetsIS3_Lb0EN6thrust23THRUST_200600_302600_NS6detail15normal_iteratorINS8_10device_ptrIiEEEESD_jNS0_19identity_decomposerEEE10hipError_tT1_T2_PT3_SI_jT4_jjP12ihipStream_tbEUlT_E_NS1_11comp_targetILNS1_3genE9ELNS1_11target_archE1100ELNS1_3gpuE3ELNS1_3repE0EEENS1_52radix_sort_onesweep_histogram_config_static_selectorELNS0_4arch9wavefront6targetE1EEEvSG_,"axG",@progbits,_ZN7rocprim17ROCPRIM_400000_NS6detail17trampoline_kernelINS0_14default_configENS1_35radix_sort_onesweep_config_selectorIiiEEZNS1_34radix_sort_onesweep_global_offsetsIS3_Lb0EN6thrust23THRUST_200600_302600_NS6detail15normal_iteratorINS8_10device_ptrIiEEEESD_jNS0_19identity_decomposerEEE10hipError_tT1_T2_PT3_SI_jT4_jjP12ihipStream_tbEUlT_E_NS1_11comp_targetILNS1_3genE9ELNS1_11target_archE1100ELNS1_3gpuE3ELNS1_3repE0EEENS1_52radix_sort_onesweep_histogram_config_static_selectorELNS0_4arch9wavefront6targetE1EEEvSG_,comdat
.Lfunc_end811:
	.size	_ZN7rocprim17ROCPRIM_400000_NS6detail17trampoline_kernelINS0_14default_configENS1_35radix_sort_onesweep_config_selectorIiiEEZNS1_34radix_sort_onesweep_global_offsetsIS3_Lb0EN6thrust23THRUST_200600_302600_NS6detail15normal_iteratorINS8_10device_ptrIiEEEESD_jNS0_19identity_decomposerEEE10hipError_tT1_T2_PT3_SI_jT4_jjP12ihipStream_tbEUlT_E_NS1_11comp_targetILNS1_3genE9ELNS1_11target_archE1100ELNS1_3gpuE3ELNS1_3repE0EEENS1_52radix_sort_onesweep_histogram_config_static_selectorELNS0_4arch9wavefront6targetE1EEEvSG_, .Lfunc_end811-_ZN7rocprim17ROCPRIM_400000_NS6detail17trampoline_kernelINS0_14default_configENS1_35radix_sort_onesweep_config_selectorIiiEEZNS1_34radix_sort_onesweep_global_offsetsIS3_Lb0EN6thrust23THRUST_200600_302600_NS6detail15normal_iteratorINS8_10device_ptrIiEEEESD_jNS0_19identity_decomposerEEE10hipError_tT1_T2_PT3_SI_jT4_jjP12ihipStream_tbEUlT_E_NS1_11comp_targetILNS1_3genE9ELNS1_11target_archE1100ELNS1_3gpuE3ELNS1_3repE0EEENS1_52radix_sort_onesweep_histogram_config_static_selectorELNS0_4arch9wavefront6targetE1EEEvSG_
                                        ; -- End function
	.set _ZN7rocprim17ROCPRIM_400000_NS6detail17trampoline_kernelINS0_14default_configENS1_35radix_sort_onesweep_config_selectorIiiEEZNS1_34radix_sort_onesweep_global_offsetsIS3_Lb0EN6thrust23THRUST_200600_302600_NS6detail15normal_iteratorINS8_10device_ptrIiEEEESD_jNS0_19identity_decomposerEEE10hipError_tT1_T2_PT3_SI_jT4_jjP12ihipStream_tbEUlT_E_NS1_11comp_targetILNS1_3genE9ELNS1_11target_archE1100ELNS1_3gpuE3ELNS1_3repE0EEENS1_52radix_sort_onesweep_histogram_config_static_selectorELNS0_4arch9wavefront6targetE1EEEvSG_.num_vgpr, 0
	.set _ZN7rocprim17ROCPRIM_400000_NS6detail17trampoline_kernelINS0_14default_configENS1_35radix_sort_onesweep_config_selectorIiiEEZNS1_34radix_sort_onesweep_global_offsetsIS3_Lb0EN6thrust23THRUST_200600_302600_NS6detail15normal_iteratorINS8_10device_ptrIiEEEESD_jNS0_19identity_decomposerEEE10hipError_tT1_T2_PT3_SI_jT4_jjP12ihipStream_tbEUlT_E_NS1_11comp_targetILNS1_3genE9ELNS1_11target_archE1100ELNS1_3gpuE3ELNS1_3repE0EEENS1_52radix_sort_onesweep_histogram_config_static_selectorELNS0_4arch9wavefront6targetE1EEEvSG_.num_agpr, 0
	.set _ZN7rocprim17ROCPRIM_400000_NS6detail17trampoline_kernelINS0_14default_configENS1_35radix_sort_onesweep_config_selectorIiiEEZNS1_34radix_sort_onesweep_global_offsetsIS3_Lb0EN6thrust23THRUST_200600_302600_NS6detail15normal_iteratorINS8_10device_ptrIiEEEESD_jNS0_19identity_decomposerEEE10hipError_tT1_T2_PT3_SI_jT4_jjP12ihipStream_tbEUlT_E_NS1_11comp_targetILNS1_3genE9ELNS1_11target_archE1100ELNS1_3gpuE3ELNS1_3repE0EEENS1_52radix_sort_onesweep_histogram_config_static_selectorELNS0_4arch9wavefront6targetE1EEEvSG_.numbered_sgpr, 0
	.set _ZN7rocprim17ROCPRIM_400000_NS6detail17trampoline_kernelINS0_14default_configENS1_35radix_sort_onesweep_config_selectorIiiEEZNS1_34radix_sort_onesweep_global_offsetsIS3_Lb0EN6thrust23THRUST_200600_302600_NS6detail15normal_iteratorINS8_10device_ptrIiEEEESD_jNS0_19identity_decomposerEEE10hipError_tT1_T2_PT3_SI_jT4_jjP12ihipStream_tbEUlT_E_NS1_11comp_targetILNS1_3genE9ELNS1_11target_archE1100ELNS1_3gpuE3ELNS1_3repE0EEENS1_52radix_sort_onesweep_histogram_config_static_selectorELNS0_4arch9wavefront6targetE1EEEvSG_.num_named_barrier, 0
	.set _ZN7rocprim17ROCPRIM_400000_NS6detail17trampoline_kernelINS0_14default_configENS1_35radix_sort_onesweep_config_selectorIiiEEZNS1_34radix_sort_onesweep_global_offsetsIS3_Lb0EN6thrust23THRUST_200600_302600_NS6detail15normal_iteratorINS8_10device_ptrIiEEEESD_jNS0_19identity_decomposerEEE10hipError_tT1_T2_PT3_SI_jT4_jjP12ihipStream_tbEUlT_E_NS1_11comp_targetILNS1_3genE9ELNS1_11target_archE1100ELNS1_3gpuE3ELNS1_3repE0EEENS1_52radix_sort_onesweep_histogram_config_static_selectorELNS0_4arch9wavefront6targetE1EEEvSG_.private_seg_size, 0
	.set _ZN7rocprim17ROCPRIM_400000_NS6detail17trampoline_kernelINS0_14default_configENS1_35radix_sort_onesweep_config_selectorIiiEEZNS1_34radix_sort_onesweep_global_offsetsIS3_Lb0EN6thrust23THRUST_200600_302600_NS6detail15normal_iteratorINS8_10device_ptrIiEEEESD_jNS0_19identity_decomposerEEE10hipError_tT1_T2_PT3_SI_jT4_jjP12ihipStream_tbEUlT_E_NS1_11comp_targetILNS1_3genE9ELNS1_11target_archE1100ELNS1_3gpuE3ELNS1_3repE0EEENS1_52radix_sort_onesweep_histogram_config_static_selectorELNS0_4arch9wavefront6targetE1EEEvSG_.uses_vcc, 0
	.set _ZN7rocprim17ROCPRIM_400000_NS6detail17trampoline_kernelINS0_14default_configENS1_35radix_sort_onesweep_config_selectorIiiEEZNS1_34radix_sort_onesweep_global_offsetsIS3_Lb0EN6thrust23THRUST_200600_302600_NS6detail15normal_iteratorINS8_10device_ptrIiEEEESD_jNS0_19identity_decomposerEEE10hipError_tT1_T2_PT3_SI_jT4_jjP12ihipStream_tbEUlT_E_NS1_11comp_targetILNS1_3genE9ELNS1_11target_archE1100ELNS1_3gpuE3ELNS1_3repE0EEENS1_52radix_sort_onesweep_histogram_config_static_selectorELNS0_4arch9wavefront6targetE1EEEvSG_.uses_flat_scratch, 0
	.set _ZN7rocprim17ROCPRIM_400000_NS6detail17trampoline_kernelINS0_14default_configENS1_35radix_sort_onesweep_config_selectorIiiEEZNS1_34radix_sort_onesweep_global_offsetsIS3_Lb0EN6thrust23THRUST_200600_302600_NS6detail15normal_iteratorINS8_10device_ptrIiEEEESD_jNS0_19identity_decomposerEEE10hipError_tT1_T2_PT3_SI_jT4_jjP12ihipStream_tbEUlT_E_NS1_11comp_targetILNS1_3genE9ELNS1_11target_archE1100ELNS1_3gpuE3ELNS1_3repE0EEENS1_52radix_sort_onesweep_histogram_config_static_selectorELNS0_4arch9wavefront6targetE1EEEvSG_.has_dyn_sized_stack, 0
	.set _ZN7rocprim17ROCPRIM_400000_NS6detail17trampoline_kernelINS0_14default_configENS1_35radix_sort_onesweep_config_selectorIiiEEZNS1_34radix_sort_onesweep_global_offsetsIS3_Lb0EN6thrust23THRUST_200600_302600_NS6detail15normal_iteratorINS8_10device_ptrIiEEEESD_jNS0_19identity_decomposerEEE10hipError_tT1_T2_PT3_SI_jT4_jjP12ihipStream_tbEUlT_E_NS1_11comp_targetILNS1_3genE9ELNS1_11target_archE1100ELNS1_3gpuE3ELNS1_3repE0EEENS1_52radix_sort_onesweep_histogram_config_static_selectorELNS0_4arch9wavefront6targetE1EEEvSG_.has_recursion, 0
	.set _ZN7rocprim17ROCPRIM_400000_NS6detail17trampoline_kernelINS0_14default_configENS1_35radix_sort_onesweep_config_selectorIiiEEZNS1_34radix_sort_onesweep_global_offsetsIS3_Lb0EN6thrust23THRUST_200600_302600_NS6detail15normal_iteratorINS8_10device_ptrIiEEEESD_jNS0_19identity_decomposerEEE10hipError_tT1_T2_PT3_SI_jT4_jjP12ihipStream_tbEUlT_E_NS1_11comp_targetILNS1_3genE9ELNS1_11target_archE1100ELNS1_3gpuE3ELNS1_3repE0EEENS1_52radix_sort_onesweep_histogram_config_static_selectorELNS0_4arch9wavefront6targetE1EEEvSG_.has_indirect_call, 0
	.section	.AMDGPU.csdata,"",@progbits
; Kernel info:
; codeLenInByte = 0
; TotalNumSgprs: 6
; NumVgprs: 0
; NumAgprs: 0
; TotalNumVgprs: 0
; ScratchSize: 0
; MemoryBound: 0
; FloatMode: 240
; IeeeMode: 1
; LDSByteSize: 0 bytes/workgroup (compile time only)
; SGPRBlocks: 0
; VGPRBlocks: 0
; NumSGPRsForWavesPerEU: 6
; NumVGPRsForWavesPerEU: 1
; AccumOffset: 4
; Occupancy: 8
; WaveLimiterHint : 0
; COMPUTE_PGM_RSRC2:SCRATCH_EN: 0
; COMPUTE_PGM_RSRC2:USER_SGPR: 2
; COMPUTE_PGM_RSRC2:TRAP_HANDLER: 0
; COMPUTE_PGM_RSRC2:TGID_X_EN: 1
; COMPUTE_PGM_RSRC2:TGID_Y_EN: 0
; COMPUTE_PGM_RSRC2:TGID_Z_EN: 0
; COMPUTE_PGM_RSRC2:TIDIG_COMP_CNT: 0
; COMPUTE_PGM_RSRC3_GFX90A:ACCUM_OFFSET: 0
; COMPUTE_PGM_RSRC3_GFX90A:TG_SPLIT: 0
	.section	.text._ZN7rocprim17ROCPRIM_400000_NS6detail17trampoline_kernelINS0_14default_configENS1_35radix_sort_onesweep_config_selectorIiiEEZNS1_34radix_sort_onesweep_global_offsetsIS3_Lb0EN6thrust23THRUST_200600_302600_NS6detail15normal_iteratorINS8_10device_ptrIiEEEESD_jNS0_19identity_decomposerEEE10hipError_tT1_T2_PT3_SI_jT4_jjP12ihipStream_tbEUlT_E_NS1_11comp_targetILNS1_3genE8ELNS1_11target_archE1030ELNS1_3gpuE2ELNS1_3repE0EEENS1_52radix_sort_onesweep_histogram_config_static_selectorELNS0_4arch9wavefront6targetE1EEEvSG_,"axG",@progbits,_ZN7rocprim17ROCPRIM_400000_NS6detail17trampoline_kernelINS0_14default_configENS1_35radix_sort_onesweep_config_selectorIiiEEZNS1_34radix_sort_onesweep_global_offsetsIS3_Lb0EN6thrust23THRUST_200600_302600_NS6detail15normal_iteratorINS8_10device_ptrIiEEEESD_jNS0_19identity_decomposerEEE10hipError_tT1_T2_PT3_SI_jT4_jjP12ihipStream_tbEUlT_E_NS1_11comp_targetILNS1_3genE8ELNS1_11target_archE1030ELNS1_3gpuE2ELNS1_3repE0EEENS1_52radix_sort_onesweep_histogram_config_static_selectorELNS0_4arch9wavefront6targetE1EEEvSG_,comdat
	.protected	_ZN7rocprim17ROCPRIM_400000_NS6detail17trampoline_kernelINS0_14default_configENS1_35radix_sort_onesweep_config_selectorIiiEEZNS1_34radix_sort_onesweep_global_offsetsIS3_Lb0EN6thrust23THRUST_200600_302600_NS6detail15normal_iteratorINS8_10device_ptrIiEEEESD_jNS0_19identity_decomposerEEE10hipError_tT1_T2_PT3_SI_jT4_jjP12ihipStream_tbEUlT_E_NS1_11comp_targetILNS1_3genE8ELNS1_11target_archE1030ELNS1_3gpuE2ELNS1_3repE0EEENS1_52radix_sort_onesweep_histogram_config_static_selectorELNS0_4arch9wavefront6targetE1EEEvSG_ ; -- Begin function _ZN7rocprim17ROCPRIM_400000_NS6detail17trampoline_kernelINS0_14default_configENS1_35radix_sort_onesweep_config_selectorIiiEEZNS1_34radix_sort_onesweep_global_offsetsIS3_Lb0EN6thrust23THRUST_200600_302600_NS6detail15normal_iteratorINS8_10device_ptrIiEEEESD_jNS0_19identity_decomposerEEE10hipError_tT1_T2_PT3_SI_jT4_jjP12ihipStream_tbEUlT_E_NS1_11comp_targetILNS1_3genE8ELNS1_11target_archE1030ELNS1_3gpuE2ELNS1_3repE0EEENS1_52radix_sort_onesweep_histogram_config_static_selectorELNS0_4arch9wavefront6targetE1EEEvSG_
	.globl	_ZN7rocprim17ROCPRIM_400000_NS6detail17trampoline_kernelINS0_14default_configENS1_35radix_sort_onesweep_config_selectorIiiEEZNS1_34radix_sort_onesweep_global_offsetsIS3_Lb0EN6thrust23THRUST_200600_302600_NS6detail15normal_iteratorINS8_10device_ptrIiEEEESD_jNS0_19identity_decomposerEEE10hipError_tT1_T2_PT3_SI_jT4_jjP12ihipStream_tbEUlT_E_NS1_11comp_targetILNS1_3genE8ELNS1_11target_archE1030ELNS1_3gpuE2ELNS1_3repE0EEENS1_52radix_sort_onesweep_histogram_config_static_selectorELNS0_4arch9wavefront6targetE1EEEvSG_
	.p2align	8
	.type	_ZN7rocprim17ROCPRIM_400000_NS6detail17trampoline_kernelINS0_14default_configENS1_35radix_sort_onesweep_config_selectorIiiEEZNS1_34radix_sort_onesweep_global_offsetsIS3_Lb0EN6thrust23THRUST_200600_302600_NS6detail15normal_iteratorINS8_10device_ptrIiEEEESD_jNS0_19identity_decomposerEEE10hipError_tT1_T2_PT3_SI_jT4_jjP12ihipStream_tbEUlT_E_NS1_11comp_targetILNS1_3genE8ELNS1_11target_archE1030ELNS1_3gpuE2ELNS1_3repE0EEENS1_52radix_sort_onesweep_histogram_config_static_selectorELNS0_4arch9wavefront6targetE1EEEvSG_,@function
_ZN7rocprim17ROCPRIM_400000_NS6detail17trampoline_kernelINS0_14default_configENS1_35radix_sort_onesweep_config_selectorIiiEEZNS1_34radix_sort_onesweep_global_offsetsIS3_Lb0EN6thrust23THRUST_200600_302600_NS6detail15normal_iteratorINS8_10device_ptrIiEEEESD_jNS0_19identity_decomposerEEE10hipError_tT1_T2_PT3_SI_jT4_jjP12ihipStream_tbEUlT_E_NS1_11comp_targetILNS1_3genE8ELNS1_11target_archE1030ELNS1_3gpuE2ELNS1_3repE0EEENS1_52radix_sort_onesweep_histogram_config_static_selectorELNS0_4arch9wavefront6targetE1EEEvSG_: ; @_ZN7rocprim17ROCPRIM_400000_NS6detail17trampoline_kernelINS0_14default_configENS1_35radix_sort_onesweep_config_selectorIiiEEZNS1_34radix_sort_onesweep_global_offsetsIS3_Lb0EN6thrust23THRUST_200600_302600_NS6detail15normal_iteratorINS8_10device_ptrIiEEEESD_jNS0_19identity_decomposerEEE10hipError_tT1_T2_PT3_SI_jT4_jjP12ihipStream_tbEUlT_E_NS1_11comp_targetILNS1_3genE8ELNS1_11target_archE1030ELNS1_3gpuE2ELNS1_3repE0EEENS1_52radix_sort_onesweep_histogram_config_static_selectorELNS0_4arch9wavefront6targetE1EEEvSG_
; %bb.0:
	.section	.rodata,"a",@progbits
	.p2align	6, 0x0
	.amdhsa_kernel _ZN7rocprim17ROCPRIM_400000_NS6detail17trampoline_kernelINS0_14default_configENS1_35radix_sort_onesweep_config_selectorIiiEEZNS1_34radix_sort_onesweep_global_offsetsIS3_Lb0EN6thrust23THRUST_200600_302600_NS6detail15normal_iteratorINS8_10device_ptrIiEEEESD_jNS0_19identity_decomposerEEE10hipError_tT1_T2_PT3_SI_jT4_jjP12ihipStream_tbEUlT_E_NS1_11comp_targetILNS1_3genE8ELNS1_11target_archE1030ELNS1_3gpuE2ELNS1_3repE0EEENS1_52radix_sort_onesweep_histogram_config_static_selectorELNS0_4arch9wavefront6targetE1EEEvSG_
		.amdhsa_group_segment_fixed_size 0
		.amdhsa_private_segment_fixed_size 0
		.amdhsa_kernarg_size 40
		.amdhsa_user_sgpr_count 2
		.amdhsa_user_sgpr_dispatch_ptr 0
		.amdhsa_user_sgpr_queue_ptr 0
		.amdhsa_user_sgpr_kernarg_segment_ptr 1
		.amdhsa_user_sgpr_dispatch_id 0
		.amdhsa_user_sgpr_kernarg_preload_length 0
		.amdhsa_user_sgpr_kernarg_preload_offset 0
		.amdhsa_user_sgpr_private_segment_size 0
		.amdhsa_uses_dynamic_stack 0
		.amdhsa_enable_private_segment 0
		.amdhsa_system_sgpr_workgroup_id_x 1
		.amdhsa_system_sgpr_workgroup_id_y 0
		.amdhsa_system_sgpr_workgroup_id_z 0
		.amdhsa_system_sgpr_workgroup_info 0
		.amdhsa_system_vgpr_workitem_id 0
		.amdhsa_next_free_vgpr 1
		.amdhsa_next_free_sgpr 0
		.amdhsa_accum_offset 4
		.amdhsa_reserve_vcc 0
		.amdhsa_float_round_mode_32 0
		.amdhsa_float_round_mode_16_64 0
		.amdhsa_float_denorm_mode_32 3
		.amdhsa_float_denorm_mode_16_64 3
		.amdhsa_dx10_clamp 1
		.amdhsa_ieee_mode 1
		.amdhsa_fp16_overflow 0
		.amdhsa_tg_split 0
		.amdhsa_exception_fp_ieee_invalid_op 0
		.amdhsa_exception_fp_denorm_src 0
		.amdhsa_exception_fp_ieee_div_zero 0
		.amdhsa_exception_fp_ieee_overflow 0
		.amdhsa_exception_fp_ieee_underflow 0
		.amdhsa_exception_fp_ieee_inexact 0
		.amdhsa_exception_int_div_zero 0
	.end_amdhsa_kernel
	.section	.text._ZN7rocprim17ROCPRIM_400000_NS6detail17trampoline_kernelINS0_14default_configENS1_35radix_sort_onesweep_config_selectorIiiEEZNS1_34radix_sort_onesweep_global_offsetsIS3_Lb0EN6thrust23THRUST_200600_302600_NS6detail15normal_iteratorINS8_10device_ptrIiEEEESD_jNS0_19identity_decomposerEEE10hipError_tT1_T2_PT3_SI_jT4_jjP12ihipStream_tbEUlT_E_NS1_11comp_targetILNS1_3genE8ELNS1_11target_archE1030ELNS1_3gpuE2ELNS1_3repE0EEENS1_52radix_sort_onesweep_histogram_config_static_selectorELNS0_4arch9wavefront6targetE1EEEvSG_,"axG",@progbits,_ZN7rocprim17ROCPRIM_400000_NS6detail17trampoline_kernelINS0_14default_configENS1_35radix_sort_onesweep_config_selectorIiiEEZNS1_34radix_sort_onesweep_global_offsetsIS3_Lb0EN6thrust23THRUST_200600_302600_NS6detail15normal_iteratorINS8_10device_ptrIiEEEESD_jNS0_19identity_decomposerEEE10hipError_tT1_T2_PT3_SI_jT4_jjP12ihipStream_tbEUlT_E_NS1_11comp_targetILNS1_3genE8ELNS1_11target_archE1030ELNS1_3gpuE2ELNS1_3repE0EEENS1_52radix_sort_onesweep_histogram_config_static_selectorELNS0_4arch9wavefront6targetE1EEEvSG_,comdat
.Lfunc_end812:
	.size	_ZN7rocprim17ROCPRIM_400000_NS6detail17trampoline_kernelINS0_14default_configENS1_35radix_sort_onesweep_config_selectorIiiEEZNS1_34radix_sort_onesweep_global_offsetsIS3_Lb0EN6thrust23THRUST_200600_302600_NS6detail15normal_iteratorINS8_10device_ptrIiEEEESD_jNS0_19identity_decomposerEEE10hipError_tT1_T2_PT3_SI_jT4_jjP12ihipStream_tbEUlT_E_NS1_11comp_targetILNS1_3genE8ELNS1_11target_archE1030ELNS1_3gpuE2ELNS1_3repE0EEENS1_52radix_sort_onesweep_histogram_config_static_selectorELNS0_4arch9wavefront6targetE1EEEvSG_, .Lfunc_end812-_ZN7rocprim17ROCPRIM_400000_NS6detail17trampoline_kernelINS0_14default_configENS1_35radix_sort_onesweep_config_selectorIiiEEZNS1_34radix_sort_onesweep_global_offsetsIS3_Lb0EN6thrust23THRUST_200600_302600_NS6detail15normal_iteratorINS8_10device_ptrIiEEEESD_jNS0_19identity_decomposerEEE10hipError_tT1_T2_PT3_SI_jT4_jjP12ihipStream_tbEUlT_E_NS1_11comp_targetILNS1_3genE8ELNS1_11target_archE1030ELNS1_3gpuE2ELNS1_3repE0EEENS1_52radix_sort_onesweep_histogram_config_static_selectorELNS0_4arch9wavefront6targetE1EEEvSG_
                                        ; -- End function
	.set _ZN7rocprim17ROCPRIM_400000_NS6detail17trampoline_kernelINS0_14default_configENS1_35radix_sort_onesweep_config_selectorIiiEEZNS1_34radix_sort_onesweep_global_offsetsIS3_Lb0EN6thrust23THRUST_200600_302600_NS6detail15normal_iteratorINS8_10device_ptrIiEEEESD_jNS0_19identity_decomposerEEE10hipError_tT1_T2_PT3_SI_jT4_jjP12ihipStream_tbEUlT_E_NS1_11comp_targetILNS1_3genE8ELNS1_11target_archE1030ELNS1_3gpuE2ELNS1_3repE0EEENS1_52radix_sort_onesweep_histogram_config_static_selectorELNS0_4arch9wavefront6targetE1EEEvSG_.num_vgpr, 0
	.set _ZN7rocprim17ROCPRIM_400000_NS6detail17trampoline_kernelINS0_14default_configENS1_35radix_sort_onesweep_config_selectorIiiEEZNS1_34radix_sort_onesweep_global_offsetsIS3_Lb0EN6thrust23THRUST_200600_302600_NS6detail15normal_iteratorINS8_10device_ptrIiEEEESD_jNS0_19identity_decomposerEEE10hipError_tT1_T2_PT3_SI_jT4_jjP12ihipStream_tbEUlT_E_NS1_11comp_targetILNS1_3genE8ELNS1_11target_archE1030ELNS1_3gpuE2ELNS1_3repE0EEENS1_52radix_sort_onesweep_histogram_config_static_selectorELNS0_4arch9wavefront6targetE1EEEvSG_.num_agpr, 0
	.set _ZN7rocprim17ROCPRIM_400000_NS6detail17trampoline_kernelINS0_14default_configENS1_35radix_sort_onesweep_config_selectorIiiEEZNS1_34radix_sort_onesweep_global_offsetsIS3_Lb0EN6thrust23THRUST_200600_302600_NS6detail15normal_iteratorINS8_10device_ptrIiEEEESD_jNS0_19identity_decomposerEEE10hipError_tT1_T2_PT3_SI_jT4_jjP12ihipStream_tbEUlT_E_NS1_11comp_targetILNS1_3genE8ELNS1_11target_archE1030ELNS1_3gpuE2ELNS1_3repE0EEENS1_52radix_sort_onesweep_histogram_config_static_selectorELNS0_4arch9wavefront6targetE1EEEvSG_.numbered_sgpr, 0
	.set _ZN7rocprim17ROCPRIM_400000_NS6detail17trampoline_kernelINS0_14default_configENS1_35radix_sort_onesweep_config_selectorIiiEEZNS1_34radix_sort_onesweep_global_offsetsIS3_Lb0EN6thrust23THRUST_200600_302600_NS6detail15normal_iteratorINS8_10device_ptrIiEEEESD_jNS0_19identity_decomposerEEE10hipError_tT1_T2_PT3_SI_jT4_jjP12ihipStream_tbEUlT_E_NS1_11comp_targetILNS1_3genE8ELNS1_11target_archE1030ELNS1_3gpuE2ELNS1_3repE0EEENS1_52radix_sort_onesweep_histogram_config_static_selectorELNS0_4arch9wavefront6targetE1EEEvSG_.num_named_barrier, 0
	.set _ZN7rocprim17ROCPRIM_400000_NS6detail17trampoline_kernelINS0_14default_configENS1_35radix_sort_onesweep_config_selectorIiiEEZNS1_34radix_sort_onesweep_global_offsetsIS3_Lb0EN6thrust23THRUST_200600_302600_NS6detail15normal_iteratorINS8_10device_ptrIiEEEESD_jNS0_19identity_decomposerEEE10hipError_tT1_T2_PT3_SI_jT4_jjP12ihipStream_tbEUlT_E_NS1_11comp_targetILNS1_3genE8ELNS1_11target_archE1030ELNS1_3gpuE2ELNS1_3repE0EEENS1_52radix_sort_onesweep_histogram_config_static_selectorELNS0_4arch9wavefront6targetE1EEEvSG_.private_seg_size, 0
	.set _ZN7rocprim17ROCPRIM_400000_NS6detail17trampoline_kernelINS0_14default_configENS1_35radix_sort_onesweep_config_selectorIiiEEZNS1_34radix_sort_onesweep_global_offsetsIS3_Lb0EN6thrust23THRUST_200600_302600_NS6detail15normal_iteratorINS8_10device_ptrIiEEEESD_jNS0_19identity_decomposerEEE10hipError_tT1_T2_PT3_SI_jT4_jjP12ihipStream_tbEUlT_E_NS1_11comp_targetILNS1_3genE8ELNS1_11target_archE1030ELNS1_3gpuE2ELNS1_3repE0EEENS1_52radix_sort_onesweep_histogram_config_static_selectorELNS0_4arch9wavefront6targetE1EEEvSG_.uses_vcc, 0
	.set _ZN7rocprim17ROCPRIM_400000_NS6detail17trampoline_kernelINS0_14default_configENS1_35radix_sort_onesweep_config_selectorIiiEEZNS1_34radix_sort_onesweep_global_offsetsIS3_Lb0EN6thrust23THRUST_200600_302600_NS6detail15normal_iteratorINS8_10device_ptrIiEEEESD_jNS0_19identity_decomposerEEE10hipError_tT1_T2_PT3_SI_jT4_jjP12ihipStream_tbEUlT_E_NS1_11comp_targetILNS1_3genE8ELNS1_11target_archE1030ELNS1_3gpuE2ELNS1_3repE0EEENS1_52radix_sort_onesweep_histogram_config_static_selectorELNS0_4arch9wavefront6targetE1EEEvSG_.uses_flat_scratch, 0
	.set _ZN7rocprim17ROCPRIM_400000_NS6detail17trampoline_kernelINS0_14default_configENS1_35radix_sort_onesweep_config_selectorIiiEEZNS1_34radix_sort_onesweep_global_offsetsIS3_Lb0EN6thrust23THRUST_200600_302600_NS6detail15normal_iteratorINS8_10device_ptrIiEEEESD_jNS0_19identity_decomposerEEE10hipError_tT1_T2_PT3_SI_jT4_jjP12ihipStream_tbEUlT_E_NS1_11comp_targetILNS1_3genE8ELNS1_11target_archE1030ELNS1_3gpuE2ELNS1_3repE0EEENS1_52radix_sort_onesweep_histogram_config_static_selectorELNS0_4arch9wavefront6targetE1EEEvSG_.has_dyn_sized_stack, 0
	.set _ZN7rocprim17ROCPRIM_400000_NS6detail17trampoline_kernelINS0_14default_configENS1_35radix_sort_onesweep_config_selectorIiiEEZNS1_34radix_sort_onesweep_global_offsetsIS3_Lb0EN6thrust23THRUST_200600_302600_NS6detail15normal_iteratorINS8_10device_ptrIiEEEESD_jNS0_19identity_decomposerEEE10hipError_tT1_T2_PT3_SI_jT4_jjP12ihipStream_tbEUlT_E_NS1_11comp_targetILNS1_3genE8ELNS1_11target_archE1030ELNS1_3gpuE2ELNS1_3repE0EEENS1_52radix_sort_onesweep_histogram_config_static_selectorELNS0_4arch9wavefront6targetE1EEEvSG_.has_recursion, 0
	.set _ZN7rocprim17ROCPRIM_400000_NS6detail17trampoline_kernelINS0_14default_configENS1_35radix_sort_onesweep_config_selectorIiiEEZNS1_34radix_sort_onesweep_global_offsetsIS3_Lb0EN6thrust23THRUST_200600_302600_NS6detail15normal_iteratorINS8_10device_ptrIiEEEESD_jNS0_19identity_decomposerEEE10hipError_tT1_T2_PT3_SI_jT4_jjP12ihipStream_tbEUlT_E_NS1_11comp_targetILNS1_3genE8ELNS1_11target_archE1030ELNS1_3gpuE2ELNS1_3repE0EEENS1_52radix_sort_onesweep_histogram_config_static_selectorELNS0_4arch9wavefront6targetE1EEEvSG_.has_indirect_call, 0
	.section	.AMDGPU.csdata,"",@progbits
; Kernel info:
; codeLenInByte = 0
; TotalNumSgprs: 6
; NumVgprs: 0
; NumAgprs: 0
; TotalNumVgprs: 0
; ScratchSize: 0
; MemoryBound: 0
; FloatMode: 240
; IeeeMode: 1
; LDSByteSize: 0 bytes/workgroup (compile time only)
; SGPRBlocks: 0
; VGPRBlocks: 0
; NumSGPRsForWavesPerEU: 6
; NumVGPRsForWavesPerEU: 1
; AccumOffset: 4
; Occupancy: 8
; WaveLimiterHint : 0
; COMPUTE_PGM_RSRC2:SCRATCH_EN: 0
; COMPUTE_PGM_RSRC2:USER_SGPR: 2
; COMPUTE_PGM_RSRC2:TRAP_HANDLER: 0
; COMPUTE_PGM_RSRC2:TGID_X_EN: 1
; COMPUTE_PGM_RSRC2:TGID_Y_EN: 0
; COMPUTE_PGM_RSRC2:TGID_Z_EN: 0
; COMPUTE_PGM_RSRC2:TIDIG_COMP_CNT: 0
; COMPUTE_PGM_RSRC3_GFX90A:ACCUM_OFFSET: 0
; COMPUTE_PGM_RSRC3_GFX90A:TG_SPLIT: 0
	.section	.text._ZN7rocprim17ROCPRIM_400000_NS6detail17trampoline_kernelINS0_14default_configENS1_35radix_sort_onesweep_config_selectorIiiEEZNS1_34radix_sort_onesweep_global_offsetsIS3_Lb0EN6thrust23THRUST_200600_302600_NS6detail15normal_iteratorINS8_10device_ptrIiEEEESD_jNS0_19identity_decomposerEEE10hipError_tT1_T2_PT3_SI_jT4_jjP12ihipStream_tbEUlT_E0_NS1_11comp_targetILNS1_3genE0ELNS1_11target_archE4294967295ELNS1_3gpuE0ELNS1_3repE0EEENS1_52radix_sort_onesweep_histogram_config_static_selectorELNS0_4arch9wavefront6targetE1EEEvSG_,"axG",@progbits,_ZN7rocprim17ROCPRIM_400000_NS6detail17trampoline_kernelINS0_14default_configENS1_35radix_sort_onesweep_config_selectorIiiEEZNS1_34radix_sort_onesweep_global_offsetsIS3_Lb0EN6thrust23THRUST_200600_302600_NS6detail15normal_iteratorINS8_10device_ptrIiEEEESD_jNS0_19identity_decomposerEEE10hipError_tT1_T2_PT3_SI_jT4_jjP12ihipStream_tbEUlT_E0_NS1_11comp_targetILNS1_3genE0ELNS1_11target_archE4294967295ELNS1_3gpuE0ELNS1_3repE0EEENS1_52radix_sort_onesweep_histogram_config_static_selectorELNS0_4arch9wavefront6targetE1EEEvSG_,comdat
	.protected	_ZN7rocprim17ROCPRIM_400000_NS6detail17trampoline_kernelINS0_14default_configENS1_35radix_sort_onesweep_config_selectorIiiEEZNS1_34radix_sort_onesweep_global_offsetsIS3_Lb0EN6thrust23THRUST_200600_302600_NS6detail15normal_iteratorINS8_10device_ptrIiEEEESD_jNS0_19identity_decomposerEEE10hipError_tT1_T2_PT3_SI_jT4_jjP12ihipStream_tbEUlT_E0_NS1_11comp_targetILNS1_3genE0ELNS1_11target_archE4294967295ELNS1_3gpuE0ELNS1_3repE0EEENS1_52radix_sort_onesweep_histogram_config_static_selectorELNS0_4arch9wavefront6targetE1EEEvSG_ ; -- Begin function _ZN7rocprim17ROCPRIM_400000_NS6detail17trampoline_kernelINS0_14default_configENS1_35radix_sort_onesweep_config_selectorIiiEEZNS1_34radix_sort_onesweep_global_offsetsIS3_Lb0EN6thrust23THRUST_200600_302600_NS6detail15normal_iteratorINS8_10device_ptrIiEEEESD_jNS0_19identity_decomposerEEE10hipError_tT1_T2_PT3_SI_jT4_jjP12ihipStream_tbEUlT_E0_NS1_11comp_targetILNS1_3genE0ELNS1_11target_archE4294967295ELNS1_3gpuE0ELNS1_3repE0EEENS1_52radix_sort_onesweep_histogram_config_static_selectorELNS0_4arch9wavefront6targetE1EEEvSG_
	.globl	_ZN7rocprim17ROCPRIM_400000_NS6detail17trampoline_kernelINS0_14default_configENS1_35radix_sort_onesweep_config_selectorIiiEEZNS1_34radix_sort_onesweep_global_offsetsIS3_Lb0EN6thrust23THRUST_200600_302600_NS6detail15normal_iteratorINS8_10device_ptrIiEEEESD_jNS0_19identity_decomposerEEE10hipError_tT1_T2_PT3_SI_jT4_jjP12ihipStream_tbEUlT_E0_NS1_11comp_targetILNS1_3genE0ELNS1_11target_archE4294967295ELNS1_3gpuE0ELNS1_3repE0EEENS1_52radix_sort_onesweep_histogram_config_static_selectorELNS0_4arch9wavefront6targetE1EEEvSG_
	.p2align	8
	.type	_ZN7rocprim17ROCPRIM_400000_NS6detail17trampoline_kernelINS0_14default_configENS1_35radix_sort_onesweep_config_selectorIiiEEZNS1_34radix_sort_onesweep_global_offsetsIS3_Lb0EN6thrust23THRUST_200600_302600_NS6detail15normal_iteratorINS8_10device_ptrIiEEEESD_jNS0_19identity_decomposerEEE10hipError_tT1_T2_PT3_SI_jT4_jjP12ihipStream_tbEUlT_E0_NS1_11comp_targetILNS1_3genE0ELNS1_11target_archE4294967295ELNS1_3gpuE0ELNS1_3repE0EEENS1_52radix_sort_onesweep_histogram_config_static_selectorELNS0_4arch9wavefront6targetE1EEEvSG_,@function
_ZN7rocprim17ROCPRIM_400000_NS6detail17trampoline_kernelINS0_14default_configENS1_35radix_sort_onesweep_config_selectorIiiEEZNS1_34radix_sort_onesweep_global_offsetsIS3_Lb0EN6thrust23THRUST_200600_302600_NS6detail15normal_iteratorINS8_10device_ptrIiEEEESD_jNS0_19identity_decomposerEEE10hipError_tT1_T2_PT3_SI_jT4_jjP12ihipStream_tbEUlT_E0_NS1_11comp_targetILNS1_3genE0ELNS1_11target_archE4294967295ELNS1_3gpuE0ELNS1_3repE0EEENS1_52radix_sort_onesweep_histogram_config_static_selectorELNS0_4arch9wavefront6targetE1EEEvSG_: ; @_ZN7rocprim17ROCPRIM_400000_NS6detail17trampoline_kernelINS0_14default_configENS1_35radix_sort_onesweep_config_selectorIiiEEZNS1_34radix_sort_onesweep_global_offsetsIS3_Lb0EN6thrust23THRUST_200600_302600_NS6detail15normal_iteratorINS8_10device_ptrIiEEEESD_jNS0_19identity_decomposerEEE10hipError_tT1_T2_PT3_SI_jT4_jjP12ihipStream_tbEUlT_E0_NS1_11comp_targetILNS1_3genE0ELNS1_11target_archE4294967295ELNS1_3gpuE0ELNS1_3repE0EEENS1_52radix_sort_onesweep_histogram_config_static_selectorELNS0_4arch9wavefront6targetE1EEEvSG_
; %bb.0:
	.section	.rodata,"a",@progbits
	.p2align	6, 0x0
	.amdhsa_kernel _ZN7rocprim17ROCPRIM_400000_NS6detail17trampoline_kernelINS0_14default_configENS1_35radix_sort_onesweep_config_selectorIiiEEZNS1_34radix_sort_onesweep_global_offsetsIS3_Lb0EN6thrust23THRUST_200600_302600_NS6detail15normal_iteratorINS8_10device_ptrIiEEEESD_jNS0_19identity_decomposerEEE10hipError_tT1_T2_PT3_SI_jT4_jjP12ihipStream_tbEUlT_E0_NS1_11comp_targetILNS1_3genE0ELNS1_11target_archE4294967295ELNS1_3gpuE0ELNS1_3repE0EEENS1_52radix_sort_onesweep_histogram_config_static_selectorELNS0_4arch9wavefront6targetE1EEEvSG_
		.amdhsa_group_segment_fixed_size 0
		.amdhsa_private_segment_fixed_size 0
		.amdhsa_kernarg_size 8
		.amdhsa_user_sgpr_count 2
		.amdhsa_user_sgpr_dispatch_ptr 0
		.amdhsa_user_sgpr_queue_ptr 0
		.amdhsa_user_sgpr_kernarg_segment_ptr 1
		.amdhsa_user_sgpr_dispatch_id 0
		.amdhsa_user_sgpr_kernarg_preload_length 0
		.amdhsa_user_sgpr_kernarg_preload_offset 0
		.amdhsa_user_sgpr_private_segment_size 0
		.amdhsa_uses_dynamic_stack 0
		.amdhsa_enable_private_segment 0
		.amdhsa_system_sgpr_workgroup_id_x 1
		.amdhsa_system_sgpr_workgroup_id_y 0
		.amdhsa_system_sgpr_workgroup_id_z 0
		.amdhsa_system_sgpr_workgroup_info 0
		.amdhsa_system_vgpr_workitem_id 0
		.amdhsa_next_free_vgpr 1
		.amdhsa_next_free_sgpr 0
		.amdhsa_accum_offset 4
		.amdhsa_reserve_vcc 0
		.amdhsa_float_round_mode_32 0
		.amdhsa_float_round_mode_16_64 0
		.amdhsa_float_denorm_mode_32 3
		.amdhsa_float_denorm_mode_16_64 3
		.amdhsa_dx10_clamp 1
		.amdhsa_ieee_mode 1
		.amdhsa_fp16_overflow 0
		.amdhsa_tg_split 0
		.amdhsa_exception_fp_ieee_invalid_op 0
		.amdhsa_exception_fp_denorm_src 0
		.amdhsa_exception_fp_ieee_div_zero 0
		.amdhsa_exception_fp_ieee_overflow 0
		.amdhsa_exception_fp_ieee_underflow 0
		.amdhsa_exception_fp_ieee_inexact 0
		.amdhsa_exception_int_div_zero 0
	.end_amdhsa_kernel
	.section	.text._ZN7rocprim17ROCPRIM_400000_NS6detail17trampoline_kernelINS0_14default_configENS1_35radix_sort_onesweep_config_selectorIiiEEZNS1_34radix_sort_onesweep_global_offsetsIS3_Lb0EN6thrust23THRUST_200600_302600_NS6detail15normal_iteratorINS8_10device_ptrIiEEEESD_jNS0_19identity_decomposerEEE10hipError_tT1_T2_PT3_SI_jT4_jjP12ihipStream_tbEUlT_E0_NS1_11comp_targetILNS1_3genE0ELNS1_11target_archE4294967295ELNS1_3gpuE0ELNS1_3repE0EEENS1_52radix_sort_onesweep_histogram_config_static_selectorELNS0_4arch9wavefront6targetE1EEEvSG_,"axG",@progbits,_ZN7rocprim17ROCPRIM_400000_NS6detail17trampoline_kernelINS0_14default_configENS1_35radix_sort_onesweep_config_selectorIiiEEZNS1_34radix_sort_onesweep_global_offsetsIS3_Lb0EN6thrust23THRUST_200600_302600_NS6detail15normal_iteratorINS8_10device_ptrIiEEEESD_jNS0_19identity_decomposerEEE10hipError_tT1_T2_PT3_SI_jT4_jjP12ihipStream_tbEUlT_E0_NS1_11comp_targetILNS1_3genE0ELNS1_11target_archE4294967295ELNS1_3gpuE0ELNS1_3repE0EEENS1_52radix_sort_onesweep_histogram_config_static_selectorELNS0_4arch9wavefront6targetE1EEEvSG_,comdat
.Lfunc_end813:
	.size	_ZN7rocprim17ROCPRIM_400000_NS6detail17trampoline_kernelINS0_14default_configENS1_35radix_sort_onesweep_config_selectorIiiEEZNS1_34radix_sort_onesweep_global_offsetsIS3_Lb0EN6thrust23THRUST_200600_302600_NS6detail15normal_iteratorINS8_10device_ptrIiEEEESD_jNS0_19identity_decomposerEEE10hipError_tT1_T2_PT3_SI_jT4_jjP12ihipStream_tbEUlT_E0_NS1_11comp_targetILNS1_3genE0ELNS1_11target_archE4294967295ELNS1_3gpuE0ELNS1_3repE0EEENS1_52radix_sort_onesweep_histogram_config_static_selectorELNS0_4arch9wavefront6targetE1EEEvSG_, .Lfunc_end813-_ZN7rocprim17ROCPRIM_400000_NS6detail17trampoline_kernelINS0_14default_configENS1_35radix_sort_onesweep_config_selectorIiiEEZNS1_34radix_sort_onesweep_global_offsetsIS3_Lb0EN6thrust23THRUST_200600_302600_NS6detail15normal_iteratorINS8_10device_ptrIiEEEESD_jNS0_19identity_decomposerEEE10hipError_tT1_T2_PT3_SI_jT4_jjP12ihipStream_tbEUlT_E0_NS1_11comp_targetILNS1_3genE0ELNS1_11target_archE4294967295ELNS1_3gpuE0ELNS1_3repE0EEENS1_52radix_sort_onesweep_histogram_config_static_selectorELNS0_4arch9wavefront6targetE1EEEvSG_
                                        ; -- End function
	.set _ZN7rocprim17ROCPRIM_400000_NS6detail17trampoline_kernelINS0_14default_configENS1_35radix_sort_onesweep_config_selectorIiiEEZNS1_34radix_sort_onesweep_global_offsetsIS3_Lb0EN6thrust23THRUST_200600_302600_NS6detail15normal_iteratorINS8_10device_ptrIiEEEESD_jNS0_19identity_decomposerEEE10hipError_tT1_T2_PT3_SI_jT4_jjP12ihipStream_tbEUlT_E0_NS1_11comp_targetILNS1_3genE0ELNS1_11target_archE4294967295ELNS1_3gpuE0ELNS1_3repE0EEENS1_52radix_sort_onesweep_histogram_config_static_selectorELNS0_4arch9wavefront6targetE1EEEvSG_.num_vgpr, 0
	.set _ZN7rocprim17ROCPRIM_400000_NS6detail17trampoline_kernelINS0_14default_configENS1_35radix_sort_onesweep_config_selectorIiiEEZNS1_34radix_sort_onesweep_global_offsetsIS3_Lb0EN6thrust23THRUST_200600_302600_NS6detail15normal_iteratorINS8_10device_ptrIiEEEESD_jNS0_19identity_decomposerEEE10hipError_tT1_T2_PT3_SI_jT4_jjP12ihipStream_tbEUlT_E0_NS1_11comp_targetILNS1_3genE0ELNS1_11target_archE4294967295ELNS1_3gpuE0ELNS1_3repE0EEENS1_52radix_sort_onesweep_histogram_config_static_selectorELNS0_4arch9wavefront6targetE1EEEvSG_.num_agpr, 0
	.set _ZN7rocprim17ROCPRIM_400000_NS6detail17trampoline_kernelINS0_14default_configENS1_35radix_sort_onesweep_config_selectorIiiEEZNS1_34radix_sort_onesweep_global_offsetsIS3_Lb0EN6thrust23THRUST_200600_302600_NS6detail15normal_iteratorINS8_10device_ptrIiEEEESD_jNS0_19identity_decomposerEEE10hipError_tT1_T2_PT3_SI_jT4_jjP12ihipStream_tbEUlT_E0_NS1_11comp_targetILNS1_3genE0ELNS1_11target_archE4294967295ELNS1_3gpuE0ELNS1_3repE0EEENS1_52radix_sort_onesweep_histogram_config_static_selectorELNS0_4arch9wavefront6targetE1EEEvSG_.numbered_sgpr, 0
	.set _ZN7rocprim17ROCPRIM_400000_NS6detail17trampoline_kernelINS0_14default_configENS1_35radix_sort_onesweep_config_selectorIiiEEZNS1_34radix_sort_onesweep_global_offsetsIS3_Lb0EN6thrust23THRUST_200600_302600_NS6detail15normal_iteratorINS8_10device_ptrIiEEEESD_jNS0_19identity_decomposerEEE10hipError_tT1_T2_PT3_SI_jT4_jjP12ihipStream_tbEUlT_E0_NS1_11comp_targetILNS1_3genE0ELNS1_11target_archE4294967295ELNS1_3gpuE0ELNS1_3repE0EEENS1_52radix_sort_onesweep_histogram_config_static_selectorELNS0_4arch9wavefront6targetE1EEEvSG_.num_named_barrier, 0
	.set _ZN7rocprim17ROCPRIM_400000_NS6detail17trampoline_kernelINS0_14default_configENS1_35radix_sort_onesweep_config_selectorIiiEEZNS1_34radix_sort_onesweep_global_offsetsIS3_Lb0EN6thrust23THRUST_200600_302600_NS6detail15normal_iteratorINS8_10device_ptrIiEEEESD_jNS0_19identity_decomposerEEE10hipError_tT1_T2_PT3_SI_jT4_jjP12ihipStream_tbEUlT_E0_NS1_11comp_targetILNS1_3genE0ELNS1_11target_archE4294967295ELNS1_3gpuE0ELNS1_3repE0EEENS1_52radix_sort_onesweep_histogram_config_static_selectorELNS0_4arch9wavefront6targetE1EEEvSG_.private_seg_size, 0
	.set _ZN7rocprim17ROCPRIM_400000_NS6detail17trampoline_kernelINS0_14default_configENS1_35radix_sort_onesweep_config_selectorIiiEEZNS1_34radix_sort_onesweep_global_offsetsIS3_Lb0EN6thrust23THRUST_200600_302600_NS6detail15normal_iteratorINS8_10device_ptrIiEEEESD_jNS0_19identity_decomposerEEE10hipError_tT1_T2_PT3_SI_jT4_jjP12ihipStream_tbEUlT_E0_NS1_11comp_targetILNS1_3genE0ELNS1_11target_archE4294967295ELNS1_3gpuE0ELNS1_3repE0EEENS1_52radix_sort_onesweep_histogram_config_static_selectorELNS0_4arch9wavefront6targetE1EEEvSG_.uses_vcc, 0
	.set _ZN7rocprim17ROCPRIM_400000_NS6detail17trampoline_kernelINS0_14default_configENS1_35radix_sort_onesweep_config_selectorIiiEEZNS1_34radix_sort_onesweep_global_offsetsIS3_Lb0EN6thrust23THRUST_200600_302600_NS6detail15normal_iteratorINS8_10device_ptrIiEEEESD_jNS0_19identity_decomposerEEE10hipError_tT1_T2_PT3_SI_jT4_jjP12ihipStream_tbEUlT_E0_NS1_11comp_targetILNS1_3genE0ELNS1_11target_archE4294967295ELNS1_3gpuE0ELNS1_3repE0EEENS1_52radix_sort_onesweep_histogram_config_static_selectorELNS0_4arch9wavefront6targetE1EEEvSG_.uses_flat_scratch, 0
	.set _ZN7rocprim17ROCPRIM_400000_NS6detail17trampoline_kernelINS0_14default_configENS1_35radix_sort_onesweep_config_selectorIiiEEZNS1_34radix_sort_onesweep_global_offsetsIS3_Lb0EN6thrust23THRUST_200600_302600_NS6detail15normal_iteratorINS8_10device_ptrIiEEEESD_jNS0_19identity_decomposerEEE10hipError_tT1_T2_PT3_SI_jT4_jjP12ihipStream_tbEUlT_E0_NS1_11comp_targetILNS1_3genE0ELNS1_11target_archE4294967295ELNS1_3gpuE0ELNS1_3repE0EEENS1_52radix_sort_onesweep_histogram_config_static_selectorELNS0_4arch9wavefront6targetE1EEEvSG_.has_dyn_sized_stack, 0
	.set _ZN7rocprim17ROCPRIM_400000_NS6detail17trampoline_kernelINS0_14default_configENS1_35radix_sort_onesweep_config_selectorIiiEEZNS1_34radix_sort_onesweep_global_offsetsIS3_Lb0EN6thrust23THRUST_200600_302600_NS6detail15normal_iteratorINS8_10device_ptrIiEEEESD_jNS0_19identity_decomposerEEE10hipError_tT1_T2_PT3_SI_jT4_jjP12ihipStream_tbEUlT_E0_NS1_11comp_targetILNS1_3genE0ELNS1_11target_archE4294967295ELNS1_3gpuE0ELNS1_3repE0EEENS1_52radix_sort_onesweep_histogram_config_static_selectorELNS0_4arch9wavefront6targetE1EEEvSG_.has_recursion, 0
	.set _ZN7rocprim17ROCPRIM_400000_NS6detail17trampoline_kernelINS0_14default_configENS1_35radix_sort_onesweep_config_selectorIiiEEZNS1_34radix_sort_onesweep_global_offsetsIS3_Lb0EN6thrust23THRUST_200600_302600_NS6detail15normal_iteratorINS8_10device_ptrIiEEEESD_jNS0_19identity_decomposerEEE10hipError_tT1_T2_PT3_SI_jT4_jjP12ihipStream_tbEUlT_E0_NS1_11comp_targetILNS1_3genE0ELNS1_11target_archE4294967295ELNS1_3gpuE0ELNS1_3repE0EEENS1_52radix_sort_onesweep_histogram_config_static_selectorELNS0_4arch9wavefront6targetE1EEEvSG_.has_indirect_call, 0
	.section	.AMDGPU.csdata,"",@progbits
; Kernel info:
; codeLenInByte = 0
; TotalNumSgprs: 6
; NumVgprs: 0
; NumAgprs: 0
; TotalNumVgprs: 0
; ScratchSize: 0
; MemoryBound: 0
; FloatMode: 240
; IeeeMode: 1
; LDSByteSize: 0 bytes/workgroup (compile time only)
; SGPRBlocks: 0
; VGPRBlocks: 0
; NumSGPRsForWavesPerEU: 6
; NumVGPRsForWavesPerEU: 1
; AccumOffset: 4
; Occupancy: 8
; WaveLimiterHint : 0
; COMPUTE_PGM_RSRC2:SCRATCH_EN: 0
; COMPUTE_PGM_RSRC2:USER_SGPR: 2
; COMPUTE_PGM_RSRC2:TRAP_HANDLER: 0
; COMPUTE_PGM_RSRC2:TGID_X_EN: 1
; COMPUTE_PGM_RSRC2:TGID_Y_EN: 0
; COMPUTE_PGM_RSRC2:TGID_Z_EN: 0
; COMPUTE_PGM_RSRC2:TIDIG_COMP_CNT: 0
; COMPUTE_PGM_RSRC3_GFX90A:ACCUM_OFFSET: 0
; COMPUTE_PGM_RSRC3_GFX90A:TG_SPLIT: 0
	.section	.text._ZN7rocprim17ROCPRIM_400000_NS6detail17trampoline_kernelINS0_14default_configENS1_35radix_sort_onesweep_config_selectorIiiEEZNS1_34radix_sort_onesweep_global_offsetsIS3_Lb0EN6thrust23THRUST_200600_302600_NS6detail15normal_iteratorINS8_10device_ptrIiEEEESD_jNS0_19identity_decomposerEEE10hipError_tT1_T2_PT3_SI_jT4_jjP12ihipStream_tbEUlT_E0_NS1_11comp_targetILNS1_3genE6ELNS1_11target_archE950ELNS1_3gpuE13ELNS1_3repE0EEENS1_52radix_sort_onesweep_histogram_config_static_selectorELNS0_4arch9wavefront6targetE1EEEvSG_,"axG",@progbits,_ZN7rocprim17ROCPRIM_400000_NS6detail17trampoline_kernelINS0_14default_configENS1_35radix_sort_onesweep_config_selectorIiiEEZNS1_34radix_sort_onesweep_global_offsetsIS3_Lb0EN6thrust23THRUST_200600_302600_NS6detail15normal_iteratorINS8_10device_ptrIiEEEESD_jNS0_19identity_decomposerEEE10hipError_tT1_T2_PT3_SI_jT4_jjP12ihipStream_tbEUlT_E0_NS1_11comp_targetILNS1_3genE6ELNS1_11target_archE950ELNS1_3gpuE13ELNS1_3repE0EEENS1_52radix_sort_onesweep_histogram_config_static_selectorELNS0_4arch9wavefront6targetE1EEEvSG_,comdat
	.protected	_ZN7rocprim17ROCPRIM_400000_NS6detail17trampoline_kernelINS0_14default_configENS1_35radix_sort_onesweep_config_selectorIiiEEZNS1_34radix_sort_onesweep_global_offsetsIS3_Lb0EN6thrust23THRUST_200600_302600_NS6detail15normal_iteratorINS8_10device_ptrIiEEEESD_jNS0_19identity_decomposerEEE10hipError_tT1_T2_PT3_SI_jT4_jjP12ihipStream_tbEUlT_E0_NS1_11comp_targetILNS1_3genE6ELNS1_11target_archE950ELNS1_3gpuE13ELNS1_3repE0EEENS1_52radix_sort_onesweep_histogram_config_static_selectorELNS0_4arch9wavefront6targetE1EEEvSG_ ; -- Begin function _ZN7rocprim17ROCPRIM_400000_NS6detail17trampoline_kernelINS0_14default_configENS1_35radix_sort_onesweep_config_selectorIiiEEZNS1_34radix_sort_onesweep_global_offsetsIS3_Lb0EN6thrust23THRUST_200600_302600_NS6detail15normal_iteratorINS8_10device_ptrIiEEEESD_jNS0_19identity_decomposerEEE10hipError_tT1_T2_PT3_SI_jT4_jjP12ihipStream_tbEUlT_E0_NS1_11comp_targetILNS1_3genE6ELNS1_11target_archE950ELNS1_3gpuE13ELNS1_3repE0EEENS1_52radix_sort_onesweep_histogram_config_static_selectorELNS0_4arch9wavefront6targetE1EEEvSG_
	.globl	_ZN7rocprim17ROCPRIM_400000_NS6detail17trampoline_kernelINS0_14default_configENS1_35radix_sort_onesweep_config_selectorIiiEEZNS1_34radix_sort_onesweep_global_offsetsIS3_Lb0EN6thrust23THRUST_200600_302600_NS6detail15normal_iteratorINS8_10device_ptrIiEEEESD_jNS0_19identity_decomposerEEE10hipError_tT1_T2_PT3_SI_jT4_jjP12ihipStream_tbEUlT_E0_NS1_11comp_targetILNS1_3genE6ELNS1_11target_archE950ELNS1_3gpuE13ELNS1_3repE0EEENS1_52radix_sort_onesweep_histogram_config_static_selectorELNS0_4arch9wavefront6targetE1EEEvSG_
	.p2align	8
	.type	_ZN7rocprim17ROCPRIM_400000_NS6detail17trampoline_kernelINS0_14default_configENS1_35radix_sort_onesweep_config_selectorIiiEEZNS1_34radix_sort_onesweep_global_offsetsIS3_Lb0EN6thrust23THRUST_200600_302600_NS6detail15normal_iteratorINS8_10device_ptrIiEEEESD_jNS0_19identity_decomposerEEE10hipError_tT1_T2_PT3_SI_jT4_jjP12ihipStream_tbEUlT_E0_NS1_11comp_targetILNS1_3genE6ELNS1_11target_archE950ELNS1_3gpuE13ELNS1_3repE0EEENS1_52radix_sort_onesweep_histogram_config_static_selectorELNS0_4arch9wavefront6targetE1EEEvSG_,@function
_ZN7rocprim17ROCPRIM_400000_NS6detail17trampoline_kernelINS0_14default_configENS1_35radix_sort_onesweep_config_selectorIiiEEZNS1_34radix_sort_onesweep_global_offsetsIS3_Lb0EN6thrust23THRUST_200600_302600_NS6detail15normal_iteratorINS8_10device_ptrIiEEEESD_jNS0_19identity_decomposerEEE10hipError_tT1_T2_PT3_SI_jT4_jjP12ihipStream_tbEUlT_E0_NS1_11comp_targetILNS1_3genE6ELNS1_11target_archE950ELNS1_3gpuE13ELNS1_3repE0EEENS1_52radix_sort_onesweep_histogram_config_static_selectorELNS0_4arch9wavefront6targetE1EEEvSG_: ; @_ZN7rocprim17ROCPRIM_400000_NS6detail17trampoline_kernelINS0_14default_configENS1_35radix_sort_onesweep_config_selectorIiiEEZNS1_34radix_sort_onesweep_global_offsetsIS3_Lb0EN6thrust23THRUST_200600_302600_NS6detail15normal_iteratorINS8_10device_ptrIiEEEESD_jNS0_19identity_decomposerEEE10hipError_tT1_T2_PT3_SI_jT4_jjP12ihipStream_tbEUlT_E0_NS1_11comp_targetILNS1_3genE6ELNS1_11target_archE950ELNS1_3gpuE13ELNS1_3repE0EEENS1_52radix_sort_onesweep_histogram_config_static_selectorELNS0_4arch9wavefront6targetE1EEEvSG_
; %bb.0:
	s_load_dwordx2 s[0:1], s[0:1], 0x0
	s_lshl_b32 s2, s2, 8
	s_mov_b32 s3, 0
	s_lshl_b64 s[2:3], s[2:3], 2
	v_lshlrev_b32_e32 v1, 2, v0
	s_waitcnt lgkmcnt(0)
	s_add_u32 s10, s0, s2
	s_movk_i32 s0, 0x100
	s_addc_u32 s11, s1, s3
	v_cmp_gt_u32_e32 vcc, s0, v0
                                        ; implicit-def: $vgpr3
	s_and_saveexec_b64 s[0:1], vcc
	s_cbranch_execz .LBB814_2
; %bb.1:
	global_load_dword v3, v1, s[10:11]
.LBB814_2:
	s_or_b64 exec, exec, s[0:1]
	v_mbcnt_lo_u32_b32 v2, -1, 0
	v_mbcnt_hi_u32_b32 v2, -1, v2
	v_and_b32_e32 v4, 15, v2
	s_waitcnt vmcnt(0)
	v_mov_b32_dpp v5, v3 row_shr:1 row_mask:0xf bank_mask:0xf
	v_cmp_eq_u32_e64 s[0:1], 0, v4
	v_cmp_lt_u32_e64 s[2:3], 1, v4
	v_cmp_lt_u32_e64 s[4:5], 3, v4
	v_cndmask_b32_e64 v5, v5, 0, s[0:1]
	v_add_u32_e32 v3, v5, v3
	v_cmp_lt_u32_e64 s[6:7], 7, v4
	v_cmp_lt_u32_e64 s[8:9], 31, v2
	v_mov_b32_dpp v5, v3 row_shr:2 row_mask:0xf bank_mask:0xf
	v_cndmask_b32_e64 v5, 0, v5, s[2:3]
	v_add_u32_e32 v3, v3, v5
	s_nop 1
	v_mov_b32_dpp v5, v3 row_shr:4 row_mask:0xf bank_mask:0xf
	v_cndmask_b32_e64 v5, 0, v5, s[4:5]
	v_add_u32_e32 v3, v3, v5
	s_nop 1
	v_mov_b32_dpp v5, v3 row_shr:8 row_mask:0xf bank_mask:0xf
	v_cndmask_b32_e64 v4, 0, v5, s[6:7]
	v_add_u32_e32 v3, v3, v4
	v_bfe_i32 v5, v2, 4, 1
	s_nop 0
	v_mov_b32_dpp v4, v3 row_bcast:15 row_mask:0xf bank_mask:0xf
	v_and_b32_e32 v4, v5, v4
	v_add_u32_e32 v3, v3, v4
	v_and_b32_e32 v5, 63, v0
	s_nop 0
	v_mov_b32_dpp v4, v3 row_bcast:31 row_mask:0xf bank_mask:0xf
	v_cndmask_b32_e64 v4, 0, v4, s[8:9]
	v_add_u32_e32 v3, v3, v4
	v_lshrrev_b32_e32 v4, 6, v0
	v_cmp_eq_u32_e64 s[8:9], 63, v5
	s_and_saveexec_b64 s[12:13], s[8:9]
; %bb.3:
	v_lshlrev_b32_e32 v5, 2, v4
	ds_write_b32 v5, v3
; %bb.4:
	s_or_b64 exec, exec, s[12:13]
	v_cmp_gt_u32_e64 s[8:9], 16, v0
	s_waitcnt lgkmcnt(0)
	s_barrier
	s_and_saveexec_b64 s[12:13], s[8:9]
	s_cbranch_execz .LBB814_6
; %bb.5:
	ds_read_b32 v5, v1
	s_waitcnt lgkmcnt(0)
	s_nop 0
	v_mov_b32_dpp v6, v5 row_shr:1 row_mask:0xf bank_mask:0xf
	v_cndmask_b32_e64 v6, v6, 0, s[0:1]
	v_add_u32_e32 v5, v6, v5
	s_nop 1
	v_mov_b32_dpp v6, v5 row_shr:2 row_mask:0xf bank_mask:0xf
	v_cndmask_b32_e64 v6, 0, v6, s[2:3]
	v_add_u32_e32 v5, v5, v6
	s_nop 1
	v_mov_b32_dpp v6, v5 row_shr:4 row_mask:0xf bank_mask:0xf
	v_cndmask_b32_e64 v6, 0, v6, s[4:5]
	v_add_u32_e32 v5, v5, v6
	s_nop 1
	v_mov_b32_dpp v6, v5 row_shr:8 row_mask:0xf bank_mask:0xf
	v_cndmask_b32_e64 v6, 0, v6, s[6:7]
	v_add_u32_e32 v5, v5, v6
	ds_write_b32 v1, v5
.LBB814_6:
	s_or_b64 exec, exec, s[12:13]
	v_cmp_lt_u32_e64 s[0:1], 63, v0
	v_mov_b32_e32 v0, 0
	s_waitcnt lgkmcnt(0)
	s_barrier
	s_and_saveexec_b64 s[2:3], s[0:1]
; %bb.7:
	v_lshl_add_u32 v0, v4, 2, -4
	ds_read_b32 v0, v0
; %bb.8:
	s_or_b64 exec, exec, s[2:3]
	v_add_u32_e32 v4, -1, v2
	v_and_b32_e32 v5, 64, v2
	v_cmp_lt_i32_e64 s[0:1], v4, v5
	s_waitcnt lgkmcnt(0)
	v_add_u32_e32 v3, v0, v3
	v_cndmask_b32_e64 v4, v4, v2, s[0:1]
	v_lshlrev_b32_e32 v4, 2, v4
	ds_bpermute_b32 v3, v4, v3
	s_and_saveexec_b64 s[0:1], vcc
	s_cbranch_execz .LBB814_10
; %bb.9:
	v_cmp_eq_u32_e32 vcc, 0, v2
	s_waitcnt lgkmcnt(0)
	s_nop 0
	v_cndmask_b32_e32 v0, v3, v0, vcc
	global_store_dword v1, v0, s[10:11]
.LBB814_10:
	s_endpgm
	.section	.rodata,"a",@progbits
	.p2align	6, 0x0
	.amdhsa_kernel _ZN7rocprim17ROCPRIM_400000_NS6detail17trampoline_kernelINS0_14default_configENS1_35radix_sort_onesweep_config_selectorIiiEEZNS1_34radix_sort_onesweep_global_offsetsIS3_Lb0EN6thrust23THRUST_200600_302600_NS6detail15normal_iteratorINS8_10device_ptrIiEEEESD_jNS0_19identity_decomposerEEE10hipError_tT1_T2_PT3_SI_jT4_jjP12ihipStream_tbEUlT_E0_NS1_11comp_targetILNS1_3genE6ELNS1_11target_archE950ELNS1_3gpuE13ELNS1_3repE0EEENS1_52radix_sort_onesweep_histogram_config_static_selectorELNS0_4arch9wavefront6targetE1EEEvSG_
		.amdhsa_group_segment_fixed_size 64
		.amdhsa_private_segment_fixed_size 0
		.amdhsa_kernarg_size 8
		.amdhsa_user_sgpr_count 2
		.amdhsa_user_sgpr_dispatch_ptr 0
		.amdhsa_user_sgpr_queue_ptr 0
		.amdhsa_user_sgpr_kernarg_segment_ptr 1
		.amdhsa_user_sgpr_dispatch_id 0
		.amdhsa_user_sgpr_kernarg_preload_length 0
		.amdhsa_user_sgpr_kernarg_preload_offset 0
		.amdhsa_user_sgpr_private_segment_size 0
		.amdhsa_uses_dynamic_stack 0
		.amdhsa_enable_private_segment 0
		.amdhsa_system_sgpr_workgroup_id_x 1
		.amdhsa_system_sgpr_workgroup_id_y 0
		.amdhsa_system_sgpr_workgroup_id_z 0
		.amdhsa_system_sgpr_workgroup_info 0
		.amdhsa_system_vgpr_workitem_id 0
		.amdhsa_next_free_vgpr 7
		.amdhsa_next_free_sgpr 14
		.amdhsa_accum_offset 8
		.amdhsa_reserve_vcc 1
		.amdhsa_float_round_mode_32 0
		.amdhsa_float_round_mode_16_64 0
		.amdhsa_float_denorm_mode_32 3
		.amdhsa_float_denorm_mode_16_64 3
		.amdhsa_dx10_clamp 1
		.amdhsa_ieee_mode 1
		.amdhsa_fp16_overflow 0
		.amdhsa_tg_split 0
		.amdhsa_exception_fp_ieee_invalid_op 0
		.amdhsa_exception_fp_denorm_src 0
		.amdhsa_exception_fp_ieee_div_zero 0
		.amdhsa_exception_fp_ieee_overflow 0
		.amdhsa_exception_fp_ieee_underflow 0
		.amdhsa_exception_fp_ieee_inexact 0
		.amdhsa_exception_int_div_zero 0
	.end_amdhsa_kernel
	.section	.text._ZN7rocprim17ROCPRIM_400000_NS6detail17trampoline_kernelINS0_14default_configENS1_35radix_sort_onesweep_config_selectorIiiEEZNS1_34radix_sort_onesweep_global_offsetsIS3_Lb0EN6thrust23THRUST_200600_302600_NS6detail15normal_iteratorINS8_10device_ptrIiEEEESD_jNS0_19identity_decomposerEEE10hipError_tT1_T2_PT3_SI_jT4_jjP12ihipStream_tbEUlT_E0_NS1_11comp_targetILNS1_3genE6ELNS1_11target_archE950ELNS1_3gpuE13ELNS1_3repE0EEENS1_52radix_sort_onesweep_histogram_config_static_selectorELNS0_4arch9wavefront6targetE1EEEvSG_,"axG",@progbits,_ZN7rocprim17ROCPRIM_400000_NS6detail17trampoline_kernelINS0_14default_configENS1_35radix_sort_onesweep_config_selectorIiiEEZNS1_34radix_sort_onesweep_global_offsetsIS3_Lb0EN6thrust23THRUST_200600_302600_NS6detail15normal_iteratorINS8_10device_ptrIiEEEESD_jNS0_19identity_decomposerEEE10hipError_tT1_T2_PT3_SI_jT4_jjP12ihipStream_tbEUlT_E0_NS1_11comp_targetILNS1_3genE6ELNS1_11target_archE950ELNS1_3gpuE13ELNS1_3repE0EEENS1_52radix_sort_onesweep_histogram_config_static_selectorELNS0_4arch9wavefront6targetE1EEEvSG_,comdat
.Lfunc_end814:
	.size	_ZN7rocprim17ROCPRIM_400000_NS6detail17trampoline_kernelINS0_14default_configENS1_35radix_sort_onesweep_config_selectorIiiEEZNS1_34radix_sort_onesweep_global_offsetsIS3_Lb0EN6thrust23THRUST_200600_302600_NS6detail15normal_iteratorINS8_10device_ptrIiEEEESD_jNS0_19identity_decomposerEEE10hipError_tT1_T2_PT3_SI_jT4_jjP12ihipStream_tbEUlT_E0_NS1_11comp_targetILNS1_3genE6ELNS1_11target_archE950ELNS1_3gpuE13ELNS1_3repE0EEENS1_52radix_sort_onesweep_histogram_config_static_selectorELNS0_4arch9wavefront6targetE1EEEvSG_, .Lfunc_end814-_ZN7rocprim17ROCPRIM_400000_NS6detail17trampoline_kernelINS0_14default_configENS1_35radix_sort_onesweep_config_selectorIiiEEZNS1_34radix_sort_onesweep_global_offsetsIS3_Lb0EN6thrust23THRUST_200600_302600_NS6detail15normal_iteratorINS8_10device_ptrIiEEEESD_jNS0_19identity_decomposerEEE10hipError_tT1_T2_PT3_SI_jT4_jjP12ihipStream_tbEUlT_E0_NS1_11comp_targetILNS1_3genE6ELNS1_11target_archE950ELNS1_3gpuE13ELNS1_3repE0EEENS1_52radix_sort_onesweep_histogram_config_static_selectorELNS0_4arch9wavefront6targetE1EEEvSG_
                                        ; -- End function
	.set _ZN7rocprim17ROCPRIM_400000_NS6detail17trampoline_kernelINS0_14default_configENS1_35radix_sort_onesweep_config_selectorIiiEEZNS1_34radix_sort_onesweep_global_offsetsIS3_Lb0EN6thrust23THRUST_200600_302600_NS6detail15normal_iteratorINS8_10device_ptrIiEEEESD_jNS0_19identity_decomposerEEE10hipError_tT1_T2_PT3_SI_jT4_jjP12ihipStream_tbEUlT_E0_NS1_11comp_targetILNS1_3genE6ELNS1_11target_archE950ELNS1_3gpuE13ELNS1_3repE0EEENS1_52radix_sort_onesweep_histogram_config_static_selectorELNS0_4arch9wavefront6targetE1EEEvSG_.num_vgpr, 7
	.set _ZN7rocprim17ROCPRIM_400000_NS6detail17trampoline_kernelINS0_14default_configENS1_35radix_sort_onesweep_config_selectorIiiEEZNS1_34radix_sort_onesweep_global_offsetsIS3_Lb0EN6thrust23THRUST_200600_302600_NS6detail15normal_iteratorINS8_10device_ptrIiEEEESD_jNS0_19identity_decomposerEEE10hipError_tT1_T2_PT3_SI_jT4_jjP12ihipStream_tbEUlT_E0_NS1_11comp_targetILNS1_3genE6ELNS1_11target_archE950ELNS1_3gpuE13ELNS1_3repE0EEENS1_52radix_sort_onesweep_histogram_config_static_selectorELNS0_4arch9wavefront6targetE1EEEvSG_.num_agpr, 0
	.set _ZN7rocprim17ROCPRIM_400000_NS6detail17trampoline_kernelINS0_14default_configENS1_35radix_sort_onesweep_config_selectorIiiEEZNS1_34radix_sort_onesweep_global_offsetsIS3_Lb0EN6thrust23THRUST_200600_302600_NS6detail15normal_iteratorINS8_10device_ptrIiEEEESD_jNS0_19identity_decomposerEEE10hipError_tT1_T2_PT3_SI_jT4_jjP12ihipStream_tbEUlT_E0_NS1_11comp_targetILNS1_3genE6ELNS1_11target_archE950ELNS1_3gpuE13ELNS1_3repE0EEENS1_52radix_sort_onesweep_histogram_config_static_selectorELNS0_4arch9wavefront6targetE1EEEvSG_.numbered_sgpr, 14
	.set _ZN7rocprim17ROCPRIM_400000_NS6detail17trampoline_kernelINS0_14default_configENS1_35radix_sort_onesweep_config_selectorIiiEEZNS1_34radix_sort_onesweep_global_offsetsIS3_Lb0EN6thrust23THRUST_200600_302600_NS6detail15normal_iteratorINS8_10device_ptrIiEEEESD_jNS0_19identity_decomposerEEE10hipError_tT1_T2_PT3_SI_jT4_jjP12ihipStream_tbEUlT_E0_NS1_11comp_targetILNS1_3genE6ELNS1_11target_archE950ELNS1_3gpuE13ELNS1_3repE0EEENS1_52radix_sort_onesweep_histogram_config_static_selectorELNS0_4arch9wavefront6targetE1EEEvSG_.num_named_barrier, 0
	.set _ZN7rocprim17ROCPRIM_400000_NS6detail17trampoline_kernelINS0_14default_configENS1_35radix_sort_onesweep_config_selectorIiiEEZNS1_34radix_sort_onesweep_global_offsetsIS3_Lb0EN6thrust23THRUST_200600_302600_NS6detail15normal_iteratorINS8_10device_ptrIiEEEESD_jNS0_19identity_decomposerEEE10hipError_tT1_T2_PT3_SI_jT4_jjP12ihipStream_tbEUlT_E0_NS1_11comp_targetILNS1_3genE6ELNS1_11target_archE950ELNS1_3gpuE13ELNS1_3repE0EEENS1_52radix_sort_onesweep_histogram_config_static_selectorELNS0_4arch9wavefront6targetE1EEEvSG_.private_seg_size, 0
	.set _ZN7rocprim17ROCPRIM_400000_NS6detail17trampoline_kernelINS0_14default_configENS1_35radix_sort_onesweep_config_selectorIiiEEZNS1_34radix_sort_onesweep_global_offsetsIS3_Lb0EN6thrust23THRUST_200600_302600_NS6detail15normal_iteratorINS8_10device_ptrIiEEEESD_jNS0_19identity_decomposerEEE10hipError_tT1_T2_PT3_SI_jT4_jjP12ihipStream_tbEUlT_E0_NS1_11comp_targetILNS1_3genE6ELNS1_11target_archE950ELNS1_3gpuE13ELNS1_3repE0EEENS1_52radix_sort_onesweep_histogram_config_static_selectorELNS0_4arch9wavefront6targetE1EEEvSG_.uses_vcc, 1
	.set _ZN7rocprim17ROCPRIM_400000_NS6detail17trampoline_kernelINS0_14default_configENS1_35radix_sort_onesweep_config_selectorIiiEEZNS1_34radix_sort_onesweep_global_offsetsIS3_Lb0EN6thrust23THRUST_200600_302600_NS6detail15normal_iteratorINS8_10device_ptrIiEEEESD_jNS0_19identity_decomposerEEE10hipError_tT1_T2_PT3_SI_jT4_jjP12ihipStream_tbEUlT_E0_NS1_11comp_targetILNS1_3genE6ELNS1_11target_archE950ELNS1_3gpuE13ELNS1_3repE0EEENS1_52radix_sort_onesweep_histogram_config_static_selectorELNS0_4arch9wavefront6targetE1EEEvSG_.uses_flat_scratch, 0
	.set _ZN7rocprim17ROCPRIM_400000_NS6detail17trampoline_kernelINS0_14default_configENS1_35radix_sort_onesweep_config_selectorIiiEEZNS1_34radix_sort_onesweep_global_offsetsIS3_Lb0EN6thrust23THRUST_200600_302600_NS6detail15normal_iteratorINS8_10device_ptrIiEEEESD_jNS0_19identity_decomposerEEE10hipError_tT1_T2_PT3_SI_jT4_jjP12ihipStream_tbEUlT_E0_NS1_11comp_targetILNS1_3genE6ELNS1_11target_archE950ELNS1_3gpuE13ELNS1_3repE0EEENS1_52radix_sort_onesweep_histogram_config_static_selectorELNS0_4arch9wavefront6targetE1EEEvSG_.has_dyn_sized_stack, 0
	.set _ZN7rocprim17ROCPRIM_400000_NS6detail17trampoline_kernelINS0_14default_configENS1_35radix_sort_onesweep_config_selectorIiiEEZNS1_34radix_sort_onesweep_global_offsetsIS3_Lb0EN6thrust23THRUST_200600_302600_NS6detail15normal_iteratorINS8_10device_ptrIiEEEESD_jNS0_19identity_decomposerEEE10hipError_tT1_T2_PT3_SI_jT4_jjP12ihipStream_tbEUlT_E0_NS1_11comp_targetILNS1_3genE6ELNS1_11target_archE950ELNS1_3gpuE13ELNS1_3repE0EEENS1_52radix_sort_onesweep_histogram_config_static_selectorELNS0_4arch9wavefront6targetE1EEEvSG_.has_recursion, 0
	.set _ZN7rocprim17ROCPRIM_400000_NS6detail17trampoline_kernelINS0_14default_configENS1_35radix_sort_onesweep_config_selectorIiiEEZNS1_34radix_sort_onesweep_global_offsetsIS3_Lb0EN6thrust23THRUST_200600_302600_NS6detail15normal_iteratorINS8_10device_ptrIiEEEESD_jNS0_19identity_decomposerEEE10hipError_tT1_T2_PT3_SI_jT4_jjP12ihipStream_tbEUlT_E0_NS1_11comp_targetILNS1_3genE6ELNS1_11target_archE950ELNS1_3gpuE13ELNS1_3repE0EEENS1_52radix_sort_onesweep_histogram_config_static_selectorELNS0_4arch9wavefront6targetE1EEEvSG_.has_indirect_call, 0
	.section	.AMDGPU.csdata,"",@progbits
; Kernel info:
; codeLenInByte = 572
; TotalNumSgprs: 20
; NumVgprs: 7
; NumAgprs: 0
; TotalNumVgprs: 7
; ScratchSize: 0
; MemoryBound: 0
; FloatMode: 240
; IeeeMode: 1
; LDSByteSize: 64 bytes/workgroup (compile time only)
; SGPRBlocks: 2
; VGPRBlocks: 0
; NumSGPRsForWavesPerEU: 20
; NumVGPRsForWavesPerEU: 7
; AccumOffset: 8
; Occupancy: 8
; WaveLimiterHint : 0
; COMPUTE_PGM_RSRC2:SCRATCH_EN: 0
; COMPUTE_PGM_RSRC2:USER_SGPR: 2
; COMPUTE_PGM_RSRC2:TRAP_HANDLER: 0
; COMPUTE_PGM_RSRC2:TGID_X_EN: 1
; COMPUTE_PGM_RSRC2:TGID_Y_EN: 0
; COMPUTE_PGM_RSRC2:TGID_Z_EN: 0
; COMPUTE_PGM_RSRC2:TIDIG_COMP_CNT: 0
; COMPUTE_PGM_RSRC3_GFX90A:ACCUM_OFFSET: 1
; COMPUTE_PGM_RSRC3_GFX90A:TG_SPLIT: 0
	.section	.text._ZN7rocprim17ROCPRIM_400000_NS6detail17trampoline_kernelINS0_14default_configENS1_35radix_sort_onesweep_config_selectorIiiEEZNS1_34radix_sort_onesweep_global_offsetsIS3_Lb0EN6thrust23THRUST_200600_302600_NS6detail15normal_iteratorINS8_10device_ptrIiEEEESD_jNS0_19identity_decomposerEEE10hipError_tT1_T2_PT3_SI_jT4_jjP12ihipStream_tbEUlT_E0_NS1_11comp_targetILNS1_3genE5ELNS1_11target_archE942ELNS1_3gpuE9ELNS1_3repE0EEENS1_52radix_sort_onesweep_histogram_config_static_selectorELNS0_4arch9wavefront6targetE1EEEvSG_,"axG",@progbits,_ZN7rocprim17ROCPRIM_400000_NS6detail17trampoline_kernelINS0_14default_configENS1_35radix_sort_onesweep_config_selectorIiiEEZNS1_34radix_sort_onesweep_global_offsetsIS3_Lb0EN6thrust23THRUST_200600_302600_NS6detail15normal_iteratorINS8_10device_ptrIiEEEESD_jNS0_19identity_decomposerEEE10hipError_tT1_T2_PT3_SI_jT4_jjP12ihipStream_tbEUlT_E0_NS1_11comp_targetILNS1_3genE5ELNS1_11target_archE942ELNS1_3gpuE9ELNS1_3repE0EEENS1_52radix_sort_onesweep_histogram_config_static_selectorELNS0_4arch9wavefront6targetE1EEEvSG_,comdat
	.protected	_ZN7rocprim17ROCPRIM_400000_NS6detail17trampoline_kernelINS0_14default_configENS1_35radix_sort_onesweep_config_selectorIiiEEZNS1_34radix_sort_onesweep_global_offsetsIS3_Lb0EN6thrust23THRUST_200600_302600_NS6detail15normal_iteratorINS8_10device_ptrIiEEEESD_jNS0_19identity_decomposerEEE10hipError_tT1_T2_PT3_SI_jT4_jjP12ihipStream_tbEUlT_E0_NS1_11comp_targetILNS1_3genE5ELNS1_11target_archE942ELNS1_3gpuE9ELNS1_3repE0EEENS1_52radix_sort_onesweep_histogram_config_static_selectorELNS0_4arch9wavefront6targetE1EEEvSG_ ; -- Begin function _ZN7rocprim17ROCPRIM_400000_NS6detail17trampoline_kernelINS0_14default_configENS1_35radix_sort_onesweep_config_selectorIiiEEZNS1_34radix_sort_onesweep_global_offsetsIS3_Lb0EN6thrust23THRUST_200600_302600_NS6detail15normal_iteratorINS8_10device_ptrIiEEEESD_jNS0_19identity_decomposerEEE10hipError_tT1_T2_PT3_SI_jT4_jjP12ihipStream_tbEUlT_E0_NS1_11comp_targetILNS1_3genE5ELNS1_11target_archE942ELNS1_3gpuE9ELNS1_3repE0EEENS1_52radix_sort_onesweep_histogram_config_static_selectorELNS0_4arch9wavefront6targetE1EEEvSG_
	.globl	_ZN7rocprim17ROCPRIM_400000_NS6detail17trampoline_kernelINS0_14default_configENS1_35radix_sort_onesweep_config_selectorIiiEEZNS1_34radix_sort_onesweep_global_offsetsIS3_Lb0EN6thrust23THRUST_200600_302600_NS6detail15normal_iteratorINS8_10device_ptrIiEEEESD_jNS0_19identity_decomposerEEE10hipError_tT1_T2_PT3_SI_jT4_jjP12ihipStream_tbEUlT_E0_NS1_11comp_targetILNS1_3genE5ELNS1_11target_archE942ELNS1_3gpuE9ELNS1_3repE0EEENS1_52radix_sort_onesweep_histogram_config_static_selectorELNS0_4arch9wavefront6targetE1EEEvSG_
	.p2align	8
	.type	_ZN7rocprim17ROCPRIM_400000_NS6detail17trampoline_kernelINS0_14default_configENS1_35radix_sort_onesweep_config_selectorIiiEEZNS1_34radix_sort_onesweep_global_offsetsIS3_Lb0EN6thrust23THRUST_200600_302600_NS6detail15normal_iteratorINS8_10device_ptrIiEEEESD_jNS0_19identity_decomposerEEE10hipError_tT1_T2_PT3_SI_jT4_jjP12ihipStream_tbEUlT_E0_NS1_11comp_targetILNS1_3genE5ELNS1_11target_archE942ELNS1_3gpuE9ELNS1_3repE0EEENS1_52radix_sort_onesweep_histogram_config_static_selectorELNS0_4arch9wavefront6targetE1EEEvSG_,@function
_ZN7rocprim17ROCPRIM_400000_NS6detail17trampoline_kernelINS0_14default_configENS1_35radix_sort_onesweep_config_selectorIiiEEZNS1_34radix_sort_onesweep_global_offsetsIS3_Lb0EN6thrust23THRUST_200600_302600_NS6detail15normal_iteratorINS8_10device_ptrIiEEEESD_jNS0_19identity_decomposerEEE10hipError_tT1_T2_PT3_SI_jT4_jjP12ihipStream_tbEUlT_E0_NS1_11comp_targetILNS1_3genE5ELNS1_11target_archE942ELNS1_3gpuE9ELNS1_3repE0EEENS1_52radix_sort_onesweep_histogram_config_static_selectorELNS0_4arch9wavefront6targetE1EEEvSG_: ; @_ZN7rocprim17ROCPRIM_400000_NS6detail17trampoline_kernelINS0_14default_configENS1_35radix_sort_onesweep_config_selectorIiiEEZNS1_34radix_sort_onesweep_global_offsetsIS3_Lb0EN6thrust23THRUST_200600_302600_NS6detail15normal_iteratorINS8_10device_ptrIiEEEESD_jNS0_19identity_decomposerEEE10hipError_tT1_T2_PT3_SI_jT4_jjP12ihipStream_tbEUlT_E0_NS1_11comp_targetILNS1_3genE5ELNS1_11target_archE942ELNS1_3gpuE9ELNS1_3repE0EEENS1_52radix_sort_onesweep_histogram_config_static_selectorELNS0_4arch9wavefront6targetE1EEEvSG_
; %bb.0:
	.section	.rodata,"a",@progbits
	.p2align	6, 0x0
	.amdhsa_kernel _ZN7rocprim17ROCPRIM_400000_NS6detail17trampoline_kernelINS0_14default_configENS1_35radix_sort_onesweep_config_selectorIiiEEZNS1_34radix_sort_onesweep_global_offsetsIS3_Lb0EN6thrust23THRUST_200600_302600_NS6detail15normal_iteratorINS8_10device_ptrIiEEEESD_jNS0_19identity_decomposerEEE10hipError_tT1_T2_PT3_SI_jT4_jjP12ihipStream_tbEUlT_E0_NS1_11comp_targetILNS1_3genE5ELNS1_11target_archE942ELNS1_3gpuE9ELNS1_3repE0EEENS1_52radix_sort_onesweep_histogram_config_static_selectorELNS0_4arch9wavefront6targetE1EEEvSG_
		.amdhsa_group_segment_fixed_size 0
		.amdhsa_private_segment_fixed_size 0
		.amdhsa_kernarg_size 8
		.amdhsa_user_sgpr_count 2
		.amdhsa_user_sgpr_dispatch_ptr 0
		.amdhsa_user_sgpr_queue_ptr 0
		.amdhsa_user_sgpr_kernarg_segment_ptr 1
		.amdhsa_user_sgpr_dispatch_id 0
		.amdhsa_user_sgpr_kernarg_preload_length 0
		.amdhsa_user_sgpr_kernarg_preload_offset 0
		.amdhsa_user_sgpr_private_segment_size 0
		.amdhsa_uses_dynamic_stack 0
		.amdhsa_enable_private_segment 0
		.amdhsa_system_sgpr_workgroup_id_x 1
		.amdhsa_system_sgpr_workgroup_id_y 0
		.amdhsa_system_sgpr_workgroup_id_z 0
		.amdhsa_system_sgpr_workgroup_info 0
		.amdhsa_system_vgpr_workitem_id 0
		.amdhsa_next_free_vgpr 1
		.amdhsa_next_free_sgpr 0
		.amdhsa_accum_offset 4
		.amdhsa_reserve_vcc 0
		.amdhsa_float_round_mode_32 0
		.amdhsa_float_round_mode_16_64 0
		.amdhsa_float_denorm_mode_32 3
		.amdhsa_float_denorm_mode_16_64 3
		.amdhsa_dx10_clamp 1
		.amdhsa_ieee_mode 1
		.amdhsa_fp16_overflow 0
		.amdhsa_tg_split 0
		.amdhsa_exception_fp_ieee_invalid_op 0
		.amdhsa_exception_fp_denorm_src 0
		.amdhsa_exception_fp_ieee_div_zero 0
		.amdhsa_exception_fp_ieee_overflow 0
		.amdhsa_exception_fp_ieee_underflow 0
		.amdhsa_exception_fp_ieee_inexact 0
		.amdhsa_exception_int_div_zero 0
	.end_amdhsa_kernel
	.section	.text._ZN7rocprim17ROCPRIM_400000_NS6detail17trampoline_kernelINS0_14default_configENS1_35radix_sort_onesweep_config_selectorIiiEEZNS1_34radix_sort_onesweep_global_offsetsIS3_Lb0EN6thrust23THRUST_200600_302600_NS6detail15normal_iteratorINS8_10device_ptrIiEEEESD_jNS0_19identity_decomposerEEE10hipError_tT1_T2_PT3_SI_jT4_jjP12ihipStream_tbEUlT_E0_NS1_11comp_targetILNS1_3genE5ELNS1_11target_archE942ELNS1_3gpuE9ELNS1_3repE0EEENS1_52radix_sort_onesweep_histogram_config_static_selectorELNS0_4arch9wavefront6targetE1EEEvSG_,"axG",@progbits,_ZN7rocprim17ROCPRIM_400000_NS6detail17trampoline_kernelINS0_14default_configENS1_35radix_sort_onesweep_config_selectorIiiEEZNS1_34radix_sort_onesweep_global_offsetsIS3_Lb0EN6thrust23THRUST_200600_302600_NS6detail15normal_iteratorINS8_10device_ptrIiEEEESD_jNS0_19identity_decomposerEEE10hipError_tT1_T2_PT3_SI_jT4_jjP12ihipStream_tbEUlT_E0_NS1_11comp_targetILNS1_3genE5ELNS1_11target_archE942ELNS1_3gpuE9ELNS1_3repE0EEENS1_52radix_sort_onesweep_histogram_config_static_selectorELNS0_4arch9wavefront6targetE1EEEvSG_,comdat
.Lfunc_end815:
	.size	_ZN7rocprim17ROCPRIM_400000_NS6detail17trampoline_kernelINS0_14default_configENS1_35radix_sort_onesweep_config_selectorIiiEEZNS1_34radix_sort_onesweep_global_offsetsIS3_Lb0EN6thrust23THRUST_200600_302600_NS6detail15normal_iteratorINS8_10device_ptrIiEEEESD_jNS0_19identity_decomposerEEE10hipError_tT1_T2_PT3_SI_jT4_jjP12ihipStream_tbEUlT_E0_NS1_11comp_targetILNS1_3genE5ELNS1_11target_archE942ELNS1_3gpuE9ELNS1_3repE0EEENS1_52radix_sort_onesweep_histogram_config_static_selectorELNS0_4arch9wavefront6targetE1EEEvSG_, .Lfunc_end815-_ZN7rocprim17ROCPRIM_400000_NS6detail17trampoline_kernelINS0_14default_configENS1_35radix_sort_onesweep_config_selectorIiiEEZNS1_34radix_sort_onesweep_global_offsetsIS3_Lb0EN6thrust23THRUST_200600_302600_NS6detail15normal_iteratorINS8_10device_ptrIiEEEESD_jNS0_19identity_decomposerEEE10hipError_tT1_T2_PT3_SI_jT4_jjP12ihipStream_tbEUlT_E0_NS1_11comp_targetILNS1_3genE5ELNS1_11target_archE942ELNS1_3gpuE9ELNS1_3repE0EEENS1_52radix_sort_onesweep_histogram_config_static_selectorELNS0_4arch9wavefront6targetE1EEEvSG_
                                        ; -- End function
	.set _ZN7rocprim17ROCPRIM_400000_NS6detail17trampoline_kernelINS0_14default_configENS1_35radix_sort_onesweep_config_selectorIiiEEZNS1_34radix_sort_onesweep_global_offsetsIS3_Lb0EN6thrust23THRUST_200600_302600_NS6detail15normal_iteratorINS8_10device_ptrIiEEEESD_jNS0_19identity_decomposerEEE10hipError_tT1_T2_PT3_SI_jT4_jjP12ihipStream_tbEUlT_E0_NS1_11comp_targetILNS1_3genE5ELNS1_11target_archE942ELNS1_3gpuE9ELNS1_3repE0EEENS1_52radix_sort_onesweep_histogram_config_static_selectorELNS0_4arch9wavefront6targetE1EEEvSG_.num_vgpr, 0
	.set _ZN7rocprim17ROCPRIM_400000_NS6detail17trampoline_kernelINS0_14default_configENS1_35radix_sort_onesweep_config_selectorIiiEEZNS1_34radix_sort_onesweep_global_offsetsIS3_Lb0EN6thrust23THRUST_200600_302600_NS6detail15normal_iteratorINS8_10device_ptrIiEEEESD_jNS0_19identity_decomposerEEE10hipError_tT1_T2_PT3_SI_jT4_jjP12ihipStream_tbEUlT_E0_NS1_11comp_targetILNS1_3genE5ELNS1_11target_archE942ELNS1_3gpuE9ELNS1_3repE0EEENS1_52radix_sort_onesweep_histogram_config_static_selectorELNS0_4arch9wavefront6targetE1EEEvSG_.num_agpr, 0
	.set _ZN7rocprim17ROCPRIM_400000_NS6detail17trampoline_kernelINS0_14default_configENS1_35radix_sort_onesweep_config_selectorIiiEEZNS1_34radix_sort_onesweep_global_offsetsIS3_Lb0EN6thrust23THRUST_200600_302600_NS6detail15normal_iteratorINS8_10device_ptrIiEEEESD_jNS0_19identity_decomposerEEE10hipError_tT1_T2_PT3_SI_jT4_jjP12ihipStream_tbEUlT_E0_NS1_11comp_targetILNS1_3genE5ELNS1_11target_archE942ELNS1_3gpuE9ELNS1_3repE0EEENS1_52radix_sort_onesweep_histogram_config_static_selectorELNS0_4arch9wavefront6targetE1EEEvSG_.numbered_sgpr, 0
	.set _ZN7rocprim17ROCPRIM_400000_NS6detail17trampoline_kernelINS0_14default_configENS1_35radix_sort_onesweep_config_selectorIiiEEZNS1_34radix_sort_onesweep_global_offsetsIS3_Lb0EN6thrust23THRUST_200600_302600_NS6detail15normal_iteratorINS8_10device_ptrIiEEEESD_jNS0_19identity_decomposerEEE10hipError_tT1_T2_PT3_SI_jT4_jjP12ihipStream_tbEUlT_E0_NS1_11comp_targetILNS1_3genE5ELNS1_11target_archE942ELNS1_3gpuE9ELNS1_3repE0EEENS1_52radix_sort_onesweep_histogram_config_static_selectorELNS0_4arch9wavefront6targetE1EEEvSG_.num_named_barrier, 0
	.set _ZN7rocprim17ROCPRIM_400000_NS6detail17trampoline_kernelINS0_14default_configENS1_35radix_sort_onesweep_config_selectorIiiEEZNS1_34radix_sort_onesweep_global_offsetsIS3_Lb0EN6thrust23THRUST_200600_302600_NS6detail15normal_iteratorINS8_10device_ptrIiEEEESD_jNS0_19identity_decomposerEEE10hipError_tT1_T2_PT3_SI_jT4_jjP12ihipStream_tbEUlT_E0_NS1_11comp_targetILNS1_3genE5ELNS1_11target_archE942ELNS1_3gpuE9ELNS1_3repE0EEENS1_52radix_sort_onesweep_histogram_config_static_selectorELNS0_4arch9wavefront6targetE1EEEvSG_.private_seg_size, 0
	.set _ZN7rocprim17ROCPRIM_400000_NS6detail17trampoline_kernelINS0_14default_configENS1_35radix_sort_onesweep_config_selectorIiiEEZNS1_34radix_sort_onesweep_global_offsetsIS3_Lb0EN6thrust23THRUST_200600_302600_NS6detail15normal_iteratorINS8_10device_ptrIiEEEESD_jNS0_19identity_decomposerEEE10hipError_tT1_T2_PT3_SI_jT4_jjP12ihipStream_tbEUlT_E0_NS1_11comp_targetILNS1_3genE5ELNS1_11target_archE942ELNS1_3gpuE9ELNS1_3repE0EEENS1_52radix_sort_onesweep_histogram_config_static_selectorELNS0_4arch9wavefront6targetE1EEEvSG_.uses_vcc, 0
	.set _ZN7rocprim17ROCPRIM_400000_NS6detail17trampoline_kernelINS0_14default_configENS1_35radix_sort_onesweep_config_selectorIiiEEZNS1_34radix_sort_onesweep_global_offsetsIS3_Lb0EN6thrust23THRUST_200600_302600_NS6detail15normal_iteratorINS8_10device_ptrIiEEEESD_jNS0_19identity_decomposerEEE10hipError_tT1_T2_PT3_SI_jT4_jjP12ihipStream_tbEUlT_E0_NS1_11comp_targetILNS1_3genE5ELNS1_11target_archE942ELNS1_3gpuE9ELNS1_3repE0EEENS1_52radix_sort_onesweep_histogram_config_static_selectorELNS0_4arch9wavefront6targetE1EEEvSG_.uses_flat_scratch, 0
	.set _ZN7rocprim17ROCPRIM_400000_NS6detail17trampoline_kernelINS0_14default_configENS1_35radix_sort_onesweep_config_selectorIiiEEZNS1_34radix_sort_onesweep_global_offsetsIS3_Lb0EN6thrust23THRUST_200600_302600_NS6detail15normal_iteratorINS8_10device_ptrIiEEEESD_jNS0_19identity_decomposerEEE10hipError_tT1_T2_PT3_SI_jT4_jjP12ihipStream_tbEUlT_E0_NS1_11comp_targetILNS1_3genE5ELNS1_11target_archE942ELNS1_3gpuE9ELNS1_3repE0EEENS1_52radix_sort_onesweep_histogram_config_static_selectorELNS0_4arch9wavefront6targetE1EEEvSG_.has_dyn_sized_stack, 0
	.set _ZN7rocprim17ROCPRIM_400000_NS6detail17trampoline_kernelINS0_14default_configENS1_35radix_sort_onesweep_config_selectorIiiEEZNS1_34radix_sort_onesweep_global_offsetsIS3_Lb0EN6thrust23THRUST_200600_302600_NS6detail15normal_iteratorINS8_10device_ptrIiEEEESD_jNS0_19identity_decomposerEEE10hipError_tT1_T2_PT3_SI_jT4_jjP12ihipStream_tbEUlT_E0_NS1_11comp_targetILNS1_3genE5ELNS1_11target_archE942ELNS1_3gpuE9ELNS1_3repE0EEENS1_52radix_sort_onesweep_histogram_config_static_selectorELNS0_4arch9wavefront6targetE1EEEvSG_.has_recursion, 0
	.set _ZN7rocprim17ROCPRIM_400000_NS6detail17trampoline_kernelINS0_14default_configENS1_35radix_sort_onesweep_config_selectorIiiEEZNS1_34radix_sort_onesweep_global_offsetsIS3_Lb0EN6thrust23THRUST_200600_302600_NS6detail15normal_iteratorINS8_10device_ptrIiEEEESD_jNS0_19identity_decomposerEEE10hipError_tT1_T2_PT3_SI_jT4_jjP12ihipStream_tbEUlT_E0_NS1_11comp_targetILNS1_3genE5ELNS1_11target_archE942ELNS1_3gpuE9ELNS1_3repE0EEENS1_52radix_sort_onesweep_histogram_config_static_selectorELNS0_4arch9wavefront6targetE1EEEvSG_.has_indirect_call, 0
	.section	.AMDGPU.csdata,"",@progbits
; Kernel info:
; codeLenInByte = 0
; TotalNumSgprs: 6
; NumVgprs: 0
; NumAgprs: 0
; TotalNumVgprs: 0
; ScratchSize: 0
; MemoryBound: 0
; FloatMode: 240
; IeeeMode: 1
; LDSByteSize: 0 bytes/workgroup (compile time only)
; SGPRBlocks: 0
; VGPRBlocks: 0
; NumSGPRsForWavesPerEU: 6
; NumVGPRsForWavesPerEU: 1
; AccumOffset: 4
; Occupancy: 8
; WaveLimiterHint : 0
; COMPUTE_PGM_RSRC2:SCRATCH_EN: 0
; COMPUTE_PGM_RSRC2:USER_SGPR: 2
; COMPUTE_PGM_RSRC2:TRAP_HANDLER: 0
; COMPUTE_PGM_RSRC2:TGID_X_EN: 1
; COMPUTE_PGM_RSRC2:TGID_Y_EN: 0
; COMPUTE_PGM_RSRC2:TGID_Z_EN: 0
; COMPUTE_PGM_RSRC2:TIDIG_COMP_CNT: 0
; COMPUTE_PGM_RSRC3_GFX90A:ACCUM_OFFSET: 0
; COMPUTE_PGM_RSRC3_GFX90A:TG_SPLIT: 0
	.section	.text._ZN7rocprim17ROCPRIM_400000_NS6detail17trampoline_kernelINS0_14default_configENS1_35radix_sort_onesweep_config_selectorIiiEEZNS1_34radix_sort_onesweep_global_offsetsIS3_Lb0EN6thrust23THRUST_200600_302600_NS6detail15normal_iteratorINS8_10device_ptrIiEEEESD_jNS0_19identity_decomposerEEE10hipError_tT1_T2_PT3_SI_jT4_jjP12ihipStream_tbEUlT_E0_NS1_11comp_targetILNS1_3genE2ELNS1_11target_archE906ELNS1_3gpuE6ELNS1_3repE0EEENS1_52radix_sort_onesweep_histogram_config_static_selectorELNS0_4arch9wavefront6targetE1EEEvSG_,"axG",@progbits,_ZN7rocprim17ROCPRIM_400000_NS6detail17trampoline_kernelINS0_14default_configENS1_35radix_sort_onesweep_config_selectorIiiEEZNS1_34radix_sort_onesweep_global_offsetsIS3_Lb0EN6thrust23THRUST_200600_302600_NS6detail15normal_iteratorINS8_10device_ptrIiEEEESD_jNS0_19identity_decomposerEEE10hipError_tT1_T2_PT3_SI_jT4_jjP12ihipStream_tbEUlT_E0_NS1_11comp_targetILNS1_3genE2ELNS1_11target_archE906ELNS1_3gpuE6ELNS1_3repE0EEENS1_52radix_sort_onesweep_histogram_config_static_selectorELNS0_4arch9wavefront6targetE1EEEvSG_,comdat
	.protected	_ZN7rocprim17ROCPRIM_400000_NS6detail17trampoline_kernelINS0_14default_configENS1_35radix_sort_onesweep_config_selectorIiiEEZNS1_34radix_sort_onesweep_global_offsetsIS3_Lb0EN6thrust23THRUST_200600_302600_NS6detail15normal_iteratorINS8_10device_ptrIiEEEESD_jNS0_19identity_decomposerEEE10hipError_tT1_T2_PT3_SI_jT4_jjP12ihipStream_tbEUlT_E0_NS1_11comp_targetILNS1_3genE2ELNS1_11target_archE906ELNS1_3gpuE6ELNS1_3repE0EEENS1_52radix_sort_onesweep_histogram_config_static_selectorELNS0_4arch9wavefront6targetE1EEEvSG_ ; -- Begin function _ZN7rocprim17ROCPRIM_400000_NS6detail17trampoline_kernelINS0_14default_configENS1_35radix_sort_onesweep_config_selectorIiiEEZNS1_34radix_sort_onesweep_global_offsetsIS3_Lb0EN6thrust23THRUST_200600_302600_NS6detail15normal_iteratorINS8_10device_ptrIiEEEESD_jNS0_19identity_decomposerEEE10hipError_tT1_T2_PT3_SI_jT4_jjP12ihipStream_tbEUlT_E0_NS1_11comp_targetILNS1_3genE2ELNS1_11target_archE906ELNS1_3gpuE6ELNS1_3repE0EEENS1_52radix_sort_onesweep_histogram_config_static_selectorELNS0_4arch9wavefront6targetE1EEEvSG_
	.globl	_ZN7rocprim17ROCPRIM_400000_NS6detail17trampoline_kernelINS0_14default_configENS1_35radix_sort_onesweep_config_selectorIiiEEZNS1_34radix_sort_onesweep_global_offsetsIS3_Lb0EN6thrust23THRUST_200600_302600_NS6detail15normal_iteratorINS8_10device_ptrIiEEEESD_jNS0_19identity_decomposerEEE10hipError_tT1_T2_PT3_SI_jT4_jjP12ihipStream_tbEUlT_E0_NS1_11comp_targetILNS1_3genE2ELNS1_11target_archE906ELNS1_3gpuE6ELNS1_3repE0EEENS1_52radix_sort_onesweep_histogram_config_static_selectorELNS0_4arch9wavefront6targetE1EEEvSG_
	.p2align	8
	.type	_ZN7rocprim17ROCPRIM_400000_NS6detail17trampoline_kernelINS0_14default_configENS1_35radix_sort_onesweep_config_selectorIiiEEZNS1_34radix_sort_onesweep_global_offsetsIS3_Lb0EN6thrust23THRUST_200600_302600_NS6detail15normal_iteratorINS8_10device_ptrIiEEEESD_jNS0_19identity_decomposerEEE10hipError_tT1_T2_PT3_SI_jT4_jjP12ihipStream_tbEUlT_E0_NS1_11comp_targetILNS1_3genE2ELNS1_11target_archE906ELNS1_3gpuE6ELNS1_3repE0EEENS1_52radix_sort_onesweep_histogram_config_static_selectorELNS0_4arch9wavefront6targetE1EEEvSG_,@function
_ZN7rocprim17ROCPRIM_400000_NS6detail17trampoline_kernelINS0_14default_configENS1_35radix_sort_onesweep_config_selectorIiiEEZNS1_34radix_sort_onesweep_global_offsetsIS3_Lb0EN6thrust23THRUST_200600_302600_NS6detail15normal_iteratorINS8_10device_ptrIiEEEESD_jNS0_19identity_decomposerEEE10hipError_tT1_T2_PT3_SI_jT4_jjP12ihipStream_tbEUlT_E0_NS1_11comp_targetILNS1_3genE2ELNS1_11target_archE906ELNS1_3gpuE6ELNS1_3repE0EEENS1_52radix_sort_onesweep_histogram_config_static_selectorELNS0_4arch9wavefront6targetE1EEEvSG_: ; @_ZN7rocprim17ROCPRIM_400000_NS6detail17trampoline_kernelINS0_14default_configENS1_35radix_sort_onesweep_config_selectorIiiEEZNS1_34radix_sort_onesweep_global_offsetsIS3_Lb0EN6thrust23THRUST_200600_302600_NS6detail15normal_iteratorINS8_10device_ptrIiEEEESD_jNS0_19identity_decomposerEEE10hipError_tT1_T2_PT3_SI_jT4_jjP12ihipStream_tbEUlT_E0_NS1_11comp_targetILNS1_3genE2ELNS1_11target_archE906ELNS1_3gpuE6ELNS1_3repE0EEENS1_52radix_sort_onesweep_histogram_config_static_selectorELNS0_4arch9wavefront6targetE1EEEvSG_
; %bb.0:
	.section	.rodata,"a",@progbits
	.p2align	6, 0x0
	.amdhsa_kernel _ZN7rocprim17ROCPRIM_400000_NS6detail17trampoline_kernelINS0_14default_configENS1_35radix_sort_onesweep_config_selectorIiiEEZNS1_34radix_sort_onesweep_global_offsetsIS3_Lb0EN6thrust23THRUST_200600_302600_NS6detail15normal_iteratorINS8_10device_ptrIiEEEESD_jNS0_19identity_decomposerEEE10hipError_tT1_T2_PT3_SI_jT4_jjP12ihipStream_tbEUlT_E0_NS1_11comp_targetILNS1_3genE2ELNS1_11target_archE906ELNS1_3gpuE6ELNS1_3repE0EEENS1_52radix_sort_onesweep_histogram_config_static_selectorELNS0_4arch9wavefront6targetE1EEEvSG_
		.amdhsa_group_segment_fixed_size 0
		.amdhsa_private_segment_fixed_size 0
		.amdhsa_kernarg_size 8
		.amdhsa_user_sgpr_count 2
		.amdhsa_user_sgpr_dispatch_ptr 0
		.amdhsa_user_sgpr_queue_ptr 0
		.amdhsa_user_sgpr_kernarg_segment_ptr 1
		.amdhsa_user_sgpr_dispatch_id 0
		.amdhsa_user_sgpr_kernarg_preload_length 0
		.amdhsa_user_sgpr_kernarg_preload_offset 0
		.amdhsa_user_sgpr_private_segment_size 0
		.amdhsa_uses_dynamic_stack 0
		.amdhsa_enable_private_segment 0
		.amdhsa_system_sgpr_workgroup_id_x 1
		.amdhsa_system_sgpr_workgroup_id_y 0
		.amdhsa_system_sgpr_workgroup_id_z 0
		.amdhsa_system_sgpr_workgroup_info 0
		.amdhsa_system_vgpr_workitem_id 0
		.amdhsa_next_free_vgpr 1
		.amdhsa_next_free_sgpr 0
		.amdhsa_accum_offset 4
		.amdhsa_reserve_vcc 0
		.amdhsa_float_round_mode_32 0
		.amdhsa_float_round_mode_16_64 0
		.amdhsa_float_denorm_mode_32 3
		.amdhsa_float_denorm_mode_16_64 3
		.amdhsa_dx10_clamp 1
		.amdhsa_ieee_mode 1
		.amdhsa_fp16_overflow 0
		.amdhsa_tg_split 0
		.amdhsa_exception_fp_ieee_invalid_op 0
		.amdhsa_exception_fp_denorm_src 0
		.amdhsa_exception_fp_ieee_div_zero 0
		.amdhsa_exception_fp_ieee_overflow 0
		.amdhsa_exception_fp_ieee_underflow 0
		.amdhsa_exception_fp_ieee_inexact 0
		.amdhsa_exception_int_div_zero 0
	.end_amdhsa_kernel
	.section	.text._ZN7rocprim17ROCPRIM_400000_NS6detail17trampoline_kernelINS0_14default_configENS1_35radix_sort_onesweep_config_selectorIiiEEZNS1_34radix_sort_onesweep_global_offsetsIS3_Lb0EN6thrust23THRUST_200600_302600_NS6detail15normal_iteratorINS8_10device_ptrIiEEEESD_jNS0_19identity_decomposerEEE10hipError_tT1_T2_PT3_SI_jT4_jjP12ihipStream_tbEUlT_E0_NS1_11comp_targetILNS1_3genE2ELNS1_11target_archE906ELNS1_3gpuE6ELNS1_3repE0EEENS1_52radix_sort_onesweep_histogram_config_static_selectorELNS0_4arch9wavefront6targetE1EEEvSG_,"axG",@progbits,_ZN7rocprim17ROCPRIM_400000_NS6detail17trampoline_kernelINS0_14default_configENS1_35radix_sort_onesweep_config_selectorIiiEEZNS1_34radix_sort_onesweep_global_offsetsIS3_Lb0EN6thrust23THRUST_200600_302600_NS6detail15normal_iteratorINS8_10device_ptrIiEEEESD_jNS0_19identity_decomposerEEE10hipError_tT1_T2_PT3_SI_jT4_jjP12ihipStream_tbEUlT_E0_NS1_11comp_targetILNS1_3genE2ELNS1_11target_archE906ELNS1_3gpuE6ELNS1_3repE0EEENS1_52radix_sort_onesweep_histogram_config_static_selectorELNS0_4arch9wavefront6targetE1EEEvSG_,comdat
.Lfunc_end816:
	.size	_ZN7rocprim17ROCPRIM_400000_NS6detail17trampoline_kernelINS0_14default_configENS1_35radix_sort_onesweep_config_selectorIiiEEZNS1_34radix_sort_onesweep_global_offsetsIS3_Lb0EN6thrust23THRUST_200600_302600_NS6detail15normal_iteratorINS8_10device_ptrIiEEEESD_jNS0_19identity_decomposerEEE10hipError_tT1_T2_PT3_SI_jT4_jjP12ihipStream_tbEUlT_E0_NS1_11comp_targetILNS1_3genE2ELNS1_11target_archE906ELNS1_3gpuE6ELNS1_3repE0EEENS1_52radix_sort_onesweep_histogram_config_static_selectorELNS0_4arch9wavefront6targetE1EEEvSG_, .Lfunc_end816-_ZN7rocprim17ROCPRIM_400000_NS6detail17trampoline_kernelINS0_14default_configENS1_35radix_sort_onesweep_config_selectorIiiEEZNS1_34radix_sort_onesweep_global_offsetsIS3_Lb0EN6thrust23THRUST_200600_302600_NS6detail15normal_iteratorINS8_10device_ptrIiEEEESD_jNS0_19identity_decomposerEEE10hipError_tT1_T2_PT3_SI_jT4_jjP12ihipStream_tbEUlT_E0_NS1_11comp_targetILNS1_3genE2ELNS1_11target_archE906ELNS1_3gpuE6ELNS1_3repE0EEENS1_52radix_sort_onesweep_histogram_config_static_selectorELNS0_4arch9wavefront6targetE1EEEvSG_
                                        ; -- End function
	.set _ZN7rocprim17ROCPRIM_400000_NS6detail17trampoline_kernelINS0_14default_configENS1_35radix_sort_onesweep_config_selectorIiiEEZNS1_34radix_sort_onesweep_global_offsetsIS3_Lb0EN6thrust23THRUST_200600_302600_NS6detail15normal_iteratorINS8_10device_ptrIiEEEESD_jNS0_19identity_decomposerEEE10hipError_tT1_T2_PT3_SI_jT4_jjP12ihipStream_tbEUlT_E0_NS1_11comp_targetILNS1_3genE2ELNS1_11target_archE906ELNS1_3gpuE6ELNS1_3repE0EEENS1_52radix_sort_onesweep_histogram_config_static_selectorELNS0_4arch9wavefront6targetE1EEEvSG_.num_vgpr, 0
	.set _ZN7rocprim17ROCPRIM_400000_NS6detail17trampoline_kernelINS0_14default_configENS1_35radix_sort_onesweep_config_selectorIiiEEZNS1_34radix_sort_onesweep_global_offsetsIS3_Lb0EN6thrust23THRUST_200600_302600_NS6detail15normal_iteratorINS8_10device_ptrIiEEEESD_jNS0_19identity_decomposerEEE10hipError_tT1_T2_PT3_SI_jT4_jjP12ihipStream_tbEUlT_E0_NS1_11comp_targetILNS1_3genE2ELNS1_11target_archE906ELNS1_3gpuE6ELNS1_3repE0EEENS1_52radix_sort_onesweep_histogram_config_static_selectorELNS0_4arch9wavefront6targetE1EEEvSG_.num_agpr, 0
	.set _ZN7rocprim17ROCPRIM_400000_NS6detail17trampoline_kernelINS0_14default_configENS1_35radix_sort_onesweep_config_selectorIiiEEZNS1_34radix_sort_onesweep_global_offsetsIS3_Lb0EN6thrust23THRUST_200600_302600_NS6detail15normal_iteratorINS8_10device_ptrIiEEEESD_jNS0_19identity_decomposerEEE10hipError_tT1_T2_PT3_SI_jT4_jjP12ihipStream_tbEUlT_E0_NS1_11comp_targetILNS1_3genE2ELNS1_11target_archE906ELNS1_3gpuE6ELNS1_3repE0EEENS1_52radix_sort_onesweep_histogram_config_static_selectorELNS0_4arch9wavefront6targetE1EEEvSG_.numbered_sgpr, 0
	.set _ZN7rocprim17ROCPRIM_400000_NS6detail17trampoline_kernelINS0_14default_configENS1_35radix_sort_onesweep_config_selectorIiiEEZNS1_34radix_sort_onesweep_global_offsetsIS3_Lb0EN6thrust23THRUST_200600_302600_NS6detail15normal_iteratorINS8_10device_ptrIiEEEESD_jNS0_19identity_decomposerEEE10hipError_tT1_T2_PT3_SI_jT4_jjP12ihipStream_tbEUlT_E0_NS1_11comp_targetILNS1_3genE2ELNS1_11target_archE906ELNS1_3gpuE6ELNS1_3repE0EEENS1_52radix_sort_onesweep_histogram_config_static_selectorELNS0_4arch9wavefront6targetE1EEEvSG_.num_named_barrier, 0
	.set _ZN7rocprim17ROCPRIM_400000_NS6detail17trampoline_kernelINS0_14default_configENS1_35radix_sort_onesweep_config_selectorIiiEEZNS1_34radix_sort_onesweep_global_offsetsIS3_Lb0EN6thrust23THRUST_200600_302600_NS6detail15normal_iteratorINS8_10device_ptrIiEEEESD_jNS0_19identity_decomposerEEE10hipError_tT1_T2_PT3_SI_jT4_jjP12ihipStream_tbEUlT_E0_NS1_11comp_targetILNS1_3genE2ELNS1_11target_archE906ELNS1_3gpuE6ELNS1_3repE0EEENS1_52radix_sort_onesweep_histogram_config_static_selectorELNS0_4arch9wavefront6targetE1EEEvSG_.private_seg_size, 0
	.set _ZN7rocprim17ROCPRIM_400000_NS6detail17trampoline_kernelINS0_14default_configENS1_35radix_sort_onesweep_config_selectorIiiEEZNS1_34radix_sort_onesweep_global_offsetsIS3_Lb0EN6thrust23THRUST_200600_302600_NS6detail15normal_iteratorINS8_10device_ptrIiEEEESD_jNS0_19identity_decomposerEEE10hipError_tT1_T2_PT3_SI_jT4_jjP12ihipStream_tbEUlT_E0_NS1_11comp_targetILNS1_3genE2ELNS1_11target_archE906ELNS1_3gpuE6ELNS1_3repE0EEENS1_52radix_sort_onesweep_histogram_config_static_selectorELNS0_4arch9wavefront6targetE1EEEvSG_.uses_vcc, 0
	.set _ZN7rocprim17ROCPRIM_400000_NS6detail17trampoline_kernelINS0_14default_configENS1_35radix_sort_onesweep_config_selectorIiiEEZNS1_34radix_sort_onesweep_global_offsetsIS3_Lb0EN6thrust23THRUST_200600_302600_NS6detail15normal_iteratorINS8_10device_ptrIiEEEESD_jNS0_19identity_decomposerEEE10hipError_tT1_T2_PT3_SI_jT4_jjP12ihipStream_tbEUlT_E0_NS1_11comp_targetILNS1_3genE2ELNS1_11target_archE906ELNS1_3gpuE6ELNS1_3repE0EEENS1_52radix_sort_onesweep_histogram_config_static_selectorELNS0_4arch9wavefront6targetE1EEEvSG_.uses_flat_scratch, 0
	.set _ZN7rocprim17ROCPRIM_400000_NS6detail17trampoline_kernelINS0_14default_configENS1_35radix_sort_onesweep_config_selectorIiiEEZNS1_34radix_sort_onesweep_global_offsetsIS3_Lb0EN6thrust23THRUST_200600_302600_NS6detail15normal_iteratorINS8_10device_ptrIiEEEESD_jNS0_19identity_decomposerEEE10hipError_tT1_T2_PT3_SI_jT4_jjP12ihipStream_tbEUlT_E0_NS1_11comp_targetILNS1_3genE2ELNS1_11target_archE906ELNS1_3gpuE6ELNS1_3repE0EEENS1_52radix_sort_onesweep_histogram_config_static_selectorELNS0_4arch9wavefront6targetE1EEEvSG_.has_dyn_sized_stack, 0
	.set _ZN7rocprim17ROCPRIM_400000_NS6detail17trampoline_kernelINS0_14default_configENS1_35radix_sort_onesweep_config_selectorIiiEEZNS1_34radix_sort_onesweep_global_offsetsIS3_Lb0EN6thrust23THRUST_200600_302600_NS6detail15normal_iteratorINS8_10device_ptrIiEEEESD_jNS0_19identity_decomposerEEE10hipError_tT1_T2_PT3_SI_jT4_jjP12ihipStream_tbEUlT_E0_NS1_11comp_targetILNS1_3genE2ELNS1_11target_archE906ELNS1_3gpuE6ELNS1_3repE0EEENS1_52radix_sort_onesweep_histogram_config_static_selectorELNS0_4arch9wavefront6targetE1EEEvSG_.has_recursion, 0
	.set _ZN7rocprim17ROCPRIM_400000_NS6detail17trampoline_kernelINS0_14default_configENS1_35radix_sort_onesweep_config_selectorIiiEEZNS1_34radix_sort_onesweep_global_offsetsIS3_Lb0EN6thrust23THRUST_200600_302600_NS6detail15normal_iteratorINS8_10device_ptrIiEEEESD_jNS0_19identity_decomposerEEE10hipError_tT1_T2_PT3_SI_jT4_jjP12ihipStream_tbEUlT_E0_NS1_11comp_targetILNS1_3genE2ELNS1_11target_archE906ELNS1_3gpuE6ELNS1_3repE0EEENS1_52radix_sort_onesweep_histogram_config_static_selectorELNS0_4arch9wavefront6targetE1EEEvSG_.has_indirect_call, 0
	.section	.AMDGPU.csdata,"",@progbits
; Kernel info:
; codeLenInByte = 0
; TotalNumSgprs: 6
; NumVgprs: 0
; NumAgprs: 0
; TotalNumVgprs: 0
; ScratchSize: 0
; MemoryBound: 0
; FloatMode: 240
; IeeeMode: 1
; LDSByteSize: 0 bytes/workgroup (compile time only)
; SGPRBlocks: 0
; VGPRBlocks: 0
; NumSGPRsForWavesPerEU: 6
; NumVGPRsForWavesPerEU: 1
; AccumOffset: 4
; Occupancy: 8
; WaveLimiterHint : 0
; COMPUTE_PGM_RSRC2:SCRATCH_EN: 0
; COMPUTE_PGM_RSRC2:USER_SGPR: 2
; COMPUTE_PGM_RSRC2:TRAP_HANDLER: 0
; COMPUTE_PGM_RSRC2:TGID_X_EN: 1
; COMPUTE_PGM_RSRC2:TGID_Y_EN: 0
; COMPUTE_PGM_RSRC2:TGID_Z_EN: 0
; COMPUTE_PGM_RSRC2:TIDIG_COMP_CNT: 0
; COMPUTE_PGM_RSRC3_GFX90A:ACCUM_OFFSET: 0
; COMPUTE_PGM_RSRC3_GFX90A:TG_SPLIT: 0
	.section	.text._ZN7rocprim17ROCPRIM_400000_NS6detail17trampoline_kernelINS0_14default_configENS1_35radix_sort_onesweep_config_selectorIiiEEZNS1_34radix_sort_onesweep_global_offsetsIS3_Lb0EN6thrust23THRUST_200600_302600_NS6detail15normal_iteratorINS8_10device_ptrIiEEEESD_jNS0_19identity_decomposerEEE10hipError_tT1_T2_PT3_SI_jT4_jjP12ihipStream_tbEUlT_E0_NS1_11comp_targetILNS1_3genE4ELNS1_11target_archE910ELNS1_3gpuE8ELNS1_3repE0EEENS1_52radix_sort_onesweep_histogram_config_static_selectorELNS0_4arch9wavefront6targetE1EEEvSG_,"axG",@progbits,_ZN7rocprim17ROCPRIM_400000_NS6detail17trampoline_kernelINS0_14default_configENS1_35radix_sort_onesweep_config_selectorIiiEEZNS1_34radix_sort_onesweep_global_offsetsIS3_Lb0EN6thrust23THRUST_200600_302600_NS6detail15normal_iteratorINS8_10device_ptrIiEEEESD_jNS0_19identity_decomposerEEE10hipError_tT1_T2_PT3_SI_jT4_jjP12ihipStream_tbEUlT_E0_NS1_11comp_targetILNS1_3genE4ELNS1_11target_archE910ELNS1_3gpuE8ELNS1_3repE0EEENS1_52radix_sort_onesweep_histogram_config_static_selectorELNS0_4arch9wavefront6targetE1EEEvSG_,comdat
	.protected	_ZN7rocprim17ROCPRIM_400000_NS6detail17trampoline_kernelINS0_14default_configENS1_35radix_sort_onesweep_config_selectorIiiEEZNS1_34radix_sort_onesweep_global_offsetsIS3_Lb0EN6thrust23THRUST_200600_302600_NS6detail15normal_iteratorINS8_10device_ptrIiEEEESD_jNS0_19identity_decomposerEEE10hipError_tT1_T2_PT3_SI_jT4_jjP12ihipStream_tbEUlT_E0_NS1_11comp_targetILNS1_3genE4ELNS1_11target_archE910ELNS1_3gpuE8ELNS1_3repE0EEENS1_52radix_sort_onesweep_histogram_config_static_selectorELNS0_4arch9wavefront6targetE1EEEvSG_ ; -- Begin function _ZN7rocprim17ROCPRIM_400000_NS6detail17trampoline_kernelINS0_14default_configENS1_35radix_sort_onesweep_config_selectorIiiEEZNS1_34radix_sort_onesweep_global_offsetsIS3_Lb0EN6thrust23THRUST_200600_302600_NS6detail15normal_iteratorINS8_10device_ptrIiEEEESD_jNS0_19identity_decomposerEEE10hipError_tT1_T2_PT3_SI_jT4_jjP12ihipStream_tbEUlT_E0_NS1_11comp_targetILNS1_3genE4ELNS1_11target_archE910ELNS1_3gpuE8ELNS1_3repE0EEENS1_52radix_sort_onesweep_histogram_config_static_selectorELNS0_4arch9wavefront6targetE1EEEvSG_
	.globl	_ZN7rocprim17ROCPRIM_400000_NS6detail17trampoline_kernelINS0_14default_configENS1_35radix_sort_onesweep_config_selectorIiiEEZNS1_34radix_sort_onesweep_global_offsetsIS3_Lb0EN6thrust23THRUST_200600_302600_NS6detail15normal_iteratorINS8_10device_ptrIiEEEESD_jNS0_19identity_decomposerEEE10hipError_tT1_T2_PT3_SI_jT4_jjP12ihipStream_tbEUlT_E0_NS1_11comp_targetILNS1_3genE4ELNS1_11target_archE910ELNS1_3gpuE8ELNS1_3repE0EEENS1_52radix_sort_onesweep_histogram_config_static_selectorELNS0_4arch9wavefront6targetE1EEEvSG_
	.p2align	8
	.type	_ZN7rocprim17ROCPRIM_400000_NS6detail17trampoline_kernelINS0_14default_configENS1_35radix_sort_onesweep_config_selectorIiiEEZNS1_34radix_sort_onesweep_global_offsetsIS3_Lb0EN6thrust23THRUST_200600_302600_NS6detail15normal_iteratorINS8_10device_ptrIiEEEESD_jNS0_19identity_decomposerEEE10hipError_tT1_T2_PT3_SI_jT4_jjP12ihipStream_tbEUlT_E0_NS1_11comp_targetILNS1_3genE4ELNS1_11target_archE910ELNS1_3gpuE8ELNS1_3repE0EEENS1_52radix_sort_onesweep_histogram_config_static_selectorELNS0_4arch9wavefront6targetE1EEEvSG_,@function
_ZN7rocprim17ROCPRIM_400000_NS6detail17trampoline_kernelINS0_14default_configENS1_35radix_sort_onesweep_config_selectorIiiEEZNS1_34radix_sort_onesweep_global_offsetsIS3_Lb0EN6thrust23THRUST_200600_302600_NS6detail15normal_iteratorINS8_10device_ptrIiEEEESD_jNS0_19identity_decomposerEEE10hipError_tT1_T2_PT3_SI_jT4_jjP12ihipStream_tbEUlT_E0_NS1_11comp_targetILNS1_3genE4ELNS1_11target_archE910ELNS1_3gpuE8ELNS1_3repE0EEENS1_52radix_sort_onesweep_histogram_config_static_selectorELNS0_4arch9wavefront6targetE1EEEvSG_: ; @_ZN7rocprim17ROCPRIM_400000_NS6detail17trampoline_kernelINS0_14default_configENS1_35radix_sort_onesweep_config_selectorIiiEEZNS1_34radix_sort_onesweep_global_offsetsIS3_Lb0EN6thrust23THRUST_200600_302600_NS6detail15normal_iteratorINS8_10device_ptrIiEEEESD_jNS0_19identity_decomposerEEE10hipError_tT1_T2_PT3_SI_jT4_jjP12ihipStream_tbEUlT_E0_NS1_11comp_targetILNS1_3genE4ELNS1_11target_archE910ELNS1_3gpuE8ELNS1_3repE0EEENS1_52radix_sort_onesweep_histogram_config_static_selectorELNS0_4arch9wavefront6targetE1EEEvSG_
; %bb.0:
	.section	.rodata,"a",@progbits
	.p2align	6, 0x0
	.amdhsa_kernel _ZN7rocprim17ROCPRIM_400000_NS6detail17trampoline_kernelINS0_14default_configENS1_35radix_sort_onesweep_config_selectorIiiEEZNS1_34radix_sort_onesweep_global_offsetsIS3_Lb0EN6thrust23THRUST_200600_302600_NS6detail15normal_iteratorINS8_10device_ptrIiEEEESD_jNS0_19identity_decomposerEEE10hipError_tT1_T2_PT3_SI_jT4_jjP12ihipStream_tbEUlT_E0_NS1_11comp_targetILNS1_3genE4ELNS1_11target_archE910ELNS1_3gpuE8ELNS1_3repE0EEENS1_52radix_sort_onesweep_histogram_config_static_selectorELNS0_4arch9wavefront6targetE1EEEvSG_
		.amdhsa_group_segment_fixed_size 0
		.amdhsa_private_segment_fixed_size 0
		.amdhsa_kernarg_size 8
		.amdhsa_user_sgpr_count 2
		.amdhsa_user_sgpr_dispatch_ptr 0
		.amdhsa_user_sgpr_queue_ptr 0
		.amdhsa_user_sgpr_kernarg_segment_ptr 1
		.amdhsa_user_sgpr_dispatch_id 0
		.amdhsa_user_sgpr_kernarg_preload_length 0
		.amdhsa_user_sgpr_kernarg_preload_offset 0
		.amdhsa_user_sgpr_private_segment_size 0
		.amdhsa_uses_dynamic_stack 0
		.amdhsa_enable_private_segment 0
		.amdhsa_system_sgpr_workgroup_id_x 1
		.amdhsa_system_sgpr_workgroup_id_y 0
		.amdhsa_system_sgpr_workgroup_id_z 0
		.amdhsa_system_sgpr_workgroup_info 0
		.amdhsa_system_vgpr_workitem_id 0
		.amdhsa_next_free_vgpr 1
		.amdhsa_next_free_sgpr 0
		.amdhsa_accum_offset 4
		.amdhsa_reserve_vcc 0
		.amdhsa_float_round_mode_32 0
		.amdhsa_float_round_mode_16_64 0
		.amdhsa_float_denorm_mode_32 3
		.amdhsa_float_denorm_mode_16_64 3
		.amdhsa_dx10_clamp 1
		.amdhsa_ieee_mode 1
		.amdhsa_fp16_overflow 0
		.amdhsa_tg_split 0
		.amdhsa_exception_fp_ieee_invalid_op 0
		.amdhsa_exception_fp_denorm_src 0
		.amdhsa_exception_fp_ieee_div_zero 0
		.amdhsa_exception_fp_ieee_overflow 0
		.amdhsa_exception_fp_ieee_underflow 0
		.amdhsa_exception_fp_ieee_inexact 0
		.amdhsa_exception_int_div_zero 0
	.end_amdhsa_kernel
	.section	.text._ZN7rocprim17ROCPRIM_400000_NS6detail17trampoline_kernelINS0_14default_configENS1_35radix_sort_onesweep_config_selectorIiiEEZNS1_34radix_sort_onesweep_global_offsetsIS3_Lb0EN6thrust23THRUST_200600_302600_NS6detail15normal_iteratorINS8_10device_ptrIiEEEESD_jNS0_19identity_decomposerEEE10hipError_tT1_T2_PT3_SI_jT4_jjP12ihipStream_tbEUlT_E0_NS1_11comp_targetILNS1_3genE4ELNS1_11target_archE910ELNS1_3gpuE8ELNS1_3repE0EEENS1_52radix_sort_onesweep_histogram_config_static_selectorELNS0_4arch9wavefront6targetE1EEEvSG_,"axG",@progbits,_ZN7rocprim17ROCPRIM_400000_NS6detail17trampoline_kernelINS0_14default_configENS1_35radix_sort_onesweep_config_selectorIiiEEZNS1_34radix_sort_onesweep_global_offsetsIS3_Lb0EN6thrust23THRUST_200600_302600_NS6detail15normal_iteratorINS8_10device_ptrIiEEEESD_jNS0_19identity_decomposerEEE10hipError_tT1_T2_PT3_SI_jT4_jjP12ihipStream_tbEUlT_E0_NS1_11comp_targetILNS1_3genE4ELNS1_11target_archE910ELNS1_3gpuE8ELNS1_3repE0EEENS1_52radix_sort_onesweep_histogram_config_static_selectorELNS0_4arch9wavefront6targetE1EEEvSG_,comdat
.Lfunc_end817:
	.size	_ZN7rocprim17ROCPRIM_400000_NS6detail17trampoline_kernelINS0_14default_configENS1_35radix_sort_onesweep_config_selectorIiiEEZNS1_34radix_sort_onesweep_global_offsetsIS3_Lb0EN6thrust23THRUST_200600_302600_NS6detail15normal_iteratorINS8_10device_ptrIiEEEESD_jNS0_19identity_decomposerEEE10hipError_tT1_T2_PT3_SI_jT4_jjP12ihipStream_tbEUlT_E0_NS1_11comp_targetILNS1_3genE4ELNS1_11target_archE910ELNS1_3gpuE8ELNS1_3repE0EEENS1_52radix_sort_onesweep_histogram_config_static_selectorELNS0_4arch9wavefront6targetE1EEEvSG_, .Lfunc_end817-_ZN7rocprim17ROCPRIM_400000_NS6detail17trampoline_kernelINS0_14default_configENS1_35radix_sort_onesweep_config_selectorIiiEEZNS1_34radix_sort_onesweep_global_offsetsIS3_Lb0EN6thrust23THRUST_200600_302600_NS6detail15normal_iteratorINS8_10device_ptrIiEEEESD_jNS0_19identity_decomposerEEE10hipError_tT1_T2_PT3_SI_jT4_jjP12ihipStream_tbEUlT_E0_NS1_11comp_targetILNS1_3genE4ELNS1_11target_archE910ELNS1_3gpuE8ELNS1_3repE0EEENS1_52radix_sort_onesweep_histogram_config_static_selectorELNS0_4arch9wavefront6targetE1EEEvSG_
                                        ; -- End function
	.set _ZN7rocprim17ROCPRIM_400000_NS6detail17trampoline_kernelINS0_14default_configENS1_35radix_sort_onesweep_config_selectorIiiEEZNS1_34radix_sort_onesweep_global_offsetsIS3_Lb0EN6thrust23THRUST_200600_302600_NS6detail15normal_iteratorINS8_10device_ptrIiEEEESD_jNS0_19identity_decomposerEEE10hipError_tT1_T2_PT3_SI_jT4_jjP12ihipStream_tbEUlT_E0_NS1_11comp_targetILNS1_3genE4ELNS1_11target_archE910ELNS1_3gpuE8ELNS1_3repE0EEENS1_52radix_sort_onesweep_histogram_config_static_selectorELNS0_4arch9wavefront6targetE1EEEvSG_.num_vgpr, 0
	.set _ZN7rocprim17ROCPRIM_400000_NS6detail17trampoline_kernelINS0_14default_configENS1_35radix_sort_onesweep_config_selectorIiiEEZNS1_34radix_sort_onesweep_global_offsetsIS3_Lb0EN6thrust23THRUST_200600_302600_NS6detail15normal_iteratorINS8_10device_ptrIiEEEESD_jNS0_19identity_decomposerEEE10hipError_tT1_T2_PT3_SI_jT4_jjP12ihipStream_tbEUlT_E0_NS1_11comp_targetILNS1_3genE4ELNS1_11target_archE910ELNS1_3gpuE8ELNS1_3repE0EEENS1_52radix_sort_onesweep_histogram_config_static_selectorELNS0_4arch9wavefront6targetE1EEEvSG_.num_agpr, 0
	.set _ZN7rocprim17ROCPRIM_400000_NS6detail17trampoline_kernelINS0_14default_configENS1_35radix_sort_onesweep_config_selectorIiiEEZNS1_34radix_sort_onesweep_global_offsetsIS3_Lb0EN6thrust23THRUST_200600_302600_NS6detail15normal_iteratorINS8_10device_ptrIiEEEESD_jNS0_19identity_decomposerEEE10hipError_tT1_T2_PT3_SI_jT4_jjP12ihipStream_tbEUlT_E0_NS1_11comp_targetILNS1_3genE4ELNS1_11target_archE910ELNS1_3gpuE8ELNS1_3repE0EEENS1_52radix_sort_onesweep_histogram_config_static_selectorELNS0_4arch9wavefront6targetE1EEEvSG_.numbered_sgpr, 0
	.set _ZN7rocprim17ROCPRIM_400000_NS6detail17trampoline_kernelINS0_14default_configENS1_35radix_sort_onesweep_config_selectorIiiEEZNS1_34radix_sort_onesweep_global_offsetsIS3_Lb0EN6thrust23THRUST_200600_302600_NS6detail15normal_iteratorINS8_10device_ptrIiEEEESD_jNS0_19identity_decomposerEEE10hipError_tT1_T2_PT3_SI_jT4_jjP12ihipStream_tbEUlT_E0_NS1_11comp_targetILNS1_3genE4ELNS1_11target_archE910ELNS1_3gpuE8ELNS1_3repE0EEENS1_52radix_sort_onesweep_histogram_config_static_selectorELNS0_4arch9wavefront6targetE1EEEvSG_.num_named_barrier, 0
	.set _ZN7rocprim17ROCPRIM_400000_NS6detail17trampoline_kernelINS0_14default_configENS1_35radix_sort_onesweep_config_selectorIiiEEZNS1_34radix_sort_onesweep_global_offsetsIS3_Lb0EN6thrust23THRUST_200600_302600_NS6detail15normal_iteratorINS8_10device_ptrIiEEEESD_jNS0_19identity_decomposerEEE10hipError_tT1_T2_PT3_SI_jT4_jjP12ihipStream_tbEUlT_E0_NS1_11comp_targetILNS1_3genE4ELNS1_11target_archE910ELNS1_3gpuE8ELNS1_3repE0EEENS1_52radix_sort_onesweep_histogram_config_static_selectorELNS0_4arch9wavefront6targetE1EEEvSG_.private_seg_size, 0
	.set _ZN7rocprim17ROCPRIM_400000_NS6detail17trampoline_kernelINS0_14default_configENS1_35radix_sort_onesweep_config_selectorIiiEEZNS1_34radix_sort_onesweep_global_offsetsIS3_Lb0EN6thrust23THRUST_200600_302600_NS6detail15normal_iteratorINS8_10device_ptrIiEEEESD_jNS0_19identity_decomposerEEE10hipError_tT1_T2_PT3_SI_jT4_jjP12ihipStream_tbEUlT_E0_NS1_11comp_targetILNS1_3genE4ELNS1_11target_archE910ELNS1_3gpuE8ELNS1_3repE0EEENS1_52radix_sort_onesweep_histogram_config_static_selectorELNS0_4arch9wavefront6targetE1EEEvSG_.uses_vcc, 0
	.set _ZN7rocprim17ROCPRIM_400000_NS6detail17trampoline_kernelINS0_14default_configENS1_35radix_sort_onesweep_config_selectorIiiEEZNS1_34radix_sort_onesweep_global_offsetsIS3_Lb0EN6thrust23THRUST_200600_302600_NS6detail15normal_iteratorINS8_10device_ptrIiEEEESD_jNS0_19identity_decomposerEEE10hipError_tT1_T2_PT3_SI_jT4_jjP12ihipStream_tbEUlT_E0_NS1_11comp_targetILNS1_3genE4ELNS1_11target_archE910ELNS1_3gpuE8ELNS1_3repE0EEENS1_52radix_sort_onesweep_histogram_config_static_selectorELNS0_4arch9wavefront6targetE1EEEvSG_.uses_flat_scratch, 0
	.set _ZN7rocprim17ROCPRIM_400000_NS6detail17trampoline_kernelINS0_14default_configENS1_35radix_sort_onesweep_config_selectorIiiEEZNS1_34radix_sort_onesweep_global_offsetsIS3_Lb0EN6thrust23THRUST_200600_302600_NS6detail15normal_iteratorINS8_10device_ptrIiEEEESD_jNS0_19identity_decomposerEEE10hipError_tT1_T2_PT3_SI_jT4_jjP12ihipStream_tbEUlT_E0_NS1_11comp_targetILNS1_3genE4ELNS1_11target_archE910ELNS1_3gpuE8ELNS1_3repE0EEENS1_52radix_sort_onesweep_histogram_config_static_selectorELNS0_4arch9wavefront6targetE1EEEvSG_.has_dyn_sized_stack, 0
	.set _ZN7rocprim17ROCPRIM_400000_NS6detail17trampoline_kernelINS0_14default_configENS1_35radix_sort_onesweep_config_selectorIiiEEZNS1_34radix_sort_onesweep_global_offsetsIS3_Lb0EN6thrust23THRUST_200600_302600_NS6detail15normal_iteratorINS8_10device_ptrIiEEEESD_jNS0_19identity_decomposerEEE10hipError_tT1_T2_PT3_SI_jT4_jjP12ihipStream_tbEUlT_E0_NS1_11comp_targetILNS1_3genE4ELNS1_11target_archE910ELNS1_3gpuE8ELNS1_3repE0EEENS1_52radix_sort_onesweep_histogram_config_static_selectorELNS0_4arch9wavefront6targetE1EEEvSG_.has_recursion, 0
	.set _ZN7rocprim17ROCPRIM_400000_NS6detail17trampoline_kernelINS0_14default_configENS1_35radix_sort_onesweep_config_selectorIiiEEZNS1_34radix_sort_onesweep_global_offsetsIS3_Lb0EN6thrust23THRUST_200600_302600_NS6detail15normal_iteratorINS8_10device_ptrIiEEEESD_jNS0_19identity_decomposerEEE10hipError_tT1_T2_PT3_SI_jT4_jjP12ihipStream_tbEUlT_E0_NS1_11comp_targetILNS1_3genE4ELNS1_11target_archE910ELNS1_3gpuE8ELNS1_3repE0EEENS1_52radix_sort_onesweep_histogram_config_static_selectorELNS0_4arch9wavefront6targetE1EEEvSG_.has_indirect_call, 0
	.section	.AMDGPU.csdata,"",@progbits
; Kernel info:
; codeLenInByte = 0
; TotalNumSgprs: 6
; NumVgprs: 0
; NumAgprs: 0
; TotalNumVgprs: 0
; ScratchSize: 0
; MemoryBound: 0
; FloatMode: 240
; IeeeMode: 1
; LDSByteSize: 0 bytes/workgroup (compile time only)
; SGPRBlocks: 0
; VGPRBlocks: 0
; NumSGPRsForWavesPerEU: 6
; NumVGPRsForWavesPerEU: 1
; AccumOffset: 4
; Occupancy: 8
; WaveLimiterHint : 0
; COMPUTE_PGM_RSRC2:SCRATCH_EN: 0
; COMPUTE_PGM_RSRC2:USER_SGPR: 2
; COMPUTE_PGM_RSRC2:TRAP_HANDLER: 0
; COMPUTE_PGM_RSRC2:TGID_X_EN: 1
; COMPUTE_PGM_RSRC2:TGID_Y_EN: 0
; COMPUTE_PGM_RSRC2:TGID_Z_EN: 0
; COMPUTE_PGM_RSRC2:TIDIG_COMP_CNT: 0
; COMPUTE_PGM_RSRC3_GFX90A:ACCUM_OFFSET: 0
; COMPUTE_PGM_RSRC3_GFX90A:TG_SPLIT: 0
	.section	.text._ZN7rocprim17ROCPRIM_400000_NS6detail17trampoline_kernelINS0_14default_configENS1_35radix_sort_onesweep_config_selectorIiiEEZNS1_34radix_sort_onesweep_global_offsetsIS3_Lb0EN6thrust23THRUST_200600_302600_NS6detail15normal_iteratorINS8_10device_ptrIiEEEESD_jNS0_19identity_decomposerEEE10hipError_tT1_T2_PT3_SI_jT4_jjP12ihipStream_tbEUlT_E0_NS1_11comp_targetILNS1_3genE3ELNS1_11target_archE908ELNS1_3gpuE7ELNS1_3repE0EEENS1_52radix_sort_onesweep_histogram_config_static_selectorELNS0_4arch9wavefront6targetE1EEEvSG_,"axG",@progbits,_ZN7rocprim17ROCPRIM_400000_NS6detail17trampoline_kernelINS0_14default_configENS1_35radix_sort_onesweep_config_selectorIiiEEZNS1_34radix_sort_onesweep_global_offsetsIS3_Lb0EN6thrust23THRUST_200600_302600_NS6detail15normal_iteratorINS8_10device_ptrIiEEEESD_jNS0_19identity_decomposerEEE10hipError_tT1_T2_PT3_SI_jT4_jjP12ihipStream_tbEUlT_E0_NS1_11comp_targetILNS1_3genE3ELNS1_11target_archE908ELNS1_3gpuE7ELNS1_3repE0EEENS1_52radix_sort_onesweep_histogram_config_static_selectorELNS0_4arch9wavefront6targetE1EEEvSG_,comdat
	.protected	_ZN7rocprim17ROCPRIM_400000_NS6detail17trampoline_kernelINS0_14default_configENS1_35radix_sort_onesweep_config_selectorIiiEEZNS1_34radix_sort_onesweep_global_offsetsIS3_Lb0EN6thrust23THRUST_200600_302600_NS6detail15normal_iteratorINS8_10device_ptrIiEEEESD_jNS0_19identity_decomposerEEE10hipError_tT1_T2_PT3_SI_jT4_jjP12ihipStream_tbEUlT_E0_NS1_11comp_targetILNS1_3genE3ELNS1_11target_archE908ELNS1_3gpuE7ELNS1_3repE0EEENS1_52radix_sort_onesweep_histogram_config_static_selectorELNS0_4arch9wavefront6targetE1EEEvSG_ ; -- Begin function _ZN7rocprim17ROCPRIM_400000_NS6detail17trampoline_kernelINS0_14default_configENS1_35radix_sort_onesweep_config_selectorIiiEEZNS1_34radix_sort_onesweep_global_offsetsIS3_Lb0EN6thrust23THRUST_200600_302600_NS6detail15normal_iteratorINS8_10device_ptrIiEEEESD_jNS0_19identity_decomposerEEE10hipError_tT1_T2_PT3_SI_jT4_jjP12ihipStream_tbEUlT_E0_NS1_11comp_targetILNS1_3genE3ELNS1_11target_archE908ELNS1_3gpuE7ELNS1_3repE0EEENS1_52radix_sort_onesweep_histogram_config_static_selectorELNS0_4arch9wavefront6targetE1EEEvSG_
	.globl	_ZN7rocprim17ROCPRIM_400000_NS6detail17trampoline_kernelINS0_14default_configENS1_35radix_sort_onesweep_config_selectorIiiEEZNS1_34radix_sort_onesweep_global_offsetsIS3_Lb0EN6thrust23THRUST_200600_302600_NS6detail15normal_iteratorINS8_10device_ptrIiEEEESD_jNS0_19identity_decomposerEEE10hipError_tT1_T2_PT3_SI_jT4_jjP12ihipStream_tbEUlT_E0_NS1_11comp_targetILNS1_3genE3ELNS1_11target_archE908ELNS1_3gpuE7ELNS1_3repE0EEENS1_52radix_sort_onesweep_histogram_config_static_selectorELNS0_4arch9wavefront6targetE1EEEvSG_
	.p2align	8
	.type	_ZN7rocprim17ROCPRIM_400000_NS6detail17trampoline_kernelINS0_14default_configENS1_35radix_sort_onesweep_config_selectorIiiEEZNS1_34radix_sort_onesweep_global_offsetsIS3_Lb0EN6thrust23THRUST_200600_302600_NS6detail15normal_iteratorINS8_10device_ptrIiEEEESD_jNS0_19identity_decomposerEEE10hipError_tT1_T2_PT3_SI_jT4_jjP12ihipStream_tbEUlT_E0_NS1_11comp_targetILNS1_3genE3ELNS1_11target_archE908ELNS1_3gpuE7ELNS1_3repE0EEENS1_52radix_sort_onesweep_histogram_config_static_selectorELNS0_4arch9wavefront6targetE1EEEvSG_,@function
_ZN7rocprim17ROCPRIM_400000_NS6detail17trampoline_kernelINS0_14default_configENS1_35radix_sort_onesweep_config_selectorIiiEEZNS1_34radix_sort_onesweep_global_offsetsIS3_Lb0EN6thrust23THRUST_200600_302600_NS6detail15normal_iteratorINS8_10device_ptrIiEEEESD_jNS0_19identity_decomposerEEE10hipError_tT1_T2_PT3_SI_jT4_jjP12ihipStream_tbEUlT_E0_NS1_11comp_targetILNS1_3genE3ELNS1_11target_archE908ELNS1_3gpuE7ELNS1_3repE0EEENS1_52radix_sort_onesweep_histogram_config_static_selectorELNS0_4arch9wavefront6targetE1EEEvSG_: ; @_ZN7rocprim17ROCPRIM_400000_NS6detail17trampoline_kernelINS0_14default_configENS1_35radix_sort_onesweep_config_selectorIiiEEZNS1_34radix_sort_onesweep_global_offsetsIS3_Lb0EN6thrust23THRUST_200600_302600_NS6detail15normal_iteratorINS8_10device_ptrIiEEEESD_jNS0_19identity_decomposerEEE10hipError_tT1_T2_PT3_SI_jT4_jjP12ihipStream_tbEUlT_E0_NS1_11comp_targetILNS1_3genE3ELNS1_11target_archE908ELNS1_3gpuE7ELNS1_3repE0EEENS1_52radix_sort_onesweep_histogram_config_static_selectorELNS0_4arch9wavefront6targetE1EEEvSG_
; %bb.0:
	.section	.rodata,"a",@progbits
	.p2align	6, 0x0
	.amdhsa_kernel _ZN7rocprim17ROCPRIM_400000_NS6detail17trampoline_kernelINS0_14default_configENS1_35radix_sort_onesweep_config_selectorIiiEEZNS1_34radix_sort_onesweep_global_offsetsIS3_Lb0EN6thrust23THRUST_200600_302600_NS6detail15normal_iteratorINS8_10device_ptrIiEEEESD_jNS0_19identity_decomposerEEE10hipError_tT1_T2_PT3_SI_jT4_jjP12ihipStream_tbEUlT_E0_NS1_11comp_targetILNS1_3genE3ELNS1_11target_archE908ELNS1_3gpuE7ELNS1_3repE0EEENS1_52radix_sort_onesweep_histogram_config_static_selectorELNS0_4arch9wavefront6targetE1EEEvSG_
		.amdhsa_group_segment_fixed_size 0
		.amdhsa_private_segment_fixed_size 0
		.amdhsa_kernarg_size 8
		.amdhsa_user_sgpr_count 2
		.amdhsa_user_sgpr_dispatch_ptr 0
		.amdhsa_user_sgpr_queue_ptr 0
		.amdhsa_user_sgpr_kernarg_segment_ptr 1
		.amdhsa_user_sgpr_dispatch_id 0
		.amdhsa_user_sgpr_kernarg_preload_length 0
		.amdhsa_user_sgpr_kernarg_preload_offset 0
		.amdhsa_user_sgpr_private_segment_size 0
		.amdhsa_uses_dynamic_stack 0
		.amdhsa_enable_private_segment 0
		.amdhsa_system_sgpr_workgroup_id_x 1
		.amdhsa_system_sgpr_workgroup_id_y 0
		.amdhsa_system_sgpr_workgroup_id_z 0
		.amdhsa_system_sgpr_workgroup_info 0
		.amdhsa_system_vgpr_workitem_id 0
		.amdhsa_next_free_vgpr 1
		.amdhsa_next_free_sgpr 0
		.amdhsa_accum_offset 4
		.amdhsa_reserve_vcc 0
		.amdhsa_float_round_mode_32 0
		.amdhsa_float_round_mode_16_64 0
		.amdhsa_float_denorm_mode_32 3
		.amdhsa_float_denorm_mode_16_64 3
		.amdhsa_dx10_clamp 1
		.amdhsa_ieee_mode 1
		.amdhsa_fp16_overflow 0
		.amdhsa_tg_split 0
		.amdhsa_exception_fp_ieee_invalid_op 0
		.amdhsa_exception_fp_denorm_src 0
		.amdhsa_exception_fp_ieee_div_zero 0
		.amdhsa_exception_fp_ieee_overflow 0
		.amdhsa_exception_fp_ieee_underflow 0
		.amdhsa_exception_fp_ieee_inexact 0
		.amdhsa_exception_int_div_zero 0
	.end_amdhsa_kernel
	.section	.text._ZN7rocprim17ROCPRIM_400000_NS6detail17trampoline_kernelINS0_14default_configENS1_35radix_sort_onesweep_config_selectorIiiEEZNS1_34radix_sort_onesweep_global_offsetsIS3_Lb0EN6thrust23THRUST_200600_302600_NS6detail15normal_iteratorINS8_10device_ptrIiEEEESD_jNS0_19identity_decomposerEEE10hipError_tT1_T2_PT3_SI_jT4_jjP12ihipStream_tbEUlT_E0_NS1_11comp_targetILNS1_3genE3ELNS1_11target_archE908ELNS1_3gpuE7ELNS1_3repE0EEENS1_52radix_sort_onesweep_histogram_config_static_selectorELNS0_4arch9wavefront6targetE1EEEvSG_,"axG",@progbits,_ZN7rocprim17ROCPRIM_400000_NS6detail17trampoline_kernelINS0_14default_configENS1_35radix_sort_onesweep_config_selectorIiiEEZNS1_34radix_sort_onesweep_global_offsetsIS3_Lb0EN6thrust23THRUST_200600_302600_NS6detail15normal_iteratorINS8_10device_ptrIiEEEESD_jNS0_19identity_decomposerEEE10hipError_tT1_T2_PT3_SI_jT4_jjP12ihipStream_tbEUlT_E0_NS1_11comp_targetILNS1_3genE3ELNS1_11target_archE908ELNS1_3gpuE7ELNS1_3repE0EEENS1_52radix_sort_onesweep_histogram_config_static_selectorELNS0_4arch9wavefront6targetE1EEEvSG_,comdat
.Lfunc_end818:
	.size	_ZN7rocprim17ROCPRIM_400000_NS6detail17trampoline_kernelINS0_14default_configENS1_35radix_sort_onesweep_config_selectorIiiEEZNS1_34radix_sort_onesweep_global_offsetsIS3_Lb0EN6thrust23THRUST_200600_302600_NS6detail15normal_iteratorINS8_10device_ptrIiEEEESD_jNS0_19identity_decomposerEEE10hipError_tT1_T2_PT3_SI_jT4_jjP12ihipStream_tbEUlT_E0_NS1_11comp_targetILNS1_3genE3ELNS1_11target_archE908ELNS1_3gpuE7ELNS1_3repE0EEENS1_52radix_sort_onesweep_histogram_config_static_selectorELNS0_4arch9wavefront6targetE1EEEvSG_, .Lfunc_end818-_ZN7rocprim17ROCPRIM_400000_NS6detail17trampoline_kernelINS0_14default_configENS1_35radix_sort_onesweep_config_selectorIiiEEZNS1_34radix_sort_onesweep_global_offsetsIS3_Lb0EN6thrust23THRUST_200600_302600_NS6detail15normal_iteratorINS8_10device_ptrIiEEEESD_jNS0_19identity_decomposerEEE10hipError_tT1_T2_PT3_SI_jT4_jjP12ihipStream_tbEUlT_E0_NS1_11comp_targetILNS1_3genE3ELNS1_11target_archE908ELNS1_3gpuE7ELNS1_3repE0EEENS1_52radix_sort_onesweep_histogram_config_static_selectorELNS0_4arch9wavefront6targetE1EEEvSG_
                                        ; -- End function
	.set _ZN7rocprim17ROCPRIM_400000_NS6detail17trampoline_kernelINS0_14default_configENS1_35radix_sort_onesweep_config_selectorIiiEEZNS1_34radix_sort_onesweep_global_offsetsIS3_Lb0EN6thrust23THRUST_200600_302600_NS6detail15normal_iteratorINS8_10device_ptrIiEEEESD_jNS0_19identity_decomposerEEE10hipError_tT1_T2_PT3_SI_jT4_jjP12ihipStream_tbEUlT_E0_NS1_11comp_targetILNS1_3genE3ELNS1_11target_archE908ELNS1_3gpuE7ELNS1_3repE0EEENS1_52radix_sort_onesweep_histogram_config_static_selectorELNS0_4arch9wavefront6targetE1EEEvSG_.num_vgpr, 0
	.set _ZN7rocprim17ROCPRIM_400000_NS6detail17trampoline_kernelINS0_14default_configENS1_35radix_sort_onesweep_config_selectorIiiEEZNS1_34radix_sort_onesweep_global_offsetsIS3_Lb0EN6thrust23THRUST_200600_302600_NS6detail15normal_iteratorINS8_10device_ptrIiEEEESD_jNS0_19identity_decomposerEEE10hipError_tT1_T2_PT3_SI_jT4_jjP12ihipStream_tbEUlT_E0_NS1_11comp_targetILNS1_3genE3ELNS1_11target_archE908ELNS1_3gpuE7ELNS1_3repE0EEENS1_52radix_sort_onesweep_histogram_config_static_selectorELNS0_4arch9wavefront6targetE1EEEvSG_.num_agpr, 0
	.set _ZN7rocprim17ROCPRIM_400000_NS6detail17trampoline_kernelINS0_14default_configENS1_35radix_sort_onesweep_config_selectorIiiEEZNS1_34radix_sort_onesweep_global_offsetsIS3_Lb0EN6thrust23THRUST_200600_302600_NS6detail15normal_iteratorINS8_10device_ptrIiEEEESD_jNS0_19identity_decomposerEEE10hipError_tT1_T2_PT3_SI_jT4_jjP12ihipStream_tbEUlT_E0_NS1_11comp_targetILNS1_3genE3ELNS1_11target_archE908ELNS1_3gpuE7ELNS1_3repE0EEENS1_52radix_sort_onesweep_histogram_config_static_selectorELNS0_4arch9wavefront6targetE1EEEvSG_.numbered_sgpr, 0
	.set _ZN7rocprim17ROCPRIM_400000_NS6detail17trampoline_kernelINS0_14default_configENS1_35radix_sort_onesweep_config_selectorIiiEEZNS1_34radix_sort_onesweep_global_offsetsIS3_Lb0EN6thrust23THRUST_200600_302600_NS6detail15normal_iteratorINS8_10device_ptrIiEEEESD_jNS0_19identity_decomposerEEE10hipError_tT1_T2_PT3_SI_jT4_jjP12ihipStream_tbEUlT_E0_NS1_11comp_targetILNS1_3genE3ELNS1_11target_archE908ELNS1_3gpuE7ELNS1_3repE0EEENS1_52radix_sort_onesweep_histogram_config_static_selectorELNS0_4arch9wavefront6targetE1EEEvSG_.num_named_barrier, 0
	.set _ZN7rocprim17ROCPRIM_400000_NS6detail17trampoline_kernelINS0_14default_configENS1_35radix_sort_onesweep_config_selectorIiiEEZNS1_34radix_sort_onesweep_global_offsetsIS3_Lb0EN6thrust23THRUST_200600_302600_NS6detail15normal_iteratorINS8_10device_ptrIiEEEESD_jNS0_19identity_decomposerEEE10hipError_tT1_T2_PT3_SI_jT4_jjP12ihipStream_tbEUlT_E0_NS1_11comp_targetILNS1_3genE3ELNS1_11target_archE908ELNS1_3gpuE7ELNS1_3repE0EEENS1_52radix_sort_onesweep_histogram_config_static_selectorELNS0_4arch9wavefront6targetE1EEEvSG_.private_seg_size, 0
	.set _ZN7rocprim17ROCPRIM_400000_NS6detail17trampoline_kernelINS0_14default_configENS1_35radix_sort_onesweep_config_selectorIiiEEZNS1_34radix_sort_onesweep_global_offsetsIS3_Lb0EN6thrust23THRUST_200600_302600_NS6detail15normal_iteratorINS8_10device_ptrIiEEEESD_jNS0_19identity_decomposerEEE10hipError_tT1_T2_PT3_SI_jT4_jjP12ihipStream_tbEUlT_E0_NS1_11comp_targetILNS1_3genE3ELNS1_11target_archE908ELNS1_3gpuE7ELNS1_3repE0EEENS1_52radix_sort_onesweep_histogram_config_static_selectorELNS0_4arch9wavefront6targetE1EEEvSG_.uses_vcc, 0
	.set _ZN7rocprim17ROCPRIM_400000_NS6detail17trampoline_kernelINS0_14default_configENS1_35radix_sort_onesweep_config_selectorIiiEEZNS1_34radix_sort_onesweep_global_offsetsIS3_Lb0EN6thrust23THRUST_200600_302600_NS6detail15normal_iteratorINS8_10device_ptrIiEEEESD_jNS0_19identity_decomposerEEE10hipError_tT1_T2_PT3_SI_jT4_jjP12ihipStream_tbEUlT_E0_NS1_11comp_targetILNS1_3genE3ELNS1_11target_archE908ELNS1_3gpuE7ELNS1_3repE0EEENS1_52radix_sort_onesweep_histogram_config_static_selectorELNS0_4arch9wavefront6targetE1EEEvSG_.uses_flat_scratch, 0
	.set _ZN7rocprim17ROCPRIM_400000_NS6detail17trampoline_kernelINS0_14default_configENS1_35radix_sort_onesweep_config_selectorIiiEEZNS1_34radix_sort_onesweep_global_offsetsIS3_Lb0EN6thrust23THRUST_200600_302600_NS6detail15normal_iteratorINS8_10device_ptrIiEEEESD_jNS0_19identity_decomposerEEE10hipError_tT1_T2_PT3_SI_jT4_jjP12ihipStream_tbEUlT_E0_NS1_11comp_targetILNS1_3genE3ELNS1_11target_archE908ELNS1_3gpuE7ELNS1_3repE0EEENS1_52radix_sort_onesweep_histogram_config_static_selectorELNS0_4arch9wavefront6targetE1EEEvSG_.has_dyn_sized_stack, 0
	.set _ZN7rocprim17ROCPRIM_400000_NS6detail17trampoline_kernelINS0_14default_configENS1_35radix_sort_onesweep_config_selectorIiiEEZNS1_34radix_sort_onesweep_global_offsetsIS3_Lb0EN6thrust23THRUST_200600_302600_NS6detail15normal_iteratorINS8_10device_ptrIiEEEESD_jNS0_19identity_decomposerEEE10hipError_tT1_T2_PT3_SI_jT4_jjP12ihipStream_tbEUlT_E0_NS1_11comp_targetILNS1_3genE3ELNS1_11target_archE908ELNS1_3gpuE7ELNS1_3repE0EEENS1_52radix_sort_onesweep_histogram_config_static_selectorELNS0_4arch9wavefront6targetE1EEEvSG_.has_recursion, 0
	.set _ZN7rocprim17ROCPRIM_400000_NS6detail17trampoline_kernelINS0_14default_configENS1_35radix_sort_onesweep_config_selectorIiiEEZNS1_34radix_sort_onesweep_global_offsetsIS3_Lb0EN6thrust23THRUST_200600_302600_NS6detail15normal_iteratorINS8_10device_ptrIiEEEESD_jNS0_19identity_decomposerEEE10hipError_tT1_T2_PT3_SI_jT4_jjP12ihipStream_tbEUlT_E0_NS1_11comp_targetILNS1_3genE3ELNS1_11target_archE908ELNS1_3gpuE7ELNS1_3repE0EEENS1_52radix_sort_onesweep_histogram_config_static_selectorELNS0_4arch9wavefront6targetE1EEEvSG_.has_indirect_call, 0
	.section	.AMDGPU.csdata,"",@progbits
; Kernel info:
; codeLenInByte = 0
; TotalNumSgprs: 6
; NumVgprs: 0
; NumAgprs: 0
; TotalNumVgprs: 0
; ScratchSize: 0
; MemoryBound: 0
; FloatMode: 240
; IeeeMode: 1
; LDSByteSize: 0 bytes/workgroup (compile time only)
; SGPRBlocks: 0
; VGPRBlocks: 0
; NumSGPRsForWavesPerEU: 6
; NumVGPRsForWavesPerEU: 1
; AccumOffset: 4
; Occupancy: 8
; WaveLimiterHint : 0
; COMPUTE_PGM_RSRC2:SCRATCH_EN: 0
; COMPUTE_PGM_RSRC2:USER_SGPR: 2
; COMPUTE_PGM_RSRC2:TRAP_HANDLER: 0
; COMPUTE_PGM_RSRC2:TGID_X_EN: 1
; COMPUTE_PGM_RSRC2:TGID_Y_EN: 0
; COMPUTE_PGM_RSRC2:TGID_Z_EN: 0
; COMPUTE_PGM_RSRC2:TIDIG_COMP_CNT: 0
; COMPUTE_PGM_RSRC3_GFX90A:ACCUM_OFFSET: 0
; COMPUTE_PGM_RSRC3_GFX90A:TG_SPLIT: 0
	.section	.text._ZN7rocprim17ROCPRIM_400000_NS6detail17trampoline_kernelINS0_14default_configENS1_35radix_sort_onesweep_config_selectorIiiEEZNS1_34radix_sort_onesweep_global_offsetsIS3_Lb0EN6thrust23THRUST_200600_302600_NS6detail15normal_iteratorINS8_10device_ptrIiEEEESD_jNS0_19identity_decomposerEEE10hipError_tT1_T2_PT3_SI_jT4_jjP12ihipStream_tbEUlT_E0_NS1_11comp_targetILNS1_3genE10ELNS1_11target_archE1201ELNS1_3gpuE5ELNS1_3repE0EEENS1_52radix_sort_onesweep_histogram_config_static_selectorELNS0_4arch9wavefront6targetE1EEEvSG_,"axG",@progbits,_ZN7rocprim17ROCPRIM_400000_NS6detail17trampoline_kernelINS0_14default_configENS1_35radix_sort_onesweep_config_selectorIiiEEZNS1_34radix_sort_onesweep_global_offsetsIS3_Lb0EN6thrust23THRUST_200600_302600_NS6detail15normal_iteratorINS8_10device_ptrIiEEEESD_jNS0_19identity_decomposerEEE10hipError_tT1_T2_PT3_SI_jT4_jjP12ihipStream_tbEUlT_E0_NS1_11comp_targetILNS1_3genE10ELNS1_11target_archE1201ELNS1_3gpuE5ELNS1_3repE0EEENS1_52radix_sort_onesweep_histogram_config_static_selectorELNS0_4arch9wavefront6targetE1EEEvSG_,comdat
	.protected	_ZN7rocprim17ROCPRIM_400000_NS6detail17trampoline_kernelINS0_14default_configENS1_35radix_sort_onesweep_config_selectorIiiEEZNS1_34radix_sort_onesweep_global_offsetsIS3_Lb0EN6thrust23THRUST_200600_302600_NS6detail15normal_iteratorINS8_10device_ptrIiEEEESD_jNS0_19identity_decomposerEEE10hipError_tT1_T2_PT3_SI_jT4_jjP12ihipStream_tbEUlT_E0_NS1_11comp_targetILNS1_3genE10ELNS1_11target_archE1201ELNS1_3gpuE5ELNS1_3repE0EEENS1_52radix_sort_onesweep_histogram_config_static_selectorELNS0_4arch9wavefront6targetE1EEEvSG_ ; -- Begin function _ZN7rocprim17ROCPRIM_400000_NS6detail17trampoline_kernelINS0_14default_configENS1_35radix_sort_onesweep_config_selectorIiiEEZNS1_34radix_sort_onesweep_global_offsetsIS3_Lb0EN6thrust23THRUST_200600_302600_NS6detail15normal_iteratorINS8_10device_ptrIiEEEESD_jNS0_19identity_decomposerEEE10hipError_tT1_T2_PT3_SI_jT4_jjP12ihipStream_tbEUlT_E0_NS1_11comp_targetILNS1_3genE10ELNS1_11target_archE1201ELNS1_3gpuE5ELNS1_3repE0EEENS1_52radix_sort_onesweep_histogram_config_static_selectorELNS0_4arch9wavefront6targetE1EEEvSG_
	.globl	_ZN7rocprim17ROCPRIM_400000_NS6detail17trampoline_kernelINS0_14default_configENS1_35radix_sort_onesweep_config_selectorIiiEEZNS1_34radix_sort_onesweep_global_offsetsIS3_Lb0EN6thrust23THRUST_200600_302600_NS6detail15normal_iteratorINS8_10device_ptrIiEEEESD_jNS0_19identity_decomposerEEE10hipError_tT1_T2_PT3_SI_jT4_jjP12ihipStream_tbEUlT_E0_NS1_11comp_targetILNS1_3genE10ELNS1_11target_archE1201ELNS1_3gpuE5ELNS1_3repE0EEENS1_52radix_sort_onesweep_histogram_config_static_selectorELNS0_4arch9wavefront6targetE1EEEvSG_
	.p2align	8
	.type	_ZN7rocprim17ROCPRIM_400000_NS6detail17trampoline_kernelINS0_14default_configENS1_35radix_sort_onesweep_config_selectorIiiEEZNS1_34radix_sort_onesweep_global_offsetsIS3_Lb0EN6thrust23THRUST_200600_302600_NS6detail15normal_iteratorINS8_10device_ptrIiEEEESD_jNS0_19identity_decomposerEEE10hipError_tT1_T2_PT3_SI_jT4_jjP12ihipStream_tbEUlT_E0_NS1_11comp_targetILNS1_3genE10ELNS1_11target_archE1201ELNS1_3gpuE5ELNS1_3repE0EEENS1_52radix_sort_onesweep_histogram_config_static_selectorELNS0_4arch9wavefront6targetE1EEEvSG_,@function
_ZN7rocprim17ROCPRIM_400000_NS6detail17trampoline_kernelINS0_14default_configENS1_35radix_sort_onesweep_config_selectorIiiEEZNS1_34radix_sort_onesweep_global_offsetsIS3_Lb0EN6thrust23THRUST_200600_302600_NS6detail15normal_iteratorINS8_10device_ptrIiEEEESD_jNS0_19identity_decomposerEEE10hipError_tT1_T2_PT3_SI_jT4_jjP12ihipStream_tbEUlT_E0_NS1_11comp_targetILNS1_3genE10ELNS1_11target_archE1201ELNS1_3gpuE5ELNS1_3repE0EEENS1_52radix_sort_onesweep_histogram_config_static_selectorELNS0_4arch9wavefront6targetE1EEEvSG_: ; @_ZN7rocprim17ROCPRIM_400000_NS6detail17trampoline_kernelINS0_14default_configENS1_35radix_sort_onesweep_config_selectorIiiEEZNS1_34radix_sort_onesweep_global_offsetsIS3_Lb0EN6thrust23THRUST_200600_302600_NS6detail15normal_iteratorINS8_10device_ptrIiEEEESD_jNS0_19identity_decomposerEEE10hipError_tT1_T2_PT3_SI_jT4_jjP12ihipStream_tbEUlT_E0_NS1_11comp_targetILNS1_3genE10ELNS1_11target_archE1201ELNS1_3gpuE5ELNS1_3repE0EEENS1_52radix_sort_onesweep_histogram_config_static_selectorELNS0_4arch9wavefront6targetE1EEEvSG_
; %bb.0:
	.section	.rodata,"a",@progbits
	.p2align	6, 0x0
	.amdhsa_kernel _ZN7rocprim17ROCPRIM_400000_NS6detail17trampoline_kernelINS0_14default_configENS1_35radix_sort_onesweep_config_selectorIiiEEZNS1_34radix_sort_onesweep_global_offsetsIS3_Lb0EN6thrust23THRUST_200600_302600_NS6detail15normal_iteratorINS8_10device_ptrIiEEEESD_jNS0_19identity_decomposerEEE10hipError_tT1_T2_PT3_SI_jT4_jjP12ihipStream_tbEUlT_E0_NS1_11comp_targetILNS1_3genE10ELNS1_11target_archE1201ELNS1_3gpuE5ELNS1_3repE0EEENS1_52radix_sort_onesweep_histogram_config_static_selectorELNS0_4arch9wavefront6targetE1EEEvSG_
		.amdhsa_group_segment_fixed_size 0
		.amdhsa_private_segment_fixed_size 0
		.amdhsa_kernarg_size 8
		.amdhsa_user_sgpr_count 2
		.amdhsa_user_sgpr_dispatch_ptr 0
		.amdhsa_user_sgpr_queue_ptr 0
		.amdhsa_user_sgpr_kernarg_segment_ptr 1
		.amdhsa_user_sgpr_dispatch_id 0
		.amdhsa_user_sgpr_kernarg_preload_length 0
		.amdhsa_user_sgpr_kernarg_preload_offset 0
		.amdhsa_user_sgpr_private_segment_size 0
		.amdhsa_uses_dynamic_stack 0
		.amdhsa_enable_private_segment 0
		.amdhsa_system_sgpr_workgroup_id_x 1
		.amdhsa_system_sgpr_workgroup_id_y 0
		.amdhsa_system_sgpr_workgroup_id_z 0
		.amdhsa_system_sgpr_workgroup_info 0
		.amdhsa_system_vgpr_workitem_id 0
		.amdhsa_next_free_vgpr 1
		.amdhsa_next_free_sgpr 0
		.amdhsa_accum_offset 4
		.amdhsa_reserve_vcc 0
		.amdhsa_float_round_mode_32 0
		.amdhsa_float_round_mode_16_64 0
		.amdhsa_float_denorm_mode_32 3
		.amdhsa_float_denorm_mode_16_64 3
		.amdhsa_dx10_clamp 1
		.amdhsa_ieee_mode 1
		.amdhsa_fp16_overflow 0
		.amdhsa_tg_split 0
		.amdhsa_exception_fp_ieee_invalid_op 0
		.amdhsa_exception_fp_denorm_src 0
		.amdhsa_exception_fp_ieee_div_zero 0
		.amdhsa_exception_fp_ieee_overflow 0
		.amdhsa_exception_fp_ieee_underflow 0
		.amdhsa_exception_fp_ieee_inexact 0
		.amdhsa_exception_int_div_zero 0
	.end_amdhsa_kernel
	.section	.text._ZN7rocprim17ROCPRIM_400000_NS6detail17trampoline_kernelINS0_14default_configENS1_35radix_sort_onesweep_config_selectorIiiEEZNS1_34radix_sort_onesweep_global_offsetsIS3_Lb0EN6thrust23THRUST_200600_302600_NS6detail15normal_iteratorINS8_10device_ptrIiEEEESD_jNS0_19identity_decomposerEEE10hipError_tT1_T2_PT3_SI_jT4_jjP12ihipStream_tbEUlT_E0_NS1_11comp_targetILNS1_3genE10ELNS1_11target_archE1201ELNS1_3gpuE5ELNS1_3repE0EEENS1_52radix_sort_onesweep_histogram_config_static_selectorELNS0_4arch9wavefront6targetE1EEEvSG_,"axG",@progbits,_ZN7rocprim17ROCPRIM_400000_NS6detail17trampoline_kernelINS0_14default_configENS1_35radix_sort_onesweep_config_selectorIiiEEZNS1_34radix_sort_onesweep_global_offsetsIS3_Lb0EN6thrust23THRUST_200600_302600_NS6detail15normal_iteratorINS8_10device_ptrIiEEEESD_jNS0_19identity_decomposerEEE10hipError_tT1_T2_PT3_SI_jT4_jjP12ihipStream_tbEUlT_E0_NS1_11comp_targetILNS1_3genE10ELNS1_11target_archE1201ELNS1_3gpuE5ELNS1_3repE0EEENS1_52radix_sort_onesweep_histogram_config_static_selectorELNS0_4arch9wavefront6targetE1EEEvSG_,comdat
.Lfunc_end819:
	.size	_ZN7rocprim17ROCPRIM_400000_NS6detail17trampoline_kernelINS0_14default_configENS1_35radix_sort_onesweep_config_selectorIiiEEZNS1_34radix_sort_onesweep_global_offsetsIS3_Lb0EN6thrust23THRUST_200600_302600_NS6detail15normal_iteratorINS8_10device_ptrIiEEEESD_jNS0_19identity_decomposerEEE10hipError_tT1_T2_PT3_SI_jT4_jjP12ihipStream_tbEUlT_E0_NS1_11comp_targetILNS1_3genE10ELNS1_11target_archE1201ELNS1_3gpuE5ELNS1_3repE0EEENS1_52radix_sort_onesweep_histogram_config_static_selectorELNS0_4arch9wavefront6targetE1EEEvSG_, .Lfunc_end819-_ZN7rocprim17ROCPRIM_400000_NS6detail17trampoline_kernelINS0_14default_configENS1_35radix_sort_onesweep_config_selectorIiiEEZNS1_34radix_sort_onesweep_global_offsetsIS3_Lb0EN6thrust23THRUST_200600_302600_NS6detail15normal_iteratorINS8_10device_ptrIiEEEESD_jNS0_19identity_decomposerEEE10hipError_tT1_T2_PT3_SI_jT4_jjP12ihipStream_tbEUlT_E0_NS1_11comp_targetILNS1_3genE10ELNS1_11target_archE1201ELNS1_3gpuE5ELNS1_3repE0EEENS1_52radix_sort_onesweep_histogram_config_static_selectorELNS0_4arch9wavefront6targetE1EEEvSG_
                                        ; -- End function
	.set _ZN7rocprim17ROCPRIM_400000_NS6detail17trampoline_kernelINS0_14default_configENS1_35radix_sort_onesweep_config_selectorIiiEEZNS1_34radix_sort_onesweep_global_offsetsIS3_Lb0EN6thrust23THRUST_200600_302600_NS6detail15normal_iteratorINS8_10device_ptrIiEEEESD_jNS0_19identity_decomposerEEE10hipError_tT1_T2_PT3_SI_jT4_jjP12ihipStream_tbEUlT_E0_NS1_11comp_targetILNS1_3genE10ELNS1_11target_archE1201ELNS1_3gpuE5ELNS1_3repE0EEENS1_52radix_sort_onesweep_histogram_config_static_selectorELNS0_4arch9wavefront6targetE1EEEvSG_.num_vgpr, 0
	.set _ZN7rocprim17ROCPRIM_400000_NS6detail17trampoline_kernelINS0_14default_configENS1_35radix_sort_onesweep_config_selectorIiiEEZNS1_34radix_sort_onesweep_global_offsetsIS3_Lb0EN6thrust23THRUST_200600_302600_NS6detail15normal_iteratorINS8_10device_ptrIiEEEESD_jNS0_19identity_decomposerEEE10hipError_tT1_T2_PT3_SI_jT4_jjP12ihipStream_tbEUlT_E0_NS1_11comp_targetILNS1_3genE10ELNS1_11target_archE1201ELNS1_3gpuE5ELNS1_3repE0EEENS1_52radix_sort_onesweep_histogram_config_static_selectorELNS0_4arch9wavefront6targetE1EEEvSG_.num_agpr, 0
	.set _ZN7rocprim17ROCPRIM_400000_NS6detail17trampoline_kernelINS0_14default_configENS1_35radix_sort_onesweep_config_selectorIiiEEZNS1_34radix_sort_onesweep_global_offsetsIS3_Lb0EN6thrust23THRUST_200600_302600_NS6detail15normal_iteratorINS8_10device_ptrIiEEEESD_jNS0_19identity_decomposerEEE10hipError_tT1_T2_PT3_SI_jT4_jjP12ihipStream_tbEUlT_E0_NS1_11comp_targetILNS1_3genE10ELNS1_11target_archE1201ELNS1_3gpuE5ELNS1_3repE0EEENS1_52radix_sort_onesweep_histogram_config_static_selectorELNS0_4arch9wavefront6targetE1EEEvSG_.numbered_sgpr, 0
	.set _ZN7rocprim17ROCPRIM_400000_NS6detail17trampoline_kernelINS0_14default_configENS1_35radix_sort_onesweep_config_selectorIiiEEZNS1_34radix_sort_onesweep_global_offsetsIS3_Lb0EN6thrust23THRUST_200600_302600_NS6detail15normal_iteratorINS8_10device_ptrIiEEEESD_jNS0_19identity_decomposerEEE10hipError_tT1_T2_PT3_SI_jT4_jjP12ihipStream_tbEUlT_E0_NS1_11comp_targetILNS1_3genE10ELNS1_11target_archE1201ELNS1_3gpuE5ELNS1_3repE0EEENS1_52radix_sort_onesweep_histogram_config_static_selectorELNS0_4arch9wavefront6targetE1EEEvSG_.num_named_barrier, 0
	.set _ZN7rocprim17ROCPRIM_400000_NS6detail17trampoline_kernelINS0_14default_configENS1_35radix_sort_onesweep_config_selectorIiiEEZNS1_34radix_sort_onesweep_global_offsetsIS3_Lb0EN6thrust23THRUST_200600_302600_NS6detail15normal_iteratorINS8_10device_ptrIiEEEESD_jNS0_19identity_decomposerEEE10hipError_tT1_T2_PT3_SI_jT4_jjP12ihipStream_tbEUlT_E0_NS1_11comp_targetILNS1_3genE10ELNS1_11target_archE1201ELNS1_3gpuE5ELNS1_3repE0EEENS1_52radix_sort_onesweep_histogram_config_static_selectorELNS0_4arch9wavefront6targetE1EEEvSG_.private_seg_size, 0
	.set _ZN7rocprim17ROCPRIM_400000_NS6detail17trampoline_kernelINS0_14default_configENS1_35radix_sort_onesweep_config_selectorIiiEEZNS1_34radix_sort_onesweep_global_offsetsIS3_Lb0EN6thrust23THRUST_200600_302600_NS6detail15normal_iteratorINS8_10device_ptrIiEEEESD_jNS0_19identity_decomposerEEE10hipError_tT1_T2_PT3_SI_jT4_jjP12ihipStream_tbEUlT_E0_NS1_11comp_targetILNS1_3genE10ELNS1_11target_archE1201ELNS1_3gpuE5ELNS1_3repE0EEENS1_52radix_sort_onesweep_histogram_config_static_selectorELNS0_4arch9wavefront6targetE1EEEvSG_.uses_vcc, 0
	.set _ZN7rocprim17ROCPRIM_400000_NS6detail17trampoline_kernelINS0_14default_configENS1_35radix_sort_onesweep_config_selectorIiiEEZNS1_34radix_sort_onesweep_global_offsetsIS3_Lb0EN6thrust23THRUST_200600_302600_NS6detail15normal_iteratorINS8_10device_ptrIiEEEESD_jNS0_19identity_decomposerEEE10hipError_tT1_T2_PT3_SI_jT4_jjP12ihipStream_tbEUlT_E0_NS1_11comp_targetILNS1_3genE10ELNS1_11target_archE1201ELNS1_3gpuE5ELNS1_3repE0EEENS1_52radix_sort_onesweep_histogram_config_static_selectorELNS0_4arch9wavefront6targetE1EEEvSG_.uses_flat_scratch, 0
	.set _ZN7rocprim17ROCPRIM_400000_NS6detail17trampoline_kernelINS0_14default_configENS1_35radix_sort_onesweep_config_selectorIiiEEZNS1_34radix_sort_onesweep_global_offsetsIS3_Lb0EN6thrust23THRUST_200600_302600_NS6detail15normal_iteratorINS8_10device_ptrIiEEEESD_jNS0_19identity_decomposerEEE10hipError_tT1_T2_PT3_SI_jT4_jjP12ihipStream_tbEUlT_E0_NS1_11comp_targetILNS1_3genE10ELNS1_11target_archE1201ELNS1_3gpuE5ELNS1_3repE0EEENS1_52radix_sort_onesweep_histogram_config_static_selectorELNS0_4arch9wavefront6targetE1EEEvSG_.has_dyn_sized_stack, 0
	.set _ZN7rocprim17ROCPRIM_400000_NS6detail17trampoline_kernelINS0_14default_configENS1_35radix_sort_onesweep_config_selectorIiiEEZNS1_34radix_sort_onesweep_global_offsetsIS3_Lb0EN6thrust23THRUST_200600_302600_NS6detail15normal_iteratorINS8_10device_ptrIiEEEESD_jNS0_19identity_decomposerEEE10hipError_tT1_T2_PT3_SI_jT4_jjP12ihipStream_tbEUlT_E0_NS1_11comp_targetILNS1_3genE10ELNS1_11target_archE1201ELNS1_3gpuE5ELNS1_3repE0EEENS1_52radix_sort_onesweep_histogram_config_static_selectorELNS0_4arch9wavefront6targetE1EEEvSG_.has_recursion, 0
	.set _ZN7rocprim17ROCPRIM_400000_NS6detail17trampoline_kernelINS0_14default_configENS1_35radix_sort_onesweep_config_selectorIiiEEZNS1_34radix_sort_onesweep_global_offsetsIS3_Lb0EN6thrust23THRUST_200600_302600_NS6detail15normal_iteratorINS8_10device_ptrIiEEEESD_jNS0_19identity_decomposerEEE10hipError_tT1_T2_PT3_SI_jT4_jjP12ihipStream_tbEUlT_E0_NS1_11comp_targetILNS1_3genE10ELNS1_11target_archE1201ELNS1_3gpuE5ELNS1_3repE0EEENS1_52radix_sort_onesweep_histogram_config_static_selectorELNS0_4arch9wavefront6targetE1EEEvSG_.has_indirect_call, 0
	.section	.AMDGPU.csdata,"",@progbits
; Kernel info:
; codeLenInByte = 0
; TotalNumSgprs: 6
; NumVgprs: 0
; NumAgprs: 0
; TotalNumVgprs: 0
; ScratchSize: 0
; MemoryBound: 0
; FloatMode: 240
; IeeeMode: 1
; LDSByteSize: 0 bytes/workgroup (compile time only)
; SGPRBlocks: 0
; VGPRBlocks: 0
; NumSGPRsForWavesPerEU: 6
; NumVGPRsForWavesPerEU: 1
; AccumOffset: 4
; Occupancy: 8
; WaveLimiterHint : 0
; COMPUTE_PGM_RSRC2:SCRATCH_EN: 0
; COMPUTE_PGM_RSRC2:USER_SGPR: 2
; COMPUTE_PGM_RSRC2:TRAP_HANDLER: 0
; COMPUTE_PGM_RSRC2:TGID_X_EN: 1
; COMPUTE_PGM_RSRC2:TGID_Y_EN: 0
; COMPUTE_PGM_RSRC2:TGID_Z_EN: 0
; COMPUTE_PGM_RSRC2:TIDIG_COMP_CNT: 0
; COMPUTE_PGM_RSRC3_GFX90A:ACCUM_OFFSET: 0
; COMPUTE_PGM_RSRC3_GFX90A:TG_SPLIT: 0
	.section	.text._ZN7rocprim17ROCPRIM_400000_NS6detail17trampoline_kernelINS0_14default_configENS1_35radix_sort_onesweep_config_selectorIiiEEZNS1_34radix_sort_onesweep_global_offsetsIS3_Lb0EN6thrust23THRUST_200600_302600_NS6detail15normal_iteratorINS8_10device_ptrIiEEEESD_jNS0_19identity_decomposerEEE10hipError_tT1_T2_PT3_SI_jT4_jjP12ihipStream_tbEUlT_E0_NS1_11comp_targetILNS1_3genE9ELNS1_11target_archE1100ELNS1_3gpuE3ELNS1_3repE0EEENS1_52radix_sort_onesweep_histogram_config_static_selectorELNS0_4arch9wavefront6targetE1EEEvSG_,"axG",@progbits,_ZN7rocprim17ROCPRIM_400000_NS6detail17trampoline_kernelINS0_14default_configENS1_35radix_sort_onesweep_config_selectorIiiEEZNS1_34radix_sort_onesweep_global_offsetsIS3_Lb0EN6thrust23THRUST_200600_302600_NS6detail15normal_iteratorINS8_10device_ptrIiEEEESD_jNS0_19identity_decomposerEEE10hipError_tT1_T2_PT3_SI_jT4_jjP12ihipStream_tbEUlT_E0_NS1_11comp_targetILNS1_3genE9ELNS1_11target_archE1100ELNS1_3gpuE3ELNS1_3repE0EEENS1_52radix_sort_onesweep_histogram_config_static_selectorELNS0_4arch9wavefront6targetE1EEEvSG_,comdat
	.protected	_ZN7rocprim17ROCPRIM_400000_NS6detail17trampoline_kernelINS0_14default_configENS1_35radix_sort_onesweep_config_selectorIiiEEZNS1_34radix_sort_onesweep_global_offsetsIS3_Lb0EN6thrust23THRUST_200600_302600_NS6detail15normal_iteratorINS8_10device_ptrIiEEEESD_jNS0_19identity_decomposerEEE10hipError_tT1_T2_PT3_SI_jT4_jjP12ihipStream_tbEUlT_E0_NS1_11comp_targetILNS1_3genE9ELNS1_11target_archE1100ELNS1_3gpuE3ELNS1_3repE0EEENS1_52radix_sort_onesweep_histogram_config_static_selectorELNS0_4arch9wavefront6targetE1EEEvSG_ ; -- Begin function _ZN7rocprim17ROCPRIM_400000_NS6detail17trampoline_kernelINS0_14default_configENS1_35radix_sort_onesweep_config_selectorIiiEEZNS1_34radix_sort_onesweep_global_offsetsIS3_Lb0EN6thrust23THRUST_200600_302600_NS6detail15normal_iteratorINS8_10device_ptrIiEEEESD_jNS0_19identity_decomposerEEE10hipError_tT1_T2_PT3_SI_jT4_jjP12ihipStream_tbEUlT_E0_NS1_11comp_targetILNS1_3genE9ELNS1_11target_archE1100ELNS1_3gpuE3ELNS1_3repE0EEENS1_52radix_sort_onesweep_histogram_config_static_selectorELNS0_4arch9wavefront6targetE1EEEvSG_
	.globl	_ZN7rocprim17ROCPRIM_400000_NS6detail17trampoline_kernelINS0_14default_configENS1_35radix_sort_onesweep_config_selectorIiiEEZNS1_34radix_sort_onesweep_global_offsetsIS3_Lb0EN6thrust23THRUST_200600_302600_NS6detail15normal_iteratorINS8_10device_ptrIiEEEESD_jNS0_19identity_decomposerEEE10hipError_tT1_T2_PT3_SI_jT4_jjP12ihipStream_tbEUlT_E0_NS1_11comp_targetILNS1_3genE9ELNS1_11target_archE1100ELNS1_3gpuE3ELNS1_3repE0EEENS1_52radix_sort_onesweep_histogram_config_static_selectorELNS0_4arch9wavefront6targetE1EEEvSG_
	.p2align	8
	.type	_ZN7rocprim17ROCPRIM_400000_NS6detail17trampoline_kernelINS0_14default_configENS1_35radix_sort_onesweep_config_selectorIiiEEZNS1_34radix_sort_onesweep_global_offsetsIS3_Lb0EN6thrust23THRUST_200600_302600_NS6detail15normal_iteratorINS8_10device_ptrIiEEEESD_jNS0_19identity_decomposerEEE10hipError_tT1_T2_PT3_SI_jT4_jjP12ihipStream_tbEUlT_E0_NS1_11comp_targetILNS1_3genE9ELNS1_11target_archE1100ELNS1_3gpuE3ELNS1_3repE0EEENS1_52radix_sort_onesweep_histogram_config_static_selectorELNS0_4arch9wavefront6targetE1EEEvSG_,@function
_ZN7rocprim17ROCPRIM_400000_NS6detail17trampoline_kernelINS0_14default_configENS1_35radix_sort_onesweep_config_selectorIiiEEZNS1_34radix_sort_onesweep_global_offsetsIS3_Lb0EN6thrust23THRUST_200600_302600_NS6detail15normal_iteratorINS8_10device_ptrIiEEEESD_jNS0_19identity_decomposerEEE10hipError_tT1_T2_PT3_SI_jT4_jjP12ihipStream_tbEUlT_E0_NS1_11comp_targetILNS1_3genE9ELNS1_11target_archE1100ELNS1_3gpuE3ELNS1_3repE0EEENS1_52radix_sort_onesweep_histogram_config_static_selectorELNS0_4arch9wavefront6targetE1EEEvSG_: ; @_ZN7rocprim17ROCPRIM_400000_NS6detail17trampoline_kernelINS0_14default_configENS1_35radix_sort_onesweep_config_selectorIiiEEZNS1_34radix_sort_onesweep_global_offsetsIS3_Lb0EN6thrust23THRUST_200600_302600_NS6detail15normal_iteratorINS8_10device_ptrIiEEEESD_jNS0_19identity_decomposerEEE10hipError_tT1_T2_PT3_SI_jT4_jjP12ihipStream_tbEUlT_E0_NS1_11comp_targetILNS1_3genE9ELNS1_11target_archE1100ELNS1_3gpuE3ELNS1_3repE0EEENS1_52radix_sort_onesweep_histogram_config_static_selectorELNS0_4arch9wavefront6targetE1EEEvSG_
; %bb.0:
	.section	.rodata,"a",@progbits
	.p2align	6, 0x0
	.amdhsa_kernel _ZN7rocprim17ROCPRIM_400000_NS6detail17trampoline_kernelINS0_14default_configENS1_35radix_sort_onesweep_config_selectorIiiEEZNS1_34radix_sort_onesweep_global_offsetsIS3_Lb0EN6thrust23THRUST_200600_302600_NS6detail15normal_iteratorINS8_10device_ptrIiEEEESD_jNS0_19identity_decomposerEEE10hipError_tT1_T2_PT3_SI_jT4_jjP12ihipStream_tbEUlT_E0_NS1_11comp_targetILNS1_3genE9ELNS1_11target_archE1100ELNS1_3gpuE3ELNS1_3repE0EEENS1_52radix_sort_onesweep_histogram_config_static_selectorELNS0_4arch9wavefront6targetE1EEEvSG_
		.amdhsa_group_segment_fixed_size 0
		.amdhsa_private_segment_fixed_size 0
		.amdhsa_kernarg_size 8
		.amdhsa_user_sgpr_count 2
		.amdhsa_user_sgpr_dispatch_ptr 0
		.amdhsa_user_sgpr_queue_ptr 0
		.amdhsa_user_sgpr_kernarg_segment_ptr 1
		.amdhsa_user_sgpr_dispatch_id 0
		.amdhsa_user_sgpr_kernarg_preload_length 0
		.amdhsa_user_sgpr_kernarg_preload_offset 0
		.amdhsa_user_sgpr_private_segment_size 0
		.amdhsa_uses_dynamic_stack 0
		.amdhsa_enable_private_segment 0
		.amdhsa_system_sgpr_workgroup_id_x 1
		.amdhsa_system_sgpr_workgroup_id_y 0
		.amdhsa_system_sgpr_workgroup_id_z 0
		.amdhsa_system_sgpr_workgroup_info 0
		.amdhsa_system_vgpr_workitem_id 0
		.amdhsa_next_free_vgpr 1
		.amdhsa_next_free_sgpr 0
		.amdhsa_accum_offset 4
		.amdhsa_reserve_vcc 0
		.amdhsa_float_round_mode_32 0
		.amdhsa_float_round_mode_16_64 0
		.amdhsa_float_denorm_mode_32 3
		.amdhsa_float_denorm_mode_16_64 3
		.amdhsa_dx10_clamp 1
		.amdhsa_ieee_mode 1
		.amdhsa_fp16_overflow 0
		.amdhsa_tg_split 0
		.amdhsa_exception_fp_ieee_invalid_op 0
		.amdhsa_exception_fp_denorm_src 0
		.amdhsa_exception_fp_ieee_div_zero 0
		.amdhsa_exception_fp_ieee_overflow 0
		.amdhsa_exception_fp_ieee_underflow 0
		.amdhsa_exception_fp_ieee_inexact 0
		.amdhsa_exception_int_div_zero 0
	.end_amdhsa_kernel
	.section	.text._ZN7rocprim17ROCPRIM_400000_NS6detail17trampoline_kernelINS0_14default_configENS1_35radix_sort_onesweep_config_selectorIiiEEZNS1_34radix_sort_onesweep_global_offsetsIS3_Lb0EN6thrust23THRUST_200600_302600_NS6detail15normal_iteratorINS8_10device_ptrIiEEEESD_jNS0_19identity_decomposerEEE10hipError_tT1_T2_PT3_SI_jT4_jjP12ihipStream_tbEUlT_E0_NS1_11comp_targetILNS1_3genE9ELNS1_11target_archE1100ELNS1_3gpuE3ELNS1_3repE0EEENS1_52radix_sort_onesweep_histogram_config_static_selectorELNS0_4arch9wavefront6targetE1EEEvSG_,"axG",@progbits,_ZN7rocprim17ROCPRIM_400000_NS6detail17trampoline_kernelINS0_14default_configENS1_35radix_sort_onesweep_config_selectorIiiEEZNS1_34radix_sort_onesweep_global_offsetsIS3_Lb0EN6thrust23THRUST_200600_302600_NS6detail15normal_iteratorINS8_10device_ptrIiEEEESD_jNS0_19identity_decomposerEEE10hipError_tT1_T2_PT3_SI_jT4_jjP12ihipStream_tbEUlT_E0_NS1_11comp_targetILNS1_3genE9ELNS1_11target_archE1100ELNS1_3gpuE3ELNS1_3repE0EEENS1_52radix_sort_onesweep_histogram_config_static_selectorELNS0_4arch9wavefront6targetE1EEEvSG_,comdat
.Lfunc_end820:
	.size	_ZN7rocprim17ROCPRIM_400000_NS6detail17trampoline_kernelINS0_14default_configENS1_35radix_sort_onesweep_config_selectorIiiEEZNS1_34radix_sort_onesweep_global_offsetsIS3_Lb0EN6thrust23THRUST_200600_302600_NS6detail15normal_iteratorINS8_10device_ptrIiEEEESD_jNS0_19identity_decomposerEEE10hipError_tT1_T2_PT3_SI_jT4_jjP12ihipStream_tbEUlT_E0_NS1_11comp_targetILNS1_3genE9ELNS1_11target_archE1100ELNS1_3gpuE3ELNS1_3repE0EEENS1_52radix_sort_onesweep_histogram_config_static_selectorELNS0_4arch9wavefront6targetE1EEEvSG_, .Lfunc_end820-_ZN7rocprim17ROCPRIM_400000_NS6detail17trampoline_kernelINS0_14default_configENS1_35radix_sort_onesweep_config_selectorIiiEEZNS1_34radix_sort_onesweep_global_offsetsIS3_Lb0EN6thrust23THRUST_200600_302600_NS6detail15normal_iteratorINS8_10device_ptrIiEEEESD_jNS0_19identity_decomposerEEE10hipError_tT1_T2_PT3_SI_jT4_jjP12ihipStream_tbEUlT_E0_NS1_11comp_targetILNS1_3genE9ELNS1_11target_archE1100ELNS1_3gpuE3ELNS1_3repE0EEENS1_52radix_sort_onesweep_histogram_config_static_selectorELNS0_4arch9wavefront6targetE1EEEvSG_
                                        ; -- End function
	.set _ZN7rocprim17ROCPRIM_400000_NS6detail17trampoline_kernelINS0_14default_configENS1_35radix_sort_onesweep_config_selectorIiiEEZNS1_34radix_sort_onesweep_global_offsetsIS3_Lb0EN6thrust23THRUST_200600_302600_NS6detail15normal_iteratorINS8_10device_ptrIiEEEESD_jNS0_19identity_decomposerEEE10hipError_tT1_T2_PT3_SI_jT4_jjP12ihipStream_tbEUlT_E0_NS1_11comp_targetILNS1_3genE9ELNS1_11target_archE1100ELNS1_3gpuE3ELNS1_3repE0EEENS1_52radix_sort_onesweep_histogram_config_static_selectorELNS0_4arch9wavefront6targetE1EEEvSG_.num_vgpr, 0
	.set _ZN7rocprim17ROCPRIM_400000_NS6detail17trampoline_kernelINS0_14default_configENS1_35radix_sort_onesweep_config_selectorIiiEEZNS1_34radix_sort_onesweep_global_offsetsIS3_Lb0EN6thrust23THRUST_200600_302600_NS6detail15normal_iteratorINS8_10device_ptrIiEEEESD_jNS0_19identity_decomposerEEE10hipError_tT1_T2_PT3_SI_jT4_jjP12ihipStream_tbEUlT_E0_NS1_11comp_targetILNS1_3genE9ELNS1_11target_archE1100ELNS1_3gpuE3ELNS1_3repE0EEENS1_52radix_sort_onesweep_histogram_config_static_selectorELNS0_4arch9wavefront6targetE1EEEvSG_.num_agpr, 0
	.set _ZN7rocprim17ROCPRIM_400000_NS6detail17trampoline_kernelINS0_14default_configENS1_35radix_sort_onesweep_config_selectorIiiEEZNS1_34radix_sort_onesweep_global_offsetsIS3_Lb0EN6thrust23THRUST_200600_302600_NS6detail15normal_iteratorINS8_10device_ptrIiEEEESD_jNS0_19identity_decomposerEEE10hipError_tT1_T2_PT3_SI_jT4_jjP12ihipStream_tbEUlT_E0_NS1_11comp_targetILNS1_3genE9ELNS1_11target_archE1100ELNS1_3gpuE3ELNS1_3repE0EEENS1_52radix_sort_onesweep_histogram_config_static_selectorELNS0_4arch9wavefront6targetE1EEEvSG_.numbered_sgpr, 0
	.set _ZN7rocprim17ROCPRIM_400000_NS6detail17trampoline_kernelINS0_14default_configENS1_35radix_sort_onesweep_config_selectorIiiEEZNS1_34radix_sort_onesweep_global_offsetsIS3_Lb0EN6thrust23THRUST_200600_302600_NS6detail15normal_iteratorINS8_10device_ptrIiEEEESD_jNS0_19identity_decomposerEEE10hipError_tT1_T2_PT3_SI_jT4_jjP12ihipStream_tbEUlT_E0_NS1_11comp_targetILNS1_3genE9ELNS1_11target_archE1100ELNS1_3gpuE3ELNS1_3repE0EEENS1_52radix_sort_onesweep_histogram_config_static_selectorELNS0_4arch9wavefront6targetE1EEEvSG_.num_named_barrier, 0
	.set _ZN7rocprim17ROCPRIM_400000_NS6detail17trampoline_kernelINS0_14default_configENS1_35radix_sort_onesweep_config_selectorIiiEEZNS1_34radix_sort_onesweep_global_offsetsIS3_Lb0EN6thrust23THRUST_200600_302600_NS6detail15normal_iteratorINS8_10device_ptrIiEEEESD_jNS0_19identity_decomposerEEE10hipError_tT1_T2_PT3_SI_jT4_jjP12ihipStream_tbEUlT_E0_NS1_11comp_targetILNS1_3genE9ELNS1_11target_archE1100ELNS1_3gpuE3ELNS1_3repE0EEENS1_52radix_sort_onesweep_histogram_config_static_selectorELNS0_4arch9wavefront6targetE1EEEvSG_.private_seg_size, 0
	.set _ZN7rocprim17ROCPRIM_400000_NS6detail17trampoline_kernelINS0_14default_configENS1_35radix_sort_onesweep_config_selectorIiiEEZNS1_34radix_sort_onesweep_global_offsetsIS3_Lb0EN6thrust23THRUST_200600_302600_NS6detail15normal_iteratorINS8_10device_ptrIiEEEESD_jNS0_19identity_decomposerEEE10hipError_tT1_T2_PT3_SI_jT4_jjP12ihipStream_tbEUlT_E0_NS1_11comp_targetILNS1_3genE9ELNS1_11target_archE1100ELNS1_3gpuE3ELNS1_3repE0EEENS1_52radix_sort_onesweep_histogram_config_static_selectorELNS0_4arch9wavefront6targetE1EEEvSG_.uses_vcc, 0
	.set _ZN7rocprim17ROCPRIM_400000_NS6detail17trampoline_kernelINS0_14default_configENS1_35radix_sort_onesweep_config_selectorIiiEEZNS1_34radix_sort_onesweep_global_offsetsIS3_Lb0EN6thrust23THRUST_200600_302600_NS6detail15normal_iteratorINS8_10device_ptrIiEEEESD_jNS0_19identity_decomposerEEE10hipError_tT1_T2_PT3_SI_jT4_jjP12ihipStream_tbEUlT_E0_NS1_11comp_targetILNS1_3genE9ELNS1_11target_archE1100ELNS1_3gpuE3ELNS1_3repE0EEENS1_52radix_sort_onesweep_histogram_config_static_selectorELNS0_4arch9wavefront6targetE1EEEvSG_.uses_flat_scratch, 0
	.set _ZN7rocprim17ROCPRIM_400000_NS6detail17trampoline_kernelINS0_14default_configENS1_35radix_sort_onesweep_config_selectorIiiEEZNS1_34radix_sort_onesweep_global_offsetsIS3_Lb0EN6thrust23THRUST_200600_302600_NS6detail15normal_iteratorINS8_10device_ptrIiEEEESD_jNS0_19identity_decomposerEEE10hipError_tT1_T2_PT3_SI_jT4_jjP12ihipStream_tbEUlT_E0_NS1_11comp_targetILNS1_3genE9ELNS1_11target_archE1100ELNS1_3gpuE3ELNS1_3repE0EEENS1_52radix_sort_onesweep_histogram_config_static_selectorELNS0_4arch9wavefront6targetE1EEEvSG_.has_dyn_sized_stack, 0
	.set _ZN7rocprim17ROCPRIM_400000_NS6detail17trampoline_kernelINS0_14default_configENS1_35radix_sort_onesweep_config_selectorIiiEEZNS1_34radix_sort_onesweep_global_offsetsIS3_Lb0EN6thrust23THRUST_200600_302600_NS6detail15normal_iteratorINS8_10device_ptrIiEEEESD_jNS0_19identity_decomposerEEE10hipError_tT1_T2_PT3_SI_jT4_jjP12ihipStream_tbEUlT_E0_NS1_11comp_targetILNS1_3genE9ELNS1_11target_archE1100ELNS1_3gpuE3ELNS1_3repE0EEENS1_52radix_sort_onesweep_histogram_config_static_selectorELNS0_4arch9wavefront6targetE1EEEvSG_.has_recursion, 0
	.set _ZN7rocprim17ROCPRIM_400000_NS6detail17trampoline_kernelINS0_14default_configENS1_35radix_sort_onesweep_config_selectorIiiEEZNS1_34radix_sort_onesweep_global_offsetsIS3_Lb0EN6thrust23THRUST_200600_302600_NS6detail15normal_iteratorINS8_10device_ptrIiEEEESD_jNS0_19identity_decomposerEEE10hipError_tT1_T2_PT3_SI_jT4_jjP12ihipStream_tbEUlT_E0_NS1_11comp_targetILNS1_3genE9ELNS1_11target_archE1100ELNS1_3gpuE3ELNS1_3repE0EEENS1_52radix_sort_onesweep_histogram_config_static_selectorELNS0_4arch9wavefront6targetE1EEEvSG_.has_indirect_call, 0
	.section	.AMDGPU.csdata,"",@progbits
; Kernel info:
; codeLenInByte = 0
; TotalNumSgprs: 6
; NumVgprs: 0
; NumAgprs: 0
; TotalNumVgprs: 0
; ScratchSize: 0
; MemoryBound: 0
; FloatMode: 240
; IeeeMode: 1
; LDSByteSize: 0 bytes/workgroup (compile time only)
; SGPRBlocks: 0
; VGPRBlocks: 0
; NumSGPRsForWavesPerEU: 6
; NumVGPRsForWavesPerEU: 1
; AccumOffset: 4
; Occupancy: 8
; WaveLimiterHint : 0
; COMPUTE_PGM_RSRC2:SCRATCH_EN: 0
; COMPUTE_PGM_RSRC2:USER_SGPR: 2
; COMPUTE_PGM_RSRC2:TRAP_HANDLER: 0
; COMPUTE_PGM_RSRC2:TGID_X_EN: 1
; COMPUTE_PGM_RSRC2:TGID_Y_EN: 0
; COMPUTE_PGM_RSRC2:TGID_Z_EN: 0
; COMPUTE_PGM_RSRC2:TIDIG_COMP_CNT: 0
; COMPUTE_PGM_RSRC3_GFX90A:ACCUM_OFFSET: 0
; COMPUTE_PGM_RSRC3_GFX90A:TG_SPLIT: 0
	.section	.text._ZN7rocprim17ROCPRIM_400000_NS6detail17trampoline_kernelINS0_14default_configENS1_35radix_sort_onesweep_config_selectorIiiEEZNS1_34radix_sort_onesweep_global_offsetsIS3_Lb0EN6thrust23THRUST_200600_302600_NS6detail15normal_iteratorINS8_10device_ptrIiEEEESD_jNS0_19identity_decomposerEEE10hipError_tT1_T2_PT3_SI_jT4_jjP12ihipStream_tbEUlT_E0_NS1_11comp_targetILNS1_3genE8ELNS1_11target_archE1030ELNS1_3gpuE2ELNS1_3repE0EEENS1_52radix_sort_onesweep_histogram_config_static_selectorELNS0_4arch9wavefront6targetE1EEEvSG_,"axG",@progbits,_ZN7rocprim17ROCPRIM_400000_NS6detail17trampoline_kernelINS0_14default_configENS1_35radix_sort_onesweep_config_selectorIiiEEZNS1_34radix_sort_onesweep_global_offsetsIS3_Lb0EN6thrust23THRUST_200600_302600_NS6detail15normal_iteratorINS8_10device_ptrIiEEEESD_jNS0_19identity_decomposerEEE10hipError_tT1_T2_PT3_SI_jT4_jjP12ihipStream_tbEUlT_E0_NS1_11comp_targetILNS1_3genE8ELNS1_11target_archE1030ELNS1_3gpuE2ELNS1_3repE0EEENS1_52radix_sort_onesweep_histogram_config_static_selectorELNS0_4arch9wavefront6targetE1EEEvSG_,comdat
	.protected	_ZN7rocprim17ROCPRIM_400000_NS6detail17trampoline_kernelINS0_14default_configENS1_35radix_sort_onesweep_config_selectorIiiEEZNS1_34radix_sort_onesweep_global_offsetsIS3_Lb0EN6thrust23THRUST_200600_302600_NS6detail15normal_iteratorINS8_10device_ptrIiEEEESD_jNS0_19identity_decomposerEEE10hipError_tT1_T2_PT3_SI_jT4_jjP12ihipStream_tbEUlT_E0_NS1_11comp_targetILNS1_3genE8ELNS1_11target_archE1030ELNS1_3gpuE2ELNS1_3repE0EEENS1_52radix_sort_onesweep_histogram_config_static_selectorELNS0_4arch9wavefront6targetE1EEEvSG_ ; -- Begin function _ZN7rocprim17ROCPRIM_400000_NS6detail17trampoline_kernelINS0_14default_configENS1_35radix_sort_onesweep_config_selectorIiiEEZNS1_34radix_sort_onesweep_global_offsetsIS3_Lb0EN6thrust23THRUST_200600_302600_NS6detail15normal_iteratorINS8_10device_ptrIiEEEESD_jNS0_19identity_decomposerEEE10hipError_tT1_T2_PT3_SI_jT4_jjP12ihipStream_tbEUlT_E0_NS1_11comp_targetILNS1_3genE8ELNS1_11target_archE1030ELNS1_3gpuE2ELNS1_3repE0EEENS1_52radix_sort_onesweep_histogram_config_static_selectorELNS0_4arch9wavefront6targetE1EEEvSG_
	.globl	_ZN7rocprim17ROCPRIM_400000_NS6detail17trampoline_kernelINS0_14default_configENS1_35radix_sort_onesweep_config_selectorIiiEEZNS1_34radix_sort_onesweep_global_offsetsIS3_Lb0EN6thrust23THRUST_200600_302600_NS6detail15normal_iteratorINS8_10device_ptrIiEEEESD_jNS0_19identity_decomposerEEE10hipError_tT1_T2_PT3_SI_jT4_jjP12ihipStream_tbEUlT_E0_NS1_11comp_targetILNS1_3genE8ELNS1_11target_archE1030ELNS1_3gpuE2ELNS1_3repE0EEENS1_52radix_sort_onesweep_histogram_config_static_selectorELNS0_4arch9wavefront6targetE1EEEvSG_
	.p2align	8
	.type	_ZN7rocprim17ROCPRIM_400000_NS6detail17trampoline_kernelINS0_14default_configENS1_35radix_sort_onesweep_config_selectorIiiEEZNS1_34radix_sort_onesweep_global_offsetsIS3_Lb0EN6thrust23THRUST_200600_302600_NS6detail15normal_iteratorINS8_10device_ptrIiEEEESD_jNS0_19identity_decomposerEEE10hipError_tT1_T2_PT3_SI_jT4_jjP12ihipStream_tbEUlT_E0_NS1_11comp_targetILNS1_3genE8ELNS1_11target_archE1030ELNS1_3gpuE2ELNS1_3repE0EEENS1_52radix_sort_onesweep_histogram_config_static_selectorELNS0_4arch9wavefront6targetE1EEEvSG_,@function
_ZN7rocprim17ROCPRIM_400000_NS6detail17trampoline_kernelINS0_14default_configENS1_35radix_sort_onesweep_config_selectorIiiEEZNS1_34radix_sort_onesweep_global_offsetsIS3_Lb0EN6thrust23THRUST_200600_302600_NS6detail15normal_iteratorINS8_10device_ptrIiEEEESD_jNS0_19identity_decomposerEEE10hipError_tT1_T2_PT3_SI_jT4_jjP12ihipStream_tbEUlT_E0_NS1_11comp_targetILNS1_3genE8ELNS1_11target_archE1030ELNS1_3gpuE2ELNS1_3repE0EEENS1_52radix_sort_onesweep_histogram_config_static_selectorELNS0_4arch9wavefront6targetE1EEEvSG_: ; @_ZN7rocprim17ROCPRIM_400000_NS6detail17trampoline_kernelINS0_14default_configENS1_35radix_sort_onesweep_config_selectorIiiEEZNS1_34radix_sort_onesweep_global_offsetsIS3_Lb0EN6thrust23THRUST_200600_302600_NS6detail15normal_iteratorINS8_10device_ptrIiEEEESD_jNS0_19identity_decomposerEEE10hipError_tT1_T2_PT3_SI_jT4_jjP12ihipStream_tbEUlT_E0_NS1_11comp_targetILNS1_3genE8ELNS1_11target_archE1030ELNS1_3gpuE2ELNS1_3repE0EEENS1_52radix_sort_onesweep_histogram_config_static_selectorELNS0_4arch9wavefront6targetE1EEEvSG_
; %bb.0:
	.section	.rodata,"a",@progbits
	.p2align	6, 0x0
	.amdhsa_kernel _ZN7rocprim17ROCPRIM_400000_NS6detail17trampoline_kernelINS0_14default_configENS1_35radix_sort_onesweep_config_selectorIiiEEZNS1_34radix_sort_onesweep_global_offsetsIS3_Lb0EN6thrust23THRUST_200600_302600_NS6detail15normal_iteratorINS8_10device_ptrIiEEEESD_jNS0_19identity_decomposerEEE10hipError_tT1_T2_PT3_SI_jT4_jjP12ihipStream_tbEUlT_E0_NS1_11comp_targetILNS1_3genE8ELNS1_11target_archE1030ELNS1_3gpuE2ELNS1_3repE0EEENS1_52radix_sort_onesweep_histogram_config_static_selectorELNS0_4arch9wavefront6targetE1EEEvSG_
		.amdhsa_group_segment_fixed_size 0
		.amdhsa_private_segment_fixed_size 0
		.amdhsa_kernarg_size 8
		.amdhsa_user_sgpr_count 2
		.amdhsa_user_sgpr_dispatch_ptr 0
		.amdhsa_user_sgpr_queue_ptr 0
		.amdhsa_user_sgpr_kernarg_segment_ptr 1
		.amdhsa_user_sgpr_dispatch_id 0
		.amdhsa_user_sgpr_kernarg_preload_length 0
		.amdhsa_user_sgpr_kernarg_preload_offset 0
		.amdhsa_user_sgpr_private_segment_size 0
		.amdhsa_uses_dynamic_stack 0
		.amdhsa_enable_private_segment 0
		.amdhsa_system_sgpr_workgroup_id_x 1
		.amdhsa_system_sgpr_workgroup_id_y 0
		.amdhsa_system_sgpr_workgroup_id_z 0
		.amdhsa_system_sgpr_workgroup_info 0
		.amdhsa_system_vgpr_workitem_id 0
		.amdhsa_next_free_vgpr 1
		.amdhsa_next_free_sgpr 0
		.amdhsa_accum_offset 4
		.amdhsa_reserve_vcc 0
		.amdhsa_float_round_mode_32 0
		.amdhsa_float_round_mode_16_64 0
		.amdhsa_float_denorm_mode_32 3
		.amdhsa_float_denorm_mode_16_64 3
		.amdhsa_dx10_clamp 1
		.amdhsa_ieee_mode 1
		.amdhsa_fp16_overflow 0
		.amdhsa_tg_split 0
		.amdhsa_exception_fp_ieee_invalid_op 0
		.amdhsa_exception_fp_denorm_src 0
		.amdhsa_exception_fp_ieee_div_zero 0
		.amdhsa_exception_fp_ieee_overflow 0
		.amdhsa_exception_fp_ieee_underflow 0
		.amdhsa_exception_fp_ieee_inexact 0
		.amdhsa_exception_int_div_zero 0
	.end_amdhsa_kernel
	.section	.text._ZN7rocprim17ROCPRIM_400000_NS6detail17trampoline_kernelINS0_14default_configENS1_35radix_sort_onesweep_config_selectorIiiEEZNS1_34radix_sort_onesweep_global_offsetsIS3_Lb0EN6thrust23THRUST_200600_302600_NS6detail15normal_iteratorINS8_10device_ptrIiEEEESD_jNS0_19identity_decomposerEEE10hipError_tT1_T2_PT3_SI_jT4_jjP12ihipStream_tbEUlT_E0_NS1_11comp_targetILNS1_3genE8ELNS1_11target_archE1030ELNS1_3gpuE2ELNS1_3repE0EEENS1_52radix_sort_onesweep_histogram_config_static_selectorELNS0_4arch9wavefront6targetE1EEEvSG_,"axG",@progbits,_ZN7rocprim17ROCPRIM_400000_NS6detail17trampoline_kernelINS0_14default_configENS1_35radix_sort_onesweep_config_selectorIiiEEZNS1_34radix_sort_onesweep_global_offsetsIS3_Lb0EN6thrust23THRUST_200600_302600_NS6detail15normal_iteratorINS8_10device_ptrIiEEEESD_jNS0_19identity_decomposerEEE10hipError_tT1_T2_PT3_SI_jT4_jjP12ihipStream_tbEUlT_E0_NS1_11comp_targetILNS1_3genE8ELNS1_11target_archE1030ELNS1_3gpuE2ELNS1_3repE0EEENS1_52radix_sort_onesweep_histogram_config_static_selectorELNS0_4arch9wavefront6targetE1EEEvSG_,comdat
.Lfunc_end821:
	.size	_ZN7rocprim17ROCPRIM_400000_NS6detail17trampoline_kernelINS0_14default_configENS1_35radix_sort_onesweep_config_selectorIiiEEZNS1_34radix_sort_onesweep_global_offsetsIS3_Lb0EN6thrust23THRUST_200600_302600_NS6detail15normal_iteratorINS8_10device_ptrIiEEEESD_jNS0_19identity_decomposerEEE10hipError_tT1_T2_PT3_SI_jT4_jjP12ihipStream_tbEUlT_E0_NS1_11comp_targetILNS1_3genE8ELNS1_11target_archE1030ELNS1_3gpuE2ELNS1_3repE0EEENS1_52radix_sort_onesweep_histogram_config_static_selectorELNS0_4arch9wavefront6targetE1EEEvSG_, .Lfunc_end821-_ZN7rocprim17ROCPRIM_400000_NS6detail17trampoline_kernelINS0_14default_configENS1_35radix_sort_onesweep_config_selectorIiiEEZNS1_34radix_sort_onesweep_global_offsetsIS3_Lb0EN6thrust23THRUST_200600_302600_NS6detail15normal_iteratorINS8_10device_ptrIiEEEESD_jNS0_19identity_decomposerEEE10hipError_tT1_T2_PT3_SI_jT4_jjP12ihipStream_tbEUlT_E0_NS1_11comp_targetILNS1_3genE8ELNS1_11target_archE1030ELNS1_3gpuE2ELNS1_3repE0EEENS1_52radix_sort_onesweep_histogram_config_static_selectorELNS0_4arch9wavefront6targetE1EEEvSG_
                                        ; -- End function
	.set _ZN7rocprim17ROCPRIM_400000_NS6detail17trampoline_kernelINS0_14default_configENS1_35radix_sort_onesweep_config_selectorIiiEEZNS1_34radix_sort_onesweep_global_offsetsIS3_Lb0EN6thrust23THRUST_200600_302600_NS6detail15normal_iteratorINS8_10device_ptrIiEEEESD_jNS0_19identity_decomposerEEE10hipError_tT1_T2_PT3_SI_jT4_jjP12ihipStream_tbEUlT_E0_NS1_11comp_targetILNS1_3genE8ELNS1_11target_archE1030ELNS1_3gpuE2ELNS1_3repE0EEENS1_52radix_sort_onesweep_histogram_config_static_selectorELNS0_4arch9wavefront6targetE1EEEvSG_.num_vgpr, 0
	.set _ZN7rocprim17ROCPRIM_400000_NS6detail17trampoline_kernelINS0_14default_configENS1_35radix_sort_onesweep_config_selectorIiiEEZNS1_34radix_sort_onesweep_global_offsetsIS3_Lb0EN6thrust23THRUST_200600_302600_NS6detail15normal_iteratorINS8_10device_ptrIiEEEESD_jNS0_19identity_decomposerEEE10hipError_tT1_T2_PT3_SI_jT4_jjP12ihipStream_tbEUlT_E0_NS1_11comp_targetILNS1_3genE8ELNS1_11target_archE1030ELNS1_3gpuE2ELNS1_3repE0EEENS1_52radix_sort_onesweep_histogram_config_static_selectorELNS0_4arch9wavefront6targetE1EEEvSG_.num_agpr, 0
	.set _ZN7rocprim17ROCPRIM_400000_NS6detail17trampoline_kernelINS0_14default_configENS1_35radix_sort_onesweep_config_selectorIiiEEZNS1_34radix_sort_onesweep_global_offsetsIS3_Lb0EN6thrust23THRUST_200600_302600_NS6detail15normal_iteratorINS8_10device_ptrIiEEEESD_jNS0_19identity_decomposerEEE10hipError_tT1_T2_PT3_SI_jT4_jjP12ihipStream_tbEUlT_E0_NS1_11comp_targetILNS1_3genE8ELNS1_11target_archE1030ELNS1_3gpuE2ELNS1_3repE0EEENS1_52radix_sort_onesweep_histogram_config_static_selectorELNS0_4arch9wavefront6targetE1EEEvSG_.numbered_sgpr, 0
	.set _ZN7rocprim17ROCPRIM_400000_NS6detail17trampoline_kernelINS0_14default_configENS1_35radix_sort_onesweep_config_selectorIiiEEZNS1_34radix_sort_onesweep_global_offsetsIS3_Lb0EN6thrust23THRUST_200600_302600_NS6detail15normal_iteratorINS8_10device_ptrIiEEEESD_jNS0_19identity_decomposerEEE10hipError_tT1_T2_PT3_SI_jT4_jjP12ihipStream_tbEUlT_E0_NS1_11comp_targetILNS1_3genE8ELNS1_11target_archE1030ELNS1_3gpuE2ELNS1_3repE0EEENS1_52radix_sort_onesweep_histogram_config_static_selectorELNS0_4arch9wavefront6targetE1EEEvSG_.num_named_barrier, 0
	.set _ZN7rocprim17ROCPRIM_400000_NS6detail17trampoline_kernelINS0_14default_configENS1_35radix_sort_onesweep_config_selectorIiiEEZNS1_34radix_sort_onesweep_global_offsetsIS3_Lb0EN6thrust23THRUST_200600_302600_NS6detail15normal_iteratorINS8_10device_ptrIiEEEESD_jNS0_19identity_decomposerEEE10hipError_tT1_T2_PT3_SI_jT4_jjP12ihipStream_tbEUlT_E0_NS1_11comp_targetILNS1_3genE8ELNS1_11target_archE1030ELNS1_3gpuE2ELNS1_3repE0EEENS1_52radix_sort_onesweep_histogram_config_static_selectorELNS0_4arch9wavefront6targetE1EEEvSG_.private_seg_size, 0
	.set _ZN7rocprim17ROCPRIM_400000_NS6detail17trampoline_kernelINS0_14default_configENS1_35radix_sort_onesweep_config_selectorIiiEEZNS1_34radix_sort_onesweep_global_offsetsIS3_Lb0EN6thrust23THRUST_200600_302600_NS6detail15normal_iteratorINS8_10device_ptrIiEEEESD_jNS0_19identity_decomposerEEE10hipError_tT1_T2_PT3_SI_jT4_jjP12ihipStream_tbEUlT_E0_NS1_11comp_targetILNS1_3genE8ELNS1_11target_archE1030ELNS1_3gpuE2ELNS1_3repE0EEENS1_52radix_sort_onesweep_histogram_config_static_selectorELNS0_4arch9wavefront6targetE1EEEvSG_.uses_vcc, 0
	.set _ZN7rocprim17ROCPRIM_400000_NS6detail17trampoline_kernelINS0_14default_configENS1_35radix_sort_onesweep_config_selectorIiiEEZNS1_34radix_sort_onesweep_global_offsetsIS3_Lb0EN6thrust23THRUST_200600_302600_NS6detail15normal_iteratorINS8_10device_ptrIiEEEESD_jNS0_19identity_decomposerEEE10hipError_tT1_T2_PT3_SI_jT4_jjP12ihipStream_tbEUlT_E0_NS1_11comp_targetILNS1_3genE8ELNS1_11target_archE1030ELNS1_3gpuE2ELNS1_3repE0EEENS1_52radix_sort_onesweep_histogram_config_static_selectorELNS0_4arch9wavefront6targetE1EEEvSG_.uses_flat_scratch, 0
	.set _ZN7rocprim17ROCPRIM_400000_NS6detail17trampoline_kernelINS0_14default_configENS1_35radix_sort_onesweep_config_selectorIiiEEZNS1_34radix_sort_onesweep_global_offsetsIS3_Lb0EN6thrust23THRUST_200600_302600_NS6detail15normal_iteratorINS8_10device_ptrIiEEEESD_jNS0_19identity_decomposerEEE10hipError_tT1_T2_PT3_SI_jT4_jjP12ihipStream_tbEUlT_E0_NS1_11comp_targetILNS1_3genE8ELNS1_11target_archE1030ELNS1_3gpuE2ELNS1_3repE0EEENS1_52radix_sort_onesweep_histogram_config_static_selectorELNS0_4arch9wavefront6targetE1EEEvSG_.has_dyn_sized_stack, 0
	.set _ZN7rocprim17ROCPRIM_400000_NS6detail17trampoline_kernelINS0_14default_configENS1_35radix_sort_onesweep_config_selectorIiiEEZNS1_34radix_sort_onesweep_global_offsetsIS3_Lb0EN6thrust23THRUST_200600_302600_NS6detail15normal_iteratorINS8_10device_ptrIiEEEESD_jNS0_19identity_decomposerEEE10hipError_tT1_T2_PT3_SI_jT4_jjP12ihipStream_tbEUlT_E0_NS1_11comp_targetILNS1_3genE8ELNS1_11target_archE1030ELNS1_3gpuE2ELNS1_3repE0EEENS1_52radix_sort_onesweep_histogram_config_static_selectorELNS0_4arch9wavefront6targetE1EEEvSG_.has_recursion, 0
	.set _ZN7rocprim17ROCPRIM_400000_NS6detail17trampoline_kernelINS0_14default_configENS1_35radix_sort_onesweep_config_selectorIiiEEZNS1_34radix_sort_onesweep_global_offsetsIS3_Lb0EN6thrust23THRUST_200600_302600_NS6detail15normal_iteratorINS8_10device_ptrIiEEEESD_jNS0_19identity_decomposerEEE10hipError_tT1_T2_PT3_SI_jT4_jjP12ihipStream_tbEUlT_E0_NS1_11comp_targetILNS1_3genE8ELNS1_11target_archE1030ELNS1_3gpuE2ELNS1_3repE0EEENS1_52radix_sort_onesweep_histogram_config_static_selectorELNS0_4arch9wavefront6targetE1EEEvSG_.has_indirect_call, 0
	.section	.AMDGPU.csdata,"",@progbits
; Kernel info:
; codeLenInByte = 0
; TotalNumSgprs: 6
; NumVgprs: 0
; NumAgprs: 0
; TotalNumVgprs: 0
; ScratchSize: 0
; MemoryBound: 0
; FloatMode: 240
; IeeeMode: 1
; LDSByteSize: 0 bytes/workgroup (compile time only)
; SGPRBlocks: 0
; VGPRBlocks: 0
; NumSGPRsForWavesPerEU: 6
; NumVGPRsForWavesPerEU: 1
; AccumOffset: 4
; Occupancy: 8
; WaveLimiterHint : 0
; COMPUTE_PGM_RSRC2:SCRATCH_EN: 0
; COMPUTE_PGM_RSRC2:USER_SGPR: 2
; COMPUTE_PGM_RSRC2:TRAP_HANDLER: 0
; COMPUTE_PGM_RSRC2:TGID_X_EN: 1
; COMPUTE_PGM_RSRC2:TGID_Y_EN: 0
; COMPUTE_PGM_RSRC2:TGID_Z_EN: 0
; COMPUTE_PGM_RSRC2:TIDIG_COMP_CNT: 0
; COMPUTE_PGM_RSRC3_GFX90A:ACCUM_OFFSET: 0
; COMPUTE_PGM_RSRC3_GFX90A:TG_SPLIT: 0
	.section	.text._ZN7rocprim17ROCPRIM_400000_NS6detail17trampoline_kernelINS0_14default_configENS1_35radix_sort_onesweep_config_selectorIiiEEZZNS1_29radix_sort_onesweep_iterationIS3_Lb0EN6thrust23THRUST_200600_302600_NS6detail15normal_iteratorINS8_10device_ptrIiEEEESD_SD_SD_jNS0_19identity_decomposerENS1_16block_id_wrapperIjLb1EEEEE10hipError_tT1_PNSt15iterator_traitsISI_E10value_typeET2_T3_PNSJ_ISO_E10value_typeET4_T5_PST_SU_PNS1_23onesweep_lookback_stateEbbT6_jjT7_P12ihipStream_tbENKUlT_T0_SI_SN_E_clISD_SD_SD_SD_EEDaS11_S12_SI_SN_EUlS11_E_NS1_11comp_targetILNS1_3genE0ELNS1_11target_archE4294967295ELNS1_3gpuE0ELNS1_3repE0EEENS1_47radix_sort_onesweep_sort_config_static_selectorELNS0_4arch9wavefront6targetE1EEEvSI_,"axG",@progbits,_ZN7rocprim17ROCPRIM_400000_NS6detail17trampoline_kernelINS0_14default_configENS1_35radix_sort_onesweep_config_selectorIiiEEZZNS1_29radix_sort_onesweep_iterationIS3_Lb0EN6thrust23THRUST_200600_302600_NS6detail15normal_iteratorINS8_10device_ptrIiEEEESD_SD_SD_jNS0_19identity_decomposerENS1_16block_id_wrapperIjLb1EEEEE10hipError_tT1_PNSt15iterator_traitsISI_E10value_typeET2_T3_PNSJ_ISO_E10value_typeET4_T5_PST_SU_PNS1_23onesweep_lookback_stateEbbT6_jjT7_P12ihipStream_tbENKUlT_T0_SI_SN_E_clISD_SD_SD_SD_EEDaS11_S12_SI_SN_EUlS11_E_NS1_11comp_targetILNS1_3genE0ELNS1_11target_archE4294967295ELNS1_3gpuE0ELNS1_3repE0EEENS1_47radix_sort_onesweep_sort_config_static_selectorELNS0_4arch9wavefront6targetE1EEEvSI_,comdat
	.protected	_ZN7rocprim17ROCPRIM_400000_NS6detail17trampoline_kernelINS0_14default_configENS1_35radix_sort_onesweep_config_selectorIiiEEZZNS1_29radix_sort_onesweep_iterationIS3_Lb0EN6thrust23THRUST_200600_302600_NS6detail15normal_iteratorINS8_10device_ptrIiEEEESD_SD_SD_jNS0_19identity_decomposerENS1_16block_id_wrapperIjLb1EEEEE10hipError_tT1_PNSt15iterator_traitsISI_E10value_typeET2_T3_PNSJ_ISO_E10value_typeET4_T5_PST_SU_PNS1_23onesweep_lookback_stateEbbT6_jjT7_P12ihipStream_tbENKUlT_T0_SI_SN_E_clISD_SD_SD_SD_EEDaS11_S12_SI_SN_EUlS11_E_NS1_11comp_targetILNS1_3genE0ELNS1_11target_archE4294967295ELNS1_3gpuE0ELNS1_3repE0EEENS1_47radix_sort_onesweep_sort_config_static_selectorELNS0_4arch9wavefront6targetE1EEEvSI_ ; -- Begin function _ZN7rocprim17ROCPRIM_400000_NS6detail17trampoline_kernelINS0_14default_configENS1_35radix_sort_onesweep_config_selectorIiiEEZZNS1_29radix_sort_onesweep_iterationIS3_Lb0EN6thrust23THRUST_200600_302600_NS6detail15normal_iteratorINS8_10device_ptrIiEEEESD_SD_SD_jNS0_19identity_decomposerENS1_16block_id_wrapperIjLb1EEEEE10hipError_tT1_PNSt15iterator_traitsISI_E10value_typeET2_T3_PNSJ_ISO_E10value_typeET4_T5_PST_SU_PNS1_23onesweep_lookback_stateEbbT6_jjT7_P12ihipStream_tbENKUlT_T0_SI_SN_E_clISD_SD_SD_SD_EEDaS11_S12_SI_SN_EUlS11_E_NS1_11comp_targetILNS1_3genE0ELNS1_11target_archE4294967295ELNS1_3gpuE0ELNS1_3repE0EEENS1_47radix_sort_onesweep_sort_config_static_selectorELNS0_4arch9wavefront6targetE1EEEvSI_
	.globl	_ZN7rocprim17ROCPRIM_400000_NS6detail17trampoline_kernelINS0_14default_configENS1_35radix_sort_onesweep_config_selectorIiiEEZZNS1_29radix_sort_onesweep_iterationIS3_Lb0EN6thrust23THRUST_200600_302600_NS6detail15normal_iteratorINS8_10device_ptrIiEEEESD_SD_SD_jNS0_19identity_decomposerENS1_16block_id_wrapperIjLb1EEEEE10hipError_tT1_PNSt15iterator_traitsISI_E10value_typeET2_T3_PNSJ_ISO_E10value_typeET4_T5_PST_SU_PNS1_23onesweep_lookback_stateEbbT6_jjT7_P12ihipStream_tbENKUlT_T0_SI_SN_E_clISD_SD_SD_SD_EEDaS11_S12_SI_SN_EUlS11_E_NS1_11comp_targetILNS1_3genE0ELNS1_11target_archE4294967295ELNS1_3gpuE0ELNS1_3repE0EEENS1_47radix_sort_onesweep_sort_config_static_selectorELNS0_4arch9wavefront6targetE1EEEvSI_
	.p2align	8
	.type	_ZN7rocprim17ROCPRIM_400000_NS6detail17trampoline_kernelINS0_14default_configENS1_35radix_sort_onesweep_config_selectorIiiEEZZNS1_29radix_sort_onesweep_iterationIS3_Lb0EN6thrust23THRUST_200600_302600_NS6detail15normal_iteratorINS8_10device_ptrIiEEEESD_SD_SD_jNS0_19identity_decomposerENS1_16block_id_wrapperIjLb1EEEEE10hipError_tT1_PNSt15iterator_traitsISI_E10value_typeET2_T3_PNSJ_ISO_E10value_typeET4_T5_PST_SU_PNS1_23onesweep_lookback_stateEbbT6_jjT7_P12ihipStream_tbENKUlT_T0_SI_SN_E_clISD_SD_SD_SD_EEDaS11_S12_SI_SN_EUlS11_E_NS1_11comp_targetILNS1_3genE0ELNS1_11target_archE4294967295ELNS1_3gpuE0ELNS1_3repE0EEENS1_47radix_sort_onesweep_sort_config_static_selectorELNS0_4arch9wavefront6targetE1EEEvSI_,@function
_ZN7rocprim17ROCPRIM_400000_NS6detail17trampoline_kernelINS0_14default_configENS1_35radix_sort_onesweep_config_selectorIiiEEZZNS1_29radix_sort_onesweep_iterationIS3_Lb0EN6thrust23THRUST_200600_302600_NS6detail15normal_iteratorINS8_10device_ptrIiEEEESD_SD_SD_jNS0_19identity_decomposerENS1_16block_id_wrapperIjLb1EEEEE10hipError_tT1_PNSt15iterator_traitsISI_E10value_typeET2_T3_PNSJ_ISO_E10value_typeET4_T5_PST_SU_PNS1_23onesweep_lookback_stateEbbT6_jjT7_P12ihipStream_tbENKUlT_T0_SI_SN_E_clISD_SD_SD_SD_EEDaS11_S12_SI_SN_EUlS11_E_NS1_11comp_targetILNS1_3genE0ELNS1_11target_archE4294967295ELNS1_3gpuE0ELNS1_3repE0EEENS1_47radix_sort_onesweep_sort_config_static_selectorELNS0_4arch9wavefront6targetE1EEEvSI_: ; @_ZN7rocprim17ROCPRIM_400000_NS6detail17trampoline_kernelINS0_14default_configENS1_35radix_sort_onesweep_config_selectorIiiEEZZNS1_29radix_sort_onesweep_iterationIS3_Lb0EN6thrust23THRUST_200600_302600_NS6detail15normal_iteratorINS8_10device_ptrIiEEEESD_SD_SD_jNS0_19identity_decomposerENS1_16block_id_wrapperIjLb1EEEEE10hipError_tT1_PNSt15iterator_traitsISI_E10value_typeET2_T3_PNSJ_ISO_E10value_typeET4_T5_PST_SU_PNS1_23onesweep_lookback_stateEbbT6_jjT7_P12ihipStream_tbENKUlT_T0_SI_SN_E_clISD_SD_SD_SD_EEDaS11_S12_SI_SN_EUlS11_E_NS1_11comp_targetILNS1_3genE0ELNS1_11target_archE4294967295ELNS1_3gpuE0ELNS1_3repE0EEENS1_47radix_sort_onesweep_sort_config_static_selectorELNS0_4arch9wavefront6targetE1EEEvSI_
; %bb.0:
	.section	.rodata,"a",@progbits
	.p2align	6, 0x0
	.amdhsa_kernel _ZN7rocprim17ROCPRIM_400000_NS6detail17trampoline_kernelINS0_14default_configENS1_35radix_sort_onesweep_config_selectorIiiEEZZNS1_29radix_sort_onesweep_iterationIS3_Lb0EN6thrust23THRUST_200600_302600_NS6detail15normal_iteratorINS8_10device_ptrIiEEEESD_SD_SD_jNS0_19identity_decomposerENS1_16block_id_wrapperIjLb1EEEEE10hipError_tT1_PNSt15iterator_traitsISI_E10value_typeET2_T3_PNSJ_ISO_E10value_typeET4_T5_PST_SU_PNS1_23onesweep_lookback_stateEbbT6_jjT7_P12ihipStream_tbENKUlT_T0_SI_SN_E_clISD_SD_SD_SD_EEDaS11_S12_SI_SN_EUlS11_E_NS1_11comp_targetILNS1_3genE0ELNS1_11target_archE4294967295ELNS1_3gpuE0ELNS1_3repE0EEENS1_47radix_sort_onesweep_sort_config_static_selectorELNS0_4arch9wavefront6targetE1EEEvSI_
		.amdhsa_group_segment_fixed_size 0
		.amdhsa_private_segment_fixed_size 0
		.amdhsa_kernarg_size 88
		.amdhsa_user_sgpr_count 2
		.amdhsa_user_sgpr_dispatch_ptr 0
		.amdhsa_user_sgpr_queue_ptr 0
		.amdhsa_user_sgpr_kernarg_segment_ptr 1
		.amdhsa_user_sgpr_dispatch_id 0
		.amdhsa_user_sgpr_kernarg_preload_length 0
		.amdhsa_user_sgpr_kernarg_preload_offset 0
		.amdhsa_user_sgpr_private_segment_size 0
		.amdhsa_uses_dynamic_stack 0
		.amdhsa_enable_private_segment 0
		.amdhsa_system_sgpr_workgroup_id_x 1
		.amdhsa_system_sgpr_workgroup_id_y 0
		.amdhsa_system_sgpr_workgroup_id_z 0
		.amdhsa_system_sgpr_workgroup_info 0
		.amdhsa_system_vgpr_workitem_id 0
		.amdhsa_next_free_vgpr 1
		.amdhsa_next_free_sgpr 0
		.amdhsa_accum_offset 4
		.amdhsa_reserve_vcc 0
		.amdhsa_float_round_mode_32 0
		.amdhsa_float_round_mode_16_64 0
		.amdhsa_float_denorm_mode_32 3
		.amdhsa_float_denorm_mode_16_64 3
		.amdhsa_dx10_clamp 1
		.amdhsa_ieee_mode 1
		.amdhsa_fp16_overflow 0
		.amdhsa_tg_split 0
		.amdhsa_exception_fp_ieee_invalid_op 0
		.amdhsa_exception_fp_denorm_src 0
		.amdhsa_exception_fp_ieee_div_zero 0
		.amdhsa_exception_fp_ieee_overflow 0
		.amdhsa_exception_fp_ieee_underflow 0
		.amdhsa_exception_fp_ieee_inexact 0
		.amdhsa_exception_int_div_zero 0
	.end_amdhsa_kernel
	.section	.text._ZN7rocprim17ROCPRIM_400000_NS6detail17trampoline_kernelINS0_14default_configENS1_35radix_sort_onesweep_config_selectorIiiEEZZNS1_29radix_sort_onesweep_iterationIS3_Lb0EN6thrust23THRUST_200600_302600_NS6detail15normal_iteratorINS8_10device_ptrIiEEEESD_SD_SD_jNS0_19identity_decomposerENS1_16block_id_wrapperIjLb1EEEEE10hipError_tT1_PNSt15iterator_traitsISI_E10value_typeET2_T3_PNSJ_ISO_E10value_typeET4_T5_PST_SU_PNS1_23onesweep_lookback_stateEbbT6_jjT7_P12ihipStream_tbENKUlT_T0_SI_SN_E_clISD_SD_SD_SD_EEDaS11_S12_SI_SN_EUlS11_E_NS1_11comp_targetILNS1_3genE0ELNS1_11target_archE4294967295ELNS1_3gpuE0ELNS1_3repE0EEENS1_47radix_sort_onesweep_sort_config_static_selectorELNS0_4arch9wavefront6targetE1EEEvSI_,"axG",@progbits,_ZN7rocprim17ROCPRIM_400000_NS6detail17trampoline_kernelINS0_14default_configENS1_35radix_sort_onesweep_config_selectorIiiEEZZNS1_29radix_sort_onesweep_iterationIS3_Lb0EN6thrust23THRUST_200600_302600_NS6detail15normal_iteratorINS8_10device_ptrIiEEEESD_SD_SD_jNS0_19identity_decomposerENS1_16block_id_wrapperIjLb1EEEEE10hipError_tT1_PNSt15iterator_traitsISI_E10value_typeET2_T3_PNSJ_ISO_E10value_typeET4_T5_PST_SU_PNS1_23onesweep_lookback_stateEbbT6_jjT7_P12ihipStream_tbENKUlT_T0_SI_SN_E_clISD_SD_SD_SD_EEDaS11_S12_SI_SN_EUlS11_E_NS1_11comp_targetILNS1_3genE0ELNS1_11target_archE4294967295ELNS1_3gpuE0ELNS1_3repE0EEENS1_47radix_sort_onesweep_sort_config_static_selectorELNS0_4arch9wavefront6targetE1EEEvSI_,comdat
.Lfunc_end822:
	.size	_ZN7rocprim17ROCPRIM_400000_NS6detail17trampoline_kernelINS0_14default_configENS1_35radix_sort_onesweep_config_selectorIiiEEZZNS1_29radix_sort_onesweep_iterationIS3_Lb0EN6thrust23THRUST_200600_302600_NS6detail15normal_iteratorINS8_10device_ptrIiEEEESD_SD_SD_jNS0_19identity_decomposerENS1_16block_id_wrapperIjLb1EEEEE10hipError_tT1_PNSt15iterator_traitsISI_E10value_typeET2_T3_PNSJ_ISO_E10value_typeET4_T5_PST_SU_PNS1_23onesweep_lookback_stateEbbT6_jjT7_P12ihipStream_tbENKUlT_T0_SI_SN_E_clISD_SD_SD_SD_EEDaS11_S12_SI_SN_EUlS11_E_NS1_11comp_targetILNS1_3genE0ELNS1_11target_archE4294967295ELNS1_3gpuE0ELNS1_3repE0EEENS1_47radix_sort_onesweep_sort_config_static_selectorELNS0_4arch9wavefront6targetE1EEEvSI_, .Lfunc_end822-_ZN7rocprim17ROCPRIM_400000_NS6detail17trampoline_kernelINS0_14default_configENS1_35radix_sort_onesweep_config_selectorIiiEEZZNS1_29radix_sort_onesweep_iterationIS3_Lb0EN6thrust23THRUST_200600_302600_NS6detail15normal_iteratorINS8_10device_ptrIiEEEESD_SD_SD_jNS0_19identity_decomposerENS1_16block_id_wrapperIjLb1EEEEE10hipError_tT1_PNSt15iterator_traitsISI_E10value_typeET2_T3_PNSJ_ISO_E10value_typeET4_T5_PST_SU_PNS1_23onesweep_lookback_stateEbbT6_jjT7_P12ihipStream_tbENKUlT_T0_SI_SN_E_clISD_SD_SD_SD_EEDaS11_S12_SI_SN_EUlS11_E_NS1_11comp_targetILNS1_3genE0ELNS1_11target_archE4294967295ELNS1_3gpuE0ELNS1_3repE0EEENS1_47radix_sort_onesweep_sort_config_static_selectorELNS0_4arch9wavefront6targetE1EEEvSI_
                                        ; -- End function
	.set _ZN7rocprim17ROCPRIM_400000_NS6detail17trampoline_kernelINS0_14default_configENS1_35radix_sort_onesweep_config_selectorIiiEEZZNS1_29radix_sort_onesweep_iterationIS3_Lb0EN6thrust23THRUST_200600_302600_NS6detail15normal_iteratorINS8_10device_ptrIiEEEESD_SD_SD_jNS0_19identity_decomposerENS1_16block_id_wrapperIjLb1EEEEE10hipError_tT1_PNSt15iterator_traitsISI_E10value_typeET2_T3_PNSJ_ISO_E10value_typeET4_T5_PST_SU_PNS1_23onesweep_lookback_stateEbbT6_jjT7_P12ihipStream_tbENKUlT_T0_SI_SN_E_clISD_SD_SD_SD_EEDaS11_S12_SI_SN_EUlS11_E_NS1_11comp_targetILNS1_3genE0ELNS1_11target_archE4294967295ELNS1_3gpuE0ELNS1_3repE0EEENS1_47radix_sort_onesweep_sort_config_static_selectorELNS0_4arch9wavefront6targetE1EEEvSI_.num_vgpr, 0
	.set _ZN7rocprim17ROCPRIM_400000_NS6detail17trampoline_kernelINS0_14default_configENS1_35radix_sort_onesweep_config_selectorIiiEEZZNS1_29radix_sort_onesweep_iterationIS3_Lb0EN6thrust23THRUST_200600_302600_NS6detail15normal_iteratorINS8_10device_ptrIiEEEESD_SD_SD_jNS0_19identity_decomposerENS1_16block_id_wrapperIjLb1EEEEE10hipError_tT1_PNSt15iterator_traitsISI_E10value_typeET2_T3_PNSJ_ISO_E10value_typeET4_T5_PST_SU_PNS1_23onesweep_lookback_stateEbbT6_jjT7_P12ihipStream_tbENKUlT_T0_SI_SN_E_clISD_SD_SD_SD_EEDaS11_S12_SI_SN_EUlS11_E_NS1_11comp_targetILNS1_3genE0ELNS1_11target_archE4294967295ELNS1_3gpuE0ELNS1_3repE0EEENS1_47radix_sort_onesweep_sort_config_static_selectorELNS0_4arch9wavefront6targetE1EEEvSI_.num_agpr, 0
	.set _ZN7rocprim17ROCPRIM_400000_NS6detail17trampoline_kernelINS0_14default_configENS1_35radix_sort_onesweep_config_selectorIiiEEZZNS1_29radix_sort_onesweep_iterationIS3_Lb0EN6thrust23THRUST_200600_302600_NS6detail15normal_iteratorINS8_10device_ptrIiEEEESD_SD_SD_jNS0_19identity_decomposerENS1_16block_id_wrapperIjLb1EEEEE10hipError_tT1_PNSt15iterator_traitsISI_E10value_typeET2_T3_PNSJ_ISO_E10value_typeET4_T5_PST_SU_PNS1_23onesweep_lookback_stateEbbT6_jjT7_P12ihipStream_tbENKUlT_T0_SI_SN_E_clISD_SD_SD_SD_EEDaS11_S12_SI_SN_EUlS11_E_NS1_11comp_targetILNS1_3genE0ELNS1_11target_archE4294967295ELNS1_3gpuE0ELNS1_3repE0EEENS1_47radix_sort_onesweep_sort_config_static_selectorELNS0_4arch9wavefront6targetE1EEEvSI_.numbered_sgpr, 0
	.set _ZN7rocprim17ROCPRIM_400000_NS6detail17trampoline_kernelINS0_14default_configENS1_35radix_sort_onesweep_config_selectorIiiEEZZNS1_29radix_sort_onesweep_iterationIS3_Lb0EN6thrust23THRUST_200600_302600_NS6detail15normal_iteratorINS8_10device_ptrIiEEEESD_SD_SD_jNS0_19identity_decomposerENS1_16block_id_wrapperIjLb1EEEEE10hipError_tT1_PNSt15iterator_traitsISI_E10value_typeET2_T3_PNSJ_ISO_E10value_typeET4_T5_PST_SU_PNS1_23onesweep_lookback_stateEbbT6_jjT7_P12ihipStream_tbENKUlT_T0_SI_SN_E_clISD_SD_SD_SD_EEDaS11_S12_SI_SN_EUlS11_E_NS1_11comp_targetILNS1_3genE0ELNS1_11target_archE4294967295ELNS1_3gpuE0ELNS1_3repE0EEENS1_47radix_sort_onesweep_sort_config_static_selectorELNS0_4arch9wavefront6targetE1EEEvSI_.num_named_barrier, 0
	.set _ZN7rocprim17ROCPRIM_400000_NS6detail17trampoline_kernelINS0_14default_configENS1_35radix_sort_onesweep_config_selectorIiiEEZZNS1_29radix_sort_onesweep_iterationIS3_Lb0EN6thrust23THRUST_200600_302600_NS6detail15normal_iteratorINS8_10device_ptrIiEEEESD_SD_SD_jNS0_19identity_decomposerENS1_16block_id_wrapperIjLb1EEEEE10hipError_tT1_PNSt15iterator_traitsISI_E10value_typeET2_T3_PNSJ_ISO_E10value_typeET4_T5_PST_SU_PNS1_23onesweep_lookback_stateEbbT6_jjT7_P12ihipStream_tbENKUlT_T0_SI_SN_E_clISD_SD_SD_SD_EEDaS11_S12_SI_SN_EUlS11_E_NS1_11comp_targetILNS1_3genE0ELNS1_11target_archE4294967295ELNS1_3gpuE0ELNS1_3repE0EEENS1_47radix_sort_onesweep_sort_config_static_selectorELNS0_4arch9wavefront6targetE1EEEvSI_.private_seg_size, 0
	.set _ZN7rocprim17ROCPRIM_400000_NS6detail17trampoline_kernelINS0_14default_configENS1_35radix_sort_onesweep_config_selectorIiiEEZZNS1_29radix_sort_onesweep_iterationIS3_Lb0EN6thrust23THRUST_200600_302600_NS6detail15normal_iteratorINS8_10device_ptrIiEEEESD_SD_SD_jNS0_19identity_decomposerENS1_16block_id_wrapperIjLb1EEEEE10hipError_tT1_PNSt15iterator_traitsISI_E10value_typeET2_T3_PNSJ_ISO_E10value_typeET4_T5_PST_SU_PNS1_23onesweep_lookback_stateEbbT6_jjT7_P12ihipStream_tbENKUlT_T0_SI_SN_E_clISD_SD_SD_SD_EEDaS11_S12_SI_SN_EUlS11_E_NS1_11comp_targetILNS1_3genE0ELNS1_11target_archE4294967295ELNS1_3gpuE0ELNS1_3repE0EEENS1_47radix_sort_onesweep_sort_config_static_selectorELNS0_4arch9wavefront6targetE1EEEvSI_.uses_vcc, 0
	.set _ZN7rocprim17ROCPRIM_400000_NS6detail17trampoline_kernelINS0_14default_configENS1_35radix_sort_onesweep_config_selectorIiiEEZZNS1_29radix_sort_onesweep_iterationIS3_Lb0EN6thrust23THRUST_200600_302600_NS6detail15normal_iteratorINS8_10device_ptrIiEEEESD_SD_SD_jNS0_19identity_decomposerENS1_16block_id_wrapperIjLb1EEEEE10hipError_tT1_PNSt15iterator_traitsISI_E10value_typeET2_T3_PNSJ_ISO_E10value_typeET4_T5_PST_SU_PNS1_23onesweep_lookback_stateEbbT6_jjT7_P12ihipStream_tbENKUlT_T0_SI_SN_E_clISD_SD_SD_SD_EEDaS11_S12_SI_SN_EUlS11_E_NS1_11comp_targetILNS1_3genE0ELNS1_11target_archE4294967295ELNS1_3gpuE0ELNS1_3repE0EEENS1_47radix_sort_onesweep_sort_config_static_selectorELNS0_4arch9wavefront6targetE1EEEvSI_.uses_flat_scratch, 0
	.set _ZN7rocprim17ROCPRIM_400000_NS6detail17trampoline_kernelINS0_14default_configENS1_35radix_sort_onesweep_config_selectorIiiEEZZNS1_29radix_sort_onesweep_iterationIS3_Lb0EN6thrust23THRUST_200600_302600_NS6detail15normal_iteratorINS8_10device_ptrIiEEEESD_SD_SD_jNS0_19identity_decomposerENS1_16block_id_wrapperIjLb1EEEEE10hipError_tT1_PNSt15iterator_traitsISI_E10value_typeET2_T3_PNSJ_ISO_E10value_typeET4_T5_PST_SU_PNS1_23onesweep_lookback_stateEbbT6_jjT7_P12ihipStream_tbENKUlT_T0_SI_SN_E_clISD_SD_SD_SD_EEDaS11_S12_SI_SN_EUlS11_E_NS1_11comp_targetILNS1_3genE0ELNS1_11target_archE4294967295ELNS1_3gpuE0ELNS1_3repE0EEENS1_47radix_sort_onesweep_sort_config_static_selectorELNS0_4arch9wavefront6targetE1EEEvSI_.has_dyn_sized_stack, 0
	.set _ZN7rocprim17ROCPRIM_400000_NS6detail17trampoline_kernelINS0_14default_configENS1_35radix_sort_onesweep_config_selectorIiiEEZZNS1_29radix_sort_onesweep_iterationIS3_Lb0EN6thrust23THRUST_200600_302600_NS6detail15normal_iteratorINS8_10device_ptrIiEEEESD_SD_SD_jNS0_19identity_decomposerENS1_16block_id_wrapperIjLb1EEEEE10hipError_tT1_PNSt15iterator_traitsISI_E10value_typeET2_T3_PNSJ_ISO_E10value_typeET4_T5_PST_SU_PNS1_23onesweep_lookback_stateEbbT6_jjT7_P12ihipStream_tbENKUlT_T0_SI_SN_E_clISD_SD_SD_SD_EEDaS11_S12_SI_SN_EUlS11_E_NS1_11comp_targetILNS1_3genE0ELNS1_11target_archE4294967295ELNS1_3gpuE0ELNS1_3repE0EEENS1_47radix_sort_onesweep_sort_config_static_selectorELNS0_4arch9wavefront6targetE1EEEvSI_.has_recursion, 0
	.set _ZN7rocprim17ROCPRIM_400000_NS6detail17trampoline_kernelINS0_14default_configENS1_35radix_sort_onesweep_config_selectorIiiEEZZNS1_29radix_sort_onesweep_iterationIS3_Lb0EN6thrust23THRUST_200600_302600_NS6detail15normal_iteratorINS8_10device_ptrIiEEEESD_SD_SD_jNS0_19identity_decomposerENS1_16block_id_wrapperIjLb1EEEEE10hipError_tT1_PNSt15iterator_traitsISI_E10value_typeET2_T3_PNSJ_ISO_E10value_typeET4_T5_PST_SU_PNS1_23onesweep_lookback_stateEbbT6_jjT7_P12ihipStream_tbENKUlT_T0_SI_SN_E_clISD_SD_SD_SD_EEDaS11_S12_SI_SN_EUlS11_E_NS1_11comp_targetILNS1_3genE0ELNS1_11target_archE4294967295ELNS1_3gpuE0ELNS1_3repE0EEENS1_47radix_sort_onesweep_sort_config_static_selectorELNS0_4arch9wavefront6targetE1EEEvSI_.has_indirect_call, 0
	.section	.AMDGPU.csdata,"",@progbits
; Kernel info:
; codeLenInByte = 0
; TotalNumSgprs: 6
; NumVgprs: 0
; NumAgprs: 0
; TotalNumVgprs: 0
; ScratchSize: 0
; MemoryBound: 0
; FloatMode: 240
; IeeeMode: 1
; LDSByteSize: 0 bytes/workgroup (compile time only)
; SGPRBlocks: 0
; VGPRBlocks: 0
; NumSGPRsForWavesPerEU: 6
; NumVGPRsForWavesPerEU: 1
; AccumOffset: 4
; Occupancy: 8
; WaveLimiterHint : 0
; COMPUTE_PGM_RSRC2:SCRATCH_EN: 0
; COMPUTE_PGM_RSRC2:USER_SGPR: 2
; COMPUTE_PGM_RSRC2:TRAP_HANDLER: 0
; COMPUTE_PGM_RSRC2:TGID_X_EN: 1
; COMPUTE_PGM_RSRC2:TGID_Y_EN: 0
; COMPUTE_PGM_RSRC2:TGID_Z_EN: 0
; COMPUTE_PGM_RSRC2:TIDIG_COMP_CNT: 0
; COMPUTE_PGM_RSRC3_GFX90A:ACCUM_OFFSET: 0
; COMPUTE_PGM_RSRC3_GFX90A:TG_SPLIT: 0
	.section	.text._ZN7rocprim17ROCPRIM_400000_NS6detail17trampoline_kernelINS0_14default_configENS1_35radix_sort_onesweep_config_selectorIiiEEZZNS1_29radix_sort_onesweep_iterationIS3_Lb0EN6thrust23THRUST_200600_302600_NS6detail15normal_iteratorINS8_10device_ptrIiEEEESD_SD_SD_jNS0_19identity_decomposerENS1_16block_id_wrapperIjLb1EEEEE10hipError_tT1_PNSt15iterator_traitsISI_E10value_typeET2_T3_PNSJ_ISO_E10value_typeET4_T5_PST_SU_PNS1_23onesweep_lookback_stateEbbT6_jjT7_P12ihipStream_tbENKUlT_T0_SI_SN_E_clISD_SD_SD_SD_EEDaS11_S12_SI_SN_EUlS11_E_NS1_11comp_targetILNS1_3genE6ELNS1_11target_archE950ELNS1_3gpuE13ELNS1_3repE0EEENS1_47radix_sort_onesweep_sort_config_static_selectorELNS0_4arch9wavefront6targetE1EEEvSI_,"axG",@progbits,_ZN7rocprim17ROCPRIM_400000_NS6detail17trampoline_kernelINS0_14default_configENS1_35radix_sort_onesweep_config_selectorIiiEEZZNS1_29radix_sort_onesweep_iterationIS3_Lb0EN6thrust23THRUST_200600_302600_NS6detail15normal_iteratorINS8_10device_ptrIiEEEESD_SD_SD_jNS0_19identity_decomposerENS1_16block_id_wrapperIjLb1EEEEE10hipError_tT1_PNSt15iterator_traitsISI_E10value_typeET2_T3_PNSJ_ISO_E10value_typeET4_T5_PST_SU_PNS1_23onesweep_lookback_stateEbbT6_jjT7_P12ihipStream_tbENKUlT_T0_SI_SN_E_clISD_SD_SD_SD_EEDaS11_S12_SI_SN_EUlS11_E_NS1_11comp_targetILNS1_3genE6ELNS1_11target_archE950ELNS1_3gpuE13ELNS1_3repE0EEENS1_47radix_sort_onesweep_sort_config_static_selectorELNS0_4arch9wavefront6targetE1EEEvSI_,comdat
	.protected	_ZN7rocprim17ROCPRIM_400000_NS6detail17trampoline_kernelINS0_14default_configENS1_35radix_sort_onesweep_config_selectorIiiEEZZNS1_29radix_sort_onesweep_iterationIS3_Lb0EN6thrust23THRUST_200600_302600_NS6detail15normal_iteratorINS8_10device_ptrIiEEEESD_SD_SD_jNS0_19identity_decomposerENS1_16block_id_wrapperIjLb1EEEEE10hipError_tT1_PNSt15iterator_traitsISI_E10value_typeET2_T3_PNSJ_ISO_E10value_typeET4_T5_PST_SU_PNS1_23onesweep_lookback_stateEbbT6_jjT7_P12ihipStream_tbENKUlT_T0_SI_SN_E_clISD_SD_SD_SD_EEDaS11_S12_SI_SN_EUlS11_E_NS1_11comp_targetILNS1_3genE6ELNS1_11target_archE950ELNS1_3gpuE13ELNS1_3repE0EEENS1_47radix_sort_onesweep_sort_config_static_selectorELNS0_4arch9wavefront6targetE1EEEvSI_ ; -- Begin function _ZN7rocprim17ROCPRIM_400000_NS6detail17trampoline_kernelINS0_14default_configENS1_35radix_sort_onesweep_config_selectorIiiEEZZNS1_29radix_sort_onesweep_iterationIS3_Lb0EN6thrust23THRUST_200600_302600_NS6detail15normal_iteratorINS8_10device_ptrIiEEEESD_SD_SD_jNS0_19identity_decomposerENS1_16block_id_wrapperIjLb1EEEEE10hipError_tT1_PNSt15iterator_traitsISI_E10value_typeET2_T3_PNSJ_ISO_E10value_typeET4_T5_PST_SU_PNS1_23onesweep_lookback_stateEbbT6_jjT7_P12ihipStream_tbENKUlT_T0_SI_SN_E_clISD_SD_SD_SD_EEDaS11_S12_SI_SN_EUlS11_E_NS1_11comp_targetILNS1_3genE6ELNS1_11target_archE950ELNS1_3gpuE13ELNS1_3repE0EEENS1_47radix_sort_onesweep_sort_config_static_selectorELNS0_4arch9wavefront6targetE1EEEvSI_
	.globl	_ZN7rocprim17ROCPRIM_400000_NS6detail17trampoline_kernelINS0_14default_configENS1_35radix_sort_onesweep_config_selectorIiiEEZZNS1_29radix_sort_onesweep_iterationIS3_Lb0EN6thrust23THRUST_200600_302600_NS6detail15normal_iteratorINS8_10device_ptrIiEEEESD_SD_SD_jNS0_19identity_decomposerENS1_16block_id_wrapperIjLb1EEEEE10hipError_tT1_PNSt15iterator_traitsISI_E10value_typeET2_T3_PNSJ_ISO_E10value_typeET4_T5_PST_SU_PNS1_23onesweep_lookback_stateEbbT6_jjT7_P12ihipStream_tbENKUlT_T0_SI_SN_E_clISD_SD_SD_SD_EEDaS11_S12_SI_SN_EUlS11_E_NS1_11comp_targetILNS1_3genE6ELNS1_11target_archE950ELNS1_3gpuE13ELNS1_3repE0EEENS1_47radix_sort_onesweep_sort_config_static_selectorELNS0_4arch9wavefront6targetE1EEEvSI_
	.p2align	8
	.type	_ZN7rocprim17ROCPRIM_400000_NS6detail17trampoline_kernelINS0_14default_configENS1_35radix_sort_onesweep_config_selectorIiiEEZZNS1_29radix_sort_onesweep_iterationIS3_Lb0EN6thrust23THRUST_200600_302600_NS6detail15normal_iteratorINS8_10device_ptrIiEEEESD_SD_SD_jNS0_19identity_decomposerENS1_16block_id_wrapperIjLb1EEEEE10hipError_tT1_PNSt15iterator_traitsISI_E10value_typeET2_T3_PNSJ_ISO_E10value_typeET4_T5_PST_SU_PNS1_23onesweep_lookback_stateEbbT6_jjT7_P12ihipStream_tbENKUlT_T0_SI_SN_E_clISD_SD_SD_SD_EEDaS11_S12_SI_SN_EUlS11_E_NS1_11comp_targetILNS1_3genE6ELNS1_11target_archE950ELNS1_3gpuE13ELNS1_3repE0EEENS1_47radix_sort_onesweep_sort_config_static_selectorELNS0_4arch9wavefront6targetE1EEEvSI_,@function
_ZN7rocprim17ROCPRIM_400000_NS6detail17trampoline_kernelINS0_14default_configENS1_35radix_sort_onesweep_config_selectorIiiEEZZNS1_29radix_sort_onesweep_iterationIS3_Lb0EN6thrust23THRUST_200600_302600_NS6detail15normal_iteratorINS8_10device_ptrIiEEEESD_SD_SD_jNS0_19identity_decomposerENS1_16block_id_wrapperIjLb1EEEEE10hipError_tT1_PNSt15iterator_traitsISI_E10value_typeET2_T3_PNSJ_ISO_E10value_typeET4_T5_PST_SU_PNS1_23onesweep_lookback_stateEbbT6_jjT7_P12ihipStream_tbENKUlT_T0_SI_SN_E_clISD_SD_SD_SD_EEDaS11_S12_SI_SN_EUlS11_E_NS1_11comp_targetILNS1_3genE6ELNS1_11target_archE950ELNS1_3gpuE13ELNS1_3repE0EEENS1_47radix_sort_onesweep_sort_config_static_selectorELNS0_4arch9wavefront6targetE1EEEvSI_: ; @_ZN7rocprim17ROCPRIM_400000_NS6detail17trampoline_kernelINS0_14default_configENS1_35radix_sort_onesweep_config_selectorIiiEEZZNS1_29radix_sort_onesweep_iterationIS3_Lb0EN6thrust23THRUST_200600_302600_NS6detail15normal_iteratorINS8_10device_ptrIiEEEESD_SD_SD_jNS0_19identity_decomposerENS1_16block_id_wrapperIjLb1EEEEE10hipError_tT1_PNSt15iterator_traitsISI_E10value_typeET2_T3_PNSJ_ISO_E10value_typeET4_T5_PST_SU_PNS1_23onesweep_lookback_stateEbbT6_jjT7_P12ihipStream_tbENKUlT_T0_SI_SN_E_clISD_SD_SD_SD_EEDaS11_S12_SI_SN_EUlS11_E_NS1_11comp_targetILNS1_3genE6ELNS1_11target_archE950ELNS1_3gpuE13ELNS1_3repE0EEENS1_47radix_sort_onesweep_sort_config_static_selectorELNS0_4arch9wavefront6targetE1EEEvSI_
; %bb.0:
	s_load_dwordx4 s[60:63], s[0:1], 0x28
	s_load_dwordx2 s[68:69], s[0:1], 0x38
	s_load_dwordx4 s[64:67], s[0:1], 0x44
	v_and_b32_e32 v2, 0x3ff, v0
	v_cmp_eq_u32_e64 s[44:45], 0, v2
	s_and_saveexec_b64 s[4:5], s[44:45]
	s_cbranch_execz .LBB823_4
; %bb.1:
	s_mov_b64 s[8:9], exec
	v_mbcnt_lo_u32_b32 v1, s8, 0
	v_mbcnt_hi_u32_b32 v1, s9, v1
	v_cmp_eq_u32_e32 vcc, 0, v1
                                        ; implicit-def: $vgpr3
	s_and_saveexec_b64 s[6:7], vcc
	s_cbranch_execz .LBB823_3
; %bb.2:
	s_load_dwordx2 s[10:11], s[0:1], 0x50
	s_bcnt1_i32_b64 s3, s[8:9]
	v_mov_b32_e32 v3, 0
	v_mov_b32_e32 v4, s3
	s_waitcnt lgkmcnt(0)
	global_atomic_add v3, v3, v4, s[10:11] sc0
.LBB823_3:
	s_or_b64 exec, exec, s[6:7]
	s_waitcnt vmcnt(0)
	v_readfirstlane_b32 s3, v3
	v_mov_b32_e32 v3, 0
	s_nop 0
	v_add_u32_e32 v1, s3, v1
	ds_write_b32 v3, v1 offset:20544
.LBB823_4:
	s_or_b64 exec, exec, s[4:5]
	v_mov_b32_e32 v5, 0
	s_load_dwordx8 s[52:59], s[0:1], 0x0
	s_load_dword s3, s[0:1], 0x20
	s_waitcnt lgkmcnt(0)
	s_barrier
	ds_read_b32 v1, v5 offset:20544
	s_mov_b64 s[4:5], -1
	v_mbcnt_lo_u32_b32 v3, -1, 0
	s_waitcnt lgkmcnt(0)
	s_barrier
	v_cmp_le_u32_e32 vcc, s66, v1
	v_readfirstlane_b32 s33, v1
	v_lshlrev_b32_e32 v1, 4, v2
	s_cbranch_vccz .LBB823_208
; %bb.5:
	s_lshl_b32 s4, s66, 14
	s_sub_i32 s3, s3, s4
	s_lshl_b32 s4, s33, 14
	s_mov_b32 s5, 0
	s_lshl_b64 s[66:67], s[4:5], 2
	v_mbcnt_hi_u32_b32 v12, -1, v3
	s_add_u32 s4, s52, s66
	v_and_b32_e32 v10, 63, v12
	s_addc_u32 s5, s53, s67
	v_and_b32_e32 v11, 0x3c00, v1
	v_lshlrev_b32_e32 v4, 2, v10
	v_lshl_add_u64 v[8:9], s[4:5], 0, v[4:5]
	v_lshlrev_b32_e32 v6, 2, v11
	v_mov_b32_e32 v7, v5
	v_or_b32_e32 v10, v10, v11
	v_mov_b32_e32 v14, -1
	v_lshl_add_u64 v[8:9], v[8:9], 0, v[6:7]
	v_cmp_gt_u32_e32 vcc, s3, v10
	v_mov_b32_e32 v5, -1
	s_and_saveexec_b64 s[4:5], vcc
	s_cbranch_execz .LBB823_7
; %bb.6:
	global_load_dword v5, v[8:9], off
	s_waitcnt vmcnt(0)
	v_xor_b32_e32 v5, 0x80000000, v5
.LBB823_7:
	s_or_b64 exec, exec, s[4:5]
	v_or_b32_e32 v7, 64, v10
	v_cmp_gt_u32_e64 s[4:5], s3, v7
	s_and_saveexec_b64 s[6:7], s[4:5]
	s_cbranch_execz .LBB823_9
; %bb.8:
	global_load_dword v7, v[8:9], off offset:256
	s_waitcnt vmcnt(0)
	v_xor_b32_e32 v14, 0x80000000, v7
.LBB823_9:
	s_or_b64 exec, exec, s[6:7]
	v_or_b32_e32 v7, 0x80, v10
	v_cmp_gt_u32_e64 s[6:7], s3, v7
	v_mov_b32_e32 v7, -1
	v_mov_b32_e32 v15, -1
	s_and_saveexec_b64 s[8:9], s[6:7]
	s_cbranch_execz .LBB823_11
; %bb.10:
	global_load_dword v11, v[8:9], off offset:512
	s_waitcnt vmcnt(0)
	v_xor_b32_e32 v15, 0x80000000, v11
.LBB823_11:
	s_or_b64 exec, exec, s[8:9]
	v_or_b32_e32 v11, 0xc0, v10
	v_cmp_gt_u32_e64 s[8:9], s3, v11
	s_and_saveexec_b64 s[10:11], s[8:9]
	s_cbranch_execz .LBB823_13
; %bb.12:
	global_load_dword v7, v[8:9], off offset:768
	s_waitcnt vmcnt(0)
	v_xor_b32_e32 v7, 0x80000000, v7
.LBB823_13:
	s_or_b64 exec, exec, s[10:11]
	v_or_b32_e32 v11, 0x100, v10
	v_cmp_gt_u32_e64 s[10:11], s3, v11
	v_mov_b32_e32 v16, -1
	v_mov_b32_e32 v17, -1
	s_and_saveexec_b64 s[12:13], s[10:11]
	s_cbranch_execz .LBB823_15
; %bb.14:
	global_load_dword v11, v[8:9], off offset:1024
	s_waitcnt vmcnt(0)
	v_xor_b32_e32 v17, 0x80000000, v11
.LBB823_15:
	;; [unrolled: 22-line block ×7, first 2 shown]
	s_or_b64 exec, exec, s[34:35]
	v_or_b32_e32 v10, 0x3c0, v10
	v_cmp_gt_u32_e64 s[34:35], s3, v10
	s_and_saveexec_b64 s[36:37], s[34:35]
	s_cbranch_execz .LBB823_37
; %bb.36:
	global_load_dword v8, v[8:9], off offset:3840
	s_waitcnt vmcnt(0)
	v_xor_b32_e32 v26, 0x80000000, v8
.LBB823_37:
	s_or_b64 exec, exec, s[36:37]
	s_load_dword s36, s[0:1], 0x64
	s_load_dword s70, s[0:1], 0x58
	s_add_u32 s37, s0, 0x58
	s_addc_u32 s38, s1, 0
	v_mov_b32_e32 v9, 0
	s_waitcnt lgkmcnt(0)
	s_lshr_b32 s39, s36, 16
	s_cmp_lt_u32 s2, s70
	s_cselect_b32 s36, 12, 18
	s_add_u32 s36, s37, s36
	s_addc_u32 s37, s38, 0
	global_load_ushort v40, v9, s[36:37]
	v_lshrrev_b32_e32 v29, s64, v5
	s_lshl_b32 s36, -1, s65
	v_bfe_u32 v8, v0, 10, 10
	v_bfe_u32 v11, v0, 20, 10
	v_bitop3_b32 v38, v29, s36, v29 bitop3:0x30
	s_movk_i32 s72, 0x44
	v_mad_u32_u24 v42, v11, s39, v8
	v_and_b32_e32 v8, 1, v38
	v_lshlrev_b32_e32 v11, 30, v38
	v_mov_b32_e32 v10, v9
	v_mov_b32_e32 v30, v9
	s_not_b32 s71, s36
	v_mul_lo_u32 v43, v38, s72
	v_lshlrev_b32_e32 v29, 29, v38
	v_lshlrev_b32_e32 v31, 28, v38
	;; [unrolled: 1-line block ×6, first 2 shown]
	v_lshl_add_u64 v[38:39], v[8:9], 0, -1
	v_cmp_ne_u32_e64 s[36:37], 0, v8
	v_not_b32_e32 v8, v11
	v_mov_b32_e32 v28, v9
	v_mov_b32_e32 v32, v9
	v_cmp_gt_i64_e64 s[38:39], 0, v[10:11]
	v_not_b32_e32 v10, v29
	v_cmp_gt_i64_e64 s[42:43], 0, v[30:31]
	v_not_b32_e32 v11, v31
	v_xor_b32_e32 v31, s37, v39
	v_ashrrev_i32_e32 v8, 31, v8
	v_mov_b32_e32 v34, v9
	v_cmp_gt_i64_e64 s[40:41], 0, v[28:29]
	v_cmp_gt_i64_e64 s[46:47], 0, v[32:33]
	v_not_b32_e32 v28, v33
	v_xor_b32_e32 v32, s36, v38
	v_ashrrev_i32_e32 v10, 31, v10
	v_and_b32_e32 v31, exec_hi, v31
	v_xor_b32_e32 v33, s39, v8
	v_cmp_gt_i64_e64 s[48:49], 0, v[34:35]
	v_ashrrev_i32_e32 v11, 31, v11
	v_and_b32_e32 v32, exec_lo, v32
	v_xor_b32_e32 v8, s38, v8
	v_xor_b32_e32 v34, s41, v10
	v_and_b32_e32 v31, v31, v33
	v_mov_b32_e32 v36, v9
	v_not_b32_e32 v29, v35
	v_ashrrev_i32_e32 v28, 31, v28
	v_xor_b32_e32 v10, s40, v10
	v_xor_b32_e32 v35, s43, v11
	v_and_b32_e32 v8, v32, v8
	v_and_b32_e32 v31, v31, v34
	v_cmp_gt_i64_e64 s[50:51], 0, v[36:37]
	v_not_b32_e32 v30, v37
	v_ashrrev_i32_e32 v29, 31, v29
	v_xor_b32_e32 v36, s47, v28
	v_and_b32_e32 v8, v8, v10
	v_and_b32_e32 v10, v31, v35
	v_ashrrev_i32_e32 v30, 31, v30
	v_xor_b32_e32 v11, s42, v11
	v_xor_b32_e32 v37, s49, v29
	v_and_b32_e32 v10, v10, v36
	v_xor_b32_e32 v28, s46, v28
	v_xor_b32_e32 v38, s51, v30
	v_and_b32_e32 v8, v8, v11
	v_and_b32_e32 v10, v10, v37
	;; [unrolled: 1-line block ×4, first 2 shown]
	v_xor_b32_e32 v29, s48, v29
	v_xor_b32_e32 v30, s50, v30
	v_and_b32_e32 v8, v8, v29
	v_and_b32_e32 v8, v8, v30
	v_mul_u32_u24_e32 v13, 20, v2
	ds_write2_b32 v13, v9, v9 offset0:16 offset1:17
	ds_write2_b32 v13, v9, v9 offset0:18 offset1:19
	ds_write_b32 v13, v9 offset:80
	s_waitcnt lgkmcnt(0)
	s_barrier
	s_waitcnt vmcnt(0)
	; wave barrier
	v_mad_u64_u32 v[10:11], s[36:37], v42, v40, v[2:3]
	v_lshrrev_b32_e32 v39, 6, v10
	v_mov_b32_e32 v40, v9
	v_not_b32_e32 v10, v41
	v_cmp_gt_i64_e64 s[36:37], 0, v[40:41]
	v_ashrrev_i32_e32 v10, 31, v10
	v_lshl_add_u32 v32, v39, 2, v43
	v_xor_b32_e32 v11, s37, v10
	v_xor_b32_e32 v10, s36, v10
	v_and_b32_e32 v10, v8, v10
	v_and_b32_e32 v11, v28, v11
	v_mbcnt_lo_u32_b32 v8, v10, 0
	v_mbcnt_hi_u32_b32 v29, v11, v8
	v_cmp_eq_u32_e64 s[36:37], 0, v29
	v_cmp_ne_u64_e64 s[38:39], 0, v[10:11]
	s_and_b64 s[38:39], s[38:39], s[36:37]
	s_and_saveexec_b64 s[36:37], s[38:39]
; %bb.38:
	v_bcnt_u32_b32 v8, v10, 0
	v_bcnt_u32_b32 v8, v11, v8
	ds_write_b32 v32, v8 offset:64
; %bb.39:
	s_or_b64 exec, exec, s[36:37]
	v_lshrrev_b32_e32 v8, s64, v14
	v_and_b32_e32 v30, s71, v8
	v_mul_lo_u32 v8, v30, s72
	v_lshl_add_u32 v34, v39, 2, v8
	v_and_b32_e32 v8, 1, v30
	v_lshl_add_u64 v[10:11], v[8:9], 0, -1
	v_cmp_ne_u32_e64 s[36:37], 0, v8
	; wave barrier
	s_nop 1
	v_xor_b32_e32 v10, s36, v10
	v_xor_b32_e32 v8, s37, v11
	v_and_b32_e32 v31, exec_lo, v10
	v_lshlrev_b32_e32 v11, 30, v30
	v_mov_b32_e32 v10, v9
	v_cmp_gt_i64_e64 s[36:37], 0, v[10:11]
	v_not_b32_e32 v10, v11
	v_ashrrev_i32_e32 v10, 31, v10
	v_and_b32_e32 v8, exec_hi, v8
	v_xor_b32_e32 v11, s37, v10
	v_xor_b32_e32 v10, s36, v10
	v_and_b32_e32 v8, v8, v11
	v_and_b32_e32 v31, v31, v10
	v_lshlrev_b32_e32 v11, 29, v30
	v_mov_b32_e32 v10, v9
	v_cmp_gt_i64_e64 s[36:37], 0, v[10:11]
	v_not_b32_e32 v10, v11
	v_ashrrev_i32_e32 v10, 31, v10
	v_xor_b32_e32 v11, s37, v10
	v_xor_b32_e32 v10, s36, v10
	v_and_b32_e32 v8, v8, v11
	v_and_b32_e32 v31, v31, v10
	v_lshlrev_b32_e32 v11, 28, v30
	v_mov_b32_e32 v10, v9
	v_cmp_gt_i64_e64 s[36:37], 0, v[10:11]
	v_not_b32_e32 v10, v11
	v_ashrrev_i32_e32 v10, 31, v10
	;; [unrolled: 9-line block ×5, first 2 shown]
	v_xor_b32_e32 v11, s37, v10
	v_xor_b32_e32 v10, s36, v10
	v_and_b32_e32 v8, v8, v11
	v_lshlrev_b32_e32 v11, 24, v30
	v_and_b32_e32 v31, v31, v10
	v_mov_b32_e32 v10, v9
	v_not_b32_e32 v9, v11
	v_cmp_gt_i64_e64 s[36:37], 0, v[10:11]
	v_ashrrev_i32_e32 v9, 31, v9
	ds_read_b32 v28, v34 offset:64
	v_xor_b32_e32 v10, s37, v9
	v_xor_b32_e32 v11, s36, v9
	v_and_b32_e32 v9, v8, v10
	v_and_b32_e32 v8, v31, v11
	v_mbcnt_lo_u32_b32 v10, v8, 0
	v_mbcnt_hi_u32_b32 v30, v9, v10
	v_cmp_eq_u32_e64 s[36:37], 0, v30
	v_cmp_ne_u64_e64 s[38:39], 0, v[8:9]
	s_and_b64 s[38:39], s[38:39], s[36:37]
	; wave barrier
	s_and_saveexec_b64 s[36:37], s[38:39]
	s_cbranch_execz .LBB823_41
; %bb.40:
	v_bcnt_u32_b32 v8, v8, 0
	v_bcnt_u32_b32 v8, v9, v8
	s_waitcnt lgkmcnt(0)
	v_add_u32_e32 v8, v28, v8
	ds_write_b32 v34, v8 offset:64
.LBB823_41:
	s_or_b64 exec, exec, s[36:37]
	v_lshrrev_b32_e32 v8, s64, v15
	v_and_b32_e32 v33, s71, v8
	s_movk_i32 s40, 0x44
	v_mul_lo_u32 v8, v33, s40
	v_lshl_add_u32 v37, v39, 2, v8
	v_and_b32_e32 v8, 1, v33
	v_mov_b32_e32 v9, 0
	v_lshl_add_u64 v[10:11], v[8:9], 0, -1
	v_cmp_ne_u32_e64 s[36:37], 0, v8
	; wave barrier
	s_nop 1
	v_xor_b32_e32 v10, s36, v10
	v_xor_b32_e32 v8, s37, v11
	v_and_b32_e32 v35, exec_lo, v10
	v_lshlrev_b32_e32 v11, 30, v33
	v_mov_b32_e32 v10, v9
	v_cmp_gt_i64_e64 s[36:37], 0, v[10:11]
	v_not_b32_e32 v10, v11
	v_ashrrev_i32_e32 v10, 31, v10
	v_and_b32_e32 v8, exec_hi, v8
	v_xor_b32_e32 v11, s37, v10
	v_xor_b32_e32 v10, s36, v10
	v_and_b32_e32 v8, v8, v11
	v_and_b32_e32 v35, v35, v10
	v_lshlrev_b32_e32 v11, 29, v33
	v_mov_b32_e32 v10, v9
	v_cmp_gt_i64_e64 s[36:37], 0, v[10:11]
	v_not_b32_e32 v10, v11
	v_ashrrev_i32_e32 v10, 31, v10
	v_xor_b32_e32 v11, s37, v10
	v_xor_b32_e32 v10, s36, v10
	v_and_b32_e32 v8, v8, v11
	v_and_b32_e32 v35, v35, v10
	v_lshlrev_b32_e32 v11, 28, v33
	v_mov_b32_e32 v10, v9
	v_cmp_gt_i64_e64 s[36:37], 0, v[10:11]
	v_not_b32_e32 v10, v11
	v_ashrrev_i32_e32 v10, 31, v10
	;; [unrolled: 9-line block ×6, first 2 shown]
	v_xor_b32_e32 v11, s37, v10
	v_xor_b32_e32 v10, s36, v10
	ds_read_b32 v31, v37 offset:64
	v_and_b32_e32 v10, v35, v10
	v_and_b32_e32 v11, v8, v11
	v_mbcnt_lo_u32_b32 v8, v10, 0
	v_mbcnt_hi_u32_b32 v33, v11, v8
	v_cmp_eq_u32_e64 s[36:37], 0, v33
	v_cmp_ne_u64_e64 s[38:39], 0, v[10:11]
	s_and_b64 s[38:39], s[38:39], s[36:37]
	; wave barrier
	s_and_saveexec_b64 s[36:37], s[38:39]
	s_cbranch_execz .LBB823_43
; %bb.42:
	v_bcnt_u32_b32 v8, v10, 0
	v_bcnt_u32_b32 v8, v11, v8
	s_waitcnt lgkmcnt(0)
	v_add_u32_e32 v8, v31, v8
	ds_write_b32 v37, v8 offset:64
.LBB823_43:
	s_or_b64 exec, exec, s[36:37]
	v_lshrrev_b32_e32 v8, s64, v7
	v_and_b32_e32 v36, s71, v8
	v_mul_lo_u32 v8, v36, s40
	v_lshl_add_u32 v41, v39, 2, v8
	v_and_b32_e32 v8, 1, v36
	v_lshl_add_u64 v[10:11], v[8:9], 0, -1
	v_cmp_ne_u32_e64 s[36:37], 0, v8
	; wave barrier
	s_nop 1
	v_xor_b32_e32 v10, s36, v10
	v_xor_b32_e32 v8, s37, v11
	v_and_b32_e32 v38, exec_lo, v10
	v_lshlrev_b32_e32 v11, 30, v36
	v_mov_b32_e32 v10, v9
	v_cmp_gt_i64_e64 s[36:37], 0, v[10:11]
	v_not_b32_e32 v10, v11
	v_ashrrev_i32_e32 v10, 31, v10
	v_and_b32_e32 v8, exec_hi, v8
	v_xor_b32_e32 v11, s37, v10
	v_xor_b32_e32 v10, s36, v10
	v_and_b32_e32 v8, v8, v11
	v_and_b32_e32 v38, v38, v10
	v_lshlrev_b32_e32 v11, 29, v36
	v_mov_b32_e32 v10, v9
	v_cmp_gt_i64_e64 s[36:37], 0, v[10:11]
	v_not_b32_e32 v10, v11
	v_ashrrev_i32_e32 v10, 31, v10
	v_xor_b32_e32 v11, s37, v10
	v_xor_b32_e32 v10, s36, v10
	v_and_b32_e32 v8, v8, v11
	v_and_b32_e32 v38, v38, v10
	v_lshlrev_b32_e32 v11, 28, v36
	v_mov_b32_e32 v10, v9
	v_cmp_gt_i64_e64 s[36:37], 0, v[10:11]
	v_not_b32_e32 v10, v11
	v_ashrrev_i32_e32 v10, 31, v10
	;; [unrolled: 9-line block ×5, first 2 shown]
	v_xor_b32_e32 v11, s37, v10
	v_xor_b32_e32 v10, s36, v10
	v_and_b32_e32 v8, v8, v11
	v_lshlrev_b32_e32 v11, 24, v36
	v_and_b32_e32 v38, v38, v10
	v_mov_b32_e32 v10, v9
	v_not_b32_e32 v9, v11
	v_cmp_gt_i64_e64 s[36:37], 0, v[10:11]
	v_ashrrev_i32_e32 v9, 31, v9
	ds_read_b32 v35, v41 offset:64
	v_xor_b32_e32 v10, s37, v9
	v_xor_b32_e32 v11, s36, v9
	v_and_b32_e32 v9, v8, v10
	v_and_b32_e32 v8, v38, v11
	v_mbcnt_lo_u32_b32 v10, v8, 0
	v_mbcnt_hi_u32_b32 v36, v9, v10
	v_cmp_eq_u32_e64 s[36:37], 0, v36
	v_cmp_ne_u64_e64 s[38:39], 0, v[8:9]
	s_and_b64 s[38:39], s[38:39], s[36:37]
	; wave barrier
	s_and_saveexec_b64 s[36:37], s[38:39]
	s_cbranch_execz .LBB823_45
; %bb.44:
	v_bcnt_u32_b32 v8, v8, 0
	v_bcnt_u32_b32 v8, v9, v8
	s_waitcnt lgkmcnt(0)
	v_add_u32_e32 v8, v35, v8
	ds_write_b32 v41, v8 offset:64
.LBB823_45:
	s_or_b64 exec, exec, s[36:37]
	v_lshrrev_b32_e32 v8, s64, v17
	v_and_b32_e32 v40, s71, v8
	v_mul_lo_u32 v8, v40, s40
	v_lshl_add_u32 v44, v39, 2, v8
	v_and_b32_e32 v8, 1, v40
	v_mov_b32_e32 v9, 0
	v_lshl_add_u64 v[10:11], v[8:9], 0, -1
	v_cmp_ne_u32_e64 s[36:37], 0, v8
	; wave barrier
	s_nop 1
	v_xor_b32_e32 v10, s36, v10
	v_xor_b32_e32 v8, s37, v11
	v_and_b32_e32 v42, exec_lo, v10
	v_lshlrev_b32_e32 v11, 30, v40
	v_mov_b32_e32 v10, v9
	v_cmp_gt_i64_e64 s[36:37], 0, v[10:11]
	v_not_b32_e32 v10, v11
	v_ashrrev_i32_e32 v10, 31, v10
	v_and_b32_e32 v8, exec_hi, v8
	v_xor_b32_e32 v11, s37, v10
	v_xor_b32_e32 v10, s36, v10
	v_and_b32_e32 v8, v8, v11
	v_and_b32_e32 v42, v42, v10
	v_lshlrev_b32_e32 v11, 29, v40
	v_mov_b32_e32 v10, v9
	v_cmp_gt_i64_e64 s[36:37], 0, v[10:11]
	v_not_b32_e32 v10, v11
	v_ashrrev_i32_e32 v10, 31, v10
	v_xor_b32_e32 v11, s37, v10
	v_xor_b32_e32 v10, s36, v10
	v_and_b32_e32 v8, v8, v11
	v_and_b32_e32 v42, v42, v10
	v_lshlrev_b32_e32 v11, 28, v40
	v_mov_b32_e32 v10, v9
	v_cmp_gt_i64_e64 s[36:37], 0, v[10:11]
	v_not_b32_e32 v10, v11
	v_ashrrev_i32_e32 v10, 31, v10
	;; [unrolled: 9-line block ×6, first 2 shown]
	v_xor_b32_e32 v11, s37, v10
	v_xor_b32_e32 v10, s36, v10
	ds_read_b32 v38, v44 offset:64
	v_and_b32_e32 v10, v42, v10
	v_and_b32_e32 v11, v8, v11
	v_mbcnt_lo_u32_b32 v8, v10, 0
	v_mbcnt_hi_u32_b32 v40, v11, v8
	v_cmp_eq_u32_e64 s[36:37], 0, v40
	v_cmp_ne_u64_e64 s[38:39], 0, v[10:11]
	s_and_b64 s[38:39], s[38:39], s[36:37]
	; wave barrier
	s_and_saveexec_b64 s[36:37], s[38:39]
	s_cbranch_execz .LBB823_47
; %bb.46:
	v_bcnt_u32_b32 v8, v10, 0
	v_bcnt_u32_b32 v8, v11, v8
	s_waitcnt lgkmcnt(0)
	v_add_u32_e32 v8, v38, v8
	ds_write_b32 v44, v8 offset:64
.LBB823_47:
	s_or_b64 exec, exec, s[36:37]
	v_lshrrev_b32_e32 v8, s64, v16
	v_and_b32_e32 v43, s71, v8
	v_mul_lo_u32 v8, v43, s40
	v_lshl_add_u32 v46, v39, 2, v8
	v_and_b32_e32 v8, 1, v43
	v_lshl_add_u64 v[10:11], v[8:9], 0, -1
	v_cmp_ne_u32_e64 s[36:37], 0, v8
	; wave barrier
	s_nop 1
	v_xor_b32_e32 v10, s36, v10
	v_xor_b32_e32 v8, s37, v11
	v_and_b32_e32 v45, exec_lo, v10
	v_lshlrev_b32_e32 v11, 30, v43
	v_mov_b32_e32 v10, v9
	v_cmp_gt_i64_e64 s[36:37], 0, v[10:11]
	v_not_b32_e32 v10, v11
	v_ashrrev_i32_e32 v10, 31, v10
	v_and_b32_e32 v8, exec_hi, v8
	v_xor_b32_e32 v11, s37, v10
	v_xor_b32_e32 v10, s36, v10
	v_and_b32_e32 v8, v8, v11
	v_and_b32_e32 v45, v45, v10
	v_lshlrev_b32_e32 v11, 29, v43
	v_mov_b32_e32 v10, v9
	v_cmp_gt_i64_e64 s[36:37], 0, v[10:11]
	v_not_b32_e32 v10, v11
	v_ashrrev_i32_e32 v10, 31, v10
	v_xor_b32_e32 v11, s37, v10
	v_xor_b32_e32 v10, s36, v10
	v_and_b32_e32 v8, v8, v11
	v_and_b32_e32 v45, v45, v10
	v_lshlrev_b32_e32 v11, 28, v43
	v_mov_b32_e32 v10, v9
	v_cmp_gt_i64_e64 s[36:37], 0, v[10:11]
	v_not_b32_e32 v10, v11
	v_ashrrev_i32_e32 v10, 31, v10
	;; [unrolled: 9-line block ×5, first 2 shown]
	v_xor_b32_e32 v11, s37, v10
	v_xor_b32_e32 v10, s36, v10
	v_and_b32_e32 v8, v8, v11
	v_lshlrev_b32_e32 v11, 24, v43
	v_and_b32_e32 v45, v45, v10
	v_mov_b32_e32 v10, v9
	v_not_b32_e32 v9, v11
	v_cmp_gt_i64_e64 s[36:37], 0, v[10:11]
	v_ashrrev_i32_e32 v9, 31, v9
	ds_read_b32 v42, v46 offset:64
	v_xor_b32_e32 v10, s37, v9
	v_xor_b32_e32 v11, s36, v9
	v_and_b32_e32 v9, v8, v10
	v_and_b32_e32 v8, v45, v11
	v_mbcnt_lo_u32_b32 v10, v8, 0
	v_mbcnt_hi_u32_b32 v43, v9, v10
	v_cmp_eq_u32_e64 s[36:37], 0, v43
	v_cmp_ne_u64_e64 s[38:39], 0, v[8:9]
	s_and_b64 s[38:39], s[38:39], s[36:37]
	; wave barrier
	s_and_saveexec_b64 s[36:37], s[38:39]
	s_cbranch_execz .LBB823_49
; %bb.48:
	v_bcnt_u32_b32 v8, v8, 0
	v_bcnt_u32_b32 v8, v9, v8
	s_waitcnt lgkmcnt(0)
	v_add_u32_e32 v8, v42, v8
	ds_write_b32 v46, v8 offset:64
.LBB823_49:
	s_or_b64 exec, exec, s[36:37]
	v_lshrrev_b32_e32 v8, s64, v19
	v_and_b32_e32 v47, s71, v8
	v_mul_lo_u32 v8, v47, s40
	v_lshl_add_u32 v49, v39, 2, v8
	v_and_b32_e32 v8, 1, v47
	v_mov_b32_e32 v9, 0
	v_lshl_add_u64 v[10:11], v[8:9], 0, -1
	v_cmp_ne_u32_e64 s[36:37], 0, v8
	; wave barrier
	s_nop 1
	v_xor_b32_e32 v10, s36, v10
	v_xor_b32_e32 v8, s37, v11
	v_and_b32_e32 v48, exec_lo, v10
	v_lshlrev_b32_e32 v11, 30, v47
	v_mov_b32_e32 v10, v9
	v_cmp_gt_i64_e64 s[36:37], 0, v[10:11]
	v_not_b32_e32 v10, v11
	v_ashrrev_i32_e32 v10, 31, v10
	v_and_b32_e32 v8, exec_hi, v8
	v_xor_b32_e32 v11, s37, v10
	v_xor_b32_e32 v10, s36, v10
	v_and_b32_e32 v8, v8, v11
	v_and_b32_e32 v48, v48, v10
	v_lshlrev_b32_e32 v11, 29, v47
	v_mov_b32_e32 v10, v9
	v_cmp_gt_i64_e64 s[36:37], 0, v[10:11]
	v_not_b32_e32 v10, v11
	v_ashrrev_i32_e32 v10, 31, v10
	v_xor_b32_e32 v11, s37, v10
	v_xor_b32_e32 v10, s36, v10
	v_and_b32_e32 v8, v8, v11
	v_and_b32_e32 v48, v48, v10
	v_lshlrev_b32_e32 v11, 28, v47
	v_mov_b32_e32 v10, v9
	v_cmp_gt_i64_e64 s[36:37], 0, v[10:11]
	v_not_b32_e32 v10, v11
	v_ashrrev_i32_e32 v10, 31, v10
	;; [unrolled: 9-line block ×6, first 2 shown]
	v_xor_b32_e32 v11, s37, v10
	v_xor_b32_e32 v10, s36, v10
	ds_read_b32 v45, v49 offset:64
	v_and_b32_e32 v10, v48, v10
	v_and_b32_e32 v11, v8, v11
	v_mbcnt_lo_u32_b32 v8, v10, 0
	v_mbcnt_hi_u32_b32 v47, v11, v8
	v_cmp_eq_u32_e64 s[36:37], 0, v47
	v_cmp_ne_u64_e64 s[38:39], 0, v[10:11]
	s_and_b64 s[38:39], s[38:39], s[36:37]
	; wave barrier
	s_and_saveexec_b64 s[36:37], s[38:39]
	s_cbranch_execz .LBB823_51
; %bb.50:
	v_bcnt_u32_b32 v8, v10, 0
	v_bcnt_u32_b32 v8, v11, v8
	s_waitcnt lgkmcnt(0)
	v_add_u32_e32 v8, v45, v8
	ds_write_b32 v49, v8 offset:64
.LBB823_51:
	s_or_b64 exec, exec, s[36:37]
	v_lshrrev_b32_e32 v8, s64, v18
	v_and_b32_e32 v50, s71, v8
	v_mul_lo_u32 v8, v50, s40
	v_lshl_add_u32 v52, v39, 2, v8
	v_and_b32_e32 v8, 1, v50
	v_lshl_add_u64 v[10:11], v[8:9], 0, -1
	v_cmp_ne_u32_e64 s[36:37], 0, v8
	; wave barrier
	s_nop 1
	v_xor_b32_e32 v10, s36, v10
	v_xor_b32_e32 v8, s37, v11
	v_and_b32_e32 v51, exec_lo, v10
	v_lshlrev_b32_e32 v11, 30, v50
	v_mov_b32_e32 v10, v9
	v_cmp_gt_i64_e64 s[36:37], 0, v[10:11]
	v_not_b32_e32 v10, v11
	v_ashrrev_i32_e32 v10, 31, v10
	v_and_b32_e32 v8, exec_hi, v8
	v_xor_b32_e32 v11, s37, v10
	v_xor_b32_e32 v10, s36, v10
	v_and_b32_e32 v8, v8, v11
	v_and_b32_e32 v51, v51, v10
	v_lshlrev_b32_e32 v11, 29, v50
	v_mov_b32_e32 v10, v9
	v_cmp_gt_i64_e64 s[36:37], 0, v[10:11]
	v_not_b32_e32 v10, v11
	v_ashrrev_i32_e32 v10, 31, v10
	v_xor_b32_e32 v11, s37, v10
	v_xor_b32_e32 v10, s36, v10
	v_and_b32_e32 v8, v8, v11
	v_and_b32_e32 v51, v51, v10
	v_lshlrev_b32_e32 v11, 28, v50
	v_mov_b32_e32 v10, v9
	v_cmp_gt_i64_e64 s[36:37], 0, v[10:11]
	v_not_b32_e32 v10, v11
	v_ashrrev_i32_e32 v10, 31, v10
	;; [unrolled: 9-line block ×5, first 2 shown]
	v_xor_b32_e32 v11, s37, v10
	v_xor_b32_e32 v10, s36, v10
	v_and_b32_e32 v8, v8, v11
	v_lshlrev_b32_e32 v11, 24, v50
	v_and_b32_e32 v51, v51, v10
	v_mov_b32_e32 v10, v9
	v_not_b32_e32 v9, v11
	v_cmp_gt_i64_e64 s[36:37], 0, v[10:11]
	v_ashrrev_i32_e32 v9, 31, v9
	ds_read_b32 v48, v52 offset:64
	v_xor_b32_e32 v10, s37, v9
	v_xor_b32_e32 v11, s36, v9
	v_and_b32_e32 v9, v8, v10
	v_and_b32_e32 v8, v51, v11
	v_mbcnt_lo_u32_b32 v10, v8, 0
	v_mbcnt_hi_u32_b32 v50, v9, v10
	v_cmp_eq_u32_e64 s[36:37], 0, v50
	v_cmp_ne_u64_e64 s[38:39], 0, v[8:9]
	s_and_b64 s[38:39], s[38:39], s[36:37]
	; wave barrier
	s_and_saveexec_b64 s[36:37], s[38:39]
	s_cbranch_execz .LBB823_53
; %bb.52:
	v_bcnt_u32_b32 v8, v8, 0
	v_bcnt_u32_b32 v8, v9, v8
	s_waitcnt lgkmcnt(0)
	v_add_u32_e32 v8, v48, v8
	ds_write_b32 v52, v8 offset:64
.LBB823_53:
	s_or_b64 exec, exec, s[36:37]
	v_lshrrev_b32_e32 v8, s64, v21
	v_and_b32_e32 v53, s71, v8
	v_mul_lo_u32 v8, v53, s40
	v_lshl_add_u32 v55, v39, 2, v8
	v_and_b32_e32 v8, 1, v53
	v_mov_b32_e32 v9, 0
	v_lshl_add_u64 v[10:11], v[8:9], 0, -1
	v_cmp_ne_u32_e64 s[36:37], 0, v8
	; wave barrier
	s_nop 1
	v_xor_b32_e32 v10, s36, v10
	v_xor_b32_e32 v8, s37, v11
	v_and_b32_e32 v54, exec_lo, v10
	v_lshlrev_b32_e32 v11, 30, v53
	v_mov_b32_e32 v10, v9
	v_cmp_gt_i64_e64 s[36:37], 0, v[10:11]
	v_not_b32_e32 v10, v11
	v_ashrrev_i32_e32 v10, 31, v10
	v_and_b32_e32 v8, exec_hi, v8
	v_xor_b32_e32 v11, s37, v10
	v_xor_b32_e32 v10, s36, v10
	v_and_b32_e32 v8, v8, v11
	v_and_b32_e32 v54, v54, v10
	v_lshlrev_b32_e32 v11, 29, v53
	v_mov_b32_e32 v10, v9
	v_cmp_gt_i64_e64 s[36:37], 0, v[10:11]
	v_not_b32_e32 v10, v11
	v_ashrrev_i32_e32 v10, 31, v10
	v_xor_b32_e32 v11, s37, v10
	v_xor_b32_e32 v10, s36, v10
	v_and_b32_e32 v8, v8, v11
	v_and_b32_e32 v54, v54, v10
	v_lshlrev_b32_e32 v11, 28, v53
	v_mov_b32_e32 v10, v9
	v_cmp_gt_i64_e64 s[36:37], 0, v[10:11]
	v_not_b32_e32 v10, v11
	v_ashrrev_i32_e32 v10, 31, v10
	;; [unrolled: 9-line block ×6, first 2 shown]
	v_xor_b32_e32 v11, s37, v10
	v_xor_b32_e32 v10, s36, v10
	ds_read_b32 v51, v55 offset:64
	v_and_b32_e32 v10, v54, v10
	v_and_b32_e32 v11, v8, v11
	v_mbcnt_lo_u32_b32 v8, v10, 0
	v_mbcnt_hi_u32_b32 v53, v11, v8
	v_cmp_eq_u32_e64 s[36:37], 0, v53
	v_cmp_ne_u64_e64 s[38:39], 0, v[10:11]
	s_and_b64 s[38:39], s[38:39], s[36:37]
	; wave barrier
	s_and_saveexec_b64 s[36:37], s[38:39]
	s_cbranch_execz .LBB823_55
; %bb.54:
	v_bcnt_u32_b32 v8, v10, 0
	v_bcnt_u32_b32 v8, v11, v8
	s_waitcnt lgkmcnt(0)
	v_add_u32_e32 v8, v51, v8
	ds_write_b32 v55, v8 offset:64
.LBB823_55:
	s_or_b64 exec, exec, s[36:37]
	v_lshrrev_b32_e32 v8, s64, v20
	v_and_b32_e32 v56, s71, v8
	v_mul_lo_u32 v8, v56, s40
	v_lshl_add_u32 v58, v39, 2, v8
	v_and_b32_e32 v8, 1, v56
	v_lshl_add_u64 v[10:11], v[8:9], 0, -1
	v_cmp_ne_u32_e64 s[36:37], 0, v8
	; wave barrier
	s_nop 1
	v_xor_b32_e32 v10, s36, v10
	v_xor_b32_e32 v8, s37, v11
	v_and_b32_e32 v57, exec_lo, v10
	v_lshlrev_b32_e32 v11, 30, v56
	v_mov_b32_e32 v10, v9
	v_cmp_gt_i64_e64 s[36:37], 0, v[10:11]
	v_not_b32_e32 v10, v11
	v_ashrrev_i32_e32 v10, 31, v10
	v_and_b32_e32 v8, exec_hi, v8
	v_xor_b32_e32 v11, s37, v10
	v_xor_b32_e32 v10, s36, v10
	v_and_b32_e32 v8, v8, v11
	v_and_b32_e32 v57, v57, v10
	v_lshlrev_b32_e32 v11, 29, v56
	v_mov_b32_e32 v10, v9
	v_cmp_gt_i64_e64 s[36:37], 0, v[10:11]
	v_not_b32_e32 v10, v11
	v_ashrrev_i32_e32 v10, 31, v10
	v_xor_b32_e32 v11, s37, v10
	v_xor_b32_e32 v10, s36, v10
	v_and_b32_e32 v8, v8, v11
	v_and_b32_e32 v57, v57, v10
	v_lshlrev_b32_e32 v11, 28, v56
	v_mov_b32_e32 v10, v9
	v_cmp_gt_i64_e64 s[36:37], 0, v[10:11]
	v_not_b32_e32 v10, v11
	v_ashrrev_i32_e32 v10, 31, v10
	;; [unrolled: 9-line block ×5, first 2 shown]
	v_xor_b32_e32 v11, s37, v10
	v_xor_b32_e32 v10, s36, v10
	v_and_b32_e32 v8, v8, v11
	v_lshlrev_b32_e32 v11, 24, v56
	v_and_b32_e32 v57, v57, v10
	v_mov_b32_e32 v10, v9
	v_not_b32_e32 v9, v11
	v_cmp_gt_i64_e64 s[36:37], 0, v[10:11]
	v_ashrrev_i32_e32 v9, 31, v9
	ds_read_b32 v54, v58 offset:64
	v_xor_b32_e32 v10, s37, v9
	v_xor_b32_e32 v11, s36, v9
	v_and_b32_e32 v9, v8, v10
	v_and_b32_e32 v8, v57, v11
	v_mbcnt_lo_u32_b32 v10, v8, 0
	v_mbcnt_hi_u32_b32 v56, v9, v10
	v_cmp_eq_u32_e64 s[36:37], 0, v56
	v_cmp_ne_u64_e64 s[38:39], 0, v[8:9]
	s_and_b64 s[38:39], s[38:39], s[36:37]
	; wave barrier
	s_and_saveexec_b64 s[36:37], s[38:39]
	s_cbranch_execz .LBB823_57
; %bb.56:
	v_bcnt_u32_b32 v8, v8, 0
	v_bcnt_u32_b32 v8, v9, v8
	s_waitcnt lgkmcnt(0)
	v_add_u32_e32 v8, v54, v8
	ds_write_b32 v58, v8 offset:64
.LBB823_57:
	s_or_b64 exec, exec, s[36:37]
	v_lshrrev_b32_e32 v8, s64, v23
	v_and_b32_e32 v59, s71, v8
	v_mul_lo_u32 v8, v59, s40
	v_lshl_add_u32 v61, v39, 2, v8
	v_and_b32_e32 v8, 1, v59
	v_mov_b32_e32 v9, 0
	v_lshl_add_u64 v[10:11], v[8:9], 0, -1
	v_cmp_ne_u32_e64 s[36:37], 0, v8
	; wave barrier
	s_nop 1
	v_xor_b32_e32 v10, s36, v10
	v_xor_b32_e32 v8, s37, v11
	v_and_b32_e32 v60, exec_lo, v10
	v_lshlrev_b32_e32 v11, 30, v59
	v_mov_b32_e32 v10, v9
	v_cmp_gt_i64_e64 s[36:37], 0, v[10:11]
	v_not_b32_e32 v10, v11
	v_ashrrev_i32_e32 v10, 31, v10
	v_and_b32_e32 v8, exec_hi, v8
	v_xor_b32_e32 v11, s37, v10
	v_xor_b32_e32 v10, s36, v10
	v_and_b32_e32 v8, v8, v11
	v_and_b32_e32 v60, v60, v10
	v_lshlrev_b32_e32 v11, 29, v59
	v_mov_b32_e32 v10, v9
	v_cmp_gt_i64_e64 s[36:37], 0, v[10:11]
	v_not_b32_e32 v10, v11
	v_ashrrev_i32_e32 v10, 31, v10
	v_xor_b32_e32 v11, s37, v10
	v_xor_b32_e32 v10, s36, v10
	v_and_b32_e32 v8, v8, v11
	v_and_b32_e32 v60, v60, v10
	v_lshlrev_b32_e32 v11, 28, v59
	v_mov_b32_e32 v10, v9
	v_cmp_gt_i64_e64 s[36:37], 0, v[10:11]
	v_not_b32_e32 v10, v11
	v_ashrrev_i32_e32 v10, 31, v10
	;; [unrolled: 9-line block ×6, first 2 shown]
	v_xor_b32_e32 v11, s37, v10
	v_xor_b32_e32 v10, s36, v10
	ds_read_b32 v57, v61 offset:64
	v_and_b32_e32 v10, v60, v10
	v_and_b32_e32 v11, v8, v11
	v_mbcnt_lo_u32_b32 v8, v10, 0
	v_mbcnt_hi_u32_b32 v59, v11, v8
	v_cmp_eq_u32_e64 s[36:37], 0, v59
	v_cmp_ne_u64_e64 s[38:39], 0, v[10:11]
	s_and_b64 s[38:39], s[38:39], s[36:37]
	; wave barrier
	s_and_saveexec_b64 s[36:37], s[38:39]
	s_cbranch_execz .LBB823_59
; %bb.58:
	v_bcnt_u32_b32 v8, v10, 0
	v_bcnt_u32_b32 v8, v11, v8
	s_waitcnt lgkmcnt(0)
	v_add_u32_e32 v8, v57, v8
	ds_write_b32 v61, v8 offset:64
.LBB823_59:
	s_or_b64 exec, exec, s[36:37]
	v_lshrrev_b32_e32 v8, s64, v22
	v_and_b32_e32 v62, s71, v8
	v_mul_lo_u32 v8, v62, s40
	v_lshl_add_u32 v64, v39, 2, v8
	v_and_b32_e32 v8, 1, v62
	v_lshl_add_u64 v[10:11], v[8:9], 0, -1
	v_cmp_ne_u32_e64 s[36:37], 0, v8
	; wave barrier
	s_nop 1
	v_xor_b32_e32 v10, s36, v10
	v_xor_b32_e32 v8, s37, v11
	v_and_b32_e32 v63, exec_lo, v10
	v_lshlrev_b32_e32 v11, 30, v62
	v_mov_b32_e32 v10, v9
	v_cmp_gt_i64_e64 s[36:37], 0, v[10:11]
	v_not_b32_e32 v10, v11
	v_ashrrev_i32_e32 v10, 31, v10
	v_and_b32_e32 v8, exec_hi, v8
	v_xor_b32_e32 v11, s37, v10
	v_xor_b32_e32 v10, s36, v10
	v_and_b32_e32 v8, v8, v11
	v_and_b32_e32 v63, v63, v10
	v_lshlrev_b32_e32 v11, 29, v62
	v_mov_b32_e32 v10, v9
	v_cmp_gt_i64_e64 s[36:37], 0, v[10:11]
	v_not_b32_e32 v10, v11
	v_ashrrev_i32_e32 v10, 31, v10
	v_xor_b32_e32 v11, s37, v10
	v_xor_b32_e32 v10, s36, v10
	v_and_b32_e32 v8, v8, v11
	v_and_b32_e32 v63, v63, v10
	v_lshlrev_b32_e32 v11, 28, v62
	v_mov_b32_e32 v10, v9
	v_cmp_gt_i64_e64 s[36:37], 0, v[10:11]
	v_not_b32_e32 v10, v11
	v_ashrrev_i32_e32 v10, 31, v10
	;; [unrolled: 9-line block ×5, first 2 shown]
	v_xor_b32_e32 v11, s37, v10
	v_xor_b32_e32 v10, s36, v10
	v_and_b32_e32 v8, v8, v11
	v_lshlrev_b32_e32 v11, 24, v62
	v_and_b32_e32 v63, v63, v10
	v_mov_b32_e32 v10, v9
	v_not_b32_e32 v9, v11
	v_cmp_gt_i64_e64 s[36:37], 0, v[10:11]
	v_ashrrev_i32_e32 v9, 31, v9
	ds_read_b32 v60, v64 offset:64
	v_xor_b32_e32 v10, s37, v9
	v_xor_b32_e32 v11, s36, v9
	v_and_b32_e32 v9, v8, v10
	v_and_b32_e32 v8, v63, v11
	v_mbcnt_lo_u32_b32 v10, v8, 0
	v_mbcnt_hi_u32_b32 v62, v9, v10
	v_cmp_eq_u32_e64 s[36:37], 0, v62
	v_cmp_ne_u64_e64 s[38:39], 0, v[8:9]
	s_and_b64 s[38:39], s[38:39], s[36:37]
	; wave barrier
	s_and_saveexec_b64 s[36:37], s[38:39]
	s_cbranch_execz .LBB823_61
; %bb.60:
	v_bcnt_u32_b32 v8, v8, 0
	v_bcnt_u32_b32 v8, v9, v8
	s_waitcnt lgkmcnt(0)
	v_add_u32_e32 v8, v60, v8
	ds_write_b32 v64, v8 offset:64
.LBB823_61:
	s_or_b64 exec, exec, s[36:37]
	v_lshrrev_b32_e32 v8, s64, v25
	v_and_b32_e32 v65, s71, v8
	v_mul_lo_u32 v8, v65, s40
	v_lshl_add_u32 v67, v39, 2, v8
	v_and_b32_e32 v8, 1, v65
	v_mov_b32_e32 v9, 0
	v_lshl_add_u64 v[10:11], v[8:9], 0, -1
	v_cmp_ne_u32_e64 s[36:37], 0, v8
	; wave barrier
	s_nop 1
	v_xor_b32_e32 v10, s36, v10
	v_xor_b32_e32 v8, s37, v11
	v_and_b32_e32 v66, exec_lo, v10
	v_lshlrev_b32_e32 v11, 30, v65
	v_mov_b32_e32 v10, v9
	v_cmp_gt_i64_e64 s[36:37], 0, v[10:11]
	v_not_b32_e32 v10, v11
	v_ashrrev_i32_e32 v10, 31, v10
	v_and_b32_e32 v8, exec_hi, v8
	v_xor_b32_e32 v11, s37, v10
	v_xor_b32_e32 v10, s36, v10
	v_and_b32_e32 v8, v8, v11
	v_and_b32_e32 v66, v66, v10
	v_lshlrev_b32_e32 v11, 29, v65
	v_mov_b32_e32 v10, v9
	v_cmp_gt_i64_e64 s[36:37], 0, v[10:11]
	v_not_b32_e32 v10, v11
	v_ashrrev_i32_e32 v10, 31, v10
	v_xor_b32_e32 v11, s37, v10
	v_xor_b32_e32 v10, s36, v10
	v_and_b32_e32 v8, v8, v11
	v_and_b32_e32 v66, v66, v10
	v_lshlrev_b32_e32 v11, 28, v65
	v_mov_b32_e32 v10, v9
	v_cmp_gt_i64_e64 s[36:37], 0, v[10:11]
	v_not_b32_e32 v10, v11
	v_ashrrev_i32_e32 v10, 31, v10
	;; [unrolled: 9-line block ×6, first 2 shown]
	v_xor_b32_e32 v11, s37, v10
	v_xor_b32_e32 v10, s36, v10
	ds_read_b32 v63, v67 offset:64
	v_and_b32_e32 v10, v66, v10
	v_and_b32_e32 v11, v8, v11
	v_mbcnt_lo_u32_b32 v8, v10, 0
	v_mbcnt_hi_u32_b32 v65, v11, v8
	v_cmp_eq_u32_e64 s[36:37], 0, v65
	v_cmp_ne_u64_e64 s[38:39], 0, v[10:11]
	s_and_b64 s[38:39], s[38:39], s[36:37]
	; wave barrier
	s_and_saveexec_b64 s[36:37], s[38:39]
	s_cbranch_execz .LBB823_63
; %bb.62:
	v_bcnt_u32_b32 v8, v10, 0
	v_bcnt_u32_b32 v8, v11, v8
	s_waitcnt lgkmcnt(0)
	v_add_u32_e32 v8, v63, v8
	ds_write_b32 v67, v8 offset:64
.LBB823_63:
	s_or_b64 exec, exec, s[36:37]
	v_lshrrev_b32_e32 v8, s64, v24
	v_and_b32_e32 v68, s71, v8
	v_mul_lo_u32 v8, v68, s40
	v_lshl_add_u32 v70, v39, 2, v8
	v_and_b32_e32 v8, 1, v68
	v_lshl_add_u64 v[10:11], v[8:9], 0, -1
	v_cmp_ne_u32_e64 s[36:37], 0, v8
	; wave barrier
	s_nop 1
	v_xor_b32_e32 v10, s36, v10
	v_xor_b32_e32 v8, s37, v11
	v_and_b32_e32 v69, exec_lo, v10
	v_lshlrev_b32_e32 v11, 30, v68
	v_mov_b32_e32 v10, v9
	v_cmp_gt_i64_e64 s[36:37], 0, v[10:11]
	v_not_b32_e32 v10, v11
	v_ashrrev_i32_e32 v10, 31, v10
	v_and_b32_e32 v8, exec_hi, v8
	v_xor_b32_e32 v11, s37, v10
	v_xor_b32_e32 v10, s36, v10
	v_and_b32_e32 v8, v8, v11
	v_and_b32_e32 v69, v69, v10
	v_lshlrev_b32_e32 v11, 29, v68
	v_mov_b32_e32 v10, v9
	v_cmp_gt_i64_e64 s[36:37], 0, v[10:11]
	v_not_b32_e32 v10, v11
	v_ashrrev_i32_e32 v10, 31, v10
	v_xor_b32_e32 v11, s37, v10
	v_xor_b32_e32 v10, s36, v10
	v_and_b32_e32 v8, v8, v11
	v_and_b32_e32 v69, v69, v10
	v_lshlrev_b32_e32 v11, 28, v68
	v_mov_b32_e32 v10, v9
	v_cmp_gt_i64_e64 s[36:37], 0, v[10:11]
	v_not_b32_e32 v10, v11
	v_ashrrev_i32_e32 v10, 31, v10
	;; [unrolled: 9-line block ×5, first 2 shown]
	v_xor_b32_e32 v11, s37, v10
	v_xor_b32_e32 v10, s36, v10
	v_and_b32_e32 v8, v8, v11
	v_lshlrev_b32_e32 v11, 24, v68
	v_and_b32_e32 v69, v69, v10
	v_mov_b32_e32 v10, v9
	v_not_b32_e32 v9, v11
	v_cmp_gt_i64_e64 s[36:37], 0, v[10:11]
	v_ashrrev_i32_e32 v9, 31, v9
	ds_read_b32 v66, v70 offset:64
	v_xor_b32_e32 v10, s37, v9
	v_xor_b32_e32 v11, s36, v9
	v_and_b32_e32 v9, v8, v10
	v_and_b32_e32 v8, v69, v11
	v_mbcnt_lo_u32_b32 v10, v8, 0
	v_mbcnt_hi_u32_b32 v68, v9, v10
	v_cmp_eq_u32_e64 s[36:37], 0, v68
	v_cmp_ne_u64_e64 s[38:39], 0, v[8:9]
	s_and_b64 s[38:39], s[38:39], s[36:37]
	; wave barrier
	s_and_saveexec_b64 s[36:37], s[38:39]
	s_cbranch_execz .LBB823_65
; %bb.64:
	v_bcnt_u32_b32 v8, v8, 0
	v_bcnt_u32_b32 v8, v9, v8
	s_waitcnt lgkmcnt(0)
	v_add_u32_e32 v8, v66, v8
	ds_write_b32 v70, v8 offset:64
.LBB823_65:
	s_or_b64 exec, exec, s[36:37]
	v_lshrrev_b32_e32 v8, s64, v27
	v_and_b32_e32 v71, s71, v8
	v_mul_lo_u32 v8, v71, s40
	v_lshl_add_u32 v72, v39, 2, v8
	v_and_b32_e32 v8, 1, v71
	v_mov_b32_e32 v9, 0
	v_lshl_add_u64 v[10:11], v[8:9], 0, -1
	v_cmp_ne_u32_e64 s[36:37], 0, v8
	; wave barrier
	s_nop 1
	v_xor_b32_e32 v10, s36, v10
	v_xor_b32_e32 v8, s37, v11
	v_and_b32_e32 v73, exec_lo, v10
	v_lshlrev_b32_e32 v11, 30, v71
	v_mov_b32_e32 v10, v9
	v_cmp_gt_i64_e64 s[36:37], 0, v[10:11]
	v_not_b32_e32 v10, v11
	v_ashrrev_i32_e32 v10, 31, v10
	v_and_b32_e32 v8, exec_hi, v8
	v_xor_b32_e32 v11, s37, v10
	v_xor_b32_e32 v10, s36, v10
	v_and_b32_e32 v8, v8, v11
	v_and_b32_e32 v73, v73, v10
	v_lshlrev_b32_e32 v11, 29, v71
	v_mov_b32_e32 v10, v9
	v_cmp_gt_i64_e64 s[36:37], 0, v[10:11]
	v_not_b32_e32 v10, v11
	v_ashrrev_i32_e32 v10, 31, v10
	v_xor_b32_e32 v11, s37, v10
	v_xor_b32_e32 v10, s36, v10
	v_and_b32_e32 v8, v8, v11
	v_and_b32_e32 v73, v73, v10
	v_lshlrev_b32_e32 v11, 28, v71
	v_mov_b32_e32 v10, v9
	v_cmp_gt_i64_e64 s[36:37], 0, v[10:11]
	v_not_b32_e32 v10, v11
	v_ashrrev_i32_e32 v10, 31, v10
	;; [unrolled: 9-line block ×6, first 2 shown]
	v_xor_b32_e32 v11, s37, v10
	v_xor_b32_e32 v10, s36, v10
	ds_read_b32 v69, v72 offset:64
	v_and_b32_e32 v10, v73, v10
	v_and_b32_e32 v11, v8, v11
	v_mbcnt_lo_u32_b32 v8, v10, 0
	v_mbcnt_hi_u32_b32 v71, v11, v8
	v_cmp_eq_u32_e64 s[36:37], 0, v71
	v_cmp_ne_u64_e64 s[38:39], 0, v[10:11]
	s_and_b64 s[38:39], s[38:39], s[36:37]
	; wave barrier
	s_and_saveexec_b64 s[36:37], s[38:39]
	s_cbranch_execz .LBB823_67
; %bb.66:
	v_bcnt_u32_b32 v8, v10, 0
	v_bcnt_u32_b32 v8, v11, v8
	s_waitcnt lgkmcnt(0)
	v_add_u32_e32 v8, v69, v8
	ds_write_b32 v72, v8 offset:64
.LBB823_67:
	s_or_b64 exec, exec, s[36:37]
	v_lshrrev_b32_e32 v8, s64, v26
	v_and_b32_e32 v73, s71, v8
	v_mul_lo_u32 v8, v73, s40
	v_lshl_add_u32 v74, v39, 2, v8
	v_and_b32_e32 v8, 1, v73
	v_lshl_add_u64 v[10:11], v[8:9], 0, -1
	v_cmp_ne_u32_e64 s[36:37], 0, v8
	; wave barrier
	s_nop 1
	v_xor_b32_e32 v10, s36, v10
	v_xor_b32_e32 v8, s37, v11
	v_and_b32_e32 v75, exec_lo, v10
	v_lshlrev_b32_e32 v11, 30, v73
	v_mov_b32_e32 v10, v9
	v_cmp_gt_i64_e64 s[36:37], 0, v[10:11]
	v_not_b32_e32 v10, v11
	v_ashrrev_i32_e32 v10, 31, v10
	v_and_b32_e32 v8, exec_hi, v8
	v_xor_b32_e32 v11, s37, v10
	v_xor_b32_e32 v10, s36, v10
	v_and_b32_e32 v8, v8, v11
	v_and_b32_e32 v75, v75, v10
	v_lshlrev_b32_e32 v11, 29, v73
	v_mov_b32_e32 v10, v9
	v_cmp_gt_i64_e64 s[36:37], 0, v[10:11]
	v_not_b32_e32 v10, v11
	v_ashrrev_i32_e32 v10, 31, v10
	v_xor_b32_e32 v11, s37, v10
	v_xor_b32_e32 v10, s36, v10
	v_and_b32_e32 v8, v8, v11
	v_and_b32_e32 v75, v75, v10
	v_lshlrev_b32_e32 v11, 28, v73
	v_mov_b32_e32 v10, v9
	v_cmp_gt_i64_e64 s[36:37], 0, v[10:11]
	v_not_b32_e32 v10, v11
	v_ashrrev_i32_e32 v10, 31, v10
	;; [unrolled: 9-line block ×5, first 2 shown]
	v_xor_b32_e32 v11, s37, v10
	v_xor_b32_e32 v10, s36, v10
	v_and_b32_e32 v8, v8, v11
	v_lshlrev_b32_e32 v11, 24, v73
	v_and_b32_e32 v75, v75, v10
	v_mov_b32_e32 v10, v9
	v_not_b32_e32 v9, v11
	v_cmp_gt_i64_e64 s[36:37], 0, v[10:11]
	v_ashrrev_i32_e32 v9, 31, v9
	ds_read_b32 v39, v74 offset:64
	v_xor_b32_e32 v10, s37, v9
	v_xor_b32_e32 v11, s36, v9
	v_and_b32_e32 v9, v8, v10
	v_and_b32_e32 v8, v75, v11
	v_mbcnt_lo_u32_b32 v10, v8, 0
	v_mbcnt_hi_u32_b32 v73, v9, v10
	v_cmp_eq_u32_e64 s[36:37], 0, v73
	v_cmp_ne_u64_e64 s[38:39], 0, v[8:9]
	s_and_b64 s[38:39], s[38:39], s[36:37]
	; wave barrier
	s_and_saveexec_b64 s[36:37], s[38:39]
	s_cbranch_execz .LBB823_69
; %bb.68:
	v_bcnt_u32_b32 v8, v8, 0
	v_bcnt_u32_b32 v8, v9, v8
	s_waitcnt lgkmcnt(0)
	v_add_u32_e32 v8, v39, v8
	ds_write_b32 v74, v8 offset:64
.LBB823_69:
	s_or_b64 exec, exec, s[36:37]
	; wave barrier
	s_waitcnt lgkmcnt(0)
	s_barrier
	ds_read2_b32 v[10:11], v13 offset0:16 offset1:17
	ds_read2_b32 v[8:9], v13 offset0:18 offset1:19
	ds_read_b32 v75, v13 offset:80
	v_cmp_lt_u32_e64 s[46:47], 31, v12
	s_waitcnt lgkmcnt(1)
	v_add3_u32 v76, v11, v10, v8
	s_waitcnt lgkmcnt(0)
	v_add3_u32 v75, v76, v9, v75
	v_and_b32_e32 v76, 15, v12
	v_cmp_eq_u32_e64 s[36:37], 0, v76
	v_mov_b32_dpp v77, v75 row_shr:1 row_mask:0xf bank_mask:0xf
	v_cmp_lt_u32_e64 s[38:39], 1, v76
	v_cndmask_b32_e64 v77, v77, 0, s[36:37]
	v_add_u32_e32 v75, v77, v75
	v_cmp_lt_u32_e64 s[40:41], 3, v76
	v_cmp_lt_u32_e64 s[42:43], 7, v76
	v_mov_b32_dpp v77, v75 row_shr:2 row_mask:0xf bank_mask:0xf
	v_cndmask_b32_e64 v77, 0, v77, s[38:39]
	v_add_u32_e32 v75, v75, v77
	s_nop 1
	v_mov_b32_dpp v77, v75 row_shr:4 row_mask:0xf bank_mask:0xf
	v_cndmask_b32_e64 v77, 0, v77, s[40:41]
	v_add_u32_e32 v75, v75, v77
	s_nop 1
	v_mov_b32_dpp v77, v75 row_shr:8 row_mask:0xf bank_mask:0xf
	v_cndmask_b32_e64 v76, 0, v77, s[42:43]
	v_add_u32_e32 v75, v75, v76
	v_bfe_i32 v77, v12, 4, 1
	s_nop 0
	v_mov_b32_dpp v76, v75 row_bcast:15 row_mask:0xf bank_mask:0xf
	v_and_b32_e32 v76, v77, v76
	v_add_u32_e32 v75, v75, v76
	v_and_b32_e32 v77, 63, v2
	s_nop 0
	v_mov_b32_dpp v76, v75 row_bcast:31 row_mask:0xf bank_mask:0xf
	v_cndmask_b32_e64 v76, 0, v76, s[46:47]
	v_add_u32_e32 v75, v75, v76
	v_lshrrev_b32_e32 v76, 6, v2
	v_cmp_eq_u32_e64 s[46:47], 63, v77
	s_and_saveexec_b64 s[48:49], s[46:47]
; %bb.70:
	v_lshlrev_b32_e32 v77, 2, v76
	ds_write_b32 v77, v75
; %bb.71:
	s_or_b64 exec, exec, s[48:49]
	v_cmp_gt_u32_e64 s[46:47], 16, v2
	s_waitcnt lgkmcnt(0)
	s_barrier
	s_and_saveexec_b64 s[48:49], s[46:47]
	s_cbranch_execz .LBB823_73
; %bb.72:
	v_lshlrev_b32_e32 v77, 2, v2
	ds_read_b32 v78, v77
	s_waitcnt lgkmcnt(0)
	s_nop 0
	v_mov_b32_dpp v79, v78 row_shr:1 row_mask:0xf bank_mask:0xf
	v_cndmask_b32_e64 v79, v79, 0, s[36:37]
	v_add_u32_e32 v78, v79, v78
	s_nop 1
	v_mov_b32_dpp v79, v78 row_shr:2 row_mask:0xf bank_mask:0xf
	v_cndmask_b32_e64 v79, 0, v79, s[38:39]
	v_add_u32_e32 v78, v78, v79
	;; [unrolled: 4-line block ×4, first 2 shown]
	ds_write_b32 v77, v78
.LBB823_73:
	s_or_b64 exec, exec, s[48:49]
	v_cmp_lt_u32_e64 s[36:37], 63, v2
	v_mov_b32_e32 v77, 0
	s_waitcnt lgkmcnt(0)
	s_barrier
	s_and_saveexec_b64 s[38:39], s[36:37]
; %bb.74:
	v_lshl_add_u32 v76, v76, 2, -4
	ds_read_b32 v77, v76
; %bb.75:
	s_or_b64 exec, exec, s[38:39]
	v_subrev_co_u32_e64 v76, s[36:37], 1, v12
	v_and_b32_e32 v78, 64, v12
	v_cmp_lt_i32_e64 s[38:39], v76, v78
	s_waitcnt lgkmcnt(0)
	v_add_u32_e32 v75, v77, v75
	s_movk_i32 s40, 0x100
	v_cndmask_b32_e64 v12, v76, v12, s[38:39]
	v_lshlrev_b32_e32 v12, 2, v12
	ds_bpermute_b32 v12, v12, v75
	v_cmp_gt_u32_e64 s[38:39], s40, v2
	s_waitcnt lgkmcnt(0)
	v_cndmask_b32_e64 v12, v12, v77, s[36:37]
	v_cndmask_b32_e64 v12, v12, 0, s[44:45]
	v_add_u32_e32 v10, v12, v10
	v_add_u32_e32 v11, v10, v11
	;; [unrolled: 1-line block ×4, first 2 shown]
	ds_write2_b32 v13, v12, v10 offset0:16 offset1:17
	ds_write2_b32 v13, v11, v8 offset0:18 offset1:19
	ds_write_b32 v13, v9 offset:80
	s_waitcnt lgkmcnt(0)
	s_barrier
	ds_read_b32 v84, v32 offset:64
	ds_read_b32 v75, v34 offset:64
	;; [unrolled: 1-line block ×16, first 2 shown]
	s_movk_i32 s36, 0xff
	v_cmp_lt_u32_e64 s[36:37], s36, v2
                                        ; implicit-def: $vgpr32
                                        ; implicit-def: $vgpr34
	s_and_saveexec_b64 s[42:43], s[38:39]
	s_cbranch_execz .LBB823_79
; %bb.76:
	v_mul_u32_u24_e32 v8, 0x44, v2
	ds_read_b32 v32, v8 offset:64
	v_add_u32_e32 v9, 1, v2
	v_cmp_ne_u32_e64 s[40:41], s40, v9
	v_mov_b32_e32 v8, 0x4000
	s_and_saveexec_b64 s[46:47], s[40:41]
; %bb.77:
	v_mul_u32_u24_e32 v8, 0x44, v9
	ds_read_b32 v8, v8 offset:64
; %bb.78:
	s_or_b64 exec, exec, s[46:47]
	s_waitcnt lgkmcnt(0)
	v_sub_u32_e32 v34, v8, v32
.LBB823_79:
	s_or_b64 exec, exec, s[42:43]
	v_mov_b32_e32 v9, 0
	v_lshlrev_b32_e32 v37, 2, v2
	s_waitcnt lgkmcnt(0)
	s_barrier
	s_and_saveexec_b64 s[40:41], s[38:39]
	s_cbranch_execz .LBB823_89
; %bb.80:
	v_lshl_add_u32 v8, s33, 8, v2
	v_lshl_add_u64 v[10:11], v[8:9], 2, s[68:69]
	v_or_b32_e32 v8, 2.0, v34
	s_mov_b64 s[42:43], 0
	s_brev_b32 s50, -4
	s_mov_b32 s51, s33
	v_mov_b32_e32 v55, 0
	global_store_dword v[10:11], v8, off sc1
                                        ; implicit-def: $sgpr38_sgpr39
	s_branch .LBB823_83
.LBB823_81:                             ;   in Loop: Header=BB823_83 Depth=1
	s_or_b64 exec, exec, s[48:49]
.LBB823_82:                             ;   in Loop: Header=BB823_83 Depth=1
	s_or_b64 exec, exec, s[46:47]
	v_and_b32_e32 v12, 0x3fffffff, v8
	v_add_u32_e32 v55, v12, v55
	v_cmp_gt_i32_e64 s[38:39], -2.0, v8
	s_and_b64 s[46:47], exec, s[38:39]
	s_or_b64 s[42:43], s[46:47], s[42:43]
	s_andn2_b64 exec, exec, s[42:43]
	s_cbranch_execz .LBB823_88
.LBB823_83:                             ; =>This Loop Header: Depth=1
                                        ;     Child Loop BB823_86 Depth 2
	s_or_b64 s[38:39], s[38:39], exec
	s_cmp_eq_u32 s51, 0
	s_cbranch_scc1 .LBB823_87
; %bb.84:                               ;   in Loop: Header=BB823_83 Depth=1
	s_add_i32 s51, s51, -1
	v_lshl_or_b32 v8, s51, 8, v2
	v_lshl_add_u64 v[12:13], v[8:9], 2, s[68:69]
	global_load_dword v8, v[12:13], off sc1
	s_waitcnt vmcnt(0)
	v_cmp_gt_u32_e64 s[38:39], 2.0, v8
	s_and_saveexec_b64 s[46:47], s[38:39]
	s_cbranch_execz .LBB823_82
; %bb.85:                               ;   in Loop: Header=BB823_83 Depth=1
	s_mov_b64 s[48:49], 0
.LBB823_86:                             ;   Parent Loop BB823_83 Depth=1
                                        ; =>  This Inner Loop Header: Depth=2
	global_load_dword v8, v[12:13], off sc1
	s_waitcnt vmcnt(0)
	v_cmp_lt_u32_e64 s[38:39], s50, v8
	s_or_b64 s[48:49], s[38:39], s[48:49]
	s_andn2_b64 exec, exec, s[48:49]
	s_cbranch_execnz .LBB823_86
	s_branch .LBB823_81
.LBB823_87:                             ;   in Loop: Header=BB823_83 Depth=1
                                        ; implicit-def: $sgpr51
	s_and_b64 s[46:47], exec, s[38:39]
	s_or_b64 s[42:43], s[46:47], s[42:43]
	s_andn2_b64 exec, exec, s[42:43]
	s_cbranch_execnz .LBB823_83
.LBB823_88:
	s_or_b64 exec, exec, s[42:43]
	v_add_u32_e32 v8, v55, v34
	v_or_b32_e32 v8, 0x80000000, v8
	global_store_dword v[10:11], v8, off sc1
	global_load_dword v8, v37, s[60:61]
	v_sub_u32_e32 v9, v55, v32
	s_waitcnt vmcnt(0)
	v_add_u32_e32 v8, v9, v8
	ds_write_b32 v37, v8
.LBB823_89:
	s_or_b64 exec, exec, s[40:41]
	v_add_u32_e32 v10, v84, v29
	v_add3_u32 v8, v30, v28, v75
	v_add3_u32 v9, v33, v31, v76
	;; [unrolled: 1-line block ×15, first 2 shown]
	v_mov_b32_e32 v88, 0x400
	s_movk_i32 s42, 0x400
	v_lshl_add_u32 v11, v11, 2, v88
	v_add3_u32 v12, v73, v49, v39
	v_lshl_add_u32 v13, v13, 2, v88
	v_add3_u32 v29, v71, v44, v69
	;; [unrolled: 2-line block ×15, first 2 shown]
	v_lshl_add_u32 v30, v10, 2, v88
	s_mov_b32 s43, 0
	s_mov_b32 s46, 0
	s_movk_i32 s47, 0x1000
	v_mov_b32_e32 v9, 0
	s_movk_i32 s48, 0x800
	s_movk_i32 s49, 0xc00
	v_mov_b32_e32 v59, v2
	s_mov_b32 s50, 0
	s_branch .LBB823_91
.LBB823_90:                             ;   in Loop: Header=BB823_91 Depth=1
	s_or_b64 exec, exec, s[40:41]
	s_addk_i32 s50, 0xc000
	s_add_i32 s43, s43, 16
	s_addk_i32 s46, 0xf000
	s_cmp_eq_u32 s50, 0xffff0000
	v_add_u32_e32 v59, 0x1000, v59
	s_barrier
	s_cbranch_scc1 .LBB823_131
.LBB823_91:                             ; =>This Inner Loop Header: Depth=1
	v_add_u32_e32 v8, s46, v10
	v_cmp_gt_u32_e64 s[38:39], s47, v8
	s_and_saveexec_b64 s[40:41], s[38:39]
; %bb.92:                               ;   in Loop: Header=BB823_91 Depth=1
	v_add_u32_e32 v8, s50, v30
	ds_write_b32 v8, v5
; %bb.93:                               ;   in Loop: Header=BB823_91 Depth=1
	s_or_b64 exec, exec, s[40:41]
	v_add_u32_e32 v8, s46, v28
	v_cmp_gt_u32_e64 s[38:39], s47, v8
	s_and_saveexec_b64 s[40:41], s[38:39]
; %bb.94:                               ;   in Loop: Header=BB823_91 Depth=1
	v_add_u32_e32 v8, s50, v33
	ds_write_b32 v8, v14
; %bb.95:                               ;   in Loop: Header=BB823_91 Depth=1
	s_or_b64 exec, exec, s[40:41]
	;; [unrolled: 8-line block ×4, first 2 shown]
	v_add_u32_e32 v8, s46, v38
	v_cmp_gt_u32_e64 s[38:39], s47, v8
	s_and_saveexec_b64 s[40:41], s[38:39]
; %bb.100:                              ;   in Loop: Header=BB823_91 Depth=1
	v_add_u32_e32 v8, s50, v43
	ds_write_b32 v8, v17
; %bb.101:                              ;   in Loop: Header=BB823_91 Depth=1
	s_or_b64 exec, exec, s[40:41]
	v_add_u32_e32 v8, s46, v42
	v_cmp_gt_u32_e64 s[38:39], s47, v8
	s_and_saveexec_b64 s[40:41], s[38:39]
; %bb.102:                              ;   in Loop: Header=BB823_91 Depth=1
	v_add_u32_e32 v8, s50, v47
	ds_write_b32 v8, v16
; %bb.103:                              ;   in Loop: Header=BB823_91 Depth=1
	s_or_b64 exec, exec, s[40:41]
	;; [unrolled: 8-line block ×12, first 2 shown]
	v_cmp_gt_u32_e64 s[38:39], s3, v59
	s_waitcnt lgkmcnt(0)
	s_barrier
	s_and_saveexec_b64 s[40:41], s[38:39]
	s_cbranch_execz .LBB823_125
; %bb.124:                              ;   in Loop: Header=BB823_91 Depth=1
	ds_read_b32 v8, v37 offset:1024
	s_waitcnt lgkmcnt(0)
	v_lshrrev_b32_e32 v60, s64, v8
	v_and_b32_e32 v62, s71, v60
	v_lshlrev_b32_e32 v60, 2, v62
	ds_read_b32 v60, v60
	v_xor_b32_e32 v63, 0x80000000, v8
	s_waitcnt lgkmcnt(0)
	v_add_u32_e32 v8, v59, v60
	v_lshl_add_u64 v[60:61], v[8:9], 2, s[54:55]
	global_store_dword v[60:61], v63, off
	scratch_store_dword off, v62, s43
.LBB823_125:                            ;   in Loop: Header=BB823_91 Depth=1
	s_or_b64 exec, exec, s[40:41]
	v_add_u32_e32 v8, 0x400, v59
	v_cmp_gt_u32_e64 s[38:39], s3, v8
	s_and_saveexec_b64 s[40:41], s[38:39]
	s_cbranch_execz .LBB823_127
; %bb.126:                              ;   in Loop: Header=BB823_91 Depth=1
	ds_read_b32 v8, v37 offset:5120
	s_add_i32 s38, s43, 4
	s_waitcnt lgkmcnt(0)
	v_lshrrev_b32_e32 v60, s64, v8
	v_and_b32_e32 v62, s71, v60
	v_lshlrev_b32_e32 v60, 2, v62
	ds_read_b32 v60, v60
	v_xor_b32_e32 v63, 0x80000000, v8
	s_waitcnt lgkmcnt(0)
	v_add3_u32 v8, v59, v60, s42
	v_lshl_add_u64 v[60:61], v[8:9], 2, s[54:55]
	global_store_dword v[60:61], v63, off
	scratch_store_dword off, v62, s38
.LBB823_127:                            ;   in Loop: Header=BB823_91 Depth=1
	s_or_b64 exec, exec, s[40:41]
	v_add_u32_e32 v8, 0x800, v59
	v_cmp_gt_u32_e64 s[38:39], s3, v8
	s_and_saveexec_b64 s[40:41], s[38:39]
	s_cbranch_execz .LBB823_129
; %bb.128:                              ;   in Loop: Header=BB823_91 Depth=1
	ds_read_b32 v8, v37 offset:9216
	s_add_i32 s38, s43, 8
	s_waitcnt lgkmcnt(0)
	v_lshrrev_b32_e32 v60, s64, v8
	v_and_b32_e32 v62, s71, v60
	v_lshlrev_b32_e32 v60, 2, v62
	ds_read_b32 v60, v60
	v_xor_b32_e32 v63, 0x80000000, v8
	s_waitcnt lgkmcnt(0)
	v_add3_u32 v8, v59, v60, s48
	v_lshl_add_u64 v[60:61], v[8:9], 2, s[54:55]
	global_store_dword v[60:61], v63, off
	scratch_store_dword off, v62, s38
.LBB823_129:                            ;   in Loop: Header=BB823_91 Depth=1
	s_or_b64 exec, exec, s[40:41]
	v_add_u32_e32 v8, 0xc00, v59
	v_cmp_gt_u32_e64 s[38:39], s3, v8
	s_and_saveexec_b64 s[40:41], s[38:39]
	s_cbranch_execz .LBB823_90
; %bb.130:                              ;   in Loop: Header=BB823_91 Depth=1
	ds_read_b32 v8, v37 offset:13312
	s_add_i32 s38, s43, 12
	s_waitcnt lgkmcnt(0)
	v_lshrrev_b32_e32 v60, s64, v8
	v_and_b32_e32 v62, s71, v60
	v_lshlrev_b32_e32 v60, 2, v62
	ds_read_b32 v60, v60
	v_xor_b32_e32 v63, 0x80000000, v8
	s_waitcnt lgkmcnt(0)
	v_add3_u32 v8, v59, v60, s49
	v_lshl_add_u64 v[60:61], v[8:9], 2, s[54:55]
	global_store_dword v[60:61], v63, off
	scratch_store_dword off, v62, s38
	s_branch .LBB823_90
.LBB823_131:
	s_add_u32 s38, s56, s66
	s_addc_u32 s39, s57, s67
	v_mov_b32_e32 v5, 0
	v_lshl_add_u64 v[8:9], s[38:39], 0, v[4:5]
	v_mov_b32_e32 v7, v5
	v_lshl_add_u64 v[4:5], v[8:9], 0, v[6:7]
                                        ; implicit-def: $vgpr6
	s_and_saveexec_b64 s[38:39], vcc
	s_cbranch_execz .LBB823_147
; %bb.132:
	global_load_dword v6, v[4:5], off
	s_or_b64 exec, exec, s[38:39]
                                        ; implicit-def: $vgpr7
	s_and_saveexec_b64 s[38:39], s[4:5]
	s_cbranch_execnz .LBB823_148
.LBB823_133:
	s_or_b64 exec, exec, s[38:39]
                                        ; implicit-def: $vgpr8
	s_and_saveexec_b64 s[4:5], s[6:7]
	s_cbranch_execz .LBB823_149
.LBB823_134:
	global_load_dword v8, v[4:5], off offset:512
	s_or_b64 exec, exec, s[4:5]
                                        ; implicit-def: $vgpr9
	s_and_saveexec_b64 s[4:5], s[8:9]
	s_cbranch_execnz .LBB823_150
.LBB823_135:
	s_or_b64 exec, exec, s[4:5]
                                        ; implicit-def: $vgpr14
	s_and_saveexec_b64 s[4:5], s[10:11]
	s_cbranch_execz .LBB823_151
.LBB823_136:
	global_load_dword v14, v[4:5], off offset:1024
	s_or_b64 exec, exec, s[4:5]
                                        ; implicit-def: $vgpr15
	s_and_saveexec_b64 s[4:5], s[12:13]
	s_cbranch_execnz .LBB823_152
.LBB823_137:
	s_or_b64 exec, exec, s[4:5]
                                        ; implicit-def: $vgpr16
	s_and_saveexec_b64 s[4:5], s[14:15]
	s_cbranch_execz .LBB823_153
.LBB823_138:
	global_load_dword v16, v[4:5], off offset:1536
	s_or_b64 exec, exec, s[4:5]
                                        ; implicit-def: $vgpr17
	s_and_saveexec_b64 s[4:5], s[16:17]
	s_cbranch_execnz .LBB823_154
.LBB823_139:
	s_or_b64 exec, exec, s[4:5]
                                        ; implicit-def: $vgpr18
	s_and_saveexec_b64 s[4:5], s[18:19]
	s_cbranch_execz .LBB823_155
.LBB823_140:
	global_load_dword v18, v[4:5], off offset:2048
	s_or_b64 exec, exec, s[4:5]
                                        ; implicit-def: $vgpr19
	s_and_saveexec_b64 s[4:5], s[20:21]
	s_cbranch_execnz .LBB823_156
.LBB823_141:
	s_or_b64 exec, exec, s[4:5]
                                        ; implicit-def: $vgpr20
	s_and_saveexec_b64 s[4:5], s[22:23]
	s_cbranch_execz .LBB823_157
.LBB823_142:
	global_load_dword v20, v[4:5], off offset:2560
	s_or_b64 exec, exec, s[4:5]
                                        ; implicit-def: $vgpr21
	s_and_saveexec_b64 s[4:5], s[24:25]
	s_cbranch_execnz .LBB823_158
.LBB823_143:
	s_or_b64 exec, exec, s[4:5]
                                        ; implicit-def: $vgpr22
	s_and_saveexec_b64 s[4:5], s[26:27]
	s_cbranch_execz .LBB823_159
.LBB823_144:
	global_load_dword v22, v[4:5], off offset:3072
	s_or_b64 exec, exec, s[4:5]
                                        ; implicit-def: $vgpr23
	s_and_saveexec_b64 s[4:5], s[28:29]
	s_cbranch_execnz .LBB823_160
.LBB823_145:
	s_or_b64 exec, exec, s[4:5]
                                        ; implicit-def: $vgpr24
	s_and_saveexec_b64 s[4:5], s[30:31]
	s_cbranch_execz .LBB823_161
.LBB823_146:
	global_load_dword v24, v[4:5], off offset:3584
	s_or_b64 exec, exec, s[4:5]
                                        ; implicit-def: $vgpr25
	s_and_saveexec_b64 s[4:5], s[34:35]
	s_cbranch_execnz .LBB823_162
	s_branch .LBB823_163
.LBB823_147:
	s_or_b64 exec, exec, s[38:39]
                                        ; implicit-def: $vgpr7
	s_and_saveexec_b64 s[38:39], s[4:5]
	s_cbranch_execz .LBB823_133
.LBB823_148:
	global_load_dword v7, v[4:5], off offset:256
	s_or_b64 exec, exec, s[38:39]
                                        ; implicit-def: $vgpr8
	s_and_saveexec_b64 s[4:5], s[6:7]
	s_cbranch_execnz .LBB823_134
.LBB823_149:
	s_or_b64 exec, exec, s[4:5]
                                        ; implicit-def: $vgpr9
	s_and_saveexec_b64 s[4:5], s[8:9]
	s_cbranch_execz .LBB823_135
.LBB823_150:
	global_load_dword v9, v[4:5], off offset:768
	s_or_b64 exec, exec, s[4:5]
                                        ; implicit-def: $vgpr14
	s_and_saveexec_b64 s[4:5], s[10:11]
	s_cbranch_execnz .LBB823_136
.LBB823_151:
	s_or_b64 exec, exec, s[4:5]
                                        ; implicit-def: $vgpr15
	s_and_saveexec_b64 s[4:5], s[12:13]
	s_cbranch_execz .LBB823_137
.LBB823_152:
	global_load_dword v15, v[4:5], off offset:1280
	s_or_b64 exec, exec, s[4:5]
                                        ; implicit-def: $vgpr16
	s_and_saveexec_b64 s[4:5], s[14:15]
	s_cbranch_execnz .LBB823_138
.LBB823_153:
	s_or_b64 exec, exec, s[4:5]
                                        ; implicit-def: $vgpr17
	s_and_saveexec_b64 s[4:5], s[16:17]
	s_cbranch_execz .LBB823_139
.LBB823_154:
	global_load_dword v17, v[4:5], off offset:1792
	s_or_b64 exec, exec, s[4:5]
                                        ; implicit-def: $vgpr18
	s_and_saveexec_b64 s[4:5], s[18:19]
	s_cbranch_execnz .LBB823_140
.LBB823_155:
	s_or_b64 exec, exec, s[4:5]
                                        ; implicit-def: $vgpr19
	s_and_saveexec_b64 s[4:5], s[20:21]
	s_cbranch_execz .LBB823_141
.LBB823_156:
	global_load_dword v19, v[4:5], off offset:2304
	s_or_b64 exec, exec, s[4:5]
                                        ; implicit-def: $vgpr20
	s_and_saveexec_b64 s[4:5], s[22:23]
	s_cbranch_execnz .LBB823_142
.LBB823_157:
	s_or_b64 exec, exec, s[4:5]
                                        ; implicit-def: $vgpr21
	s_and_saveexec_b64 s[4:5], s[24:25]
	s_cbranch_execz .LBB823_143
.LBB823_158:
	global_load_dword v21, v[4:5], off offset:2816
	s_or_b64 exec, exec, s[4:5]
                                        ; implicit-def: $vgpr22
	s_and_saveexec_b64 s[4:5], s[26:27]
	s_cbranch_execnz .LBB823_144
.LBB823_159:
	s_or_b64 exec, exec, s[4:5]
                                        ; implicit-def: $vgpr23
	s_and_saveexec_b64 s[4:5], s[28:29]
	s_cbranch_execz .LBB823_145
.LBB823_160:
	global_load_dword v23, v[4:5], off offset:3328
	s_or_b64 exec, exec, s[4:5]
                                        ; implicit-def: $vgpr24
	s_and_saveexec_b64 s[4:5], s[30:31]
	s_cbranch_execnz .LBB823_146
.LBB823_161:
	s_or_b64 exec, exec, s[4:5]
                                        ; implicit-def: $vgpr25
	s_and_saveexec_b64 s[4:5], s[34:35]
	s_cbranch_execz .LBB823_163
.LBB823_162:
	global_load_dword v25, v[4:5], off offset:3840
.LBB823_163:
	s_or_b64 exec, exec, s[4:5]
	s_mov_b32 s6, 0
	s_mov_b32 s7, 0
	s_movk_i32 s8, 0x1000
	v_mov_b32_e32 v5, 0
	s_movk_i32 s9, 0x400
	s_movk_i32 s10, 0x800
	;; [unrolled: 1-line block ×3, first 2 shown]
	s_mov_b32 s12, 0
	v_mov_b32_e32 v26, v2
	s_branch .LBB823_165
.LBB823_164:                            ;   in Loop: Header=BB823_165 Depth=1
	s_or_b64 exec, exec, s[4:5]
	s_addk_i32 s12, 0xc000
	s_addk_i32 s7, 0xf000
	s_add_i32 s6, s6, 16
	s_cmp_eq_u32 s12, 0xffff0000
	v_add_u32_e32 v26, 0x1000, v26
	s_barrier
	s_cbranch_scc1 .LBB823_205
.LBB823_165:                            ; =>This Inner Loop Header: Depth=1
	v_add_u32_e32 v4, s7, v10
	v_cmp_gt_u32_e32 vcc, s8, v4
	s_and_saveexec_b64 s[4:5], vcc
	s_cbranch_execz .LBB823_167
; %bb.166:                              ;   in Loop: Header=BB823_165 Depth=1
	v_add_u32_e32 v4, s12, v30
	s_waitcnt vmcnt(0)
	ds_write_b32 v4, v6
.LBB823_167:                            ;   in Loop: Header=BB823_165 Depth=1
	s_or_b64 exec, exec, s[4:5]
	v_add_u32_e32 v4, s7, v28
	v_cmp_gt_u32_e32 vcc, s8, v4
	s_and_saveexec_b64 s[4:5], vcc
	s_cbranch_execz .LBB823_169
; %bb.168:                              ;   in Loop: Header=BB823_165 Depth=1
	v_add_u32_e32 v4, s12, v33
	s_waitcnt vmcnt(0)
	ds_write_b32 v4, v7
.LBB823_169:                            ;   in Loop: Header=BB823_165 Depth=1
	s_or_b64 exec, exec, s[4:5]
	;; [unrolled: 10-line block ×16, first 2 shown]
	v_cmp_gt_u32_e32 vcc, s3, v26
	s_waitcnt lgkmcnt(0)
	s_barrier
	s_and_saveexec_b64 s[4:5], vcc
	s_cbranch_execz .LBB823_199
; %bb.198:                              ;   in Loop: Header=BB823_165 Depth=1
	scratch_load_dword v4, off, s6
	s_waitcnt vmcnt(0)
	v_lshlrev_b32_e32 v4, 2, v4
	ds_read_b32 v4, v4
	ds_read_b32 v27, v37 offset:1024
	s_waitcnt lgkmcnt(1)
	v_add_u32_e32 v4, v26, v4
	v_lshl_add_u64 v[60:61], v[4:5], 2, s[58:59]
	s_waitcnt lgkmcnt(0)
	global_store_dword v[60:61], v27, off
.LBB823_199:                            ;   in Loop: Header=BB823_165 Depth=1
	s_or_b64 exec, exec, s[4:5]
	v_add_u32_e32 v4, 0x400, v26
	v_cmp_gt_u32_e32 vcc, s3, v4
	s_and_saveexec_b64 s[4:5], vcc
	s_cbranch_execz .LBB823_201
; %bb.200:                              ;   in Loop: Header=BB823_165 Depth=1
	s_add_i32 s13, s6, 4
	scratch_load_dword v4, off, s13
	s_waitcnt vmcnt(0)
	v_lshlrev_b32_e32 v4, 2, v4
	ds_read_b32 v4, v4
	ds_read_b32 v27, v37 offset:5120
	s_waitcnt lgkmcnt(1)
	v_add3_u32 v4, v26, v4, s9
	v_lshl_add_u64 v[60:61], v[4:5], 2, s[58:59]
	s_waitcnt lgkmcnt(0)
	global_store_dword v[60:61], v27, off
.LBB823_201:                            ;   in Loop: Header=BB823_165 Depth=1
	s_or_b64 exec, exec, s[4:5]
	v_add_u32_e32 v4, 0x800, v26
	v_cmp_gt_u32_e32 vcc, s3, v4
	s_and_saveexec_b64 s[4:5], vcc
	s_cbranch_execz .LBB823_203
; %bb.202:                              ;   in Loop: Header=BB823_165 Depth=1
	s_add_i32 s13, s6, 8
	scratch_load_dword v4, off, s13
	s_waitcnt vmcnt(0)
	v_lshlrev_b32_e32 v4, 2, v4
	ds_read_b32 v4, v4
	ds_read_b32 v27, v37 offset:9216
	s_waitcnt lgkmcnt(1)
	v_add3_u32 v4, v26, v4, s10
	v_lshl_add_u64 v[60:61], v[4:5], 2, s[58:59]
	s_waitcnt lgkmcnt(0)
	global_store_dword v[60:61], v27, off
.LBB823_203:                            ;   in Loop: Header=BB823_165 Depth=1
	s_or_b64 exec, exec, s[4:5]
	v_add_u32_e32 v4, 0xc00, v26
	v_cmp_gt_u32_e32 vcc, s3, v4
	s_and_saveexec_b64 s[4:5], vcc
	s_cbranch_execz .LBB823_164
; %bb.204:                              ;   in Loop: Header=BB823_165 Depth=1
	s_add_i32 s13, s6, 12
	scratch_load_dword v4, off, s13
	s_waitcnt vmcnt(0)
	v_lshlrev_b32_e32 v4, 2, v4
	ds_read_b32 v4, v4
	ds_read_b32 v27, v37 offset:13312
	s_waitcnt lgkmcnt(1)
	v_add3_u32 v4, v26, v4, s11
	v_lshl_add_u64 v[60:61], v[4:5], 2, s[58:59]
	s_waitcnt lgkmcnt(0)
	global_store_dword v[60:61], v27, off
	s_branch .LBB823_164
.LBB823_205:
	s_add_i32 s70, s70, -1
	s_cmp_eq_u32 s33, s70
	s_cselect_b64 s[4:5], -1, 0
	s_xor_b64 s[6:7], s[36:37], -1
	s_and_b64 s[6:7], s[6:7], s[4:5]
	s_and_saveexec_b64 s[4:5], s[6:7]
	s_cbranch_execz .LBB823_207
; %bb.206:
	ds_read_b32 v4, v37
	s_waitcnt lgkmcnt(0)
	v_add3_u32 v4, v32, v34, v4
	global_store_dword v37, v4, s[62:63]
.LBB823_207:
	s_or_b64 exec, exec, s[4:5]
	s_mov_b64 s[4:5], 0
.LBB823_208:
	s_and_b64 vcc, exec, s[4:5]
	s_cbranch_vccz .LBB823_331
; %bb.209:
	s_lshl_b32 s4, s33, 14
	s_mov_b32 s5, 0
	s_load_dword s12, s[0:1], 0x58
	s_load_dword s3, s[0:1], 0x64
	s_lshl_b64 s[8:9], s[4:5], 2
	v_mbcnt_hi_u32_b32 v10, -1, v3
	s_add_u32 s4, s52, s8
	v_and_b32_e32 v3, 63, v10
	s_waitcnt vmcnt(0)
	v_and_b32_e32 v6, 0x3c00, v1
	v_mov_b32_e32 v1, 0
	s_addc_u32 s5, s53, s9
	v_lshlrev_b32_e32 v4, 2, v3
	v_mov_b32_e32 v5, v1
	v_lshl_add_u64 v[8:9], s[4:5], 0, v[4:5]
	v_lshlrev_b32_e32 v6, 2, v6
	v_mov_b32_e32 v7, v1
	s_add_u32 s0, s0, 0x58
	v_lshl_add_u64 v[8:9], v[8:9], 0, v[6:7]
	s_addc_u32 s1, s1, 0
	s_waitcnt lgkmcnt(0)
	s_lshr_b32 s3, s3, 16
	global_load_dword v3, v[8:9], off
	s_cmp_lt_u32 s2, s12
	s_cselect_b32 s2, 12, 18
	s_add_u32 s0, s0, s2
	s_addc_u32 s1, s1, 0
	global_load_ushort v13, v1, s[0:1]
	v_mul_u32_u24_e32 v11, 20, v2
	ds_write2_b32 v11, v1, v1 offset0:16 offset1:17
	ds_write2_b32 v11, v1, v1 offset0:18 offset1:19
	ds_write_b32 v11, v1 offset:80
	global_load_dword v5, v[8:9], off offset:256
	global_load_dword v7, v[8:9], off offset:512
	;; [unrolled: 1-line block ×15, first 2 shown]
	v_bfe_u32 v14, v0, 10, 10
	v_bfe_u32 v0, v0, 20, 10
	v_mad_u32_u24 v8, v0, s3, v14
	s_lshl_b32 s0, -1, s65
	v_mov_b32_e32 v16, v1
	v_mov_b32_e32 v26, v1
	s_not_b32 s13, s0
	v_mov_b32_e32 v20, v1
	s_movk_i32 s6, 0x44
	s_waitcnt lgkmcnt(0)
	s_barrier
	s_waitcnt vmcnt(16)
	; wave barrier
	v_xor_b32_e32 v3, 0x80000000, v3
	v_lshrrev_b32_e32 v0, s64, v3
	v_bitop3_b32 v14, v0, s0, v0 bitop3:0x30
	v_and_b32_e32 v0, 1, v14
	v_lshlrev_b32_e32 v17, 30, v14
	v_lshlrev_b32_e32 v21, 29, v14
	;; [unrolled: 1-line block ×3, first 2 shown]
	s_waitcnt vmcnt(15)
	v_mad_u64_u32 v[8:9], s[0:1], v8, v13, v[2:3]
	v_lshl_add_u64 v[32:33], v[0:1], 0, -1
	v_cmp_ne_u32_e32 vcc, 0, v0
	v_not_b32_e32 v0, v17
	v_cmp_gt_i64_e64 s[0:1], 0, v[16:17]
	v_not_b32_e32 v9, v21
	v_cmp_gt_i64_e64 s[4:5], 0, v[26:27]
	v_not_b32_e32 v13, v27
	v_lshrrev_b32_e32 v27, 6, v8
	v_xor_b32_e32 v8, vcc_hi, v33
	v_ashrrev_i32_e32 v0, 31, v0
	v_cmp_gt_i64_e64 s[2:3], 0, v[20:21]
	v_xor_b32_e32 v16, vcc_lo, v32
	v_ashrrev_i32_e32 v9, 31, v9
	v_and_b32_e32 v8, exec_hi, v8
	v_xor_b32_e32 v17, s1, v0
	v_ashrrev_i32_e32 v13, 31, v13
	v_and_b32_e32 v16, exec_lo, v16
	v_xor_b32_e32 v0, s0, v0
	v_xor_b32_e32 v20, s3, v9
	v_and_b32_e32 v8, v8, v17
	v_xor_b32_e32 v9, s2, v9
	v_xor_b32_e32 v21, s5, v13
	v_and_b32_e32 v0, v16, v0
	v_and_b32_e32 v8, v8, v20
	;; [unrolled: 1-line block ×4, first 2 shown]
	v_lshlrev_b32_e32 v9, 27, v14
	v_mov_b32_e32 v8, v1
	v_cmp_gt_i64_e32 vcc, 0, v[8:9]
	v_not_b32_e32 v8, v9
	v_xor_b32_e32 v13, s4, v13
	v_ashrrev_i32_e32 v8, 31, v8
	v_and_b32_e32 v0, v0, v13
	v_xor_b32_e32 v9, vcc_hi, v8
	v_xor_b32_e32 v8, vcc_lo, v8
	v_and_b32_e32 v13, v16, v9
	v_and_b32_e32 v0, v0, v8
	v_lshlrev_b32_e32 v9, 26, v14
	v_mov_b32_e32 v8, v1
	v_cmp_gt_i64_e32 vcc, 0, v[8:9]
	v_not_b32_e32 v8, v9
	v_ashrrev_i32_e32 v8, 31, v8
	v_xor_b32_e32 v9, vcc_hi, v8
	v_xor_b32_e32 v8, vcc_lo, v8
	v_and_b32_e32 v13, v13, v9
	v_and_b32_e32 v0, v0, v8
	v_lshlrev_b32_e32 v9, 25, v14
	v_mov_b32_e32 v8, v1
	v_cmp_gt_i64_e32 vcc, 0, v[8:9]
	v_not_b32_e32 v8, v9
	v_ashrrev_i32_e32 v8, 31, v8
	;; [unrolled: 9-line block ×3, first 2 shown]
	v_xor_b32_e32 v9, vcc_hi, v8
	v_xor_b32_e32 v8, vcc_lo, v8
	v_and_b32_e32 v8, v0, v8
	v_and_b32_e32 v9, v13, v9
	v_mbcnt_lo_u32_b32 v0, v8, 0
	v_mul_lo_u32 v18, v14, s6
	v_mbcnt_hi_u32_b32 v14, v9, v0
	v_cmp_eq_u32_e32 vcc, 0, v14
	v_cmp_ne_u64_e64 s[0:1], 0, v[8:9]
	v_lshl_add_u32 v18, v27, 2, v18
	s_and_b64 s[2:3], s[0:1], vcc
	s_and_saveexec_b64 s[0:1], s[2:3]
; %bb.210:
	v_bcnt_u32_b32 v0, v8, 0
	v_bcnt_u32_b32 v0, v9, v0
	ds_write_b32 v18, v0 offset:64
; %bb.211:
	s_or_b64 exec, exec, s[0:1]
	s_waitcnt vmcnt(14)
	v_xor_b32_e32 v5, 0x80000000, v5
	v_lshrrev_b32_e32 v0, s64, v5
	v_and_b32_e32 v16, s13, v0
	v_mul_lo_u32 v0, v16, s6
	v_lshl_add_u32 v21, v27, 2, v0
	v_and_b32_e32 v0, 1, v16
	v_lshl_add_u64 v[8:9], v[0:1], 0, -1
	v_cmp_ne_u32_e32 vcc, 0, v0
	; wave barrier
	s_nop 1
	v_xor_b32_e32 v8, vcc_lo, v8
	v_xor_b32_e32 v0, vcc_hi, v9
	v_and_b32_e32 v17, exec_lo, v8
	v_lshlrev_b32_e32 v9, 30, v16
	v_mov_b32_e32 v8, v1
	v_cmp_gt_i64_e32 vcc, 0, v[8:9]
	v_not_b32_e32 v8, v9
	v_ashrrev_i32_e32 v8, 31, v8
	v_and_b32_e32 v0, exec_hi, v0
	v_xor_b32_e32 v9, vcc_hi, v8
	v_xor_b32_e32 v8, vcc_lo, v8
	v_and_b32_e32 v0, v0, v9
	v_and_b32_e32 v17, v17, v8
	v_lshlrev_b32_e32 v9, 29, v16
	v_mov_b32_e32 v8, v1
	v_cmp_gt_i64_e32 vcc, 0, v[8:9]
	v_not_b32_e32 v8, v9
	v_ashrrev_i32_e32 v8, 31, v8
	v_xor_b32_e32 v9, vcc_hi, v8
	v_xor_b32_e32 v8, vcc_lo, v8
	v_and_b32_e32 v0, v0, v9
	v_and_b32_e32 v17, v17, v8
	v_lshlrev_b32_e32 v9, 28, v16
	v_mov_b32_e32 v8, v1
	v_cmp_gt_i64_e32 vcc, 0, v[8:9]
	v_not_b32_e32 v8, v9
	v_ashrrev_i32_e32 v8, 31, v8
	v_xor_b32_e32 v9, vcc_hi, v8
	v_xor_b32_e32 v8, vcc_lo, v8
	v_and_b32_e32 v0, v0, v9
	v_and_b32_e32 v17, v17, v8
	v_lshlrev_b32_e32 v9, 27, v16
	v_mov_b32_e32 v8, v1
	v_cmp_gt_i64_e32 vcc, 0, v[8:9]
	v_not_b32_e32 v8, v9
	v_ashrrev_i32_e32 v8, 31, v8
	v_xor_b32_e32 v9, vcc_hi, v8
	v_xor_b32_e32 v8, vcc_lo, v8
	v_and_b32_e32 v0, v0, v9
	v_and_b32_e32 v17, v17, v8
	v_lshlrev_b32_e32 v9, 26, v16
	v_mov_b32_e32 v8, v1
	v_cmp_gt_i64_e32 vcc, 0, v[8:9]
	v_not_b32_e32 v8, v9
	v_ashrrev_i32_e32 v8, 31, v8
	v_xor_b32_e32 v9, vcc_hi, v8
	v_xor_b32_e32 v8, vcc_lo, v8
	v_and_b32_e32 v0, v0, v9
	v_and_b32_e32 v17, v17, v8
	v_lshlrev_b32_e32 v9, 25, v16
	v_mov_b32_e32 v8, v1
	v_cmp_gt_i64_e32 vcc, 0, v[8:9]
	v_not_b32_e32 v8, v9
	v_ashrrev_i32_e32 v8, 31, v8
	v_xor_b32_e32 v9, vcc_hi, v8
	v_xor_b32_e32 v8, vcc_lo, v8
	v_and_b32_e32 v0, v0, v9
	v_lshlrev_b32_e32 v9, 24, v16
	v_and_b32_e32 v17, v17, v8
	v_mov_b32_e32 v8, v1
	v_not_b32_e32 v1, v9
	v_cmp_gt_i64_e32 vcc, 0, v[8:9]
	v_ashrrev_i32_e32 v1, 31, v1
	ds_read_b32 v13, v21 offset:64
	v_xor_b32_e32 v8, vcc_hi, v1
	v_xor_b32_e32 v9, vcc_lo, v1
	v_and_b32_e32 v1, v0, v8
	v_and_b32_e32 v0, v17, v9
	v_mbcnt_lo_u32_b32 v8, v0, 0
	v_mbcnt_hi_u32_b32 v16, v1, v8
	v_cmp_eq_u32_e32 vcc, 0, v16
	v_cmp_ne_u64_e64 s[0:1], 0, v[0:1]
	s_and_b64 s[2:3], s[0:1], vcc
	; wave barrier
	s_and_saveexec_b64 s[0:1], s[2:3]
	s_cbranch_execz .LBB823_213
; %bb.212:
	v_bcnt_u32_b32 v0, v0, 0
	v_bcnt_u32_b32 v0, v1, v0
	s_waitcnt lgkmcnt(0)
	v_add_u32_e32 v0, v13, v0
	ds_write_b32 v21, v0 offset:64
.LBB823_213:
	s_or_b64 exec, exec, s[0:1]
	s_waitcnt vmcnt(13)
	v_xor_b32_e32 v7, 0x80000000, v7
	v_lshrrev_b32_e32 v0, s64, v7
	v_and_b32_e32 v20, s13, v0
	s_movk_i32 s2, 0x44
	v_mul_lo_u32 v0, v20, s2
	v_lshl_add_u32 v26, v27, 2, v0
	v_and_b32_e32 v0, 1, v20
	v_mov_b32_e32 v1, 0
	v_lshl_add_u64 v[8:9], v[0:1], 0, -1
	v_cmp_ne_u32_e32 vcc, 0, v0
	; wave barrier
	s_nop 1
	v_xor_b32_e32 v8, vcc_lo, v8
	v_xor_b32_e32 v0, vcc_hi, v9
	v_and_b32_e32 v22, exec_lo, v8
	v_lshlrev_b32_e32 v9, 30, v20
	v_mov_b32_e32 v8, v1
	v_cmp_gt_i64_e32 vcc, 0, v[8:9]
	v_not_b32_e32 v8, v9
	v_ashrrev_i32_e32 v8, 31, v8
	v_and_b32_e32 v0, exec_hi, v0
	v_xor_b32_e32 v9, vcc_hi, v8
	v_xor_b32_e32 v8, vcc_lo, v8
	v_and_b32_e32 v0, v0, v9
	v_and_b32_e32 v22, v22, v8
	v_lshlrev_b32_e32 v9, 29, v20
	v_mov_b32_e32 v8, v1
	v_cmp_gt_i64_e32 vcc, 0, v[8:9]
	v_not_b32_e32 v8, v9
	v_ashrrev_i32_e32 v8, 31, v8
	v_xor_b32_e32 v9, vcc_hi, v8
	v_xor_b32_e32 v8, vcc_lo, v8
	v_and_b32_e32 v0, v0, v9
	v_and_b32_e32 v22, v22, v8
	v_lshlrev_b32_e32 v9, 28, v20
	v_mov_b32_e32 v8, v1
	v_cmp_gt_i64_e32 vcc, 0, v[8:9]
	v_not_b32_e32 v8, v9
	v_ashrrev_i32_e32 v8, 31, v8
	;; [unrolled: 9-line block ×6, first 2 shown]
	v_xor_b32_e32 v9, vcc_hi, v8
	v_xor_b32_e32 v8, vcc_lo, v8
	ds_read_b32 v17, v26 offset:64
	v_and_b32_e32 v8, v22, v8
	v_and_b32_e32 v9, v0, v9
	v_mbcnt_lo_u32_b32 v0, v8, 0
	v_mbcnt_hi_u32_b32 v20, v9, v0
	v_cmp_eq_u32_e32 vcc, 0, v20
	v_cmp_ne_u64_e64 s[0:1], 0, v[8:9]
	s_and_b64 s[4:5], s[0:1], vcc
	; wave barrier
	s_and_saveexec_b64 s[0:1], s[4:5]
	s_cbranch_execz .LBB823_215
; %bb.214:
	v_bcnt_u32_b32 v0, v8, 0
	v_bcnt_u32_b32 v0, v9, v0
	s_waitcnt lgkmcnt(0)
	v_add_u32_e32 v0, v17, v0
	ds_write_b32 v26, v0 offset:64
.LBB823_215:
	s_or_b64 exec, exec, s[0:1]
	s_waitcnt vmcnt(12)
	v_xor_b32_e32 v12, 0x80000000, v12
	v_lshrrev_b32_e32 v0, s64, v12
	v_and_b32_e32 v24, s13, v0
	v_mul_lo_u32 v0, v24, s2
	v_lshl_add_u32 v32, v27, 2, v0
	v_and_b32_e32 v0, 1, v24
	v_lshl_add_u64 v[8:9], v[0:1], 0, -1
	v_cmp_ne_u32_e32 vcc, 0, v0
	; wave barrier
	s_nop 1
	v_xor_b32_e32 v8, vcc_lo, v8
	v_xor_b32_e32 v0, vcc_hi, v9
	v_and_b32_e32 v28, exec_lo, v8
	v_lshlrev_b32_e32 v9, 30, v24
	v_mov_b32_e32 v8, v1
	v_cmp_gt_i64_e32 vcc, 0, v[8:9]
	v_not_b32_e32 v8, v9
	v_ashrrev_i32_e32 v8, 31, v8
	v_and_b32_e32 v0, exec_hi, v0
	v_xor_b32_e32 v9, vcc_hi, v8
	v_xor_b32_e32 v8, vcc_lo, v8
	v_and_b32_e32 v0, v0, v9
	v_and_b32_e32 v28, v28, v8
	v_lshlrev_b32_e32 v9, 29, v24
	v_mov_b32_e32 v8, v1
	v_cmp_gt_i64_e32 vcc, 0, v[8:9]
	v_not_b32_e32 v8, v9
	v_ashrrev_i32_e32 v8, 31, v8
	v_xor_b32_e32 v9, vcc_hi, v8
	v_xor_b32_e32 v8, vcc_lo, v8
	v_and_b32_e32 v0, v0, v9
	v_and_b32_e32 v28, v28, v8
	v_lshlrev_b32_e32 v9, 28, v24
	v_mov_b32_e32 v8, v1
	v_cmp_gt_i64_e32 vcc, 0, v[8:9]
	v_not_b32_e32 v8, v9
	v_ashrrev_i32_e32 v8, 31, v8
	;; [unrolled: 9-line block ×5, first 2 shown]
	v_xor_b32_e32 v9, vcc_hi, v8
	v_xor_b32_e32 v8, vcc_lo, v8
	v_and_b32_e32 v0, v0, v9
	v_lshlrev_b32_e32 v9, 24, v24
	v_and_b32_e32 v28, v28, v8
	v_mov_b32_e32 v8, v1
	v_not_b32_e32 v1, v9
	v_cmp_gt_i64_e32 vcc, 0, v[8:9]
	v_ashrrev_i32_e32 v1, 31, v1
	ds_read_b32 v22, v32 offset:64
	v_xor_b32_e32 v8, vcc_hi, v1
	v_xor_b32_e32 v9, vcc_lo, v1
	v_and_b32_e32 v1, v0, v8
	v_and_b32_e32 v0, v28, v9
	v_mbcnt_lo_u32_b32 v8, v0, 0
	v_mbcnt_hi_u32_b32 v24, v1, v8
	v_cmp_eq_u32_e32 vcc, 0, v24
	v_cmp_ne_u64_e64 s[0:1], 0, v[0:1]
	s_and_b64 s[2:3], s[0:1], vcc
	; wave barrier
	s_and_saveexec_b64 s[0:1], s[2:3]
	s_cbranch_execz .LBB823_217
; %bb.216:
	v_bcnt_u32_b32 v0, v0, 0
	v_bcnt_u32_b32 v0, v1, v0
	s_waitcnt lgkmcnt(0)
	v_add_u32_e32 v0, v22, v0
	ds_write_b32 v32, v0 offset:64
.LBB823_217:
	s_or_b64 exec, exec, s[0:1]
	s_waitcnt vmcnt(11)
	v_xor_b32_e32 v15, 0x80000000, v15
	v_lshrrev_b32_e32 v0, s64, v15
	v_and_b32_e32 v30, s13, v0
	s_movk_i32 s2, 0x44
	v_mul_lo_u32 v0, v30, s2
	v_lshl_add_u32 v37, v27, 2, v0
	v_and_b32_e32 v0, 1, v30
	v_mov_b32_e32 v1, 0
	v_lshl_add_u64 v[8:9], v[0:1], 0, -1
	v_cmp_ne_u32_e32 vcc, 0, v0
	; wave barrier
	s_nop 1
	v_xor_b32_e32 v8, vcc_lo, v8
	v_xor_b32_e32 v0, vcc_hi, v9
	v_and_b32_e32 v33, exec_lo, v8
	v_lshlrev_b32_e32 v9, 30, v30
	v_mov_b32_e32 v8, v1
	v_cmp_gt_i64_e32 vcc, 0, v[8:9]
	v_not_b32_e32 v8, v9
	v_ashrrev_i32_e32 v8, 31, v8
	v_and_b32_e32 v0, exec_hi, v0
	v_xor_b32_e32 v9, vcc_hi, v8
	v_xor_b32_e32 v8, vcc_lo, v8
	v_and_b32_e32 v0, v0, v9
	v_and_b32_e32 v33, v33, v8
	v_lshlrev_b32_e32 v9, 29, v30
	v_mov_b32_e32 v8, v1
	v_cmp_gt_i64_e32 vcc, 0, v[8:9]
	v_not_b32_e32 v8, v9
	v_ashrrev_i32_e32 v8, 31, v8
	v_xor_b32_e32 v9, vcc_hi, v8
	v_xor_b32_e32 v8, vcc_lo, v8
	v_and_b32_e32 v0, v0, v9
	v_and_b32_e32 v33, v33, v8
	v_lshlrev_b32_e32 v9, 28, v30
	v_mov_b32_e32 v8, v1
	v_cmp_gt_i64_e32 vcc, 0, v[8:9]
	v_not_b32_e32 v8, v9
	v_ashrrev_i32_e32 v8, 31, v8
	v_xor_b32_e32 v9, vcc_hi, v8
	v_xor_b32_e32 v8, vcc_lo, v8
	v_and_b32_e32 v0, v0, v9
	v_and_b32_e32 v33, v33, v8
	v_lshlrev_b32_e32 v9, 27, v30
	v_mov_b32_e32 v8, v1
	v_cmp_gt_i64_e32 vcc, 0, v[8:9]
	v_not_b32_e32 v8, v9
	v_ashrrev_i32_e32 v8, 31, v8
	v_xor_b32_e32 v9, vcc_hi, v8
	v_xor_b32_e32 v8, vcc_lo, v8
	v_and_b32_e32 v0, v0, v9
	v_and_b32_e32 v33, v33, v8
	v_lshlrev_b32_e32 v9, 26, v30
	v_mov_b32_e32 v8, v1
	v_cmp_gt_i64_e32 vcc, 0, v[8:9]
	v_not_b32_e32 v8, v9
	v_ashrrev_i32_e32 v8, 31, v8
	v_xor_b32_e32 v9, vcc_hi, v8
	v_xor_b32_e32 v8, vcc_lo, v8
	v_and_b32_e32 v0, v0, v9
	v_and_b32_e32 v33, v33, v8
	v_lshlrev_b32_e32 v9, 25, v30
	v_mov_b32_e32 v8, v1
	v_cmp_gt_i64_e32 vcc, 0, v[8:9]
	v_not_b32_e32 v8, v9
	v_ashrrev_i32_e32 v8, 31, v8
	v_xor_b32_e32 v9, vcc_hi, v8
	v_xor_b32_e32 v8, vcc_lo, v8
	v_and_b32_e32 v0, v0, v9
	v_and_b32_e32 v33, v33, v8
	v_lshlrev_b32_e32 v9, 24, v30
	v_mov_b32_e32 v8, v1
	v_cmp_gt_i64_e32 vcc, 0, v[8:9]
	v_not_b32_e32 v8, v9
	v_ashrrev_i32_e32 v8, 31, v8
	v_xor_b32_e32 v9, vcc_hi, v8
	v_xor_b32_e32 v8, vcc_lo, v8
	ds_read_b32 v28, v37 offset:64
	v_and_b32_e32 v8, v33, v8
	v_and_b32_e32 v9, v0, v9
	v_mbcnt_lo_u32_b32 v0, v8, 0
	v_mbcnt_hi_u32_b32 v30, v9, v0
	v_cmp_eq_u32_e32 vcc, 0, v30
	v_cmp_ne_u64_e64 s[0:1], 0, v[8:9]
	s_and_b64 s[4:5], s[0:1], vcc
	; wave barrier
	s_and_saveexec_b64 s[0:1], s[4:5]
	s_cbranch_execz .LBB823_219
; %bb.218:
	v_bcnt_u32_b32 v0, v8, 0
	v_bcnt_u32_b32 v0, v9, v0
	s_waitcnt lgkmcnt(0)
	v_add_u32_e32 v0, v28, v0
	ds_write_b32 v37, v0 offset:64
.LBB823_219:
	s_or_b64 exec, exec, s[0:1]
	s_waitcnt vmcnt(10)
	v_xor_b32_e32 v19, 0x80000000, v19
	v_lshrrev_b32_e32 v0, s64, v19
	v_and_b32_e32 v35, s13, v0
	v_mul_lo_u32 v0, v35, s2
	v_lshl_add_u32 v41, v27, 2, v0
	v_and_b32_e32 v0, 1, v35
	v_lshl_add_u64 v[8:9], v[0:1], 0, -1
	v_cmp_ne_u32_e32 vcc, 0, v0
	; wave barrier
	s_nop 1
	v_xor_b32_e32 v8, vcc_lo, v8
	v_xor_b32_e32 v0, vcc_hi, v9
	v_and_b32_e32 v38, exec_lo, v8
	v_lshlrev_b32_e32 v9, 30, v35
	v_mov_b32_e32 v8, v1
	v_cmp_gt_i64_e32 vcc, 0, v[8:9]
	v_not_b32_e32 v8, v9
	v_ashrrev_i32_e32 v8, 31, v8
	v_and_b32_e32 v0, exec_hi, v0
	v_xor_b32_e32 v9, vcc_hi, v8
	v_xor_b32_e32 v8, vcc_lo, v8
	v_and_b32_e32 v0, v0, v9
	v_and_b32_e32 v38, v38, v8
	v_lshlrev_b32_e32 v9, 29, v35
	v_mov_b32_e32 v8, v1
	v_cmp_gt_i64_e32 vcc, 0, v[8:9]
	v_not_b32_e32 v8, v9
	v_ashrrev_i32_e32 v8, 31, v8
	v_xor_b32_e32 v9, vcc_hi, v8
	v_xor_b32_e32 v8, vcc_lo, v8
	v_and_b32_e32 v0, v0, v9
	v_and_b32_e32 v38, v38, v8
	v_lshlrev_b32_e32 v9, 28, v35
	v_mov_b32_e32 v8, v1
	v_cmp_gt_i64_e32 vcc, 0, v[8:9]
	v_not_b32_e32 v8, v9
	v_ashrrev_i32_e32 v8, 31, v8
	;; [unrolled: 9-line block ×5, first 2 shown]
	v_xor_b32_e32 v9, vcc_hi, v8
	v_xor_b32_e32 v8, vcc_lo, v8
	v_and_b32_e32 v0, v0, v9
	v_lshlrev_b32_e32 v9, 24, v35
	v_and_b32_e32 v38, v38, v8
	v_mov_b32_e32 v8, v1
	v_not_b32_e32 v1, v9
	v_cmp_gt_i64_e32 vcc, 0, v[8:9]
	v_ashrrev_i32_e32 v1, 31, v1
	ds_read_b32 v33, v41 offset:64
	v_xor_b32_e32 v8, vcc_hi, v1
	v_xor_b32_e32 v9, vcc_lo, v1
	v_and_b32_e32 v1, v0, v8
	v_and_b32_e32 v0, v38, v9
	v_mbcnt_lo_u32_b32 v8, v0, 0
	v_mbcnt_hi_u32_b32 v35, v1, v8
	v_cmp_eq_u32_e32 vcc, 0, v35
	v_cmp_ne_u64_e64 s[0:1], 0, v[0:1]
	s_and_b64 s[2:3], s[0:1], vcc
	; wave barrier
	s_and_saveexec_b64 s[0:1], s[2:3]
	s_cbranch_execz .LBB823_221
; %bb.220:
	v_bcnt_u32_b32 v0, v0, 0
	v_bcnt_u32_b32 v0, v1, v0
	s_waitcnt lgkmcnt(0)
	v_add_u32_e32 v0, v33, v0
	ds_write_b32 v41, v0 offset:64
.LBB823_221:
	s_or_b64 exec, exec, s[0:1]
	s_waitcnt vmcnt(9)
	v_xor_b32_e32 v23, 0x80000000, v23
	v_lshrrev_b32_e32 v0, s64, v23
	v_and_b32_e32 v42, s13, v0
	s_movk_i32 s2, 0x44
	v_mul_lo_u32 v0, v42, s2
	v_lshl_add_u32 v46, v27, 2, v0
	v_and_b32_e32 v0, 1, v42
	v_mov_b32_e32 v1, 0
	v_lshl_add_u64 v[8:9], v[0:1], 0, -1
	v_cmp_ne_u32_e32 vcc, 0, v0
	; wave barrier
	s_nop 1
	v_xor_b32_e32 v8, vcc_lo, v8
	v_xor_b32_e32 v0, vcc_hi, v9
	v_and_b32_e32 v43, exec_lo, v8
	v_lshlrev_b32_e32 v9, 30, v42
	v_mov_b32_e32 v8, v1
	v_cmp_gt_i64_e32 vcc, 0, v[8:9]
	v_not_b32_e32 v8, v9
	v_ashrrev_i32_e32 v8, 31, v8
	v_and_b32_e32 v0, exec_hi, v0
	v_xor_b32_e32 v9, vcc_hi, v8
	v_xor_b32_e32 v8, vcc_lo, v8
	v_and_b32_e32 v0, v0, v9
	v_and_b32_e32 v43, v43, v8
	v_lshlrev_b32_e32 v9, 29, v42
	v_mov_b32_e32 v8, v1
	v_cmp_gt_i64_e32 vcc, 0, v[8:9]
	v_not_b32_e32 v8, v9
	v_ashrrev_i32_e32 v8, 31, v8
	v_xor_b32_e32 v9, vcc_hi, v8
	v_xor_b32_e32 v8, vcc_lo, v8
	v_and_b32_e32 v0, v0, v9
	v_and_b32_e32 v43, v43, v8
	v_lshlrev_b32_e32 v9, 28, v42
	v_mov_b32_e32 v8, v1
	v_cmp_gt_i64_e32 vcc, 0, v[8:9]
	v_not_b32_e32 v8, v9
	v_ashrrev_i32_e32 v8, 31, v8
	;; [unrolled: 9-line block ×6, first 2 shown]
	v_xor_b32_e32 v9, vcc_hi, v8
	v_xor_b32_e32 v8, vcc_lo, v8
	ds_read_b32 v38, v46 offset:64
	v_and_b32_e32 v8, v43, v8
	v_and_b32_e32 v9, v0, v9
	v_mbcnt_lo_u32_b32 v0, v8, 0
	v_mbcnt_hi_u32_b32 v42, v9, v0
	v_cmp_eq_u32_e32 vcc, 0, v42
	v_cmp_ne_u64_e64 s[0:1], 0, v[8:9]
	s_and_b64 s[4:5], s[0:1], vcc
	; wave barrier
	s_and_saveexec_b64 s[0:1], s[4:5]
	s_cbranch_execz .LBB823_223
; %bb.222:
	v_bcnt_u32_b32 v0, v8, 0
	v_bcnt_u32_b32 v0, v9, v0
	s_waitcnt lgkmcnt(0)
	v_add_u32_e32 v0, v38, v0
	ds_write_b32 v46, v0 offset:64
.LBB823_223:
	s_or_b64 exec, exec, s[0:1]
	s_waitcnt vmcnt(8)
	v_xor_b32_e32 v29, 0x80000000, v29
	v_lshrrev_b32_e32 v0, s64, v29
	v_and_b32_e32 v47, s13, v0
	v_mul_lo_u32 v0, v47, s2
	v_lshl_add_u32 v49, v27, 2, v0
	v_and_b32_e32 v0, 1, v47
	v_lshl_add_u64 v[8:9], v[0:1], 0, -1
	v_cmp_ne_u32_e32 vcc, 0, v0
	; wave barrier
	s_nop 1
	v_xor_b32_e32 v8, vcc_lo, v8
	v_xor_b32_e32 v0, vcc_hi, v9
	v_and_b32_e32 v48, exec_lo, v8
	v_lshlrev_b32_e32 v9, 30, v47
	v_mov_b32_e32 v8, v1
	v_cmp_gt_i64_e32 vcc, 0, v[8:9]
	v_not_b32_e32 v8, v9
	v_ashrrev_i32_e32 v8, 31, v8
	v_and_b32_e32 v0, exec_hi, v0
	v_xor_b32_e32 v9, vcc_hi, v8
	v_xor_b32_e32 v8, vcc_lo, v8
	v_and_b32_e32 v0, v0, v9
	v_and_b32_e32 v48, v48, v8
	v_lshlrev_b32_e32 v9, 29, v47
	v_mov_b32_e32 v8, v1
	v_cmp_gt_i64_e32 vcc, 0, v[8:9]
	v_not_b32_e32 v8, v9
	v_ashrrev_i32_e32 v8, 31, v8
	v_xor_b32_e32 v9, vcc_hi, v8
	v_xor_b32_e32 v8, vcc_lo, v8
	v_and_b32_e32 v0, v0, v9
	v_and_b32_e32 v48, v48, v8
	v_lshlrev_b32_e32 v9, 28, v47
	v_mov_b32_e32 v8, v1
	v_cmp_gt_i64_e32 vcc, 0, v[8:9]
	v_not_b32_e32 v8, v9
	v_ashrrev_i32_e32 v8, 31, v8
	;; [unrolled: 9-line block ×5, first 2 shown]
	v_xor_b32_e32 v9, vcc_hi, v8
	v_xor_b32_e32 v8, vcc_lo, v8
	v_and_b32_e32 v0, v0, v9
	v_lshlrev_b32_e32 v9, 24, v47
	v_and_b32_e32 v48, v48, v8
	v_mov_b32_e32 v8, v1
	v_not_b32_e32 v1, v9
	v_cmp_gt_i64_e32 vcc, 0, v[8:9]
	v_ashrrev_i32_e32 v1, 31, v1
	ds_read_b32 v43, v49 offset:64
	v_xor_b32_e32 v8, vcc_hi, v1
	v_xor_b32_e32 v9, vcc_lo, v1
	v_and_b32_e32 v1, v0, v8
	v_and_b32_e32 v0, v48, v9
	v_mbcnt_lo_u32_b32 v8, v0, 0
	v_mbcnt_hi_u32_b32 v47, v1, v8
	v_cmp_eq_u32_e32 vcc, 0, v47
	v_cmp_ne_u64_e64 s[0:1], 0, v[0:1]
	s_and_b64 s[2:3], s[0:1], vcc
	; wave barrier
	s_and_saveexec_b64 s[0:1], s[2:3]
	s_cbranch_execz .LBB823_225
; %bb.224:
	v_bcnt_u32_b32 v0, v0, 0
	v_bcnt_u32_b32 v0, v1, v0
	s_waitcnt lgkmcnt(0)
	v_add_u32_e32 v0, v43, v0
	ds_write_b32 v49, v0 offset:64
.LBB823_225:
	s_or_b64 exec, exec, s[0:1]
	s_waitcnt vmcnt(7)
	v_xor_b32_e32 v34, 0x80000000, v34
	v_lshrrev_b32_e32 v0, s64, v34
	v_and_b32_e32 v50, s13, v0
	s_movk_i32 s2, 0x44
	v_mul_lo_u32 v0, v50, s2
	v_lshl_add_u32 v52, v27, 2, v0
	v_and_b32_e32 v0, 1, v50
	v_mov_b32_e32 v1, 0
	v_lshl_add_u64 v[8:9], v[0:1], 0, -1
	v_cmp_ne_u32_e32 vcc, 0, v0
	; wave barrier
	s_nop 1
	v_xor_b32_e32 v8, vcc_lo, v8
	v_xor_b32_e32 v0, vcc_hi, v9
	v_and_b32_e32 v51, exec_lo, v8
	v_lshlrev_b32_e32 v9, 30, v50
	v_mov_b32_e32 v8, v1
	v_cmp_gt_i64_e32 vcc, 0, v[8:9]
	v_not_b32_e32 v8, v9
	v_ashrrev_i32_e32 v8, 31, v8
	v_and_b32_e32 v0, exec_hi, v0
	v_xor_b32_e32 v9, vcc_hi, v8
	v_xor_b32_e32 v8, vcc_lo, v8
	v_and_b32_e32 v0, v0, v9
	v_and_b32_e32 v51, v51, v8
	v_lshlrev_b32_e32 v9, 29, v50
	v_mov_b32_e32 v8, v1
	v_cmp_gt_i64_e32 vcc, 0, v[8:9]
	v_not_b32_e32 v8, v9
	v_ashrrev_i32_e32 v8, 31, v8
	v_xor_b32_e32 v9, vcc_hi, v8
	v_xor_b32_e32 v8, vcc_lo, v8
	v_and_b32_e32 v0, v0, v9
	v_and_b32_e32 v51, v51, v8
	v_lshlrev_b32_e32 v9, 28, v50
	v_mov_b32_e32 v8, v1
	v_cmp_gt_i64_e32 vcc, 0, v[8:9]
	v_not_b32_e32 v8, v9
	v_ashrrev_i32_e32 v8, 31, v8
	;; [unrolled: 9-line block ×6, first 2 shown]
	v_xor_b32_e32 v9, vcc_hi, v8
	v_xor_b32_e32 v8, vcc_lo, v8
	ds_read_b32 v48, v52 offset:64
	v_and_b32_e32 v8, v51, v8
	v_and_b32_e32 v9, v0, v9
	v_mbcnt_lo_u32_b32 v0, v8, 0
	v_mbcnt_hi_u32_b32 v50, v9, v0
	v_cmp_eq_u32_e32 vcc, 0, v50
	v_cmp_ne_u64_e64 s[0:1], 0, v[8:9]
	s_and_b64 s[4:5], s[0:1], vcc
	; wave barrier
	s_and_saveexec_b64 s[0:1], s[4:5]
	s_cbranch_execz .LBB823_227
; %bb.226:
	v_bcnt_u32_b32 v0, v8, 0
	v_bcnt_u32_b32 v0, v9, v0
	s_waitcnt lgkmcnt(0)
	v_add_u32_e32 v0, v48, v0
	ds_write_b32 v52, v0 offset:64
.LBB823_227:
	s_or_b64 exec, exec, s[0:1]
	s_waitcnt vmcnt(6)
	v_xor_b32_e32 v39, 0x80000000, v39
	v_lshrrev_b32_e32 v0, s64, v39
	v_and_b32_e32 v53, s13, v0
	v_mul_lo_u32 v0, v53, s2
	v_lshl_add_u32 v55, v27, 2, v0
	v_and_b32_e32 v0, 1, v53
	v_lshl_add_u64 v[8:9], v[0:1], 0, -1
	v_cmp_ne_u32_e32 vcc, 0, v0
	; wave barrier
	s_nop 1
	v_xor_b32_e32 v8, vcc_lo, v8
	v_xor_b32_e32 v0, vcc_hi, v9
	v_and_b32_e32 v54, exec_lo, v8
	v_lshlrev_b32_e32 v9, 30, v53
	v_mov_b32_e32 v8, v1
	v_cmp_gt_i64_e32 vcc, 0, v[8:9]
	v_not_b32_e32 v8, v9
	v_ashrrev_i32_e32 v8, 31, v8
	v_and_b32_e32 v0, exec_hi, v0
	v_xor_b32_e32 v9, vcc_hi, v8
	v_xor_b32_e32 v8, vcc_lo, v8
	v_and_b32_e32 v0, v0, v9
	v_and_b32_e32 v54, v54, v8
	v_lshlrev_b32_e32 v9, 29, v53
	v_mov_b32_e32 v8, v1
	v_cmp_gt_i64_e32 vcc, 0, v[8:9]
	v_not_b32_e32 v8, v9
	v_ashrrev_i32_e32 v8, 31, v8
	v_xor_b32_e32 v9, vcc_hi, v8
	v_xor_b32_e32 v8, vcc_lo, v8
	v_and_b32_e32 v0, v0, v9
	v_and_b32_e32 v54, v54, v8
	v_lshlrev_b32_e32 v9, 28, v53
	v_mov_b32_e32 v8, v1
	v_cmp_gt_i64_e32 vcc, 0, v[8:9]
	v_not_b32_e32 v8, v9
	v_ashrrev_i32_e32 v8, 31, v8
	;; [unrolled: 9-line block ×5, first 2 shown]
	v_xor_b32_e32 v9, vcc_hi, v8
	v_xor_b32_e32 v8, vcc_lo, v8
	v_and_b32_e32 v0, v0, v9
	v_lshlrev_b32_e32 v9, 24, v53
	v_and_b32_e32 v54, v54, v8
	v_mov_b32_e32 v8, v1
	v_not_b32_e32 v1, v9
	v_cmp_gt_i64_e32 vcc, 0, v[8:9]
	v_ashrrev_i32_e32 v1, 31, v1
	ds_read_b32 v51, v55 offset:64
	v_xor_b32_e32 v8, vcc_hi, v1
	v_xor_b32_e32 v9, vcc_lo, v1
	v_and_b32_e32 v1, v0, v8
	v_and_b32_e32 v0, v54, v9
	v_mbcnt_lo_u32_b32 v8, v0, 0
	v_mbcnt_hi_u32_b32 v53, v1, v8
	v_cmp_eq_u32_e32 vcc, 0, v53
	v_cmp_ne_u64_e64 s[0:1], 0, v[0:1]
	s_and_b64 s[2:3], s[0:1], vcc
	; wave barrier
	s_and_saveexec_b64 s[0:1], s[2:3]
	s_cbranch_execz .LBB823_229
; %bb.228:
	v_bcnt_u32_b32 v0, v0, 0
	v_bcnt_u32_b32 v0, v1, v0
	s_waitcnt lgkmcnt(0)
	v_add_u32_e32 v0, v51, v0
	ds_write_b32 v55, v0 offset:64
.LBB823_229:
	s_or_b64 exec, exec, s[0:1]
	s_waitcnt vmcnt(5)
	v_xor_b32_e32 v44, 0x80000000, v44
	v_lshrrev_b32_e32 v0, s64, v44
	v_and_b32_e32 v56, s13, v0
	s_movk_i32 s2, 0x44
	v_mul_lo_u32 v0, v56, s2
	v_lshl_add_u32 v58, v27, 2, v0
	v_and_b32_e32 v0, 1, v56
	v_mov_b32_e32 v1, 0
	v_lshl_add_u64 v[8:9], v[0:1], 0, -1
	v_cmp_ne_u32_e32 vcc, 0, v0
	; wave barrier
	s_nop 1
	v_xor_b32_e32 v8, vcc_lo, v8
	v_xor_b32_e32 v0, vcc_hi, v9
	v_and_b32_e32 v57, exec_lo, v8
	v_lshlrev_b32_e32 v9, 30, v56
	v_mov_b32_e32 v8, v1
	v_cmp_gt_i64_e32 vcc, 0, v[8:9]
	v_not_b32_e32 v8, v9
	v_ashrrev_i32_e32 v8, 31, v8
	v_and_b32_e32 v0, exec_hi, v0
	v_xor_b32_e32 v9, vcc_hi, v8
	v_xor_b32_e32 v8, vcc_lo, v8
	v_and_b32_e32 v0, v0, v9
	v_and_b32_e32 v57, v57, v8
	v_lshlrev_b32_e32 v9, 29, v56
	v_mov_b32_e32 v8, v1
	v_cmp_gt_i64_e32 vcc, 0, v[8:9]
	v_not_b32_e32 v8, v9
	v_ashrrev_i32_e32 v8, 31, v8
	v_xor_b32_e32 v9, vcc_hi, v8
	v_xor_b32_e32 v8, vcc_lo, v8
	v_and_b32_e32 v0, v0, v9
	v_and_b32_e32 v57, v57, v8
	v_lshlrev_b32_e32 v9, 28, v56
	v_mov_b32_e32 v8, v1
	v_cmp_gt_i64_e32 vcc, 0, v[8:9]
	v_not_b32_e32 v8, v9
	v_ashrrev_i32_e32 v8, 31, v8
	;; [unrolled: 9-line block ×6, first 2 shown]
	v_xor_b32_e32 v9, vcc_hi, v8
	v_xor_b32_e32 v8, vcc_lo, v8
	ds_read_b32 v54, v58 offset:64
	v_and_b32_e32 v8, v57, v8
	v_and_b32_e32 v9, v0, v9
	v_mbcnt_lo_u32_b32 v0, v8, 0
	v_mbcnt_hi_u32_b32 v56, v9, v0
	v_cmp_eq_u32_e32 vcc, 0, v56
	v_cmp_ne_u64_e64 s[0:1], 0, v[8:9]
	s_and_b64 s[4:5], s[0:1], vcc
	; wave barrier
	s_and_saveexec_b64 s[0:1], s[4:5]
	s_cbranch_execz .LBB823_231
; %bb.230:
	v_bcnt_u32_b32 v0, v8, 0
	v_bcnt_u32_b32 v0, v9, v0
	s_waitcnt lgkmcnt(0)
	v_add_u32_e32 v0, v54, v0
	ds_write_b32 v58, v0 offset:64
.LBB823_231:
	s_or_b64 exec, exec, s[0:1]
	s_waitcnt vmcnt(4)
	v_xor_b32_e32 v45, 0x80000000, v45
	v_lshrrev_b32_e32 v0, s64, v45
	v_and_b32_e32 v59, s13, v0
	v_mul_lo_u32 v0, v59, s2
	v_lshl_add_u32 v62, v27, 2, v0
	v_and_b32_e32 v0, 1, v59
	v_lshl_add_u64 v[8:9], v[0:1], 0, -1
	v_cmp_ne_u32_e32 vcc, 0, v0
	; wave barrier
	s_nop 1
	v_xor_b32_e32 v8, vcc_lo, v8
	v_xor_b32_e32 v0, vcc_hi, v9
	v_and_b32_e32 v60, exec_lo, v8
	v_lshlrev_b32_e32 v9, 30, v59
	v_mov_b32_e32 v8, v1
	v_cmp_gt_i64_e32 vcc, 0, v[8:9]
	v_not_b32_e32 v8, v9
	v_ashrrev_i32_e32 v8, 31, v8
	v_and_b32_e32 v0, exec_hi, v0
	v_xor_b32_e32 v9, vcc_hi, v8
	v_xor_b32_e32 v8, vcc_lo, v8
	v_and_b32_e32 v0, v0, v9
	v_and_b32_e32 v60, v60, v8
	v_lshlrev_b32_e32 v9, 29, v59
	v_mov_b32_e32 v8, v1
	v_cmp_gt_i64_e32 vcc, 0, v[8:9]
	v_not_b32_e32 v8, v9
	v_ashrrev_i32_e32 v8, 31, v8
	v_xor_b32_e32 v9, vcc_hi, v8
	v_xor_b32_e32 v8, vcc_lo, v8
	v_and_b32_e32 v0, v0, v9
	v_and_b32_e32 v60, v60, v8
	v_lshlrev_b32_e32 v9, 28, v59
	v_mov_b32_e32 v8, v1
	v_cmp_gt_i64_e32 vcc, 0, v[8:9]
	v_not_b32_e32 v8, v9
	v_ashrrev_i32_e32 v8, 31, v8
	;; [unrolled: 9-line block ×5, first 2 shown]
	v_xor_b32_e32 v9, vcc_hi, v8
	v_xor_b32_e32 v8, vcc_lo, v8
	v_and_b32_e32 v0, v0, v9
	v_lshlrev_b32_e32 v9, 24, v59
	v_and_b32_e32 v60, v60, v8
	v_mov_b32_e32 v8, v1
	v_not_b32_e32 v1, v9
	v_cmp_gt_i64_e32 vcc, 0, v[8:9]
	v_ashrrev_i32_e32 v1, 31, v1
	ds_read_b32 v57, v62 offset:64
	v_xor_b32_e32 v8, vcc_hi, v1
	v_xor_b32_e32 v9, vcc_lo, v1
	v_and_b32_e32 v1, v0, v8
	v_and_b32_e32 v0, v60, v9
	v_mbcnt_lo_u32_b32 v8, v0, 0
	v_mbcnt_hi_u32_b32 v59, v1, v8
	v_cmp_eq_u32_e32 vcc, 0, v59
	v_cmp_ne_u64_e64 s[0:1], 0, v[0:1]
	s_and_b64 s[2:3], s[0:1], vcc
	; wave barrier
	s_and_saveexec_b64 s[0:1], s[2:3]
	s_cbranch_execz .LBB823_233
; %bb.232:
	v_bcnt_u32_b32 v0, v0, 0
	v_bcnt_u32_b32 v0, v1, v0
	s_waitcnt lgkmcnt(0)
	v_add_u32_e32 v0, v57, v0
	ds_write_b32 v62, v0 offset:64
.LBB823_233:
	s_or_b64 exec, exec, s[0:1]
	s_waitcnt vmcnt(3)
	v_xor_b32_e32 v40, 0x80000000, v40
	v_lshrrev_b32_e32 v0, s64, v40
	v_and_b32_e32 v61, s13, v0
	s_movk_i32 s2, 0x44
	v_mul_lo_u32 v0, v61, s2
	v_lshl_add_u32 v65, v27, 2, v0
	v_and_b32_e32 v0, 1, v61
	v_mov_b32_e32 v1, 0
	v_lshl_add_u64 v[8:9], v[0:1], 0, -1
	v_cmp_ne_u32_e32 vcc, 0, v0
	; wave barrier
	s_nop 1
	v_xor_b32_e32 v8, vcc_lo, v8
	v_xor_b32_e32 v0, vcc_hi, v9
	v_and_b32_e32 v63, exec_lo, v8
	v_lshlrev_b32_e32 v9, 30, v61
	v_mov_b32_e32 v8, v1
	v_cmp_gt_i64_e32 vcc, 0, v[8:9]
	v_not_b32_e32 v8, v9
	v_ashrrev_i32_e32 v8, 31, v8
	v_and_b32_e32 v0, exec_hi, v0
	v_xor_b32_e32 v9, vcc_hi, v8
	v_xor_b32_e32 v8, vcc_lo, v8
	v_and_b32_e32 v0, v0, v9
	v_and_b32_e32 v63, v63, v8
	v_lshlrev_b32_e32 v9, 29, v61
	v_mov_b32_e32 v8, v1
	v_cmp_gt_i64_e32 vcc, 0, v[8:9]
	v_not_b32_e32 v8, v9
	v_ashrrev_i32_e32 v8, 31, v8
	v_xor_b32_e32 v9, vcc_hi, v8
	v_xor_b32_e32 v8, vcc_lo, v8
	v_and_b32_e32 v0, v0, v9
	v_and_b32_e32 v63, v63, v8
	v_lshlrev_b32_e32 v9, 28, v61
	v_mov_b32_e32 v8, v1
	v_cmp_gt_i64_e32 vcc, 0, v[8:9]
	v_not_b32_e32 v8, v9
	v_ashrrev_i32_e32 v8, 31, v8
	;; [unrolled: 9-line block ×6, first 2 shown]
	v_xor_b32_e32 v9, vcc_hi, v8
	v_xor_b32_e32 v8, vcc_lo, v8
	ds_read_b32 v60, v65 offset:64
	v_and_b32_e32 v8, v63, v8
	v_and_b32_e32 v9, v0, v9
	v_mbcnt_lo_u32_b32 v0, v8, 0
	v_mbcnt_hi_u32_b32 v63, v9, v0
	v_cmp_eq_u32_e32 vcc, 0, v63
	v_cmp_ne_u64_e64 s[0:1], 0, v[8:9]
	s_and_b64 s[4:5], s[0:1], vcc
	; wave barrier
	s_and_saveexec_b64 s[0:1], s[4:5]
	s_cbranch_execz .LBB823_235
; %bb.234:
	v_bcnt_u32_b32 v0, v8, 0
	v_bcnt_u32_b32 v0, v9, v0
	s_waitcnt lgkmcnt(0)
	v_add_u32_e32 v0, v60, v0
	ds_write_b32 v65, v0 offset:64
.LBB823_235:
	s_or_b64 exec, exec, s[0:1]
	s_waitcnt vmcnt(2)
	v_xor_b32_e32 v36, 0x80000000, v36
	v_lshrrev_b32_e32 v0, s64, v36
	v_and_b32_e32 v61, s13, v0
	v_mul_lo_u32 v0, v61, s2
	v_lshl_add_u32 v68, v27, 2, v0
	v_and_b32_e32 v0, 1, v61
	v_lshl_add_u64 v[8:9], v[0:1], 0, -1
	v_cmp_ne_u32_e32 vcc, 0, v0
	; wave barrier
	s_nop 1
	v_xor_b32_e32 v8, vcc_lo, v8
	v_xor_b32_e32 v0, vcc_hi, v9
	v_and_b32_e32 v66, exec_lo, v8
	v_lshlrev_b32_e32 v9, 30, v61
	v_mov_b32_e32 v8, v1
	v_cmp_gt_i64_e32 vcc, 0, v[8:9]
	v_not_b32_e32 v8, v9
	v_ashrrev_i32_e32 v8, 31, v8
	v_and_b32_e32 v0, exec_hi, v0
	v_xor_b32_e32 v9, vcc_hi, v8
	v_xor_b32_e32 v8, vcc_lo, v8
	v_and_b32_e32 v0, v0, v9
	v_and_b32_e32 v66, v66, v8
	v_lshlrev_b32_e32 v9, 29, v61
	v_mov_b32_e32 v8, v1
	v_cmp_gt_i64_e32 vcc, 0, v[8:9]
	v_not_b32_e32 v8, v9
	v_ashrrev_i32_e32 v8, 31, v8
	v_xor_b32_e32 v9, vcc_hi, v8
	v_xor_b32_e32 v8, vcc_lo, v8
	v_and_b32_e32 v0, v0, v9
	v_and_b32_e32 v66, v66, v8
	v_lshlrev_b32_e32 v9, 28, v61
	v_mov_b32_e32 v8, v1
	v_cmp_gt_i64_e32 vcc, 0, v[8:9]
	v_not_b32_e32 v8, v9
	v_ashrrev_i32_e32 v8, 31, v8
	;; [unrolled: 9-line block ×5, first 2 shown]
	v_xor_b32_e32 v9, vcc_hi, v8
	v_xor_b32_e32 v8, vcc_lo, v8
	v_and_b32_e32 v0, v0, v9
	v_lshlrev_b32_e32 v9, 24, v61
	v_and_b32_e32 v66, v66, v8
	v_mov_b32_e32 v8, v1
	v_not_b32_e32 v1, v9
	v_cmp_gt_i64_e32 vcc, 0, v[8:9]
	v_ashrrev_i32_e32 v1, 31, v1
	ds_read_b32 v64, v68 offset:64
	v_xor_b32_e32 v8, vcc_hi, v1
	v_xor_b32_e32 v9, vcc_lo, v1
	v_and_b32_e32 v1, v0, v8
	v_and_b32_e32 v0, v66, v9
	v_mbcnt_lo_u32_b32 v8, v0, 0
	v_mbcnt_hi_u32_b32 v66, v1, v8
	v_cmp_eq_u32_e32 vcc, 0, v66
	v_cmp_ne_u64_e64 s[0:1], 0, v[0:1]
	s_and_b64 s[2:3], s[0:1], vcc
	; wave barrier
	s_and_saveexec_b64 s[0:1], s[2:3]
	s_cbranch_execz .LBB823_237
; %bb.236:
	v_bcnt_u32_b32 v0, v0, 0
	v_bcnt_u32_b32 v0, v1, v0
	s_waitcnt lgkmcnt(0)
	v_add_u32_e32 v0, v64, v0
	ds_write_b32 v68, v0 offset:64
.LBB823_237:
	s_or_b64 exec, exec, s[0:1]
	s_waitcnt vmcnt(1)
	v_xor_b32_e32 v31, 0x80000000, v31
	v_lshrrev_b32_e32 v0, s64, v31
	v_and_b32_e32 v61, s13, v0
	s_movk_i32 s2, 0x44
	v_mul_lo_u32 v0, v61, s2
	v_lshl_add_u32 v70, v27, 2, v0
	v_and_b32_e32 v0, 1, v61
	v_mov_b32_e32 v1, 0
	v_lshl_add_u64 v[8:9], v[0:1], 0, -1
	v_cmp_ne_u32_e32 vcc, 0, v0
	; wave barrier
	s_nop 1
	v_xor_b32_e32 v8, vcc_lo, v8
	v_xor_b32_e32 v0, vcc_hi, v9
	v_and_b32_e32 v69, exec_lo, v8
	v_lshlrev_b32_e32 v9, 30, v61
	v_mov_b32_e32 v8, v1
	v_cmp_gt_i64_e32 vcc, 0, v[8:9]
	v_not_b32_e32 v8, v9
	v_ashrrev_i32_e32 v8, 31, v8
	v_and_b32_e32 v0, exec_hi, v0
	v_xor_b32_e32 v9, vcc_hi, v8
	v_xor_b32_e32 v8, vcc_lo, v8
	v_and_b32_e32 v0, v0, v9
	v_and_b32_e32 v69, v69, v8
	v_lshlrev_b32_e32 v9, 29, v61
	v_mov_b32_e32 v8, v1
	v_cmp_gt_i64_e32 vcc, 0, v[8:9]
	v_not_b32_e32 v8, v9
	v_ashrrev_i32_e32 v8, 31, v8
	v_xor_b32_e32 v9, vcc_hi, v8
	v_xor_b32_e32 v8, vcc_lo, v8
	v_and_b32_e32 v0, v0, v9
	v_and_b32_e32 v69, v69, v8
	v_lshlrev_b32_e32 v9, 28, v61
	v_mov_b32_e32 v8, v1
	v_cmp_gt_i64_e32 vcc, 0, v[8:9]
	v_not_b32_e32 v8, v9
	v_ashrrev_i32_e32 v8, 31, v8
	;; [unrolled: 9-line block ×6, first 2 shown]
	v_xor_b32_e32 v9, vcc_hi, v8
	v_xor_b32_e32 v8, vcc_lo, v8
	ds_read_b32 v67, v70 offset:64
	v_and_b32_e32 v8, v69, v8
	v_and_b32_e32 v9, v0, v9
	v_mbcnt_lo_u32_b32 v0, v8, 0
	v_mbcnt_hi_u32_b32 v69, v9, v0
	v_cmp_eq_u32_e32 vcc, 0, v69
	v_cmp_ne_u64_e64 s[0:1], 0, v[8:9]
	s_and_b64 s[4:5], s[0:1], vcc
	; wave barrier
	s_and_saveexec_b64 s[0:1], s[4:5]
	s_cbranch_execz .LBB823_239
; %bb.238:
	v_bcnt_u32_b32 v0, v8, 0
	v_bcnt_u32_b32 v0, v9, v0
	s_waitcnt lgkmcnt(0)
	v_add_u32_e32 v0, v67, v0
	ds_write_b32 v70, v0 offset:64
.LBB823_239:
	s_or_b64 exec, exec, s[0:1]
	s_waitcnt vmcnt(0)
	v_xor_b32_e32 v61, 0x80000000, v25
	v_lshrrev_b32_e32 v0, s64, v61
	v_and_b32_e32 v25, s13, v0
	v_mul_lo_u32 v0, v25, s2
	v_lshl_add_u32 v72, v27, 2, v0
	v_and_b32_e32 v0, 1, v25
	v_lshl_add_u64 v[8:9], v[0:1], 0, -1
	v_cmp_ne_u32_e32 vcc, 0, v0
	; wave barrier
	s_nop 1
	v_xor_b32_e32 v8, vcc_lo, v8
	v_xor_b32_e32 v0, vcc_hi, v9
	v_and_b32_e32 v71, exec_lo, v8
	v_lshlrev_b32_e32 v9, 30, v25
	v_mov_b32_e32 v8, v1
	v_cmp_gt_i64_e32 vcc, 0, v[8:9]
	v_not_b32_e32 v8, v9
	v_ashrrev_i32_e32 v8, 31, v8
	v_and_b32_e32 v0, exec_hi, v0
	v_xor_b32_e32 v9, vcc_hi, v8
	v_xor_b32_e32 v8, vcc_lo, v8
	v_and_b32_e32 v0, v0, v9
	v_and_b32_e32 v71, v71, v8
	v_lshlrev_b32_e32 v9, 29, v25
	v_mov_b32_e32 v8, v1
	v_cmp_gt_i64_e32 vcc, 0, v[8:9]
	v_not_b32_e32 v8, v9
	v_ashrrev_i32_e32 v8, 31, v8
	v_xor_b32_e32 v9, vcc_hi, v8
	v_xor_b32_e32 v8, vcc_lo, v8
	v_and_b32_e32 v0, v0, v9
	v_and_b32_e32 v71, v71, v8
	v_lshlrev_b32_e32 v9, 28, v25
	v_mov_b32_e32 v8, v1
	v_cmp_gt_i64_e32 vcc, 0, v[8:9]
	v_not_b32_e32 v8, v9
	v_ashrrev_i32_e32 v8, 31, v8
	;; [unrolled: 9-line block ×5, first 2 shown]
	v_xor_b32_e32 v9, vcc_hi, v8
	v_xor_b32_e32 v8, vcc_lo, v8
	v_and_b32_e32 v0, v0, v9
	v_lshlrev_b32_e32 v9, 24, v25
	v_and_b32_e32 v71, v71, v8
	v_mov_b32_e32 v8, v1
	v_not_b32_e32 v1, v9
	v_cmp_gt_i64_e32 vcc, 0, v[8:9]
	v_ashrrev_i32_e32 v1, 31, v1
	ds_read_b32 v27, v72 offset:64
	v_xor_b32_e32 v8, vcc_hi, v1
	v_xor_b32_e32 v9, vcc_lo, v1
	v_and_b32_e32 v1, v0, v8
	v_and_b32_e32 v0, v71, v9
	v_mbcnt_lo_u32_b32 v8, v0, 0
	v_mbcnt_hi_u32_b32 v71, v1, v8
	v_cmp_eq_u32_e32 vcc, 0, v71
	v_cmp_ne_u64_e64 s[0:1], 0, v[0:1]
	s_and_b64 s[2:3], s[0:1], vcc
	; wave barrier
	s_and_saveexec_b64 s[0:1], s[2:3]
	s_cbranch_execz .LBB823_241
; %bb.240:
	v_bcnt_u32_b32 v0, v0, 0
	v_bcnt_u32_b32 v0, v1, v0
	s_waitcnt lgkmcnt(0)
	v_add_u32_e32 v0, v27, v0
	ds_write_b32 v72, v0 offset:64
.LBB823_241:
	s_or_b64 exec, exec, s[0:1]
	; wave barrier
	s_waitcnt lgkmcnt(0)
	s_barrier
	ds_read2_b32 v[8:9], v11 offset0:16 offset1:17
	ds_read2_b32 v[0:1], v11 offset0:18 offset1:19
	ds_read_b32 v25, v11 offset:80
	v_cmp_lt_u32_e64 s[2:3], 31, v10
	s_waitcnt lgkmcnt(1)
	v_add3_u32 v73, v9, v8, v0
	s_waitcnt lgkmcnt(0)
	v_add3_u32 v25, v73, v1, v25
	v_and_b32_e32 v73, 15, v10
	v_cmp_eq_u32_e32 vcc, 0, v73
	v_mov_b32_dpp v74, v25 row_shr:1 row_mask:0xf bank_mask:0xf
	v_cmp_lt_u32_e64 s[0:1], 1, v73
	v_cndmask_b32_e64 v74, v74, 0, vcc
	v_add_u32_e32 v25, v74, v25
	v_cmp_lt_u32_e64 s[4:5], 3, v73
	v_cmp_lt_u32_e64 s[6:7], 7, v73
	v_mov_b32_dpp v74, v25 row_shr:2 row_mask:0xf bank_mask:0xf
	v_cndmask_b32_e64 v74, 0, v74, s[0:1]
	v_add_u32_e32 v25, v25, v74
	s_nop 1
	v_mov_b32_dpp v74, v25 row_shr:4 row_mask:0xf bank_mask:0xf
	v_cndmask_b32_e64 v74, 0, v74, s[4:5]
	v_add_u32_e32 v25, v25, v74
	s_nop 1
	v_mov_b32_dpp v74, v25 row_shr:8 row_mask:0xf bank_mask:0xf
	v_cndmask_b32_e64 v73, 0, v74, s[6:7]
	v_add_u32_e32 v25, v25, v73
	v_bfe_i32 v74, v10, 4, 1
	s_nop 0
	v_mov_b32_dpp v73, v25 row_bcast:15 row_mask:0xf bank_mask:0xf
	v_and_b32_e32 v73, v74, v73
	v_add_u32_e32 v25, v25, v73
	v_lshrrev_b32_e32 v74, 6, v2
	s_nop 0
	v_mov_b32_dpp v73, v25 row_bcast:31 row_mask:0xf bank_mask:0xf
	v_cndmask_b32_e64 v73, 0, v73, s[2:3]
	v_add_u32_e32 v73, v25, v73
	v_and_b32_e32 v25, 63, v2
	v_cmp_eq_u32_e64 s[2:3], 63, v25
	s_and_saveexec_b64 s[10:11], s[2:3]
; %bb.242:
	v_lshlrev_b32_e32 v25, 2, v74
	ds_write_b32 v25, v73
; %bb.243:
	s_or_b64 exec, exec, s[10:11]
	v_cmp_gt_u32_e64 s[2:3], 16, v2
	v_lshlrev_b32_e32 v25, 2, v2
	s_waitcnt lgkmcnt(0)
	s_barrier
	s_and_saveexec_b64 s[10:11], s[2:3]
	s_cbranch_execz .LBB823_245
; %bb.244:
	ds_read_b32 v75, v25
	s_waitcnt lgkmcnt(0)
	s_nop 0
	v_mov_b32_dpp v76, v75 row_shr:1 row_mask:0xf bank_mask:0xf
	v_cndmask_b32_e64 v76, v76, 0, vcc
	v_add_u32_e32 v75, v76, v75
	s_nop 1
	v_mov_b32_dpp v76, v75 row_shr:2 row_mask:0xf bank_mask:0xf
	v_cndmask_b32_e64 v76, 0, v76, s[0:1]
	v_add_u32_e32 v75, v75, v76
	s_nop 1
	v_mov_b32_dpp v76, v75 row_shr:4 row_mask:0xf bank_mask:0xf
	v_cndmask_b32_e64 v76, 0, v76, s[4:5]
	;; [unrolled: 4-line block ×3, first 2 shown]
	v_add_u32_e32 v75, v75, v76
	ds_write_b32 v25, v75
.LBB823_245:
	s_or_b64 exec, exec, s[10:11]
	v_cmp_lt_u32_e32 vcc, 63, v2
	v_mov_b32_e32 v75, 0
	s_waitcnt lgkmcnt(0)
	s_barrier
	s_and_saveexec_b64 s[0:1], vcc
; %bb.246:
	v_lshl_add_u32 v74, v74, 2, -4
	ds_read_b32 v75, v74
; %bb.247:
	s_or_b64 exec, exec, s[0:1]
	v_subrev_co_u32_e32 v74, vcc, 1, v10
	v_and_b32_e32 v76, 64, v10
	v_cmp_lt_i32_e64 s[0:1], v74, v76
	s_waitcnt lgkmcnt(0)
	v_add_u32_e32 v73, v75, v73
	s_movk_i32 s2, 0x100
	v_cndmask_b32_e64 v10, v74, v10, s[0:1]
	v_lshlrev_b32_e32 v10, 2, v10
	ds_bpermute_b32 v10, v10, v73
	s_movk_i32 s0, 0xff
	s_waitcnt lgkmcnt(0)
	v_cndmask_b32_e32 v10, v10, v75, vcc
	v_cndmask_b32_e64 v10, v10, 0, s[44:45]
	v_add_u32_e32 v8, v10, v8
	v_add_u32_e32 v9, v8, v9
	;; [unrolled: 1-line block ×4, first 2 shown]
	ds_write2_b32 v11, v10, v8 offset0:16 offset1:17
	ds_write2_b32 v11, v9, v0 offset0:18 offset1:19
	ds_write_b32 v11, v1 offset:80
	s_waitcnt lgkmcnt(0)
	s_barrier
	ds_read_b32 v81, v18 offset:64
	ds_read_b32 v73, v21 offset:64
	;; [unrolled: 1-line block ×16, first 2 shown]
	v_cmp_lt_u32_e32 vcc, s0, v2
	v_cmp_gt_u32_e64 s[0:1], s2, v2
                                        ; implicit-def: $vgpr18
                                        ; implicit-def: $vgpr21
	s_and_saveexec_b64 s[4:5], s[0:1]
	s_cbranch_execz .LBB823_251
; %bb.248:
	v_mul_u32_u24_e32 v0, 0x44, v2
	ds_read_b32 v18, v0 offset:64
	v_add_u32_e32 v1, 1, v2
	v_cmp_ne_u32_e64 s[2:3], s2, v1
	v_mov_b32_e32 v0, 0x4000
	s_and_saveexec_b64 s[6:7], s[2:3]
; %bb.249:
	v_mul_u32_u24_e32 v0, 0x44, v1
	ds_read_b32 v0, v0 offset:64
; %bb.250:
	s_or_b64 exec, exec, s[6:7]
	s_waitcnt lgkmcnt(0)
	v_sub_u32_e32 v21, v0, v18
.LBB823_251:
	s_or_b64 exec, exec, s[4:5]
	v_mov_b32_e32 v1, 0
	s_waitcnt lgkmcnt(0)
	s_barrier
	s_and_saveexec_b64 s[2:3], s[0:1]
	s_cbranch_execz .LBB823_261
; %bb.252:
	v_lshl_add_u32 v0, s33, 8, v2
	v_lshl_add_u64 v[8:9], v[0:1], 2, s[68:69]
	v_or_b32_e32 v0, 2.0, v21
	s_mov_b64 s[4:5], 0
	s_brev_b32 s14, -4
	s_mov_b32 s15, s33
	v_mov_b32_e32 v49, 0
	global_store_dword v[8:9], v0, off sc1
                                        ; implicit-def: $sgpr0_sgpr1
	s_branch .LBB823_255
.LBB823_253:                            ;   in Loop: Header=BB823_255 Depth=1
	s_or_b64 exec, exec, s[10:11]
.LBB823_254:                            ;   in Loop: Header=BB823_255 Depth=1
	s_or_b64 exec, exec, s[6:7]
	v_and_b32_e32 v10, 0x3fffffff, v0
	v_add_u32_e32 v49, v10, v49
	v_cmp_gt_i32_e64 s[0:1], -2.0, v0
	s_and_b64 s[6:7], exec, s[0:1]
	s_or_b64 s[4:5], s[6:7], s[4:5]
	s_andn2_b64 exec, exec, s[4:5]
	s_cbranch_execz .LBB823_260
.LBB823_255:                            ; =>This Loop Header: Depth=1
                                        ;     Child Loop BB823_258 Depth 2
	s_or_b64 s[0:1], s[0:1], exec
	s_cmp_eq_u32 s15, 0
	s_cbranch_scc1 .LBB823_259
; %bb.256:                              ;   in Loop: Header=BB823_255 Depth=1
	s_add_i32 s15, s15, -1
	v_lshl_or_b32 v0, s15, 8, v2
	v_lshl_add_u64 v[10:11], v[0:1], 2, s[68:69]
	global_load_dword v0, v[10:11], off sc1
	s_waitcnt vmcnt(0)
	v_cmp_gt_u32_e64 s[0:1], 2.0, v0
	s_and_saveexec_b64 s[6:7], s[0:1]
	s_cbranch_execz .LBB823_254
; %bb.257:                              ;   in Loop: Header=BB823_255 Depth=1
	s_mov_b64 s[10:11], 0
.LBB823_258:                            ;   Parent Loop BB823_255 Depth=1
                                        ; =>  This Inner Loop Header: Depth=2
	global_load_dword v0, v[10:11], off sc1
	s_waitcnt vmcnt(0)
	v_cmp_lt_u32_e64 s[0:1], s14, v0
	s_or_b64 s[10:11], s[0:1], s[10:11]
	s_andn2_b64 exec, exec, s[10:11]
	s_cbranch_execnz .LBB823_258
	s_branch .LBB823_253
.LBB823_259:                            ;   in Loop: Header=BB823_255 Depth=1
                                        ; implicit-def: $sgpr15
	s_and_b64 s[6:7], exec, s[0:1]
	s_or_b64 s[4:5], s[6:7], s[4:5]
	s_andn2_b64 exec, exec, s[4:5]
	s_cbranch_execnz .LBB823_255
.LBB823_260:
	s_or_b64 exec, exec, s[4:5]
	v_add_u32_e32 v0, v49, v21
	v_or_b32_e32 v0, 0x80000000, v0
	global_store_dword v[8:9], v0, off sc1
	global_load_dword v0, v25, s[60:61]
	v_sub_u32_e32 v1, v49, v18
	s_waitcnt vmcnt(0)
	v_add_u32_e32 v0, v1, v0
	ds_write_b32 v25, v0
.LBB823_261:
	s_or_b64 exec, exec, s[2:3]
	v_add_u32_e32 v8, v81, v14
	v_add3_u32 v0, v16, v13, v73
	v_add3_u32 v1, v20, v17, v74
	;; [unrolled: 1-line block ×15, first 2 shown]
	v_mov_b32_e32 v85, 0x400
	s_mov_b32 s4, s64
	s_mov_b32 s5, s13
	s_movk_i32 s6, 0x400
	v_lshl_add_u32 v9, v9, 2, v85
	v_add3_u32 v10, v71, v41, v27
	v_lshl_add_u32 v11, v11, 2, v85
	v_add3_u32 v14, v69, v26, v67
	;; [unrolled: 2-line block ×15, first 2 shown]
	v_lshl_add_u32 v16, v8, 2, v85
	s_mov_b32 s7, 0
	s_mov_b32 s10, 0
	s_movk_i32 s11, 0x1000
	v_mov_b32_e32 v1, 0
	s_movk_i32 s14, 0x800
	s_movk_i32 s15, 0xc00
	v_mov_b32_e32 v55, v2
	s_mov_b32 s16, 0
	s_branch .LBB823_263
.LBB823_262:                            ;   in Loop: Header=BB823_263 Depth=1
	s_or_b64 exec, exec, s[2:3]
	s_waitcnt lgkmcnt(0)
	s_barrier
	ds_read2st64_b32 v[56:57], v25 offset0:4 offset1:20
	ds_read2st64_b32 v[62:63], v25 offset0:36 offset1:52
	s_addk_i32 s16, 0xc000
	s_addk_i32 s10, 0xf000
	s_waitcnt lgkmcnt(1)
	v_xor_b32_e32 v60, 0x80000000, v56
	v_lshrrev_b32_e32 v56, s64, v56
	v_lshrrev_b32_e32 v0, s4, v57
	v_and_b32_e32 v56, s13, v56
	v_xor_b32_e32 v66, 0x80000000, v57
	v_and_b32_e32 v57, s5, v0
	v_lshlrev_b32_e32 v0, 2, v56
	ds_read_b32 v0, v0
	s_waitcnt lgkmcnt(1)
	v_lshrrev_b32_e32 v58, s4, v63
	v_lshrrev_b32_e32 v65, s64, v62
	v_and_b32_e32 v59, s5, v58
	v_lshlrev_b32_e32 v64, 2, v57
	v_and_b32_e32 v58, s13, v65
	v_lshlrev_b32_e32 v67, 2, v59
	v_lshlrev_b32_e32 v65, 2, v58
	ds_read_b32 v68, v64
	ds_read_b32 v69, v65
	;; [unrolled: 1-line block ×3, first 2 shown]
	s_waitcnt lgkmcnt(3)
	v_add_u32_e32 v0, v55, v0
	v_lshl_add_u64 v[64:65], v[0:1], 2, s[54:55]
	s_waitcnt lgkmcnt(2)
	v_add3_u32 v0, v55, v68, s6
	global_store_dword v[64:65], v60, off
	v_lshl_add_u64 v[64:65], v[0:1], 2, s[54:55]
	s_waitcnt lgkmcnt(1)
	v_add3_u32 v0, v55, v69, s14
	global_store_dword v[64:65], v66, off
	v_xor_b32_e32 v60, 0x80000000, v62
	v_xor_b32_e32 v64, 0x80000000, v63
	v_lshl_add_u64 v[62:63], v[0:1], 2, s[54:55]
	s_waitcnt lgkmcnt(0)
	v_add3_u32 v0, v55, v67, s15
	global_store_dword v[62:63], v60, off
	v_lshl_add_u64 v[62:63], v[0:1], 2, s[54:55]
	global_store_dword v[62:63], v64, off
	scratch_store_dwordx4 off, v[56:59], s7
	s_add_i32 s7, s7, 16
	s_cmp_eq_u32 s16, 0xffff0000
	v_add_u32_e32 v55, 0x1000, v55
	s_barrier
	s_cbranch_scc1 .LBB823_295
.LBB823_263:                            ; =>This Inner Loop Header: Depth=1
	v_add_u32_e32 v0, s10, v8
	v_cmp_gt_u32_e64 s[0:1], s11, v0
	s_and_saveexec_b64 s[2:3], s[0:1]
; %bb.264:                              ;   in Loop: Header=BB823_263 Depth=1
	v_add_u32_e32 v0, s16, v16
	ds_write_b32 v0, v3
; %bb.265:                              ;   in Loop: Header=BB823_263 Depth=1
	s_or_b64 exec, exec, s[2:3]
	v_add_u32_e32 v0, s10, v13
	v_cmp_gt_u32_e64 s[0:1], s11, v0
	s_and_saveexec_b64 s[2:3], s[0:1]
; %bb.266:                              ;   in Loop: Header=BB823_263 Depth=1
	v_add_u32_e32 v0, s16, v20
	ds_write_b32 v0, v5
; %bb.267:                              ;   in Loop: Header=BB823_263 Depth=1
	s_or_b64 exec, exec, s[2:3]
	;; [unrolled: 8-line block ×15, first 2 shown]
	v_add_u32_e32 v0, s10, v10
	v_cmp_gt_u32_e64 s[0:1], s11, v0
	s_and_saveexec_b64 s[2:3], s[0:1]
	s_cbranch_execz .LBB823_262
; %bb.294:                              ;   in Loop: Header=BB823_263 Depth=1
	v_add_u32_e32 v0, s16, v9
	ds_write_b32 v0, v61
	s_branch .LBB823_262
.LBB823_295:
	s_add_u32 s0, s56, s8
	s_addc_u32 s1, s57, s9
	v_mov_b32_e32 v5, 0
	v_lshl_add_u64 v[0:1], s[0:1], 0, v[4:5]
	v_mov_b32_e32 v7, v5
	v_lshl_add_u64 v[44:45], v[0:1], 0, v[6:7]
	global_load_dword v0, v[44:45], off
	global_load_dword v1, v[44:45], off offset:256
	global_load_dword v3, v[44:45], off offset:512
	;; [unrolled: 1-line block ×14, first 2 shown]
	s_nop 0
	global_load_dword v44, v[44:45], off offset:3840
	s_mov_b32 s4, 0
	s_mov_b32 s5, 0
	s_movk_i32 s6, 0x1000
	s_movk_i32 s7, 0x400
	;; [unrolled: 1-line block ×4, first 2 shown]
	s_mov_b32 s10, 0
	s_branch .LBB823_297
.LBB823_296:                            ;   in Loop: Header=BB823_297 Depth=1
	s_or_b64 exec, exec, s[2:3]
	s_waitcnt lgkmcnt(0)
	s_barrier
	scratch_load_dwordx4 v[56:59], off, s4
	ds_read2st64_b32 v[60:61], v25 offset0:4 offset1:20
	ds_read2st64_b32 v[62:63], v25 offset0:36 offset1:52
	s_addk_i32 s10, 0xc000
	s_addk_i32 s5, 0xf000
	s_add_i32 s4, s4, 16
	s_cmp_eq_u32 s10, 0xffff0000
	s_waitcnt vmcnt(0)
	v_lshlrev_b32_e32 v4, 2, v56
	ds_read_b32 v4, v4
	v_lshlrev_b32_e32 v45, 2, v57
	v_lshlrev_b32_e32 v55, 2, v58
	;; [unrolled: 1-line block ×3, first 2 shown]
	ds_read_b32 v45, v45
	ds_read_b32 v55, v55
	;; [unrolled: 1-line block ×3, first 2 shown]
	s_waitcnt lgkmcnt(3)
	v_add_u32_e32 v4, v2, v4
	v_lshl_add_u64 v[56:57], v[4:5], 2, s[58:59]
	s_waitcnt lgkmcnt(2)
	v_add3_u32 v4, v2, v45, s7
	global_store_dword v[56:57], v60, off
	v_lshl_add_u64 v[56:57], v[4:5], 2, s[58:59]
	s_waitcnt lgkmcnt(1)
	v_add3_u32 v4, v2, v55, s8
	global_store_dword v[56:57], v61, off
	;; [unrolled: 4-line block ×3, first 2 shown]
	v_lshl_add_u64 v[56:57], v[4:5], 2, s[58:59]
	v_add_u32_e32 v2, 0x1000, v2
	global_store_dword v[56:57], v63, off
	s_barrier
	s_cbranch_scc1 .LBB823_329
.LBB823_297:                            ; =>This Inner Loop Header: Depth=1
	v_add_u32_e32 v4, s5, v8
	v_cmp_gt_u32_e64 s[0:1], s6, v4
	s_and_saveexec_b64 s[2:3], s[0:1]
	s_cbranch_execz .LBB823_299
; %bb.298:                              ;   in Loop: Header=BB823_297 Depth=1
	v_add_u32_e32 v4, s10, v16
	s_waitcnt vmcnt(15)
	ds_write_b32 v4, v0
.LBB823_299:                            ;   in Loop: Header=BB823_297 Depth=1
	s_or_b64 exec, exec, s[2:3]
	v_add_u32_e32 v4, s5, v13
	v_cmp_gt_u32_e64 s[0:1], s6, v4
	s_and_saveexec_b64 s[2:3], s[0:1]
	s_cbranch_execz .LBB823_301
; %bb.300:                              ;   in Loop: Header=BB823_297 Depth=1
	v_add_u32_e32 v4, s10, v20
	s_waitcnt vmcnt(14)
	ds_write_b32 v4, v1
.LBB823_301:                            ;   in Loop: Header=BB823_297 Depth=1
	s_or_b64 exec, exec, s[2:3]
	;; [unrolled: 10-line block ×15, first 2 shown]
	v_add_u32_e32 v4, s5, v10
	v_cmp_gt_u32_e64 s[0:1], s6, v4
	s_and_saveexec_b64 s[2:3], s[0:1]
	s_cbranch_execz .LBB823_296
; %bb.328:                              ;   in Loop: Header=BB823_297 Depth=1
	v_add_u32_e32 v4, s10, v9
	s_waitcnt vmcnt(0)
	ds_write_b32 v4, v44
	s_branch .LBB823_296
.LBB823_329:
	s_add_i32 s12, s12, -1
	s_cmp_eq_u32 s33, s12
	s_cselect_b64 s[0:1], -1, 0
	s_xor_b64 s[2:3], vcc, -1
	s_and_b64 s[0:1], s[2:3], s[0:1]
	s_and_saveexec_b64 s[2:3], s[0:1]
	s_cbranch_execz .LBB823_331
; %bb.330:
	ds_read_b32 v0, v25
	s_waitcnt lgkmcnt(0)
	v_add3_u32 v0, v18, v21, v0
	global_store_dword v25, v0, s[62:63]
.LBB823_331:
	s_endpgm
	.section	.rodata,"a",@progbits
	.p2align	6, 0x0
	.amdhsa_kernel _ZN7rocprim17ROCPRIM_400000_NS6detail17trampoline_kernelINS0_14default_configENS1_35radix_sort_onesweep_config_selectorIiiEEZZNS1_29radix_sort_onesweep_iterationIS3_Lb0EN6thrust23THRUST_200600_302600_NS6detail15normal_iteratorINS8_10device_ptrIiEEEESD_SD_SD_jNS0_19identity_decomposerENS1_16block_id_wrapperIjLb1EEEEE10hipError_tT1_PNSt15iterator_traitsISI_E10value_typeET2_T3_PNSJ_ISO_E10value_typeET4_T5_PST_SU_PNS1_23onesweep_lookback_stateEbbT6_jjT7_P12ihipStream_tbENKUlT_T0_SI_SN_E_clISD_SD_SD_SD_EEDaS11_S12_SI_SN_EUlS11_E_NS1_11comp_targetILNS1_3genE6ELNS1_11target_archE950ELNS1_3gpuE13ELNS1_3repE0EEENS1_47radix_sort_onesweep_sort_config_static_selectorELNS0_4arch9wavefront6targetE1EEEvSI_
		.amdhsa_group_segment_fixed_size 20552
		.amdhsa_private_segment_fixed_size 80
		.amdhsa_kernarg_size 344
		.amdhsa_user_sgpr_count 2
		.amdhsa_user_sgpr_dispatch_ptr 0
		.amdhsa_user_sgpr_queue_ptr 0
		.amdhsa_user_sgpr_kernarg_segment_ptr 1
		.amdhsa_user_sgpr_dispatch_id 0
		.amdhsa_user_sgpr_kernarg_preload_length 0
		.amdhsa_user_sgpr_kernarg_preload_offset 0
		.amdhsa_user_sgpr_private_segment_size 0
		.amdhsa_uses_dynamic_stack 0
		.amdhsa_enable_private_segment 1
		.amdhsa_system_sgpr_workgroup_id_x 1
		.amdhsa_system_sgpr_workgroup_id_y 0
		.amdhsa_system_sgpr_workgroup_id_z 0
		.amdhsa_system_sgpr_workgroup_info 0
		.amdhsa_system_vgpr_workitem_id 2
		.amdhsa_next_free_vgpr 89
		.amdhsa_next_free_sgpr 73
		.amdhsa_accum_offset 92
		.amdhsa_reserve_vcc 1
		.amdhsa_float_round_mode_32 0
		.amdhsa_float_round_mode_16_64 0
		.amdhsa_float_denorm_mode_32 3
		.amdhsa_float_denorm_mode_16_64 3
		.amdhsa_dx10_clamp 1
		.amdhsa_ieee_mode 1
		.amdhsa_fp16_overflow 0
		.amdhsa_tg_split 0
		.amdhsa_exception_fp_ieee_invalid_op 0
		.amdhsa_exception_fp_denorm_src 0
		.amdhsa_exception_fp_ieee_div_zero 0
		.amdhsa_exception_fp_ieee_overflow 0
		.amdhsa_exception_fp_ieee_underflow 0
		.amdhsa_exception_fp_ieee_inexact 0
		.amdhsa_exception_int_div_zero 0
	.end_amdhsa_kernel
	.section	.text._ZN7rocprim17ROCPRIM_400000_NS6detail17trampoline_kernelINS0_14default_configENS1_35radix_sort_onesweep_config_selectorIiiEEZZNS1_29radix_sort_onesweep_iterationIS3_Lb0EN6thrust23THRUST_200600_302600_NS6detail15normal_iteratorINS8_10device_ptrIiEEEESD_SD_SD_jNS0_19identity_decomposerENS1_16block_id_wrapperIjLb1EEEEE10hipError_tT1_PNSt15iterator_traitsISI_E10value_typeET2_T3_PNSJ_ISO_E10value_typeET4_T5_PST_SU_PNS1_23onesweep_lookback_stateEbbT6_jjT7_P12ihipStream_tbENKUlT_T0_SI_SN_E_clISD_SD_SD_SD_EEDaS11_S12_SI_SN_EUlS11_E_NS1_11comp_targetILNS1_3genE6ELNS1_11target_archE950ELNS1_3gpuE13ELNS1_3repE0EEENS1_47radix_sort_onesweep_sort_config_static_selectorELNS0_4arch9wavefront6targetE1EEEvSI_,"axG",@progbits,_ZN7rocprim17ROCPRIM_400000_NS6detail17trampoline_kernelINS0_14default_configENS1_35radix_sort_onesweep_config_selectorIiiEEZZNS1_29radix_sort_onesweep_iterationIS3_Lb0EN6thrust23THRUST_200600_302600_NS6detail15normal_iteratorINS8_10device_ptrIiEEEESD_SD_SD_jNS0_19identity_decomposerENS1_16block_id_wrapperIjLb1EEEEE10hipError_tT1_PNSt15iterator_traitsISI_E10value_typeET2_T3_PNSJ_ISO_E10value_typeET4_T5_PST_SU_PNS1_23onesweep_lookback_stateEbbT6_jjT7_P12ihipStream_tbENKUlT_T0_SI_SN_E_clISD_SD_SD_SD_EEDaS11_S12_SI_SN_EUlS11_E_NS1_11comp_targetILNS1_3genE6ELNS1_11target_archE950ELNS1_3gpuE13ELNS1_3repE0EEENS1_47radix_sort_onesweep_sort_config_static_selectorELNS0_4arch9wavefront6targetE1EEEvSI_,comdat
.Lfunc_end823:
	.size	_ZN7rocprim17ROCPRIM_400000_NS6detail17trampoline_kernelINS0_14default_configENS1_35radix_sort_onesweep_config_selectorIiiEEZZNS1_29radix_sort_onesweep_iterationIS3_Lb0EN6thrust23THRUST_200600_302600_NS6detail15normal_iteratorINS8_10device_ptrIiEEEESD_SD_SD_jNS0_19identity_decomposerENS1_16block_id_wrapperIjLb1EEEEE10hipError_tT1_PNSt15iterator_traitsISI_E10value_typeET2_T3_PNSJ_ISO_E10value_typeET4_T5_PST_SU_PNS1_23onesweep_lookback_stateEbbT6_jjT7_P12ihipStream_tbENKUlT_T0_SI_SN_E_clISD_SD_SD_SD_EEDaS11_S12_SI_SN_EUlS11_E_NS1_11comp_targetILNS1_3genE6ELNS1_11target_archE950ELNS1_3gpuE13ELNS1_3repE0EEENS1_47radix_sort_onesweep_sort_config_static_selectorELNS0_4arch9wavefront6targetE1EEEvSI_, .Lfunc_end823-_ZN7rocprim17ROCPRIM_400000_NS6detail17trampoline_kernelINS0_14default_configENS1_35radix_sort_onesweep_config_selectorIiiEEZZNS1_29radix_sort_onesweep_iterationIS3_Lb0EN6thrust23THRUST_200600_302600_NS6detail15normal_iteratorINS8_10device_ptrIiEEEESD_SD_SD_jNS0_19identity_decomposerENS1_16block_id_wrapperIjLb1EEEEE10hipError_tT1_PNSt15iterator_traitsISI_E10value_typeET2_T3_PNSJ_ISO_E10value_typeET4_T5_PST_SU_PNS1_23onesweep_lookback_stateEbbT6_jjT7_P12ihipStream_tbENKUlT_T0_SI_SN_E_clISD_SD_SD_SD_EEDaS11_S12_SI_SN_EUlS11_E_NS1_11comp_targetILNS1_3genE6ELNS1_11target_archE950ELNS1_3gpuE13ELNS1_3repE0EEENS1_47radix_sort_onesweep_sort_config_static_selectorELNS0_4arch9wavefront6targetE1EEEvSI_
                                        ; -- End function
	.set _ZN7rocprim17ROCPRIM_400000_NS6detail17trampoline_kernelINS0_14default_configENS1_35radix_sort_onesweep_config_selectorIiiEEZZNS1_29radix_sort_onesweep_iterationIS3_Lb0EN6thrust23THRUST_200600_302600_NS6detail15normal_iteratorINS8_10device_ptrIiEEEESD_SD_SD_jNS0_19identity_decomposerENS1_16block_id_wrapperIjLb1EEEEE10hipError_tT1_PNSt15iterator_traitsISI_E10value_typeET2_T3_PNSJ_ISO_E10value_typeET4_T5_PST_SU_PNS1_23onesweep_lookback_stateEbbT6_jjT7_P12ihipStream_tbENKUlT_T0_SI_SN_E_clISD_SD_SD_SD_EEDaS11_S12_SI_SN_EUlS11_E_NS1_11comp_targetILNS1_3genE6ELNS1_11target_archE950ELNS1_3gpuE13ELNS1_3repE0EEENS1_47radix_sort_onesweep_sort_config_static_selectorELNS0_4arch9wavefront6targetE1EEEvSI_.num_vgpr, 89
	.set _ZN7rocprim17ROCPRIM_400000_NS6detail17trampoline_kernelINS0_14default_configENS1_35radix_sort_onesweep_config_selectorIiiEEZZNS1_29radix_sort_onesweep_iterationIS3_Lb0EN6thrust23THRUST_200600_302600_NS6detail15normal_iteratorINS8_10device_ptrIiEEEESD_SD_SD_jNS0_19identity_decomposerENS1_16block_id_wrapperIjLb1EEEEE10hipError_tT1_PNSt15iterator_traitsISI_E10value_typeET2_T3_PNSJ_ISO_E10value_typeET4_T5_PST_SU_PNS1_23onesweep_lookback_stateEbbT6_jjT7_P12ihipStream_tbENKUlT_T0_SI_SN_E_clISD_SD_SD_SD_EEDaS11_S12_SI_SN_EUlS11_E_NS1_11comp_targetILNS1_3genE6ELNS1_11target_archE950ELNS1_3gpuE13ELNS1_3repE0EEENS1_47radix_sort_onesweep_sort_config_static_selectorELNS0_4arch9wavefront6targetE1EEEvSI_.num_agpr, 0
	.set _ZN7rocprim17ROCPRIM_400000_NS6detail17trampoline_kernelINS0_14default_configENS1_35radix_sort_onesweep_config_selectorIiiEEZZNS1_29radix_sort_onesweep_iterationIS3_Lb0EN6thrust23THRUST_200600_302600_NS6detail15normal_iteratorINS8_10device_ptrIiEEEESD_SD_SD_jNS0_19identity_decomposerENS1_16block_id_wrapperIjLb1EEEEE10hipError_tT1_PNSt15iterator_traitsISI_E10value_typeET2_T3_PNSJ_ISO_E10value_typeET4_T5_PST_SU_PNS1_23onesweep_lookback_stateEbbT6_jjT7_P12ihipStream_tbENKUlT_T0_SI_SN_E_clISD_SD_SD_SD_EEDaS11_S12_SI_SN_EUlS11_E_NS1_11comp_targetILNS1_3genE6ELNS1_11target_archE950ELNS1_3gpuE13ELNS1_3repE0EEENS1_47radix_sort_onesweep_sort_config_static_selectorELNS0_4arch9wavefront6targetE1EEEvSI_.numbered_sgpr, 73
	.set _ZN7rocprim17ROCPRIM_400000_NS6detail17trampoline_kernelINS0_14default_configENS1_35radix_sort_onesweep_config_selectorIiiEEZZNS1_29radix_sort_onesweep_iterationIS3_Lb0EN6thrust23THRUST_200600_302600_NS6detail15normal_iteratorINS8_10device_ptrIiEEEESD_SD_SD_jNS0_19identity_decomposerENS1_16block_id_wrapperIjLb1EEEEE10hipError_tT1_PNSt15iterator_traitsISI_E10value_typeET2_T3_PNSJ_ISO_E10value_typeET4_T5_PST_SU_PNS1_23onesweep_lookback_stateEbbT6_jjT7_P12ihipStream_tbENKUlT_T0_SI_SN_E_clISD_SD_SD_SD_EEDaS11_S12_SI_SN_EUlS11_E_NS1_11comp_targetILNS1_3genE6ELNS1_11target_archE950ELNS1_3gpuE13ELNS1_3repE0EEENS1_47radix_sort_onesweep_sort_config_static_selectorELNS0_4arch9wavefront6targetE1EEEvSI_.num_named_barrier, 0
	.set _ZN7rocprim17ROCPRIM_400000_NS6detail17trampoline_kernelINS0_14default_configENS1_35radix_sort_onesweep_config_selectorIiiEEZZNS1_29radix_sort_onesweep_iterationIS3_Lb0EN6thrust23THRUST_200600_302600_NS6detail15normal_iteratorINS8_10device_ptrIiEEEESD_SD_SD_jNS0_19identity_decomposerENS1_16block_id_wrapperIjLb1EEEEE10hipError_tT1_PNSt15iterator_traitsISI_E10value_typeET2_T3_PNSJ_ISO_E10value_typeET4_T5_PST_SU_PNS1_23onesweep_lookback_stateEbbT6_jjT7_P12ihipStream_tbENKUlT_T0_SI_SN_E_clISD_SD_SD_SD_EEDaS11_S12_SI_SN_EUlS11_E_NS1_11comp_targetILNS1_3genE6ELNS1_11target_archE950ELNS1_3gpuE13ELNS1_3repE0EEENS1_47radix_sort_onesweep_sort_config_static_selectorELNS0_4arch9wavefront6targetE1EEEvSI_.private_seg_size, 80
	.set _ZN7rocprim17ROCPRIM_400000_NS6detail17trampoline_kernelINS0_14default_configENS1_35radix_sort_onesweep_config_selectorIiiEEZZNS1_29radix_sort_onesweep_iterationIS3_Lb0EN6thrust23THRUST_200600_302600_NS6detail15normal_iteratorINS8_10device_ptrIiEEEESD_SD_SD_jNS0_19identity_decomposerENS1_16block_id_wrapperIjLb1EEEEE10hipError_tT1_PNSt15iterator_traitsISI_E10value_typeET2_T3_PNSJ_ISO_E10value_typeET4_T5_PST_SU_PNS1_23onesweep_lookback_stateEbbT6_jjT7_P12ihipStream_tbENKUlT_T0_SI_SN_E_clISD_SD_SD_SD_EEDaS11_S12_SI_SN_EUlS11_E_NS1_11comp_targetILNS1_3genE6ELNS1_11target_archE950ELNS1_3gpuE13ELNS1_3repE0EEENS1_47radix_sort_onesweep_sort_config_static_selectorELNS0_4arch9wavefront6targetE1EEEvSI_.uses_vcc, 1
	.set _ZN7rocprim17ROCPRIM_400000_NS6detail17trampoline_kernelINS0_14default_configENS1_35radix_sort_onesweep_config_selectorIiiEEZZNS1_29radix_sort_onesweep_iterationIS3_Lb0EN6thrust23THRUST_200600_302600_NS6detail15normal_iteratorINS8_10device_ptrIiEEEESD_SD_SD_jNS0_19identity_decomposerENS1_16block_id_wrapperIjLb1EEEEE10hipError_tT1_PNSt15iterator_traitsISI_E10value_typeET2_T3_PNSJ_ISO_E10value_typeET4_T5_PST_SU_PNS1_23onesweep_lookback_stateEbbT6_jjT7_P12ihipStream_tbENKUlT_T0_SI_SN_E_clISD_SD_SD_SD_EEDaS11_S12_SI_SN_EUlS11_E_NS1_11comp_targetILNS1_3genE6ELNS1_11target_archE950ELNS1_3gpuE13ELNS1_3repE0EEENS1_47radix_sort_onesweep_sort_config_static_selectorELNS0_4arch9wavefront6targetE1EEEvSI_.uses_flat_scratch, 0
	.set _ZN7rocprim17ROCPRIM_400000_NS6detail17trampoline_kernelINS0_14default_configENS1_35radix_sort_onesweep_config_selectorIiiEEZZNS1_29radix_sort_onesweep_iterationIS3_Lb0EN6thrust23THRUST_200600_302600_NS6detail15normal_iteratorINS8_10device_ptrIiEEEESD_SD_SD_jNS0_19identity_decomposerENS1_16block_id_wrapperIjLb1EEEEE10hipError_tT1_PNSt15iterator_traitsISI_E10value_typeET2_T3_PNSJ_ISO_E10value_typeET4_T5_PST_SU_PNS1_23onesweep_lookback_stateEbbT6_jjT7_P12ihipStream_tbENKUlT_T0_SI_SN_E_clISD_SD_SD_SD_EEDaS11_S12_SI_SN_EUlS11_E_NS1_11comp_targetILNS1_3genE6ELNS1_11target_archE950ELNS1_3gpuE13ELNS1_3repE0EEENS1_47radix_sort_onesweep_sort_config_static_selectorELNS0_4arch9wavefront6targetE1EEEvSI_.has_dyn_sized_stack, 0
	.set _ZN7rocprim17ROCPRIM_400000_NS6detail17trampoline_kernelINS0_14default_configENS1_35radix_sort_onesweep_config_selectorIiiEEZZNS1_29radix_sort_onesweep_iterationIS3_Lb0EN6thrust23THRUST_200600_302600_NS6detail15normal_iteratorINS8_10device_ptrIiEEEESD_SD_SD_jNS0_19identity_decomposerENS1_16block_id_wrapperIjLb1EEEEE10hipError_tT1_PNSt15iterator_traitsISI_E10value_typeET2_T3_PNSJ_ISO_E10value_typeET4_T5_PST_SU_PNS1_23onesweep_lookback_stateEbbT6_jjT7_P12ihipStream_tbENKUlT_T0_SI_SN_E_clISD_SD_SD_SD_EEDaS11_S12_SI_SN_EUlS11_E_NS1_11comp_targetILNS1_3genE6ELNS1_11target_archE950ELNS1_3gpuE13ELNS1_3repE0EEENS1_47radix_sort_onesweep_sort_config_static_selectorELNS0_4arch9wavefront6targetE1EEEvSI_.has_recursion, 0
	.set _ZN7rocprim17ROCPRIM_400000_NS6detail17trampoline_kernelINS0_14default_configENS1_35radix_sort_onesweep_config_selectorIiiEEZZNS1_29radix_sort_onesweep_iterationIS3_Lb0EN6thrust23THRUST_200600_302600_NS6detail15normal_iteratorINS8_10device_ptrIiEEEESD_SD_SD_jNS0_19identity_decomposerENS1_16block_id_wrapperIjLb1EEEEE10hipError_tT1_PNSt15iterator_traitsISI_E10value_typeET2_T3_PNSJ_ISO_E10value_typeET4_T5_PST_SU_PNS1_23onesweep_lookback_stateEbbT6_jjT7_P12ihipStream_tbENKUlT_T0_SI_SN_E_clISD_SD_SD_SD_EEDaS11_S12_SI_SN_EUlS11_E_NS1_11comp_targetILNS1_3genE6ELNS1_11target_archE950ELNS1_3gpuE13ELNS1_3repE0EEENS1_47radix_sort_onesweep_sort_config_static_selectorELNS0_4arch9wavefront6targetE1EEEvSI_.has_indirect_call, 0
	.section	.AMDGPU.csdata,"",@progbits
; Kernel info:
; codeLenInByte = 22700
; TotalNumSgprs: 79
; NumVgprs: 89
; NumAgprs: 0
; TotalNumVgprs: 89
; ScratchSize: 80
; MemoryBound: 0
; FloatMode: 240
; IeeeMode: 1
; LDSByteSize: 20552 bytes/workgroup (compile time only)
; SGPRBlocks: 9
; VGPRBlocks: 11
; NumSGPRsForWavesPerEU: 79
; NumVGPRsForWavesPerEU: 89
; AccumOffset: 92
; Occupancy: 5
; WaveLimiterHint : 1
; COMPUTE_PGM_RSRC2:SCRATCH_EN: 1
; COMPUTE_PGM_RSRC2:USER_SGPR: 2
; COMPUTE_PGM_RSRC2:TRAP_HANDLER: 0
; COMPUTE_PGM_RSRC2:TGID_X_EN: 1
; COMPUTE_PGM_RSRC2:TGID_Y_EN: 0
; COMPUTE_PGM_RSRC2:TGID_Z_EN: 0
; COMPUTE_PGM_RSRC2:TIDIG_COMP_CNT: 2
; COMPUTE_PGM_RSRC3_GFX90A:ACCUM_OFFSET: 22
; COMPUTE_PGM_RSRC3_GFX90A:TG_SPLIT: 0
	.section	.text._ZN7rocprim17ROCPRIM_400000_NS6detail17trampoline_kernelINS0_14default_configENS1_35radix_sort_onesweep_config_selectorIiiEEZZNS1_29radix_sort_onesweep_iterationIS3_Lb0EN6thrust23THRUST_200600_302600_NS6detail15normal_iteratorINS8_10device_ptrIiEEEESD_SD_SD_jNS0_19identity_decomposerENS1_16block_id_wrapperIjLb1EEEEE10hipError_tT1_PNSt15iterator_traitsISI_E10value_typeET2_T3_PNSJ_ISO_E10value_typeET4_T5_PST_SU_PNS1_23onesweep_lookback_stateEbbT6_jjT7_P12ihipStream_tbENKUlT_T0_SI_SN_E_clISD_SD_SD_SD_EEDaS11_S12_SI_SN_EUlS11_E_NS1_11comp_targetILNS1_3genE5ELNS1_11target_archE942ELNS1_3gpuE9ELNS1_3repE0EEENS1_47radix_sort_onesweep_sort_config_static_selectorELNS0_4arch9wavefront6targetE1EEEvSI_,"axG",@progbits,_ZN7rocprim17ROCPRIM_400000_NS6detail17trampoline_kernelINS0_14default_configENS1_35radix_sort_onesweep_config_selectorIiiEEZZNS1_29radix_sort_onesweep_iterationIS3_Lb0EN6thrust23THRUST_200600_302600_NS6detail15normal_iteratorINS8_10device_ptrIiEEEESD_SD_SD_jNS0_19identity_decomposerENS1_16block_id_wrapperIjLb1EEEEE10hipError_tT1_PNSt15iterator_traitsISI_E10value_typeET2_T3_PNSJ_ISO_E10value_typeET4_T5_PST_SU_PNS1_23onesweep_lookback_stateEbbT6_jjT7_P12ihipStream_tbENKUlT_T0_SI_SN_E_clISD_SD_SD_SD_EEDaS11_S12_SI_SN_EUlS11_E_NS1_11comp_targetILNS1_3genE5ELNS1_11target_archE942ELNS1_3gpuE9ELNS1_3repE0EEENS1_47radix_sort_onesweep_sort_config_static_selectorELNS0_4arch9wavefront6targetE1EEEvSI_,comdat
	.protected	_ZN7rocprim17ROCPRIM_400000_NS6detail17trampoline_kernelINS0_14default_configENS1_35radix_sort_onesweep_config_selectorIiiEEZZNS1_29radix_sort_onesweep_iterationIS3_Lb0EN6thrust23THRUST_200600_302600_NS6detail15normal_iteratorINS8_10device_ptrIiEEEESD_SD_SD_jNS0_19identity_decomposerENS1_16block_id_wrapperIjLb1EEEEE10hipError_tT1_PNSt15iterator_traitsISI_E10value_typeET2_T3_PNSJ_ISO_E10value_typeET4_T5_PST_SU_PNS1_23onesweep_lookback_stateEbbT6_jjT7_P12ihipStream_tbENKUlT_T0_SI_SN_E_clISD_SD_SD_SD_EEDaS11_S12_SI_SN_EUlS11_E_NS1_11comp_targetILNS1_3genE5ELNS1_11target_archE942ELNS1_3gpuE9ELNS1_3repE0EEENS1_47radix_sort_onesweep_sort_config_static_selectorELNS0_4arch9wavefront6targetE1EEEvSI_ ; -- Begin function _ZN7rocprim17ROCPRIM_400000_NS6detail17trampoline_kernelINS0_14default_configENS1_35radix_sort_onesweep_config_selectorIiiEEZZNS1_29radix_sort_onesweep_iterationIS3_Lb0EN6thrust23THRUST_200600_302600_NS6detail15normal_iteratorINS8_10device_ptrIiEEEESD_SD_SD_jNS0_19identity_decomposerENS1_16block_id_wrapperIjLb1EEEEE10hipError_tT1_PNSt15iterator_traitsISI_E10value_typeET2_T3_PNSJ_ISO_E10value_typeET4_T5_PST_SU_PNS1_23onesweep_lookback_stateEbbT6_jjT7_P12ihipStream_tbENKUlT_T0_SI_SN_E_clISD_SD_SD_SD_EEDaS11_S12_SI_SN_EUlS11_E_NS1_11comp_targetILNS1_3genE5ELNS1_11target_archE942ELNS1_3gpuE9ELNS1_3repE0EEENS1_47radix_sort_onesweep_sort_config_static_selectorELNS0_4arch9wavefront6targetE1EEEvSI_
	.globl	_ZN7rocprim17ROCPRIM_400000_NS6detail17trampoline_kernelINS0_14default_configENS1_35radix_sort_onesweep_config_selectorIiiEEZZNS1_29radix_sort_onesweep_iterationIS3_Lb0EN6thrust23THRUST_200600_302600_NS6detail15normal_iteratorINS8_10device_ptrIiEEEESD_SD_SD_jNS0_19identity_decomposerENS1_16block_id_wrapperIjLb1EEEEE10hipError_tT1_PNSt15iterator_traitsISI_E10value_typeET2_T3_PNSJ_ISO_E10value_typeET4_T5_PST_SU_PNS1_23onesweep_lookback_stateEbbT6_jjT7_P12ihipStream_tbENKUlT_T0_SI_SN_E_clISD_SD_SD_SD_EEDaS11_S12_SI_SN_EUlS11_E_NS1_11comp_targetILNS1_3genE5ELNS1_11target_archE942ELNS1_3gpuE9ELNS1_3repE0EEENS1_47radix_sort_onesweep_sort_config_static_selectorELNS0_4arch9wavefront6targetE1EEEvSI_
	.p2align	8
	.type	_ZN7rocprim17ROCPRIM_400000_NS6detail17trampoline_kernelINS0_14default_configENS1_35radix_sort_onesweep_config_selectorIiiEEZZNS1_29radix_sort_onesweep_iterationIS3_Lb0EN6thrust23THRUST_200600_302600_NS6detail15normal_iteratorINS8_10device_ptrIiEEEESD_SD_SD_jNS0_19identity_decomposerENS1_16block_id_wrapperIjLb1EEEEE10hipError_tT1_PNSt15iterator_traitsISI_E10value_typeET2_T3_PNSJ_ISO_E10value_typeET4_T5_PST_SU_PNS1_23onesweep_lookback_stateEbbT6_jjT7_P12ihipStream_tbENKUlT_T0_SI_SN_E_clISD_SD_SD_SD_EEDaS11_S12_SI_SN_EUlS11_E_NS1_11comp_targetILNS1_3genE5ELNS1_11target_archE942ELNS1_3gpuE9ELNS1_3repE0EEENS1_47radix_sort_onesweep_sort_config_static_selectorELNS0_4arch9wavefront6targetE1EEEvSI_,@function
_ZN7rocprim17ROCPRIM_400000_NS6detail17trampoline_kernelINS0_14default_configENS1_35radix_sort_onesweep_config_selectorIiiEEZZNS1_29radix_sort_onesweep_iterationIS3_Lb0EN6thrust23THRUST_200600_302600_NS6detail15normal_iteratorINS8_10device_ptrIiEEEESD_SD_SD_jNS0_19identity_decomposerENS1_16block_id_wrapperIjLb1EEEEE10hipError_tT1_PNSt15iterator_traitsISI_E10value_typeET2_T3_PNSJ_ISO_E10value_typeET4_T5_PST_SU_PNS1_23onesweep_lookback_stateEbbT6_jjT7_P12ihipStream_tbENKUlT_T0_SI_SN_E_clISD_SD_SD_SD_EEDaS11_S12_SI_SN_EUlS11_E_NS1_11comp_targetILNS1_3genE5ELNS1_11target_archE942ELNS1_3gpuE9ELNS1_3repE0EEENS1_47radix_sort_onesweep_sort_config_static_selectorELNS0_4arch9wavefront6targetE1EEEvSI_: ; @_ZN7rocprim17ROCPRIM_400000_NS6detail17trampoline_kernelINS0_14default_configENS1_35radix_sort_onesweep_config_selectorIiiEEZZNS1_29radix_sort_onesweep_iterationIS3_Lb0EN6thrust23THRUST_200600_302600_NS6detail15normal_iteratorINS8_10device_ptrIiEEEESD_SD_SD_jNS0_19identity_decomposerENS1_16block_id_wrapperIjLb1EEEEE10hipError_tT1_PNSt15iterator_traitsISI_E10value_typeET2_T3_PNSJ_ISO_E10value_typeET4_T5_PST_SU_PNS1_23onesweep_lookback_stateEbbT6_jjT7_P12ihipStream_tbENKUlT_T0_SI_SN_E_clISD_SD_SD_SD_EEDaS11_S12_SI_SN_EUlS11_E_NS1_11comp_targetILNS1_3genE5ELNS1_11target_archE942ELNS1_3gpuE9ELNS1_3repE0EEENS1_47radix_sort_onesweep_sort_config_static_selectorELNS0_4arch9wavefront6targetE1EEEvSI_
; %bb.0:
	.section	.rodata,"a",@progbits
	.p2align	6, 0x0
	.amdhsa_kernel _ZN7rocprim17ROCPRIM_400000_NS6detail17trampoline_kernelINS0_14default_configENS1_35radix_sort_onesweep_config_selectorIiiEEZZNS1_29radix_sort_onesweep_iterationIS3_Lb0EN6thrust23THRUST_200600_302600_NS6detail15normal_iteratorINS8_10device_ptrIiEEEESD_SD_SD_jNS0_19identity_decomposerENS1_16block_id_wrapperIjLb1EEEEE10hipError_tT1_PNSt15iterator_traitsISI_E10value_typeET2_T3_PNSJ_ISO_E10value_typeET4_T5_PST_SU_PNS1_23onesweep_lookback_stateEbbT6_jjT7_P12ihipStream_tbENKUlT_T0_SI_SN_E_clISD_SD_SD_SD_EEDaS11_S12_SI_SN_EUlS11_E_NS1_11comp_targetILNS1_3genE5ELNS1_11target_archE942ELNS1_3gpuE9ELNS1_3repE0EEENS1_47radix_sort_onesweep_sort_config_static_selectorELNS0_4arch9wavefront6targetE1EEEvSI_
		.amdhsa_group_segment_fixed_size 0
		.amdhsa_private_segment_fixed_size 0
		.amdhsa_kernarg_size 88
		.amdhsa_user_sgpr_count 2
		.amdhsa_user_sgpr_dispatch_ptr 0
		.amdhsa_user_sgpr_queue_ptr 0
		.amdhsa_user_sgpr_kernarg_segment_ptr 1
		.amdhsa_user_sgpr_dispatch_id 0
		.amdhsa_user_sgpr_kernarg_preload_length 0
		.amdhsa_user_sgpr_kernarg_preload_offset 0
		.amdhsa_user_sgpr_private_segment_size 0
		.amdhsa_uses_dynamic_stack 0
		.amdhsa_enable_private_segment 0
		.amdhsa_system_sgpr_workgroup_id_x 1
		.amdhsa_system_sgpr_workgroup_id_y 0
		.amdhsa_system_sgpr_workgroup_id_z 0
		.amdhsa_system_sgpr_workgroup_info 0
		.amdhsa_system_vgpr_workitem_id 0
		.amdhsa_next_free_vgpr 1
		.amdhsa_next_free_sgpr 0
		.amdhsa_accum_offset 4
		.amdhsa_reserve_vcc 0
		.amdhsa_float_round_mode_32 0
		.amdhsa_float_round_mode_16_64 0
		.amdhsa_float_denorm_mode_32 3
		.amdhsa_float_denorm_mode_16_64 3
		.amdhsa_dx10_clamp 1
		.amdhsa_ieee_mode 1
		.amdhsa_fp16_overflow 0
		.amdhsa_tg_split 0
		.amdhsa_exception_fp_ieee_invalid_op 0
		.amdhsa_exception_fp_denorm_src 0
		.amdhsa_exception_fp_ieee_div_zero 0
		.amdhsa_exception_fp_ieee_overflow 0
		.amdhsa_exception_fp_ieee_underflow 0
		.amdhsa_exception_fp_ieee_inexact 0
		.amdhsa_exception_int_div_zero 0
	.end_amdhsa_kernel
	.section	.text._ZN7rocprim17ROCPRIM_400000_NS6detail17trampoline_kernelINS0_14default_configENS1_35radix_sort_onesweep_config_selectorIiiEEZZNS1_29radix_sort_onesweep_iterationIS3_Lb0EN6thrust23THRUST_200600_302600_NS6detail15normal_iteratorINS8_10device_ptrIiEEEESD_SD_SD_jNS0_19identity_decomposerENS1_16block_id_wrapperIjLb1EEEEE10hipError_tT1_PNSt15iterator_traitsISI_E10value_typeET2_T3_PNSJ_ISO_E10value_typeET4_T5_PST_SU_PNS1_23onesweep_lookback_stateEbbT6_jjT7_P12ihipStream_tbENKUlT_T0_SI_SN_E_clISD_SD_SD_SD_EEDaS11_S12_SI_SN_EUlS11_E_NS1_11comp_targetILNS1_3genE5ELNS1_11target_archE942ELNS1_3gpuE9ELNS1_3repE0EEENS1_47radix_sort_onesweep_sort_config_static_selectorELNS0_4arch9wavefront6targetE1EEEvSI_,"axG",@progbits,_ZN7rocprim17ROCPRIM_400000_NS6detail17trampoline_kernelINS0_14default_configENS1_35radix_sort_onesweep_config_selectorIiiEEZZNS1_29radix_sort_onesweep_iterationIS3_Lb0EN6thrust23THRUST_200600_302600_NS6detail15normal_iteratorINS8_10device_ptrIiEEEESD_SD_SD_jNS0_19identity_decomposerENS1_16block_id_wrapperIjLb1EEEEE10hipError_tT1_PNSt15iterator_traitsISI_E10value_typeET2_T3_PNSJ_ISO_E10value_typeET4_T5_PST_SU_PNS1_23onesweep_lookback_stateEbbT6_jjT7_P12ihipStream_tbENKUlT_T0_SI_SN_E_clISD_SD_SD_SD_EEDaS11_S12_SI_SN_EUlS11_E_NS1_11comp_targetILNS1_3genE5ELNS1_11target_archE942ELNS1_3gpuE9ELNS1_3repE0EEENS1_47radix_sort_onesweep_sort_config_static_selectorELNS0_4arch9wavefront6targetE1EEEvSI_,comdat
.Lfunc_end824:
	.size	_ZN7rocprim17ROCPRIM_400000_NS6detail17trampoline_kernelINS0_14default_configENS1_35radix_sort_onesweep_config_selectorIiiEEZZNS1_29radix_sort_onesweep_iterationIS3_Lb0EN6thrust23THRUST_200600_302600_NS6detail15normal_iteratorINS8_10device_ptrIiEEEESD_SD_SD_jNS0_19identity_decomposerENS1_16block_id_wrapperIjLb1EEEEE10hipError_tT1_PNSt15iterator_traitsISI_E10value_typeET2_T3_PNSJ_ISO_E10value_typeET4_T5_PST_SU_PNS1_23onesweep_lookback_stateEbbT6_jjT7_P12ihipStream_tbENKUlT_T0_SI_SN_E_clISD_SD_SD_SD_EEDaS11_S12_SI_SN_EUlS11_E_NS1_11comp_targetILNS1_3genE5ELNS1_11target_archE942ELNS1_3gpuE9ELNS1_3repE0EEENS1_47radix_sort_onesweep_sort_config_static_selectorELNS0_4arch9wavefront6targetE1EEEvSI_, .Lfunc_end824-_ZN7rocprim17ROCPRIM_400000_NS6detail17trampoline_kernelINS0_14default_configENS1_35radix_sort_onesweep_config_selectorIiiEEZZNS1_29radix_sort_onesweep_iterationIS3_Lb0EN6thrust23THRUST_200600_302600_NS6detail15normal_iteratorINS8_10device_ptrIiEEEESD_SD_SD_jNS0_19identity_decomposerENS1_16block_id_wrapperIjLb1EEEEE10hipError_tT1_PNSt15iterator_traitsISI_E10value_typeET2_T3_PNSJ_ISO_E10value_typeET4_T5_PST_SU_PNS1_23onesweep_lookback_stateEbbT6_jjT7_P12ihipStream_tbENKUlT_T0_SI_SN_E_clISD_SD_SD_SD_EEDaS11_S12_SI_SN_EUlS11_E_NS1_11comp_targetILNS1_3genE5ELNS1_11target_archE942ELNS1_3gpuE9ELNS1_3repE0EEENS1_47radix_sort_onesweep_sort_config_static_selectorELNS0_4arch9wavefront6targetE1EEEvSI_
                                        ; -- End function
	.set _ZN7rocprim17ROCPRIM_400000_NS6detail17trampoline_kernelINS0_14default_configENS1_35radix_sort_onesweep_config_selectorIiiEEZZNS1_29radix_sort_onesweep_iterationIS3_Lb0EN6thrust23THRUST_200600_302600_NS6detail15normal_iteratorINS8_10device_ptrIiEEEESD_SD_SD_jNS0_19identity_decomposerENS1_16block_id_wrapperIjLb1EEEEE10hipError_tT1_PNSt15iterator_traitsISI_E10value_typeET2_T3_PNSJ_ISO_E10value_typeET4_T5_PST_SU_PNS1_23onesweep_lookback_stateEbbT6_jjT7_P12ihipStream_tbENKUlT_T0_SI_SN_E_clISD_SD_SD_SD_EEDaS11_S12_SI_SN_EUlS11_E_NS1_11comp_targetILNS1_3genE5ELNS1_11target_archE942ELNS1_3gpuE9ELNS1_3repE0EEENS1_47radix_sort_onesweep_sort_config_static_selectorELNS0_4arch9wavefront6targetE1EEEvSI_.num_vgpr, 0
	.set _ZN7rocprim17ROCPRIM_400000_NS6detail17trampoline_kernelINS0_14default_configENS1_35radix_sort_onesweep_config_selectorIiiEEZZNS1_29radix_sort_onesweep_iterationIS3_Lb0EN6thrust23THRUST_200600_302600_NS6detail15normal_iteratorINS8_10device_ptrIiEEEESD_SD_SD_jNS0_19identity_decomposerENS1_16block_id_wrapperIjLb1EEEEE10hipError_tT1_PNSt15iterator_traitsISI_E10value_typeET2_T3_PNSJ_ISO_E10value_typeET4_T5_PST_SU_PNS1_23onesweep_lookback_stateEbbT6_jjT7_P12ihipStream_tbENKUlT_T0_SI_SN_E_clISD_SD_SD_SD_EEDaS11_S12_SI_SN_EUlS11_E_NS1_11comp_targetILNS1_3genE5ELNS1_11target_archE942ELNS1_3gpuE9ELNS1_3repE0EEENS1_47radix_sort_onesweep_sort_config_static_selectorELNS0_4arch9wavefront6targetE1EEEvSI_.num_agpr, 0
	.set _ZN7rocprim17ROCPRIM_400000_NS6detail17trampoline_kernelINS0_14default_configENS1_35radix_sort_onesweep_config_selectorIiiEEZZNS1_29radix_sort_onesweep_iterationIS3_Lb0EN6thrust23THRUST_200600_302600_NS6detail15normal_iteratorINS8_10device_ptrIiEEEESD_SD_SD_jNS0_19identity_decomposerENS1_16block_id_wrapperIjLb1EEEEE10hipError_tT1_PNSt15iterator_traitsISI_E10value_typeET2_T3_PNSJ_ISO_E10value_typeET4_T5_PST_SU_PNS1_23onesweep_lookback_stateEbbT6_jjT7_P12ihipStream_tbENKUlT_T0_SI_SN_E_clISD_SD_SD_SD_EEDaS11_S12_SI_SN_EUlS11_E_NS1_11comp_targetILNS1_3genE5ELNS1_11target_archE942ELNS1_3gpuE9ELNS1_3repE0EEENS1_47radix_sort_onesweep_sort_config_static_selectorELNS0_4arch9wavefront6targetE1EEEvSI_.numbered_sgpr, 0
	.set _ZN7rocprim17ROCPRIM_400000_NS6detail17trampoline_kernelINS0_14default_configENS1_35radix_sort_onesweep_config_selectorIiiEEZZNS1_29radix_sort_onesweep_iterationIS3_Lb0EN6thrust23THRUST_200600_302600_NS6detail15normal_iteratorINS8_10device_ptrIiEEEESD_SD_SD_jNS0_19identity_decomposerENS1_16block_id_wrapperIjLb1EEEEE10hipError_tT1_PNSt15iterator_traitsISI_E10value_typeET2_T3_PNSJ_ISO_E10value_typeET4_T5_PST_SU_PNS1_23onesweep_lookback_stateEbbT6_jjT7_P12ihipStream_tbENKUlT_T0_SI_SN_E_clISD_SD_SD_SD_EEDaS11_S12_SI_SN_EUlS11_E_NS1_11comp_targetILNS1_3genE5ELNS1_11target_archE942ELNS1_3gpuE9ELNS1_3repE0EEENS1_47radix_sort_onesweep_sort_config_static_selectorELNS0_4arch9wavefront6targetE1EEEvSI_.num_named_barrier, 0
	.set _ZN7rocprim17ROCPRIM_400000_NS6detail17trampoline_kernelINS0_14default_configENS1_35radix_sort_onesweep_config_selectorIiiEEZZNS1_29radix_sort_onesweep_iterationIS3_Lb0EN6thrust23THRUST_200600_302600_NS6detail15normal_iteratorINS8_10device_ptrIiEEEESD_SD_SD_jNS0_19identity_decomposerENS1_16block_id_wrapperIjLb1EEEEE10hipError_tT1_PNSt15iterator_traitsISI_E10value_typeET2_T3_PNSJ_ISO_E10value_typeET4_T5_PST_SU_PNS1_23onesweep_lookback_stateEbbT6_jjT7_P12ihipStream_tbENKUlT_T0_SI_SN_E_clISD_SD_SD_SD_EEDaS11_S12_SI_SN_EUlS11_E_NS1_11comp_targetILNS1_3genE5ELNS1_11target_archE942ELNS1_3gpuE9ELNS1_3repE0EEENS1_47radix_sort_onesweep_sort_config_static_selectorELNS0_4arch9wavefront6targetE1EEEvSI_.private_seg_size, 0
	.set _ZN7rocprim17ROCPRIM_400000_NS6detail17trampoline_kernelINS0_14default_configENS1_35radix_sort_onesweep_config_selectorIiiEEZZNS1_29radix_sort_onesweep_iterationIS3_Lb0EN6thrust23THRUST_200600_302600_NS6detail15normal_iteratorINS8_10device_ptrIiEEEESD_SD_SD_jNS0_19identity_decomposerENS1_16block_id_wrapperIjLb1EEEEE10hipError_tT1_PNSt15iterator_traitsISI_E10value_typeET2_T3_PNSJ_ISO_E10value_typeET4_T5_PST_SU_PNS1_23onesweep_lookback_stateEbbT6_jjT7_P12ihipStream_tbENKUlT_T0_SI_SN_E_clISD_SD_SD_SD_EEDaS11_S12_SI_SN_EUlS11_E_NS1_11comp_targetILNS1_3genE5ELNS1_11target_archE942ELNS1_3gpuE9ELNS1_3repE0EEENS1_47radix_sort_onesweep_sort_config_static_selectorELNS0_4arch9wavefront6targetE1EEEvSI_.uses_vcc, 0
	.set _ZN7rocprim17ROCPRIM_400000_NS6detail17trampoline_kernelINS0_14default_configENS1_35radix_sort_onesweep_config_selectorIiiEEZZNS1_29radix_sort_onesweep_iterationIS3_Lb0EN6thrust23THRUST_200600_302600_NS6detail15normal_iteratorINS8_10device_ptrIiEEEESD_SD_SD_jNS0_19identity_decomposerENS1_16block_id_wrapperIjLb1EEEEE10hipError_tT1_PNSt15iterator_traitsISI_E10value_typeET2_T3_PNSJ_ISO_E10value_typeET4_T5_PST_SU_PNS1_23onesweep_lookback_stateEbbT6_jjT7_P12ihipStream_tbENKUlT_T0_SI_SN_E_clISD_SD_SD_SD_EEDaS11_S12_SI_SN_EUlS11_E_NS1_11comp_targetILNS1_3genE5ELNS1_11target_archE942ELNS1_3gpuE9ELNS1_3repE0EEENS1_47radix_sort_onesweep_sort_config_static_selectorELNS0_4arch9wavefront6targetE1EEEvSI_.uses_flat_scratch, 0
	.set _ZN7rocprim17ROCPRIM_400000_NS6detail17trampoline_kernelINS0_14default_configENS1_35radix_sort_onesweep_config_selectorIiiEEZZNS1_29radix_sort_onesweep_iterationIS3_Lb0EN6thrust23THRUST_200600_302600_NS6detail15normal_iteratorINS8_10device_ptrIiEEEESD_SD_SD_jNS0_19identity_decomposerENS1_16block_id_wrapperIjLb1EEEEE10hipError_tT1_PNSt15iterator_traitsISI_E10value_typeET2_T3_PNSJ_ISO_E10value_typeET4_T5_PST_SU_PNS1_23onesweep_lookback_stateEbbT6_jjT7_P12ihipStream_tbENKUlT_T0_SI_SN_E_clISD_SD_SD_SD_EEDaS11_S12_SI_SN_EUlS11_E_NS1_11comp_targetILNS1_3genE5ELNS1_11target_archE942ELNS1_3gpuE9ELNS1_3repE0EEENS1_47radix_sort_onesweep_sort_config_static_selectorELNS0_4arch9wavefront6targetE1EEEvSI_.has_dyn_sized_stack, 0
	.set _ZN7rocprim17ROCPRIM_400000_NS6detail17trampoline_kernelINS0_14default_configENS1_35radix_sort_onesweep_config_selectorIiiEEZZNS1_29radix_sort_onesweep_iterationIS3_Lb0EN6thrust23THRUST_200600_302600_NS6detail15normal_iteratorINS8_10device_ptrIiEEEESD_SD_SD_jNS0_19identity_decomposerENS1_16block_id_wrapperIjLb1EEEEE10hipError_tT1_PNSt15iterator_traitsISI_E10value_typeET2_T3_PNSJ_ISO_E10value_typeET4_T5_PST_SU_PNS1_23onesweep_lookback_stateEbbT6_jjT7_P12ihipStream_tbENKUlT_T0_SI_SN_E_clISD_SD_SD_SD_EEDaS11_S12_SI_SN_EUlS11_E_NS1_11comp_targetILNS1_3genE5ELNS1_11target_archE942ELNS1_3gpuE9ELNS1_3repE0EEENS1_47radix_sort_onesweep_sort_config_static_selectorELNS0_4arch9wavefront6targetE1EEEvSI_.has_recursion, 0
	.set _ZN7rocprim17ROCPRIM_400000_NS6detail17trampoline_kernelINS0_14default_configENS1_35radix_sort_onesweep_config_selectorIiiEEZZNS1_29radix_sort_onesweep_iterationIS3_Lb0EN6thrust23THRUST_200600_302600_NS6detail15normal_iteratorINS8_10device_ptrIiEEEESD_SD_SD_jNS0_19identity_decomposerENS1_16block_id_wrapperIjLb1EEEEE10hipError_tT1_PNSt15iterator_traitsISI_E10value_typeET2_T3_PNSJ_ISO_E10value_typeET4_T5_PST_SU_PNS1_23onesweep_lookback_stateEbbT6_jjT7_P12ihipStream_tbENKUlT_T0_SI_SN_E_clISD_SD_SD_SD_EEDaS11_S12_SI_SN_EUlS11_E_NS1_11comp_targetILNS1_3genE5ELNS1_11target_archE942ELNS1_3gpuE9ELNS1_3repE0EEENS1_47radix_sort_onesweep_sort_config_static_selectorELNS0_4arch9wavefront6targetE1EEEvSI_.has_indirect_call, 0
	.section	.AMDGPU.csdata,"",@progbits
; Kernel info:
; codeLenInByte = 0
; TotalNumSgprs: 6
; NumVgprs: 0
; NumAgprs: 0
; TotalNumVgprs: 0
; ScratchSize: 0
; MemoryBound: 0
; FloatMode: 240
; IeeeMode: 1
; LDSByteSize: 0 bytes/workgroup (compile time only)
; SGPRBlocks: 0
; VGPRBlocks: 0
; NumSGPRsForWavesPerEU: 6
; NumVGPRsForWavesPerEU: 1
; AccumOffset: 4
; Occupancy: 8
; WaveLimiterHint : 0
; COMPUTE_PGM_RSRC2:SCRATCH_EN: 0
; COMPUTE_PGM_RSRC2:USER_SGPR: 2
; COMPUTE_PGM_RSRC2:TRAP_HANDLER: 0
; COMPUTE_PGM_RSRC2:TGID_X_EN: 1
; COMPUTE_PGM_RSRC2:TGID_Y_EN: 0
; COMPUTE_PGM_RSRC2:TGID_Z_EN: 0
; COMPUTE_PGM_RSRC2:TIDIG_COMP_CNT: 0
; COMPUTE_PGM_RSRC3_GFX90A:ACCUM_OFFSET: 0
; COMPUTE_PGM_RSRC3_GFX90A:TG_SPLIT: 0
	.section	.text._ZN7rocprim17ROCPRIM_400000_NS6detail17trampoline_kernelINS0_14default_configENS1_35radix_sort_onesweep_config_selectorIiiEEZZNS1_29radix_sort_onesweep_iterationIS3_Lb0EN6thrust23THRUST_200600_302600_NS6detail15normal_iteratorINS8_10device_ptrIiEEEESD_SD_SD_jNS0_19identity_decomposerENS1_16block_id_wrapperIjLb1EEEEE10hipError_tT1_PNSt15iterator_traitsISI_E10value_typeET2_T3_PNSJ_ISO_E10value_typeET4_T5_PST_SU_PNS1_23onesweep_lookback_stateEbbT6_jjT7_P12ihipStream_tbENKUlT_T0_SI_SN_E_clISD_SD_SD_SD_EEDaS11_S12_SI_SN_EUlS11_E_NS1_11comp_targetILNS1_3genE2ELNS1_11target_archE906ELNS1_3gpuE6ELNS1_3repE0EEENS1_47radix_sort_onesweep_sort_config_static_selectorELNS0_4arch9wavefront6targetE1EEEvSI_,"axG",@progbits,_ZN7rocprim17ROCPRIM_400000_NS6detail17trampoline_kernelINS0_14default_configENS1_35radix_sort_onesweep_config_selectorIiiEEZZNS1_29radix_sort_onesweep_iterationIS3_Lb0EN6thrust23THRUST_200600_302600_NS6detail15normal_iteratorINS8_10device_ptrIiEEEESD_SD_SD_jNS0_19identity_decomposerENS1_16block_id_wrapperIjLb1EEEEE10hipError_tT1_PNSt15iterator_traitsISI_E10value_typeET2_T3_PNSJ_ISO_E10value_typeET4_T5_PST_SU_PNS1_23onesweep_lookback_stateEbbT6_jjT7_P12ihipStream_tbENKUlT_T0_SI_SN_E_clISD_SD_SD_SD_EEDaS11_S12_SI_SN_EUlS11_E_NS1_11comp_targetILNS1_3genE2ELNS1_11target_archE906ELNS1_3gpuE6ELNS1_3repE0EEENS1_47radix_sort_onesweep_sort_config_static_selectorELNS0_4arch9wavefront6targetE1EEEvSI_,comdat
	.protected	_ZN7rocprim17ROCPRIM_400000_NS6detail17trampoline_kernelINS0_14default_configENS1_35radix_sort_onesweep_config_selectorIiiEEZZNS1_29radix_sort_onesweep_iterationIS3_Lb0EN6thrust23THRUST_200600_302600_NS6detail15normal_iteratorINS8_10device_ptrIiEEEESD_SD_SD_jNS0_19identity_decomposerENS1_16block_id_wrapperIjLb1EEEEE10hipError_tT1_PNSt15iterator_traitsISI_E10value_typeET2_T3_PNSJ_ISO_E10value_typeET4_T5_PST_SU_PNS1_23onesweep_lookback_stateEbbT6_jjT7_P12ihipStream_tbENKUlT_T0_SI_SN_E_clISD_SD_SD_SD_EEDaS11_S12_SI_SN_EUlS11_E_NS1_11comp_targetILNS1_3genE2ELNS1_11target_archE906ELNS1_3gpuE6ELNS1_3repE0EEENS1_47radix_sort_onesweep_sort_config_static_selectorELNS0_4arch9wavefront6targetE1EEEvSI_ ; -- Begin function _ZN7rocprim17ROCPRIM_400000_NS6detail17trampoline_kernelINS0_14default_configENS1_35radix_sort_onesweep_config_selectorIiiEEZZNS1_29radix_sort_onesweep_iterationIS3_Lb0EN6thrust23THRUST_200600_302600_NS6detail15normal_iteratorINS8_10device_ptrIiEEEESD_SD_SD_jNS0_19identity_decomposerENS1_16block_id_wrapperIjLb1EEEEE10hipError_tT1_PNSt15iterator_traitsISI_E10value_typeET2_T3_PNSJ_ISO_E10value_typeET4_T5_PST_SU_PNS1_23onesweep_lookback_stateEbbT6_jjT7_P12ihipStream_tbENKUlT_T0_SI_SN_E_clISD_SD_SD_SD_EEDaS11_S12_SI_SN_EUlS11_E_NS1_11comp_targetILNS1_3genE2ELNS1_11target_archE906ELNS1_3gpuE6ELNS1_3repE0EEENS1_47radix_sort_onesweep_sort_config_static_selectorELNS0_4arch9wavefront6targetE1EEEvSI_
	.globl	_ZN7rocprim17ROCPRIM_400000_NS6detail17trampoline_kernelINS0_14default_configENS1_35radix_sort_onesweep_config_selectorIiiEEZZNS1_29radix_sort_onesweep_iterationIS3_Lb0EN6thrust23THRUST_200600_302600_NS6detail15normal_iteratorINS8_10device_ptrIiEEEESD_SD_SD_jNS0_19identity_decomposerENS1_16block_id_wrapperIjLb1EEEEE10hipError_tT1_PNSt15iterator_traitsISI_E10value_typeET2_T3_PNSJ_ISO_E10value_typeET4_T5_PST_SU_PNS1_23onesweep_lookback_stateEbbT6_jjT7_P12ihipStream_tbENKUlT_T0_SI_SN_E_clISD_SD_SD_SD_EEDaS11_S12_SI_SN_EUlS11_E_NS1_11comp_targetILNS1_3genE2ELNS1_11target_archE906ELNS1_3gpuE6ELNS1_3repE0EEENS1_47radix_sort_onesweep_sort_config_static_selectorELNS0_4arch9wavefront6targetE1EEEvSI_
	.p2align	8
	.type	_ZN7rocprim17ROCPRIM_400000_NS6detail17trampoline_kernelINS0_14default_configENS1_35radix_sort_onesweep_config_selectorIiiEEZZNS1_29radix_sort_onesweep_iterationIS3_Lb0EN6thrust23THRUST_200600_302600_NS6detail15normal_iteratorINS8_10device_ptrIiEEEESD_SD_SD_jNS0_19identity_decomposerENS1_16block_id_wrapperIjLb1EEEEE10hipError_tT1_PNSt15iterator_traitsISI_E10value_typeET2_T3_PNSJ_ISO_E10value_typeET4_T5_PST_SU_PNS1_23onesweep_lookback_stateEbbT6_jjT7_P12ihipStream_tbENKUlT_T0_SI_SN_E_clISD_SD_SD_SD_EEDaS11_S12_SI_SN_EUlS11_E_NS1_11comp_targetILNS1_3genE2ELNS1_11target_archE906ELNS1_3gpuE6ELNS1_3repE0EEENS1_47radix_sort_onesweep_sort_config_static_selectorELNS0_4arch9wavefront6targetE1EEEvSI_,@function
_ZN7rocprim17ROCPRIM_400000_NS6detail17trampoline_kernelINS0_14default_configENS1_35radix_sort_onesweep_config_selectorIiiEEZZNS1_29radix_sort_onesweep_iterationIS3_Lb0EN6thrust23THRUST_200600_302600_NS6detail15normal_iteratorINS8_10device_ptrIiEEEESD_SD_SD_jNS0_19identity_decomposerENS1_16block_id_wrapperIjLb1EEEEE10hipError_tT1_PNSt15iterator_traitsISI_E10value_typeET2_T3_PNSJ_ISO_E10value_typeET4_T5_PST_SU_PNS1_23onesweep_lookback_stateEbbT6_jjT7_P12ihipStream_tbENKUlT_T0_SI_SN_E_clISD_SD_SD_SD_EEDaS11_S12_SI_SN_EUlS11_E_NS1_11comp_targetILNS1_3genE2ELNS1_11target_archE906ELNS1_3gpuE6ELNS1_3repE0EEENS1_47radix_sort_onesweep_sort_config_static_selectorELNS0_4arch9wavefront6targetE1EEEvSI_: ; @_ZN7rocprim17ROCPRIM_400000_NS6detail17trampoline_kernelINS0_14default_configENS1_35radix_sort_onesweep_config_selectorIiiEEZZNS1_29radix_sort_onesweep_iterationIS3_Lb0EN6thrust23THRUST_200600_302600_NS6detail15normal_iteratorINS8_10device_ptrIiEEEESD_SD_SD_jNS0_19identity_decomposerENS1_16block_id_wrapperIjLb1EEEEE10hipError_tT1_PNSt15iterator_traitsISI_E10value_typeET2_T3_PNSJ_ISO_E10value_typeET4_T5_PST_SU_PNS1_23onesweep_lookback_stateEbbT6_jjT7_P12ihipStream_tbENKUlT_T0_SI_SN_E_clISD_SD_SD_SD_EEDaS11_S12_SI_SN_EUlS11_E_NS1_11comp_targetILNS1_3genE2ELNS1_11target_archE906ELNS1_3gpuE6ELNS1_3repE0EEENS1_47radix_sort_onesweep_sort_config_static_selectorELNS0_4arch9wavefront6targetE1EEEvSI_
; %bb.0:
	.section	.rodata,"a",@progbits
	.p2align	6, 0x0
	.amdhsa_kernel _ZN7rocprim17ROCPRIM_400000_NS6detail17trampoline_kernelINS0_14default_configENS1_35radix_sort_onesweep_config_selectorIiiEEZZNS1_29radix_sort_onesweep_iterationIS3_Lb0EN6thrust23THRUST_200600_302600_NS6detail15normal_iteratorINS8_10device_ptrIiEEEESD_SD_SD_jNS0_19identity_decomposerENS1_16block_id_wrapperIjLb1EEEEE10hipError_tT1_PNSt15iterator_traitsISI_E10value_typeET2_T3_PNSJ_ISO_E10value_typeET4_T5_PST_SU_PNS1_23onesweep_lookback_stateEbbT6_jjT7_P12ihipStream_tbENKUlT_T0_SI_SN_E_clISD_SD_SD_SD_EEDaS11_S12_SI_SN_EUlS11_E_NS1_11comp_targetILNS1_3genE2ELNS1_11target_archE906ELNS1_3gpuE6ELNS1_3repE0EEENS1_47radix_sort_onesweep_sort_config_static_selectorELNS0_4arch9wavefront6targetE1EEEvSI_
		.amdhsa_group_segment_fixed_size 0
		.amdhsa_private_segment_fixed_size 0
		.amdhsa_kernarg_size 88
		.amdhsa_user_sgpr_count 2
		.amdhsa_user_sgpr_dispatch_ptr 0
		.amdhsa_user_sgpr_queue_ptr 0
		.amdhsa_user_sgpr_kernarg_segment_ptr 1
		.amdhsa_user_sgpr_dispatch_id 0
		.amdhsa_user_sgpr_kernarg_preload_length 0
		.amdhsa_user_sgpr_kernarg_preload_offset 0
		.amdhsa_user_sgpr_private_segment_size 0
		.amdhsa_uses_dynamic_stack 0
		.amdhsa_enable_private_segment 0
		.amdhsa_system_sgpr_workgroup_id_x 1
		.amdhsa_system_sgpr_workgroup_id_y 0
		.amdhsa_system_sgpr_workgroup_id_z 0
		.amdhsa_system_sgpr_workgroup_info 0
		.amdhsa_system_vgpr_workitem_id 0
		.amdhsa_next_free_vgpr 1
		.amdhsa_next_free_sgpr 0
		.amdhsa_accum_offset 4
		.amdhsa_reserve_vcc 0
		.amdhsa_float_round_mode_32 0
		.amdhsa_float_round_mode_16_64 0
		.amdhsa_float_denorm_mode_32 3
		.amdhsa_float_denorm_mode_16_64 3
		.amdhsa_dx10_clamp 1
		.amdhsa_ieee_mode 1
		.amdhsa_fp16_overflow 0
		.amdhsa_tg_split 0
		.amdhsa_exception_fp_ieee_invalid_op 0
		.amdhsa_exception_fp_denorm_src 0
		.amdhsa_exception_fp_ieee_div_zero 0
		.amdhsa_exception_fp_ieee_overflow 0
		.amdhsa_exception_fp_ieee_underflow 0
		.amdhsa_exception_fp_ieee_inexact 0
		.amdhsa_exception_int_div_zero 0
	.end_amdhsa_kernel
	.section	.text._ZN7rocprim17ROCPRIM_400000_NS6detail17trampoline_kernelINS0_14default_configENS1_35radix_sort_onesweep_config_selectorIiiEEZZNS1_29radix_sort_onesweep_iterationIS3_Lb0EN6thrust23THRUST_200600_302600_NS6detail15normal_iteratorINS8_10device_ptrIiEEEESD_SD_SD_jNS0_19identity_decomposerENS1_16block_id_wrapperIjLb1EEEEE10hipError_tT1_PNSt15iterator_traitsISI_E10value_typeET2_T3_PNSJ_ISO_E10value_typeET4_T5_PST_SU_PNS1_23onesweep_lookback_stateEbbT6_jjT7_P12ihipStream_tbENKUlT_T0_SI_SN_E_clISD_SD_SD_SD_EEDaS11_S12_SI_SN_EUlS11_E_NS1_11comp_targetILNS1_3genE2ELNS1_11target_archE906ELNS1_3gpuE6ELNS1_3repE0EEENS1_47radix_sort_onesweep_sort_config_static_selectorELNS0_4arch9wavefront6targetE1EEEvSI_,"axG",@progbits,_ZN7rocprim17ROCPRIM_400000_NS6detail17trampoline_kernelINS0_14default_configENS1_35radix_sort_onesweep_config_selectorIiiEEZZNS1_29radix_sort_onesweep_iterationIS3_Lb0EN6thrust23THRUST_200600_302600_NS6detail15normal_iteratorINS8_10device_ptrIiEEEESD_SD_SD_jNS0_19identity_decomposerENS1_16block_id_wrapperIjLb1EEEEE10hipError_tT1_PNSt15iterator_traitsISI_E10value_typeET2_T3_PNSJ_ISO_E10value_typeET4_T5_PST_SU_PNS1_23onesweep_lookback_stateEbbT6_jjT7_P12ihipStream_tbENKUlT_T0_SI_SN_E_clISD_SD_SD_SD_EEDaS11_S12_SI_SN_EUlS11_E_NS1_11comp_targetILNS1_3genE2ELNS1_11target_archE906ELNS1_3gpuE6ELNS1_3repE0EEENS1_47radix_sort_onesweep_sort_config_static_selectorELNS0_4arch9wavefront6targetE1EEEvSI_,comdat
.Lfunc_end825:
	.size	_ZN7rocprim17ROCPRIM_400000_NS6detail17trampoline_kernelINS0_14default_configENS1_35radix_sort_onesweep_config_selectorIiiEEZZNS1_29radix_sort_onesweep_iterationIS3_Lb0EN6thrust23THRUST_200600_302600_NS6detail15normal_iteratorINS8_10device_ptrIiEEEESD_SD_SD_jNS0_19identity_decomposerENS1_16block_id_wrapperIjLb1EEEEE10hipError_tT1_PNSt15iterator_traitsISI_E10value_typeET2_T3_PNSJ_ISO_E10value_typeET4_T5_PST_SU_PNS1_23onesweep_lookback_stateEbbT6_jjT7_P12ihipStream_tbENKUlT_T0_SI_SN_E_clISD_SD_SD_SD_EEDaS11_S12_SI_SN_EUlS11_E_NS1_11comp_targetILNS1_3genE2ELNS1_11target_archE906ELNS1_3gpuE6ELNS1_3repE0EEENS1_47radix_sort_onesweep_sort_config_static_selectorELNS0_4arch9wavefront6targetE1EEEvSI_, .Lfunc_end825-_ZN7rocprim17ROCPRIM_400000_NS6detail17trampoline_kernelINS0_14default_configENS1_35radix_sort_onesweep_config_selectorIiiEEZZNS1_29radix_sort_onesweep_iterationIS3_Lb0EN6thrust23THRUST_200600_302600_NS6detail15normal_iteratorINS8_10device_ptrIiEEEESD_SD_SD_jNS0_19identity_decomposerENS1_16block_id_wrapperIjLb1EEEEE10hipError_tT1_PNSt15iterator_traitsISI_E10value_typeET2_T3_PNSJ_ISO_E10value_typeET4_T5_PST_SU_PNS1_23onesweep_lookback_stateEbbT6_jjT7_P12ihipStream_tbENKUlT_T0_SI_SN_E_clISD_SD_SD_SD_EEDaS11_S12_SI_SN_EUlS11_E_NS1_11comp_targetILNS1_3genE2ELNS1_11target_archE906ELNS1_3gpuE6ELNS1_3repE0EEENS1_47radix_sort_onesweep_sort_config_static_selectorELNS0_4arch9wavefront6targetE1EEEvSI_
                                        ; -- End function
	.set _ZN7rocprim17ROCPRIM_400000_NS6detail17trampoline_kernelINS0_14default_configENS1_35radix_sort_onesweep_config_selectorIiiEEZZNS1_29radix_sort_onesweep_iterationIS3_Lb0EN6thrust23THRUST_200600_302600_NS6detail15normal_iteratorINS8_10device_ptrIiEEEESD_SD_SD_jNS0_19identity_decomposerENS1_16block_id_wrapperIjLb1EEEEE10hipError_tT1_PNSt15iterator_traitsISI_E10value_typeET2_T3_PNSJ_ISO_E10value_typeET4_T5_PST_SU_PNS1_23onesweep_lookback_stateEbbT6_jjT7_P12ihipStream_tbENKUlT_T0_SI_SN_E_clISD_SD_SD_SD_EEDaS11_S12_SI_SN_EUlS11_E_NS1_11comp_targetILNS1_3genE2ELNS1_11target_archE906ELNS1_3gpuE6ELNS1_3repE0EEENS1_47radix_sort_onesweep_sort_config_static_selectorELNS0_4arch9wavefront6targetE1EEEvSI_.num_vgpr, 0
	.set _ZN7rocprim17ROCPRIM_400000_NS6detail17trampoline_kernelINS0_14default_configENS1_35radix_sort_onesweep_config_selectorIiiEEZZNS1_29radix_sort_onesweep_iterationIS3_Lb0EN6thrust23THRUST_200600_302600_NS6detail15normal_iteratorINS8_10device_ptrIiEEEESD_SD_SD_jNS0_19identity_decomposerENS1_16block_id_wrapperIjLb1EEEEE10hipError_tT1_PNSt15iterator_traitsISI_E10value_typeET2_T3_PNSJ_ISO_E10value_typeET4_T5_PST_SU_PNS1_23onesweep_lookback_stateEbbT6_jjT7_P12ihipStream_tbENKUlT_T0_SI_SN_E_clISD_SD_SD_SD_EEDaS11_S12_SI_SN_EUlS11_E_NS1_11comp_targetILNS1_3genE2ELNS1_11target_archE906ELNS1_3gpuE6ELNS1_3repE0EEENS1_47radix_sort_onesweep_sort_config_static_selectorELNS0_4arch9wavefront6targetE1EEEvSI_.num_agpr, 0
	.set _ZN7rocprim17ROCPRIM_400000_NS6detail17trampoline_kernelINS0_14default_configENS1_35radix_sort_onesweep_config_selectorIiiEEZZNS1_29radix_sort_onesweep_iterationIS3_Lb0EN6thrust23THRUST_200600_302600_NS6detail15normal_iteratorINS8_10device_ptrIiEEEESD_SD_SD_jNS0_19identity_decomposerENS1_16block_id_wrapperIjLb1EEEEE10hipError_tT1_PNSt15iterator_traitsISI_E10value_typeET2_T3_PNSJ_ISO_E10value_typeET4_T5_PST_SU_PNS1_23onesweep_lookback_stateEbbT6_jjT7_P12ihipStream_tbENKUlT_T0_SI_SN_E_clISD_SD_SD_SD_EEDaS11_S12_SI_SN_EUlS11_E_NS1_11comp_targetILNS1_3genE2ELNS1_11target_archE906ELNS1_3gpuE6ELNS1_3repE0EEENS1_47radix_sort_onesweep_sort_config_static_selectorELNS0_4arch9wavefront6targetE1EEEvSI_.numbered_sgpr, 0
	.set _ZN7rocprim17ROCPRIM_400000_NS6detail17trampoline_kernelINS0_14default_configENS1_35radix_sort_onesweep_config_selectorIiiEEZZNS1_29radix_sort_onesweep_iterationIS3_Lb0EN6thrust23THRUST_200600_302600_NS6detail15normal_iteratorINS8_10device_ptrIiEEEESD_SD_SD_jNS0_19identity_decomposerENS1_16block_id_wrapperIjLb1EEEEE10hipError_tT1_PNSt15iterator_traitsISI_E10value_typeET2_T3_PNSJ_ISO_E10value_typeET4_T5_PST_SU_PNS1_23onesweep_lookback_stateEbbT6_jjT7_P12ihipStream_tbENKUlT_T0_SI_SN_E_clISD_SD_SD_SD_EEDaS11_S12_SI_SN_EUlS11_E_NS1_11comp_targetILNS1_3genE2ELNS1_11target_archE906ELNS1_3gpuE6ELNS1_3repE0EEENS1_47radix_sort_onesweep_sort_config_static_selectorELNS0_4arch9wavefront6targetE1EEEvSI_.num_named_barrier, 0
	.set _ZN7rocprim17ROCPRIM_400000_NS6detail17trampoline_kernelINS0_14default_configENS1_35radix_sort_onesweep_config_selectorIiiEEZZNS1_29radix_sort_onesweep_iterationIS3_Lb0EN6thrust23THRUST_200600_302600_NS6detail15normal_iteratorINS8_10device_ptrIiEEEESD_SD_SD_jNS0_19identity_decomposerENS1_16block_id_wrapperIjLb1EEEEE10hipError_tT1_PNSt15iterator_traitsISI_E10value_typeET2_T3_PNSJ_ISO_E10value_typeET4_T5_PST_SU_PNS1_23onesweep_lookback_stateEbbT6_jjT7_P12ihipStream_tbENKUlT_T0_SI_SN_E_clISD_SD_SD_SD_EEDaS11_S12_SI_SN_EUlS11_E_NS1_11comp_targetILNS1_3genE2ELNS1_11target_archE906ELNS1_3gpuE6ELNS1_3repE0EEENS1_47radix_sort_onesweep_sort_config_static_selectorELNS0_4arch9wavefront6targetE1EEEvSI_.private_seg_size, 0
	.set _ZN7rocprim17ROCPRIM_400000_NS6detail17trampoline_kernelINS0_14default_configENS1_35radix_sort_onesweep_config_selectorIiiEEZZNS1_29radix_sort_onesweep_iterationIS3_Lb0EN6thrust23THRUST_200600_302600_NS6detail15normal_iteratorINS8_10device_ptrIiEEEESD_SD_SD_jNS0_19identity_decomposerENS1_16block_id_wrapperIjLb1EEEEE10hipError_tT1_PNSt15iterator_traitsISI_E10value_typeET2_T3_PNSJ_ISO_E10value_typeET4_T5_PST_SU_PNS1_23onesweep_lookback_stateEbbT6_jjT7_P12ihipStream_tbENKUlT_T0_SI_SN_E_clISD_SD_SD_SD_EEDaS11_S12_SI_SN_EUlS11_E_NS1_11comp_targetILNS1_3genE2ELNS1_11target_archE906ELNS1_3gpuE6ELNS1_3repE0EEENS1_47radix_sort_onesweep_sort_config_static_selectorELNS0_4arch9wavefront6targetE1EEEvSI_.uses_vcc, 0
	.set _ZN7rocprim17ROCPRIM_400000_NS6detail17trampoline_kernelINS0_14default_configENS1_35radix_sort_onesweep_config_selectorIiiEEZZNS1_29radix_sort_onesweep_iterationIS3_Lb0EN6thrust23THRUST_200600_302600_NS6detail15normal_iteratorINS8_10device_ptrIiEEEESD_SD_SD_jNS0_19identity_decomposerENS1_16block_id_wrapperIjLb1EEEEE10hipError_tT1_PNSt15iterator_traitsISI_E10value_typeET2_T3_PNSJ_ISO_E10value_typeET4_T5_PST_SU_PNS1_23onesweep_lookback_stateEbbT6_jjT7_P12ihipStream_tbENKUlT_T0_SI_SN_E_clISD_SD_SD_SD_EEDaS11_S12_SI_SN_EUlS11_E_NS1_11comp_targetILNS1_3genE2ELNS1_11target_archE906ELNS1_3gpuE6ELNS1_3repE0EEENS1_47radix_sort_onesweep_sort_config_static_selectorELNS0_4arch9wavefront6targetE1EEEvSI_.uses_flat_scratch, 0
	.set _ZN7rocprim17ROCPRIM_400000_NS6detail17trampoline_kernelINS0_14default_configENS1_35radix_sort_onesweep_config_selectorIiiEEZZNS1_29radix_sort_onesweep_iterationIS3_Lb0EN6thrust23THRUST_200600_302600_NS6detail15normal_iteratorINS8_10device_ptrIiEEEESD_SD_SD_jNS0_19identity_decomposerENS1_16block_id_wrapperIjLb1EEEEE10hipError_tT1_PNSt15iterator_traitsISI_E10value_typeET2_T3_PNSJ_ISO_E10value_typeET4_T5_PST_SU_PNS1_23onesweep_lookback_stateEbbT6_jjT7_P12ihipStream_tbENKUlT_T0_SI_SN_E_clISD_SD_SD_SD_EEDaS11_S12_SI_SN_EUlS11_E_NS1_11comp_targetILNS1_3genE2ELNS1_11target_archE906ELNS1_3gpuE6ELNS1_3repE0EEENS1_47radix_sort_onesweep_sort_config_static_selectorELNS0_4arch9wavefront6targetE1EEEvSI_.has_dyn_sized_stack, 0
	.set _ZN7rocprim17ROCPRIM_400000_NS6detail17trampoline_kernelINS0_14default_configENS1_35radix_sort_onesweep_config_selectorIiiEEZZNS1_29radix_sort_onesweep_iterationIS3_Lb0EN6thrust23THRUST_200600_302600_NS6detail15normal_iteratorINS8_10device_ptrIiEEEESD_SD_SD_jNS0_19identity_decomposerENS1_16block_id_wrapperIjLb1EEEEE10hipError_tT1_PNSt15iterator_traitsISI_E10value_typeET2_T3_PNSJ_ISO_E10value_typeET4_T5_PST_SU_PNS1_23onesweep_lookback_stateEbbT6_jjT7_P12ihipStream_tbENKUlT_T0_SI_SN_E_clISD_SD_SD_SD_EEDaS11_S12_SI_SN_EUlS11_E_NS1_11comp_targetILNS1_3genE2ELNS1_11target_archE906ELNS1_3gpuE6ELNS1_3repE0EEENS1_47radix_sort_onesweep_sort_config_static_selectorELNS0_4arch9wavefront6targetE1EEEvSI_.has_recursion, 0
	.set _ZN7rocprim17ROCPRIM_400000_NS6detail17trampoline_kernelINS0_14default_configENS1_35radix_sort_onesweep_config_selectorIiiEEZZNS1_29radix_sort_onesweep_iterationIS3_Lb0EN6thrust23THRUST_200600_302600_NS6detail15normal_iteratorINS8_10device_ptrIiEEEESD_SD_SD_jNS0_19identity_decomposerENS1_16block_id_wrapperIjLb1EEEEE10hipError_tT1_PNSt15iterator_traitsISI_E10value_typeET2_T3_PNSJ_ISO_E10value_typeET4_T5_PST_SU_PNS1_23onesweep_lookback_stateEbbT6_jjT7_P12ihipStream_tbENKUlT_T0_SI_SN_E_clISD_SD_SD_SD_EEDaS11_S12_SI_SN_EUlS11_E_NS1_11comp_targetILNS1_3genE2ELNS1_11target_archE906ELNS1_3gpuE6ELNS1_3repE0EEENS1_47radix_sort_onesweep_sort_config_static_selectorELNS0_4arch9wavefront6targetE1EEEvSI_.has_indirect_call, 0
	.section	.AMDGPU.csdata,"",@progbits
; Kernel info:
; codeLenInByte = 0
; TotalNumSgprs: 6
; NumVgprs: 0
; NumAgprs: 0
; TotalNumVgprs: 0
; ScratchSize: 0
; MemoryBound: 0
; FloatMode: 240
; IeeeMode: 1
; LDSByteSize: 0 bytes/workgroup (compile time only)
; SGPRBlocks: 0
; VGPRBlocks: 0
; NumSGPRsForWavesPerEU: 6
; NumVGPRsForWavesPerEU: 1
; AccumOffset: 4
; Occupancy: 8
; WaveLimiterHint : 0
; COMPUTE_PGM_RSRC2:SCRATCH_EN: 0
; COMPUTE_PGM_RSRC2:USER_SGPR: 2
; COMPUTE_PGM_RSRC2:TRAP_HANDLER: 0
; COMPUTE_PGM_RSRC2:TGID_X_EN: 1
; COMPUTE_PGM_RSRC2:TGID_Y_EN: 0
; COMPUTE_PGM_RSRC2:TGID_Z_EN: 0
; COMPUTE_PGM_RSRC2:TIDIG_COMP_CNT: 0
; COMPUTE_PGM_RSRC3_GFX90A:ACCUM_OFFSET: 0
; COMPUTE_PGM_RSRC3_GFX90A:TG_SPLIT: 0
	.section	.text._ZN7rocprim17ROCPRIM_400000_NS6detail17trampoline_kernelINS0_14default_configENS1_35radix_sort_onesweep_config_selectorIiiEEZZNS1_29radix_sort_onesweep_iterationIS3_Lb0EN6thrust23THRUST_200600_302600_NS6detail15normal_iteratorINS8_10device_ptrIiEEEESD_SD_SD_jNS0_19identity_decomposerENS1_16block_id_wrapperIjLb1EEEEE10hipError_tT1_PNSt15iterator_traitsISI_E10value_typeET2_T3_PNSJ_ISO_E10value_typeET4_T5_PST_SU_PNS1_23onesweep_lookback_stateEbbT6_jjT7_P12ihipStream_tbENKUlT_T0_SI_SN_E_clISD_SD_SD_SD_EEDaS11_S12_SI_SN_EUlS11_E_NS1_11comp_targetILNS1_3genE4ELNS1_11target_archE910ELNS1_3gpuE8ELNS1_3repE0EEENS1_47radix_sort_onesweep_sort_config_static_selectorELNS0_4arch9wavefront6targetE1EEEvSI_,"axG",@progbits,_ZN7rocprim17ROCPRIM_400000_NS6detail17trampoline_kernelINS0_14default_configENS1_35radix_sort_onesweep_config_selectorIiiEEZZNS1_29radix_sort_onesweep_iterationIS3_Lb0EN6thrust23THRUST_200600_302600_NS6detail15normal_iteratorINS8_10device_ptrIiEEEESD_SD_SD_jNS0_19identity_decomposerENS1_16block_id_wrapperIjLb1EEEEE10hipError_tT1_PNSt15iterator_traitsISI_E10value_typeET2_T3_PNSJ_ISO_E10value_typeET4_T5_PST_SU_PNS1_23onesweep_lookback_stateEbbT6_jjT7_P12ihipStream_tbENKUlT_T0_SI_SN_E_clISD_SD_SD_SD_EEDaS11_S12_SI_SN_EUlS11_E_NS1_11comp_targetILNS1_3genE4ELNS1_11target_archE910ELNS1_3gpuE8ELNS1_3repE0EEENS1_47radix_sort_onesweep_sort_config_static_selectorELNS0_4arch9wavefront6targetE1EEEvSI_,comdat
	.protected	_ZN7rocprim17ROCPRIM_400000_NS6detail17trampoline_kernelINS0_14default_configENS1_35radix_sort_onesweep_config_selectorIiiEEZZNS1_29radix_sort_onesweep_iterationIS3_Lb0EN6thrust23THRUST_200600_302600_NS6detail15normal_iteratorINS8_10device_ptrIiEEEESD_SD_SD_jNS0_19identity_decomposerENS1_16block_id_wrapperIjLb1EEEEE10hipError_tT1_PNSt15iterator_traitsISI_E10value_typeET2_T3_PNSJ_ISO_E10value_typeET4_T5_PST_SU_PNS1_23onesweep_lookback_stateEbbT6_jjT7_P12ihipStream_tbENKUlT_T0_SI_SN_E_clISD_SD_SD_SD_EEDaS11_S12_SI_SN_EUlS11_E_NS1_11comp_targetILNS1_3genE4ELNS1_11target_archE910ELNS1_3gpuE8ELNS1_3repE0EEENS1_47radix_sort_onesweep_sort_config_static_selectorELNS0_4arch9wavefront6targetE1EEEvSI_ ; -- Begin function _ZN7rocprim17ROCPRIM_400000_NS6detail17trampoline_kernelINS0_14default_configENS1_35radix_sort_onesweep_config_selectorIiiEEZZNS1_29radix_sort_onesweep_iterationIS3_Lb0EN6thrust23THRUST_200600_302600_NS6detail15normal_iteratorINS8_10device_ptrIiEEEESD_SD_SD_jNS0_19identity_decomposerENS1_16block_id_wrapperIjLb1EEEEE10hipError_tT1_PNSt15iterator_traitsISI_E10value_typeET2_T3_PNSJ_ISO_E10value_typeET4_T5_PST_SU_PNS1_23onesweep_lookback_stateEbbT6_jjT7_P12ihipStream_tbENKUlT_T0_SI_SN_E_clISD_SD_SD_SD_EEDaS11_S12_SI_SN_EUlS11_E_NS1_11comp_targetILNS1_3genE4ELNS1_11target_archE910ELNS1_3gpuE8ELNS1_3repE0EEENS1_47radix_sort_onesweep_sort_config_static_selectorELNS0_4arch9wavefront6targetE1EEEvSI_
	.globl	_ZN7rocprim17ROCPRIM_400000_NS6detail17trampoline_kernelINS0_14default_configENS1_35radix_sort_onesweep_config_selectorIiiEEZZNS1_29radix_sort_onesweep_iterationIS3_Lb0EN6thrust23THRUST_200600_302600_NS6detail15normal_iteratorINS8_10device_ptrIiEEEESD_SD_SD_jNS0_19identity_decomposerENS1_16block_id_wrapperIjLb1EEEEE10hipError_tT1_PNSt15iterator_traitsISI_E10value_typeET2_T3_PNSJ_ISO_E10value_typeET4_T5_PST_SU_PNS1_23onesweep_lookback_stateEbbT6_jjT7_P12ihipStream_tbENKUlT_T0_SI_SN_E_clISD_SD_SD_SD_EEDaS11_S12_SI_SN_EUlS11_E_NS1_11comp_targetILNS1_3genE4ELNS1_11target_archE910ELNS1_3gpuE8ELNS1_3repE0EEENS1_47radix_sort_onesweep_sort_config_static_selectorELNS0_4arch9wavefront6targetE1EEEvSI_
	.p2align	8
	.type	_ZN7rocprim17ROCPRIM_400000_NS6detail17trampoline_kernelINS0_14default_configENS1_35radix_sort_onesweep_config_selectorIiiEEZZNS1_29radix_sort_onesweep_iterationIS3_Lb0EN6thrust23THRUST_200600_302600_NS6detail15normal_iteratorINS8_10device_ptrIiEEEESD_SD_SD_jNS0_19identity_decomposerENS1_16block_id_wrapperIjLb1EEEEE10hipError_tT1_PNSt15iterator_traitsISI_E10value_typeET2_T3_PNSJ_ISO_E10value_typeET4_T5_PST_SU_PNS1_23onesweep_lookback_stateEbbT6_jjT7_P12ihipStream_tbENKUlT_T0_SI_SN_E_clISD_SD_SD_SD_EEDaS11_S12_SI_SN_EUlS11_E_NS1_11comp_targetILNS1_3genE4ELNS1_11target_archE910ELNS1_3gpuE8ELNS1_3repE0EEENS1_47radix_sort_onesweep_sort_config_static_selectorELNS0_4arch9wavefront6targetE1EEEvSI_,@function
_ZN7rocprim17ROCPRIM_400000_NS6detail17trampoline_kernelINS0_14default_configENS1_35radix_sort_onesweep_config_selectorIiiEEZZNS1_29radix_sort_onesweep_iterationIS3_Lb0EN6thrust23THRUST_200600_302600_NS6detail15normal_iteratorINS8_10device_ptrIiEEEESD_SD_SD_jNS0_19identity_decomposerENS1_16block_id_wrapperIjLb1EEEEE10hipError_tT1_PNSt15iterator_traitsISI_E10value_typeET2_T3_PNSJ_ISO_E10value_typeET4_T5_PST_SU_PNS1_23onesweep_lookback_stateEbbT6_jjT7_P12ihipStream_tbENKUlT_T0_SI_SN_E_clISD_SD_SD_SD_EEDaS11_S12_SI_SN_EUlS11_E_NS1_11comp_targetILNS1_3genE4ELNS1_11target_archE910ELNS1_3gpuE8ELNS1_3repE0EEENS1_47radix_sort_onesweep_sort_config_static_selectorELNS0_4arch9wavefront6targetE1EEEvSI_: ; @_ZN7rocprim17ROCPRIM_400000_NS6detail17trampoline_kernelINS0_14default_configENS1_35radix_sort_onesweep_config_selectorIiiEEZZNS1_29radix_sort_onesweep_iterationIS3_Lb0EN6thrust23THRUST_200600_302600_NS6detail15normal_iteratorINS8_10device_ptrIiEEEESD_SD_SD_jNS0_19identity_decomposerENS1_16block_id_wrapperIjLb1EEEEE10hipError_tT1_PNSt15iterator_traitsISI_E10value_typeET2_T3_PNSJ_ISO_E10value_typeET4_T5_PST_SU_PNS1_23onesweep_lookback_stateEbbT6_jjT7_P12ihipStream_tbENKUlT_T0_SI_SN_E_clISD_SD_SD_SD_EEDaS11_S12_SI_SN_EUlS11_E_NS1_11comp_targetILNS1_3genE4ELNS1_11target_archE910ELNS1_3gpuE8ELNS1_3repE0EEENS1_47radix_sort_onesweep_sort_config_static_selectorELNS0_4arch9wavefront6targetE1EEEvSI_
; %bb.0:
	.section	.rodata,"a",@progbits
	.p2align	6, 0x0
	.amdhsa_kernel _ZN7rocprim17ROCPRIM_400000_NS6detail17trampoline_kernelINS0_14default_configENS1_35radix_sort_onesweep_config_selectorIiiEEZZNS1_29radix_sort_onesweep_iterationIS3_Lb0EN6thrust23THRUST_200600_302600_NS6detail15normal_iteratorINS8_10device_ptrIiEEEESD_SD_SD_jNS0_19identity_decomposerENS1_16block_id_wrapperIjLb1EEEEE10hipError_tT1_PNSt15iterator_traitsISI_E10value_typeET2_T3_PNSJ_ISO_E10value_typeET4_T5_PST_SU_PNS1_23onesweep_lookback_stateEbbT6_jjT7_P12ihipStream_tbENKUlT_T0_SI_SN_E_clISD_SD_SD_SD_EEDaS11_S12_SI_SN_EUlS11_E_NS1_11comp_targetILNS1_3genE4ELNS1_11target_archE910ELNS1_3gpuE8ELNS1_3repE0EEENS1_47radix_sort_onesweep_sort_config_static_selectorELNS0_4arch9wavefront6targetE1EEEvSI_
		.amdhsa_group_segment_fixed_size 0
		.amdhsa_private_segment_fixed_size 0
		.amdhsa_kernarg_size 88
		.amdhsa_user_sgpr_count 2
		.amdhsa_user_sgpr_dispatch_ptr 0
		.amdhsa_user_sgpr_queue_ptr 0
		.amdhsa_user_sgpr_kernarg_segment_ptr 1
		.amdhsa_user_sgpr_dispatch_id 0
		.amdhsa_user_sgpr_kernarg_preload_length 0
		.amdhsa_user_sgpr_kernarg_preload_offset 0
		.amdhsa_user_sgpr_private_segment_size 0
		.amdhsa_uses_dynamic_stack 0
		.amdhsa_enable_private_segment 0
		.amdhsa_system_sgpr_workgroup_id_x 1
		.amdhsa_system_sgpr_workgroup_id_y 0
		.amdhsa_system_sgpr_workgroup_id_z 0
		.amdhsa_system_sgpr_workgroup_info 0
		.amdhsa_system_vgpr_workitem_id 0
		.amdhsa_next_free_vgpr 1
		.amdhsa_next_free_sgpr 0
		.amdhsa_accum_offset 4
		.amdhsa_reserve_vcc 0
		.amdhsa_float_round_mode_32 0
		.amdhsa_float_round_mode_16_64 0
		.amdhsa_float_denorm_mode_32 3
		.amdhsa_float_denorm_mode_16_64 3
		.amdhsa_dx10_clamp 1
		.amdhsa_ieee_mode 1
		.amdhsa_fp16_overflow 0
		.amdhsa_tg_split 0
		.amdhsa_exception_fp_ieee_invalid_op 0
		.amdhsa_exception_fp_denorm_src 0
		.amdhsa_exception_fp_ieee_div_zero 0
		.amdhsa_exception_fp_ieee_overflow 0
		.amdhsa_exception_fp_ieee_underflow 0
		.amdhsa_exception_fp_ieee_inexact 0
		.amdhsa_exception_int_div_zero 0
	.end_amdhsa_kernel
	.section	.text._ZN7rocprim17ROCPRIM_400000_NS6detail17trampoline_kernelINS0_14default_configENS1_35radix_sort_onesweep_config_selectorIiiEEZZNS1_29radix_sort_onesweep_iterationIS3_Lb0EN6thrust23THRUST_200600_302600_NS6detail15normal_iteratorINS8_10device_ptrIiEEEESD_SD_SD_jNS0_19identity_decomposerENS1_16block_id_wrapperIjLb1EEEEE10hipError_tT1_PNSt15iterator_traitsISI_E10value_typeET2_T3_PNSJ_ISO_E10value_typeET4_T5_PST_SU_PNS1_23onesweep_lookback_stateEbbT6_jjT7_P12ihipStream_tbENKUlT_T0_SI_SN_E_clISD_SD_SD_SD_EEDaS11_S12_SI_SN_EUlS11_E_NS1_11comp_targetILNS1_3genE4ELNS1_11target_archE910ELNS1_3gpuE8ELNS1_3repE0EEENS1_47radix_sort_onesweep_sort_config_static_selectorELNS0_4arch9wavefront6targetE1EEEvSI_,"axG",@progbits,_ZN7rocprim17ROCPRIM_400000_NS6detail17trampoline_kernelINS0_14default_configENS1_35radix_sort_onesweep_config_selectorIiiEEZZNS1_29radix_sort_onesweep_iterationIS3_Lb0EN6thrust23THRUST_200600_302600_NS6detail15normal_iteratorINS8_10device_ptrIiEEEESD_SD_SD_jNS0_19identity_decomposerENS1_16block_id_wrapperIjLb1EEEEE10hipError_tT1_PNSt15iterator_traitsISI_E10value_typeET2_T3_PNSJ_ISO_E10value_typeET4_T5_PST_SU_PNS1_23onesweep_lookback_stateEbbT6_jjT7_P12ihipStream_tbENKUlT_T0_SI_SN_E_clISD_SD_SD_SD_EEDaS11_S12_SI_SN_EUlS11_E_NS1_11comp_targetILNS1_3genE4ELNS1_11target_archE910ELNS1_3gpuE8ELNS1_3repE0EEENS1_47radix_sort_onesweep_sort_config_static_selectorELNS0_4arch9wavefront6targetE1EEEvSI_,comdat
.Lfunc_end826:
	.size	_ZN7rocprim17ROCPRIM_400000_NS6detail17trampoline_kernelINS0_14default_configENS1_35radix_sort_onesweep_config_selectorIiiEEZZNS1_29radix_sort_onesweep_iterationIS3_Lb0EN6thrust23THRUST_200600_302600_NS6detail15normal_iteratorINS8_10device_ptrIiEEEESD_SD_SD_jNS0_19identity_decomposerENS1_16block_id_wrapperIjLb1EEEEE10hipError_tT1_PNSt15iterator_traitsISI_E10value_typeET2_T3_PNSJ_ISO_E10value_typeET4_T5_PST_SU_PNS1_23onesweep_lookback_stateEbbT6_jjT7_P12ihipStream_tbENKUlT_T0_SI_SN_E_clISD_SD_SD_SD_EEDaS11_S12_SI_SN_EUlS11_E_NS1_11comp_targetILNS1_3genE4ELNS1_11target_archE910ELNS1_3gpuE8ELNS1_3repE0EEENS1_47radix_sort_onesweep_sort_config_static_selectorELNS0_4arch9wavefront6targetE1EEEvSI_, .Lfunc_end826-_ZN7rocprim17ROCPRIM_400000_NS6detail17trampoline_kernelINS0_14default_configENS1_35radix_sort_onesweep_config_selectorIiiEEZZNS1_29radix_sort_onesweep_iterationIS3_Lb0EN6thrust23THRUST_200600_302600_NS6detail15normal_iteratorINS8_10device_ptrIiEEEESD_SD_SD_jNS0_19identity_decomposerENS1_16block_id_wrapperIjLb1EEEEE10hipError_tT1_PNSt15iterator_traitsISI_E10value_typeET2_T3_PNSJ_ISO_E10value_typeET4_T5_PST_SU_PNS1_23onesweep_lookback_stateEbbT6_jjT7_P12ihipStream_tbENKUlT_T0_SI_SN_E_clISD_SD_SD_SD_EEDaS11_S12_SI_SN_EUlS11_E_NS1_11comp_targetILNS1_3genE4ELNS1_11target_archE910ELNS1_3gpuE8ELNS1_3repE0EEENS1_47radix_sort_onesweep_sort_config_static_selectorELNS0_4arch9wavefront6targetE1EEEvSI_
                                        ; -- End function
	.set _ZN7rocprim17ROCPRIM_400000_NS6detail17trampoline_kernelINS0_14default_configENS1_35radix_sort_onesweep_config_selectorIiiEEZZNS1_29radix_sort_onesweep_iterationIS3_Lb0EN6thrust23THRUST_200600_302600_NS6detail15normal_iteratorINS8_10device_ptrIiEEEESD_SD_SD_jNS0_19identity_decomposerENS1_16block_id_wrapperIjLb1EEEEE10hipError_tT1_PNSt15iterator_traitsISI_E10value_typeET2_T3_PNSJ_ISO_E10value_typeET4_T5_PST_SU_PNS1_23onesweep_lookback_stateEbbT6_jjT7_P12ihipStream_tbENKUlT_T0_SI_SN_E_clISD_SD_SD_SD_EEDaS11_S12_SI_SN_EUlS11_E_NS1_11comp_targetILNS1_3genE4ELNS1_11target_archE910ELNS1_3gpuE8ELNS1_3repE0EEENS1_47radix_sort_onesweep_sort_config_static_selectorELNS0_4arch9wavefront6targetE1EEEvSI_.num_vgpr, 0
	.set _ZN7rocprim17ROCPRIM_400000_NS6detail17trampoline_kernelINS0_14default_configENS1_35radix_sort_onesweep_config_selectorIiiEEZZNS1_29radix_sort_onesweep_iterationIS3_Lb0EN6thrust23THRUST_200600_302600_NS6detail15normal_iteratorINS8_10device_ptrIiEEEESD_SD_SD_jNS0_19identity_decomposerENS1_16block_id_wrapperIjLb1EEEEE10hipError_tT1_PNSt15iterator_traitsISI_E10value_typeET2_T3_PNSJ_ISO_E10value_typeET4_T5_PST_SU_PNS1_23onesweep_lookback_stateEbbT6_jjT7_P12ihipStream_tbENKUlT_T0_SI_SN_E_clISD_SD_SD_SD_EEDaS11_S12_SI_SN_EUlS11_E_NS1_11comp_targetILNS1_3genE4ELNS1_11target_archE910ELNS1_3gpuE8ELNS1_3repE0EEENS1_47radix_sort_onesweep_sort_config_static_selectorELNS0_4arch9wavefront6targetE1EEEvSI_.num_agpr, 0
	.set _ZN7rocprim17ROCPRIM_400000_NS6detail17trampoline_kernelINS0_14default_configENS1_35radix_sort_onesweep_config_selectorIiiEEZZNS1_29radix_sort_onesweep_iterationIS3_Lb0EN6thrust23THRUST_200600_302600_NS6detail15normal_iteratorINS8_10device_ptrIiEEEESD_SD_SD_jNS0_19identity_decomposerENS1_16block_id_wrapperIjLb1EEEEE10hipError_tT1_PNSt15iterator_traitsISI_E10value_typeET2_T3_PNSJ_ISO_E10value_typeET4_T5_PST_SU_PNS1_23onesweep_lookback_stateEbbT6_jjT7_P12ihipStream_tbENKUlT_T0_SI_SN_E_clISD_SD_SD_SD_EEDaS11_S12_SI_SN_EUlS11_E_NS1_11comp_targetILNS1_3genE4ELNS1_11target_archE910ELNS1_3gpuE8ELNS1_3repE0EEENS1_47radix_sort_onesweep_sort_config_static_selectorELNS0_4arch9wavefront6targetE1EEEvSI_.numbered_sgpr, 0
	.set _ZN7rocprim17ROCPRIM_400000_NS6detail17trampoline_kernelINS0_14default_configENS1_35radix_sort_onesweep_config_selectorIiiEEZZNS1_29radix_sort_onesweep_iterationIS3_Lb0EN6thrust23THRUST_200600_302600_NS6detail15normal_iteratorINS8_10device_ptrIiEEEESD_SD_SD_jNS0_19identity_decomposerENS1_16block_id_wrapperIjLb1EEEEE10hipError_tT1_PNSt15iterator_traitsISI_E10value_typeET2_T3_PNSJ_ISO_E10value_typeET4_T5_PST_SU_PNS1_23onesweep_lookback_stateEbbT6_jjT7_P12ihipStream_tbENKUlT_T0_SI_SN_E_clISD_SD_SD_SD_EEDaS11_S12_SI_SN_EUlS11_E_NS1_11comp_targetILNS1_3genE4ELNS1_11target_archE910ELNS1_3gpuE8ELNS1_3repE0EEENS1_47radix_sort_onesweep_sort_config_static_selectorELNS0_4arch9wavefront6targetE1EEEvSI_.num_named_barrier, 0
	.set _ZN7rocprim17ROCPRIM_400000_NS6detail17trampoline_kernelINS0_14default_configENS1_35radix_sort_onesweep_config_selectorIiiEEZZNS1_29radix_sort_onesweep_iterationIS3_Lb0EN6thrust23THRUST_200600_302600_NS6detail15normal_iteratorINS8_10device_ptrIiEEEESD_SD_SD_jNS0_19identity_decomposerENS1_16block_id_wrapperIjLb1EEEEE10hipError_tT1_PNSt15iterator_traitsISI_E10value_typeET2_T3_PNSJ_ISO_E10value_typeET4_T5_PST_SU_PNS1_23onesweep_lookback_stateEbbT6_jjT7_P12ihipStream_tbENKUlT_T0_SI_SN_E_clISD_SD_SD_SD_EEDaS11_S12_SI_SN_EUlS11_E_NS1_11comp_targetILNS1_3genE4ELNS1_11target_archE910ELNS1_3gpuE8ELNS1_3repE0EEENS1_47radix_sort_onesweep_sort_config_static_selectorELNS0_4arch9wavefront6targetE1EEEvSI_.private_seg_size, 0
	.set _ZN7rocprim17ROCPRIM_400000_NS6detail17trampoline_kernelINS0_14default_configENS1_35radix_sort_onesweep_config_selectorIiiEEZZNS1_29radix_sort_onesweep_iterationIS3_Lb0EN6thrust23THRUST_200600_302600_NS6detail15normal_iteratorINS8_10device_ptrIiEEEESD_SD_SD_jNS0_19identity_decomposerENS1_16block_id_wrapperIjLb1EEEEE10hipError_tT1_PNSt15iterator_traitsISI_E10value_typeET2_T3_PNSJ_ISO_E10value_typeET4_T5_PST_SU_PNS1_23onesweep_lookback_stateEbbT6_jjT7_P12ihipStream_tbENKUlT_T0_SI_SN_E_clISD_SD_SD_SD_EEDaS11_S12_SI_SN_EUlS11_E_NS1_11comp_targetILNS1_3genE4ELNS1_11target_archE910ELNS1_3gpuE8ELNS1_3repE0EEENS1_47radix_sort_onesweep_sort_config_static_selectorELNS0_4arch9wavefront6targetE1EEEvSI_.uses_vcc, 0
	.set _ZN7rocprim17ROCPRIM_400000_NS6detail17trampoline_kernelINS0_14default_configENS1_35radix_sort_onesweep_config_selectorIiiEEZZNS1_29radix_sort_onesweep_iterationIS3_Lb0EN6thrust23THRUST_200600_302600_NS6detail15normal_iteratorINS8_10device_ptrIiEEEESD_SD_SD_jNS0_19identity_decomposerENS1_16block_id_wrapperIjLb1EEEEE10hipError_tT1_PNSt15iterator_traitsISI_E10value_typeET2_T3_PNSJ_ISO_E10value_typeET4_T5_PST_SU_PNS1_23onesweep_lookback_stateEbbT6_jjT7_P12ihipStream_tbENKUlT_T0_SI_SN_E_clISD_SD_SD_SD_EEDaS11_S12_SI_SN_EUlS11_E_NS1_11comp_targetILNS1_3genE4ELNS1_11target_archE910ELNS1_3gpuE8ELNS1_3repE0EEENS1_47radix_sort_onesweep_sort_config_static_selectorELNS0_4arch9wavefront6targetE1EEEvSI_.uses_flat_scratch, 0
	.set _ZN7rocprim17ROCPRIM_400000_NS6detail17trampoline_kernelINS0_14default_configENS1_35radix_sort_onesweep_config_selectorIiiEEZZNS1_29radix_sort_onesweep_iterationIS3_Lb0EN6thrust23THRUST_200600_302600_NS6detail15normal_iteratorINS8_10device_ptrIiEEEESD_SD_SD_jNS0_19identity_decomposerENS1_16block_id_wrapperIjLb1EEEEE10hipError_tT1_PNSt15iterator_traitsISI_E10value_typeET2_T3_PNSJ_ISO_E10value_typeET4_T5_PST_SU_PNS1_23onesweep_lookback_stateEbbT6_jjT7_P12ihipStream_tbENKUlT_T0_SI_SN_E_clISD_SD_SD_SD_EEDaS11_S12_SI_SN_EUlS11_E_NS1_11comp_targetILNS1_3genE4ELNS1_11target_archE910ELNS1_3gpuE8ELNS1_3repE0EEENS1_47radix_sort_onesweep_sort_config_static_selectorELNS0_4arch9wavefront6targetE1EEEvSI_.has_dyn_sized_stack, 0
	.set _ZN7rocprim17ROCPRIM_400000_NS6detail17trampoline_kernelINS0_14default_configENS1_35radix_sort_onesweep_config_selectorIiiEEZZNS1_29radix_sort_onesweep_iterationIS3_Lb0EN6thrust23THRUST_200600_302600_NS6detail15normal_iteratorINS8_10device_ptrIiEEEESD_SD_SD_jNS0_19identity_decomposerENS1_16block_id_wrapperIjLb1EEEEE10hipError_tT1_PNSt15iterator_traitsISI_E10value_typeET2_T3_PNSJ_ISO_E10value_typeET4_T5_PST_SU_PNS1_23onesweep_lookback_stateEbbT6_jjT7_P12ihipStream_tbENKUlT_T0_SI_SN_E_clISD_SD_SD_SD_EEDaS11_S12_SI_SN_EUlS11_E_NS1_11comp_targetILNS1_3genE4ELNS1_11target_archE910ELNS1_3gpuE8ELNS1_3repE0EEENS1_47radix_sort_onesweep_sort_config_static_selectorELNS0_4arch9wavefront6targetE1EEEvSI_.has_recursion, 0
	.set _ZN7rocprim17ROCPRIM_400000_NS6detail17trampoline_kernelINS0_14default_configENS1_35radix_sort_onesweep_config_selectorIiiEEZZNS1_29radix_sort_onesweep_iterationIS3_Lb0EN6thrust23THRUST_200600_302600_NS6detail15normal_iteratorINS8_10device_ptrIiEEEESD_SD_SD_jNS0_19identity_decomposerENS1_16block_id_wrapperIjLb1EEEEE10hipError_tT1_PNSt15iterator_traitsISI_E10value_typeET2_T3_PNSJ_ISO_E10value_typeET4_T5_PST_SU_PNS1_23onesweep_lookback_stateEbbT6_jjT7_P12ihipStream_tbENKUlT_T0_SI_SN_E_clISD_SD_SD_SD_EEDaS11_S12_SI_SN_EUlS11_E_NS1_11comp_targetILNS1_3genE4ELNS1_11target_archE910ELNS1_3gpuE8ELNS1_3repE0EEENS1_47radix_sort_onesweep_sort_config_static_selectorELNS0_4arch9wavefront6targetE1EEEvSI_.has_indirect_call, 0
	.section	.AMDGPU.csdata,"",@progbits
; Kernel info:
; codeLenInByte = 0
; TotalNumSgprs: 6
; NumVgprs: 0
; NumAgprs: 0
; TotalNumVgprs: 0
; ScratchSize: 0
; MemoryBound: 0
; FloatMode: 240
; IeeeMode: 1
; LDSByteSize: 0 bytes/workgroup (compile time only)
; SGPRBlocks: 0
; VGPRBlocks: 0
; NumSGPRsForWavesPerEU: 6
; NumVGPRsForWavesPerEU: 1
; AccumOffset: 4
; Occupancy: 8
; WaveLimiterHint : 0
; COMPUTE_PGM_RSRC2:SCRATCH_EN: 0
; COMPUTE_PGM_RSRC2:USER_SGPR: 2
; COMPUTE_PGM_RSRC2:TRAP_HANDLER: 0
; COMPUTE_PGM_RSRC2:TGID_X_EN: 1
; COMPUTE_PGM_RSRC2:TGID_Y_EN: 0
; COMPUTE_PGM_RSRC2:TGID_Z_EN: 0
; COMPUTE_PGM_RSRC2:TIDIG_COMP_CNT: 0
; COMPUTE_PGM_RSRC3_GFX90A:ACCUM_OFFSET: 0
; COMPUTE_PGM_RSRC3_GFX90A:TG_SPLIT: 0
	.section	.text._ZN7rocprim17ROCPRIM_400000_NS6detail17trampoline_kernelINS0_14default_configENS1_35radix_sort_onesweep_config_selectorIiiEEZZNS1_29radix_sort_onesweep_iterationIS3_Lb0EN6thrust23THRUST_200600_302600_NS6detail15normal_iteratorINS8_10device_ptrIiEEEESD_SD_SD_jNS0_19identity_decomposerENS1_16block_id_wrapperIjLb1EEEEE10hipError_tT1_PNSt15iterator_traitsISI_E10value_typeET2_T3_PNSJ_ISO_E10value_typeET4_T5_PST_SU_PNS1_23onesweep_lookback_stateEbbT6_jjT7_P12ihipStream_tbENKUlT_T0_SI_SN_E_clISD_SD_SD_SD_EEDaS11_S12_SI_SN_EUlS11_E_NS1_11comp_targetILNS1_3genE3ELNS1_11target_archE908ELNS1_3gpuE7ELNS1_3repE0EEENS1_47radix_sort_onesweep_sort_config_static_selectorELNS0_4arch9wavefront6targetE1EEEvSI_,"axG",@progbits,_ZN7rocprim17ROCPRIM_400000_NS6detail17trampoline_kernelINS0_14default_configENS1_35radix_sort_onesweep_config_selectorIiiEEZZNS1_29radix_sort_onesweep_iterationIS3_Lb0EN6thrust23THRUST_200600_302600_NS6detail15normal_iteratorINS8_10device_ptrIiEEEESD_SD_SD_jNS0_19identity_decomposerENS1_16block_id_wrapperIjLb1EEEEE10hipError_tT1_PNSt15iterator_traitsISI_E10value_typeET2_T3_PNSJ_ISO_E10value_typeET4_T5_PST_SU_PNS1_23onesweep_lookback_stateEbbT6_jjT7_P12ihipStream_tbENKUlT_T0_SI_SN_E_clISD_SD_SD_SD_EEDaS11_S12_SI_SN_EUlS11_E_NS1_11comp_targetILNS1_3genE3ELNS1_11target_archE908ELNS1_3gpuE7ELNS1_3repE0EEENS1_47radix_sort_onesweep_sort_config_static_selectorELNS0_4arch9wavefront6targetE1EEEvSI_,comdat
	.protected	_ZN7rocprim17ROCPRIM_400000_NS6detail17trampoline_kernelINS0_14default_configENS1_35radix_sort_onesweep_config_selectorIiiEEZZNS1_29radix_sort_onesweep_iterationIS3_Lb0EN6thrust23THRUST_200600_302600_NS6detail15normal_iteratorINS8_10device_ptrIiEEEESD_SD_SD_jNS0_19identity_decomposerENS1_16block_id_wrapperIjLb1EEEEE10hipError_tT1_PNSt15iterator_traitsISI_E10value_typeET2_T3_PNSJ_ISO_E10value_typeET4_T5_PST_SU_PNS1_23onesweep_lookback_stateEbbT6_jjT7_P12ihipStream_tbENKUlT_T0_SI_SN_E_clISD_SD_SD_SD_EEDaS11_S12_SI_SN_EUlS11_E_NS1_11comp_targetILNS1_3genE3ELNS1_11target_archE908ELNS1_3gpuE7ELNS1_3repE0EEENS1_47radix_sort_onesweep_sort_config_static_selectorELNS0_4arch9wavefront6targetE1EEEvSI_ ; -- Begin function _ZN7rocprim17ROCPRIM_400000_NS6detail17trampoline_kernelINS0_14default_configENS1_35radix_sort_onesweep_config_selectorIiiEEZZNS1_29radix_sort_onesweep_iterationIS3_Lb0EN6thrust23THRUST_200600_302600_NS6detail15normal_iteratorINS8_10device_ptrIiEEEESD_SD_SD_jNS0_19identity_decomposerENS1_16block_id_wrapperIjLb1EEEEE10hipError_tT1_PNSt15iterator_traitsISI_E10value_typeET2_T3_PNSJ_ISO_E10value_typeET4_T5_PST_SU_PNS1_23onesweep_lookback_stateEbbT6_jjT7_P12ihipStream_tbENKUlT_T0_SI_SN_E_clISD_SD_SD_SD_EEDaS11_S12_SI_SN_EUlS11_E_NS1_11comp_targetILNS1_3genE3ELNS1_11target_archE908ELNS1_3gpuE7ELNS1_3repE0EEENS1_47radix_sort_onesweep_sort_config_static_selectorELNS0_4arch9wavefront6targetE1EEEvSI_
	.globl	_ZN7rocprim17ROCPRIM_400000_NS6detail17trampoline_kernelINS0_14default_configENS1_35radix_sort_onesweep_config_selectorIiiEEZZNS1_29radix_sort_onesweep_iterationIS3_Lb0EN6thrust23THRUST_200600_302600_NS6detail15normal_iteratorINS8_10device_ptrIiEEEESD_SD_SD_jNS0_19identity_decomposerENS1_16block_id_wrapperIjLb1EEEEE10hipError_tT1_PNSt15iterator_traitsISI_E10value_typeET2_T3_PNSJ_ISO_E10value_typeET4_T5_PST_SU_PNS1_23onesweep_lookback_stateEbbT6_jjT7_P12ihipStream_tbENKUlT_T0_SI_SN_E_clISD_SD_SD_SD_EEDaS11_S12_SI_SN_EUlS11_E_NS1_11comp_targetILNS1_3genE3ELNS1_11target_archE908ELNS1_3gpuE7ELNS1_3repE0EEENS1_47radix_sort_onesweep_sort_config_static_selectorELNS0_4arch9wavefront6targetE1EEEvSI_
	.p2align	8
	.type	_ZN7rocprim17ROCPRIM_400000_NS6detail17trampoline_kernelINS0_14default_configENS1_35radix_sort_onesweep_config_selectorIiiEEZZNS1_29radix_sort_onesweep_iterationIS3_Lb0EN6thrust23THRUST_200600_302600_NS6detail15normal_iteratorINS8_10device_ptrIiEEEESD_SD_SD_jNS0_19identity_decomposerENS1_16block_id_wrapperIjLb1EEEEE10hipError_tT1_PNSt15iterator_traitsISI_E10value_typeET2_T3_PNSJ_ISO_E10value_typeET4_T5_PST_SU_PNS1_23onesweep_lookback_stateEbbT6_jjT7_P12ihipStream_tbENKUlT_T0_SI_SN_E_clISD_SD_SD_SD_EEDaS11_S12_SI_SN_EUlS11_E_NS1_11comp_targetILNS1_3genE3ELNS1_11target_archE908ELNS1_3gpuE7ELNS1_3repE0EEENS1_47radix_sort_onesweep_sort_config_static_selectorELNS0_4arch9wavefront6targetE1EEEvSI_,@function
_ZN7rocprim17ROCPRIM_400000_NS6detail17trampoline_kernelINS0_14default_configENS1_35radix_sort_onesweep_config_selectorIiiEEZZNS1_29radix_sort_onesweep_iterationIS3_Lb0EN6thrust23THRUST_200600_302600_NS6detail15normal_iteratorINS8_10device_ptrIiEEEESD_SD_SD_jNS0_19identity_decomposerENS1_16block_id_wrapperIjLb1EEEEE10hipError_tT1_PNSt15iterator_traitsISI_E10value_typeET2_T3_PNSJ_ISO_E10value_typeET4_T5_PST_SU_PNS1_23onesweep_lookback_stateEbbT6_jjT7_P12ihipStream_tbENKUlT_T0_SI_SN_E_clISD_SD_SD_SD_EEDaS11_S12_SI_SN_EUlS11_E_NS1_11comp_targetILNS1_3genE3ELNS1_11target_archE908ELNS1_3gpuE7ELNS1_3repE0EEENS1_47radix_sort_onesweep_sort_config_static_selectorELNS0_4arch9wavefront6targetE1EEEvSI_: ; @_ZN7rocprim17ROCPRIM_400000_NS6detail17trampoline_kernelINS0_14default_configENS1_35radix_sort_onesweep_config_selectorIiiEEZZNS1_29radix_sort_onesweep_iterationIS3_Lb0EN6thrust23THRUST_200600_302600_NS6detail15normal_iteratorINS8_10device_ptrIiEEEESD_SD_SD_jNS0_19identity_decomposerENS1_16block_id_wrapperIjLb1EEEEE10hipError_tT1_PNSt15iterator_traitsISI_E10value_typeET2_T3_PNSJ_ISO_E10value_typeET4_T5_PST_SU_PNS1_23onesweep_lookback_stateEbbT6_jjT7_P12ihipStream_tbENKUlT_T0_SI_SN_E_clISD_SD_SD_SD_EEDaS11_S12_SI_SN_EUlS11_E_NS1_11comp_targetILNS1_3genE3ELNS1_11target_archE908ELNS1_3gpuE7ELNS1_3repE0EEENS1_47radix_sort_onesweep_sort_config_static_selectorELNS0_4arch9wavefront6targetE1EEEvSI_
; %bb.0:
	.section	.rodata,"a",@progbits
	.p2align	6, 0x0
	.amdhsa_kernel _ZN7rocprim17ROCPRIM_400000_NS6detail17trampoline_kernelINS0_14default_configENS1_35radix_sort_onesweep_config_selectorIiiEEZZNS1_29radix_sort_onesweep_iterationIS3_Lb0EN6thrust23THRUST_200600_302600_NS6detail15normal_iteratorINS8_10device_ptrIiEEEESD_SD_SD_jNS0_19identity_decomposerENS1_16block_id_wrapperIjLb1EEEEE10hipError_tT1_PNSt15iterator_traitsISI_E10value_typeET2_T3_PNSJ_ISO_E10value_typeET4_T5_PST_SU_PNS1_23onesweep_lookback_stateEbbT6_jjT7_P12ihipStream_tbENKUlT_T0_SI_SN_E_clISD_SD_SD_SD_EEDaS11_S12_SI_SN_EUlS11_E_NS1_11comp_targetILNS1_3genE3ELNS1_11target_archE908ELNS1_3gpuE7ELNS1_3repE0EEENS1_47radix_sort_onesweep_sort_config_static_selectorELNS0_4arch9wavefront6targetE1EEEvSI_
		.amdhsa_group_segment_fixed_size 0
		.amdhsa_private_segment_fixed_size 0
		.amdhsa_kernarg_size 88
		.amdhsa_user_sgpr_count 2
		.amdhsa_user_sgpr_dispatch_ptr 0
		.amdhsa_user_sgpr_queue_ptr 0
		.amdhsa_user_sgpr_kernarg_segment_ptr 1
		.amdhsa_user_sgpr_dispatch_id 0
		.amdhsa_user_sgpr_kernarg_preload_length 0
		.amdhsa_user_sgpr_kernarg_preload_offset 0
		.amdhsa_user_sgpr_private_segment_size 0
		.amdhsa_uses_dynamic_stack 0
		.amdhsa_enable_private_segment 0
		.amdhsa_system_sgpr_workgroup_id_x 1
		.amdhsa_system_sgpr_workgroup_id_y 0
		.amdhsa_system_sgpr_workgroup_id_z 0
		.amdhsa_system_sgpr_workgroup_info 0
		.amdhsa_system_vgpr_workitem_id 0
		.amdhsa_next_free_vgpr 1
		.amdhsa_next_free_sgpr 0
		.amdhsa_accum_offset 4
		.amdhsa_reserve_vcc 0
		.amdhsa_float_round_mode_32 0
		.amdhsa_float_round_mode_16_64 0
		.amdhsa_float_denorm_mode_32 3
		.amdhsa_float_denorm_mode_16_64 3
		.amdhsa_dx10_clamp 1
		.amdhsa_ieee_mode 1
		.amdhsa_fp16_overflow 0
		.amdhsa_tg_split 0
		.amdhsa_exception_fp_ieee_invalid_op 0
		.amdhsa_exception_fp_denorm_src 0
		.amdhsa_exception_fp_ieee_div_zero 0
		.amdhsa_exception_fp_ieee_overflow 0
		.amdhsa_exception_fp_ieee_underflow 0
		.amdhsa_exception_fp_ieee_inexact 0
		.amdhsa_exception_int_div_zero 0
	.end_amdhsa_kernel
	.section	.text._ZN7rocprim17ROCPRIM_400000_NS6detail17trampoline_kernelINS0_14default_configENS1_35radix_sort_onesweep_config_selectorIiiEEZZNS1_29radix_sort_onesweep_iterationIS3_Lb0EN6thrust23THRUST_200600_302600_NS6detail15normal_iteratorINS8_10device_ptrIiEEEESD_SD_SD_jNS0_19identity_decomposerENS1_16block_id_wrapperIjLb1EEEEE10hipError_tT1_PNSt15iterator_traitsISI_E10value_typeET2_T3_PNSJ_ISO_E10value_typeET4_T5_PST_SU_PNS1_23onesweep_lookback_stateEbbT6_jjT7_P12ihipStream_tbENKUlT_T0_SI_SN_E_clISD_SD_SD_SD_EEDaS11_S12_SI_SN_EUlS11_E_NS1_11comp_targetILNS1_3genE3ELNS1_11target_archE908ELNS1_3gpuE7ELNS1_3repE0EEENS1_47radix_sort_onesweep_sort_config_static_selectorELNS0_4arch9wavefront6targetE1EEEvSI_,"axG",@progbits,_ZN7rocprim17ROCPRIM_400000_NS6detail17trampoline_kernelINS0_14default_configENS1_35radix_sort_onesweep_config_selectorIiiEEZZNS1_29radix_sort_onesweep_iterationIS3_Lb0EN6thrust23THRUST_200600_302600_NS6detail15normal_iteratorINS8_10device_ptrIiEEEESD_SD_SD_jNS0_19identity_decomposerENS1_16block_id_wrapperIjLb1EEEEE10hipError_tT1_PNSt15iterator_traitsISI_E10value_typeET2_T3_PNSJ_ISO_E10value_typeET4_T5_PST_SU_PNS1_23onesweep_lookback_stateEbbT6_jjT7_P12ihipStream_tbENKUlT_T0_SI_SN_E_clISD_SD_SD_SD_EEDaS11_S12_SI_SN_EUlS11_E_NS1_11comp_targetILNS1_3genE3ELNS1_11target_archE908ELNS1_3gpuE7ELNS1_3repE0EEENS1_47radix_sort_onesweep_sort_config_static_selectorELNS0_4arch9wavefront6targetE1EEEvSI_,comdat
.Lfunc_end827:
	.size	_ZN7rocprim17ROCPRIM_400000_NS6detail17trampoline_kernelINS0_14default_configENS1_35radix_sort_onesweep_config_selectorIiiEEZZNS1_29radix_sort_onesweep_iterationIS3_Lb0EN6thrust23THRUST_200600_302600_NS6detail15normal_iteratorINS8_10device_ptrIiEEEESD_SD_SD_jNS0_19identity_decomposerENS1_16block_id_wrapperIjLb1EEEEE10hipError_tT1_PNSt15iterator_traitsISI_E10value_typeET2_T3_PNSJ_ISO_E10value_typeET4_T5_PST_SU_PNS1_23onesweep_lookback_stateEbbT6_jjT7_P12ihipStream_tbENKUlT_T0_SI_SN_E_clISD_SD_SD_SD_EEDaS11_S12_SI_SN_EUlS11_E_NS1_11comp_targetILNS1_3genE3ELNS1_11target_archE908ELNS1_3gpuE7ELNS1_3repE0EEENS1_47radix_sort_onesweep_sort_config_static_selectorELNS0_4arch9wavefront6targetE1EEEvSI_, .Lfunc_end827-_ZN7rocprim17ROCPRIM_400000_NS6detail17trampoline_kernelINS0_14default_configENS1_35radix_sort_onesweep_config_selectorIiiEEZZNS1_29radix_sort_onesweep_iterationIS3_Lb0EN6thrust23THRUST_200600_302600_NS6detail15normal_iteratorINS8_10device_ptrIiEEEESD_SD_SD_jNS0_19identity_decomposerENS1_16block_id_wrapperIjLb1EEEEE10hipError_tT1_PNSt15iterator_traitsISI_E10value_typeET2_T3_PNSJ_ISO_E10value_typeET4_T5_PST_SU_PNS1_23onesweep_lookback_stateEbbT6_jjT7_P12ihipStream_tbENKUlT_T0_SI_SN_E_clISD_SD_SD_SD_EEDaS11_S12_SI_SN_EUlS11_E_NS1_11comp_targetILNS1_3genE3ELNS1_11target_archE908ELNS1_3gpuE7ELNS1_3repE0EEENS1_47radix_sort_onesweep_sort_config_static_selectorELNS0_4arch9wavefront6targetE1EEEvSI_
                                        ; -- End function
	.set _ZN7rocprim17ROCPRIM_400000_NS6detail17trampoline_kernelINS0_14default_configENS1_35radix_sort_onesweep_config_selectorIiiEEZZNS1_29radix_sort_onesweep_iterationIS3_Lb0EN6thrust23THRUST_200600_302600_NS6detail15normal_iteratorINS8_10device_ptrIiEEEESD_SD_SD_jNS0_19identity_decomposerENS1_16block_id_wrapperIjLb1EEEEE10hipError_tT1_PNSt15iterator_traitsISI_E10value_typeET2_T3_PNSJ_ISO_E10value_typeET4_T5_PST_SU_PNS1_23onesweep_lookback_stateEbbT6_jjT7_P12ihipStream_tbENKUlT_T0_SI_SN_E_clISD_SD_SD_SD_EEDaS11_S12_SI_SN_EUlS11_E_NS1_11comp_targetILNS1_3genE3ELNS1_11target_archE908ELNS1_3gpuE7ELNS1_3repE0EEENS1_47radix_sort_onesweep_sort_config_static_selectorELNS0_4arch9wavefront6targetE1EEEvSI_.num_vgpr, 0
	.set _ZN7rocprim17ROCPRIM_400000_NS6detail17trampoline_kernelINS0_14default_configENS1_35radix_sort_onesweep_config_selectorIiiEEZZNS1_29radix_sort_onesweep_iterationIS3_Lb0EN6thrust23THRUST_200600_302600_NS6detail15normal_iteratorINS8_10device_ptrIiEEEESD_SD_SD_jNS0_19identity_decomposerENS1_16block_id_wrapperIjLb1EEEEE10hipError_tT1_PNSt15iterator_traitsISI_E10value_typeET2_T3_PNSJ_ISO_E10value_typeET4_T5_PST_SU_PNS1_23onesweep_lookback_stateEbbT6_jjT7_P12ihipStream_tbENKUlT_T0_SI_SN_E_clISD_SD_SD_SD_EEDaS11_S12_SI_SN_EUlS11_E_NS1_11comp_targetILNS1_3genE3ELNS1_11target_archE908ELNS1_3gpuE7ELNS1_3repE0EEENS1_47radix_sort_onesweep_sort_config_static_selectorELNS0_4arch9wavefront6targetE1EEEvSI_.num_agpr, 0
	.set _ZN7rocprim17ROCPRIM_400000_NS6detail17trampoline_kernelINS0_14default_configENS1_35radix_sort_onesweep_config_selectorIiiEEZZNS1_29radix_sort_onesweep_iterationIS3_Lb0EN6thrust23THRUST_200600_302600_NS6detail15normal_iteratorINS8_10device_ptrIiEEEESD_SD_SD_jNS0_19identity_decomposerENS1_16block_id_wrapperIjLb1EEEEE10hipError_tT1_PNSt15iterator_traitsISI_E10value_typeET2_T3_PNSJ_ISO_E10value_typeET4_T5_PST_SU_PNS1_23onesweep_lookback_stateEbbT6_jjT7_P12ihipStream_tbENKUlT_T0_SI_SN_E_clISD_SD_SD_SD_EEDaS11_S12_SI_SN_EUlS11_E_NS1_11comp_targetILNS1_3genE3ELNS1_11target_archE908ELNS1_3gpuE7ELNS1_3repE0EEENS1_47radix_sort_onesweep_sort_config_static_selectorELNS0_4arch9wavefront6targetE1EEEvSI_.numbered_sgpr, 0
	.set _ZN7rocprim17ROCPRIM_400000_NS6detail17trampoline_kernelINS0_14default_configENS1_35radix_sort_onesweep_config_selectorIiiEEZZNS1_29radix_sort_onesweep_iterationIS3_Lb0EN6thrust23THRUST_200600_302600_NS6detail15normal_iteratorINS8_10device_ptrIiEEEESD_SD_SD_jNS0_19identity_decomposerENS1_16block_id_wrapperIjLb1EEEEE10hipError_tT1_PNSt15iterator_traitsISI_E10value_typeET2_T3_PNSJ_ISO_E10value_typeET4_T5_PST_SU_PNS1_23onesweep_lookback_stateEbbT6_jjT7_P12ihipStream_tbENKUlT_T0_SI_SN_E_clISD_SD_SD_SD_EEDaS11_S12_SI_SN_EUlS11_E_NS1_11comp_targetILNS1_3genE3ELNS1_11target_archE908ELNS1_3gpuE7ELNS1_3repE0EEENS1_47radix_sort_onesweep_sort_config_static_selectorELNS0_4arch9wavefront6targetE1EEEvSI_.num_named_barrier, 0
	.set _ZN7rocprim17ROCPRIM_400000_NS6detail17trampoline_kernelINS0_14default_configENS1_35radix_sort_onesweep_config_selectorIiiEEZZNS1_29radix_sort_onesweep_iterationIS3_Lb0EN6thrust23THRUST_200600_302600_NS6detail15normal_iteratorINS8_10device_ptrIiEEEESD_SD_SD_jNS0_19identity_decomposerENS1_16block_id_wrapperIjLb1EEEEE10hipError_tT1_PNSt15iterator_traitsISI_E10value_typeET2_T3_PNSJ_ISO_E10value_typeET4_T5_PST_SU_PNS1_23onesweep_lookback_stateEbbT6_jjT7_P12ihipStream_tbENKUlT_T0_SI_SN_E_clISD_SD_SD_SD_EEDaS11_S12_SI_SN_EUlS11_E_NS1_11comp_targetILNS1_3genE3ELNS1_11target_archE908ELNS1_3gpuE7ELNS1_3repE0EEENS1_47radix_sort_onesweep_sort_config_static_selectorELNS0_4arch9wavefront6targetE1EEEvSI_.private_seg_size, 0
	.set _ZN7rocprim17ROCPRIM_400000_NS6detail17trampoline_kernelINS0_14default_configENS1_35radix_sort_onesweep_config_selectorIiiEEZZNS1_29radix_sort_onesweep_iterationIS3_Lb0EN6thrust23THRUST_200600_302600_NS6detail15normal_iteratorINS8_10device_ptrIiEEEESD_SD_SD_jNS0_19identity_decomposerENS1_16block_id_wrapperIjLb1EEEEE10hipError_tT1_PNSt15iterator_traitsISI_E10value_typeET2_T3_PNSJ_ISO_E10value_typeET4_T5_PST_SU_PNS1_23onesweep_lookback_stateEbbT6_jjT7_P12ihipStream_tbENKUlT_T0_SI_SN_E_clISD_SD_SD_SD_EEDaS11_S12_SI_SN_EUlS11_E_NS1_11comp_targetILNS1_3genE3ELNS1_11target_archE908ELNS1_3gpuE7ELNS1_3repE0EEENS1_47radix_sort_onesweep_sort_config_static_selectorELNS0_4arch9wavefront6targetE1EEEvSI_.uses_vcc, 0
	.set _ZN7rocprim17ROCPRIM_400000_NS6detail17trampoline_kernelINS0_14default_configENS1_35radix_sort_onesweep_config_selectorIiiEEZZNS1_29radix_sort_onesweep_iterationIS3_Lb0EN6thrust23THRUST_200600_302600_NS6detail15normal_iteratorINS8_10device_ptrIiEEEESD_SD_SD_jNS0_19identity_decomposerENS1_16block_id_wrapperIjLb1EEEEE10hipError_tT1_PNSt15iterator_traitsISI_E10value_typeET2_T3_PNSJ_ISO_E10value_typeET4_T5_PST_SU_PNS1_23onesweep_lookback_stateEbbT6_jjT7_P12ihipStream_tbENKUlT_T0_SI_SN_E_clISD_SD_SD_SD_EEDaS11_S12_SI_SN_EUlS11_E_NS1_11comp_targetILNS1_3genE3ELNS1_11target_archE908ELNS1_3gpuE7ELNS1_3repE0EEENS1_47radix_sort_onesweep_sort_config_static_selectorELNS0_4arch9wavefront6targetE1EEEvSI_.uses_flat_scratch, 0
	.set _ZN7rocprim17ROCPRIM_400000_NS6detail17trampoline_kernelINS0_14default_configENS1_35radix_sort_onesweep_config_selectorIiiEEZZNS1_29radix_sort_onesweep_iterationIS3_Lb0EN6thrust23THRUST_200600_302600_NS6detail15normal_iteratorINS8_10device_ptrIiEEEESD_SD_SD_jNS0_19identity_decomposerENS1_16block_id_wrapperIjLb1EEEEE10hipError_tT1_PNSt15iterator_traitsISI_E10value_typeET2_T3_PNSJ_ISO_E10value_typeET4_T5_PST_SU_PNS1_23onesweep_lookback_stateEbbT6_jjT7_P12ihipStream_tbENKUlT_T0_SI_SN_E_clISD_SD_SD_SD_EEDaS11_S12_SI_SN_EUlS11_E_NS1_11comp_targetILNS1_3genE3ELNS1_11target_archE908ELNS1_3gpuE7ELNS1_3repE0EEENS1_47radix_sort_onesweep_sort_config_static_selectorELNS0_4arch9wavefront6targetE1EEEvSI_.has_dyn_sized_stack, 0
	.set _ZN7rocprim17ROCPRIM_400000_NS6detail17trampoline_kernelINS0_14default_configENS1_35radix_sort_onesweep_config_selectorIiiEEZZNS1_29radix_sort_onesweep_iterationIS3_Lb0EN6thrust23THRUST_200600_302600_NS6detail15normal_iteratorINS8_10device_ptrIiEEEESD_SD_SD_jNS0_19identity_decomposerENS1_16block_id_wrapperIjLb1EEEEE10hipError_tT1_PNSt15iterator_traitsISI_E10value_typeET2_T3_PNSJ_ISO_E10value_typeET4_T5_PST_SU_PNS1_23onesweep_lookback_stateEbbT6_jjT7_P12ihipStream_tbENKUlT_T0_SI_SN_E_clISD_SD_SD_SD_EEDaS11_S12_SI_SN_EUlS11_E_NS1_11comp_targetILNS1_3genE3ELNS1_11target_archE908ELNS1_3gpuE7ELNS1_3repE0EEENS1_47radix_sort_onesweep_sort_config_static_selectorELNS0_4arch9wavefront6targetE1EEEvSI_.has_recursion, 0
	.set _ZN7rocprim17ROCPRIM_400000_NS6detail17trampoline_kernelINS0_14default_configENS1_35radix_sort_onesweep_config_selectorIiiEEZZNS1_29radix_sort_onesweep_iterationIS3_Lb0EN6thrust23THRUST_200600_302600_NS6detail15normal_iteratorINS8_10device_ptrIiEEEESD_SD_SD_jNS0_19identity_decomposerENS1_16block_id_wrapperIjLb1EEEEE10hipError_tT1_PNSt15iterator_traitsISI_E10value_typeET2_T3_PNSJ_ISO_E10value_typeET4_T5_PST_SU_PNS1_23onesweep_lookback_stateEbbT6_jjT7_P12ihipStream_tbENKUlT_T0_SI_SN_E_clISD_SD_SD_SD_EEDaS11_S12_SI_SN_EUlS11_E_NS1_11comp_targetILNS1_3genE3ELNS1_11target_archE908ELNS1_3gpuE7ELNS1_3repE0EEENS1_47radix_sort_onesweep_sort_config_static_selectorELNS0_4arch9wavefront6targetE1EEEvSI_.has_indirect_call, 0
	.section	.AMDGPU.csdata,"",@progbits
; Kernel info:
; codeLenInByte = 0
; TotalNumSgprs: 6
; NumVgprs: 0
; NumAgprs: 0
; TotalNumVgprs: 0
; ScratchSize: 0
; MemoryBound: 0
; FloatMode: 240
; IeeeMode: 1
; LDSByteSize: 0 bytes/workgroup (compile time only)
; SGPRBlocks: 0
; VGPRBlocks: 0
; NumSGPRsForWavesPerEU: 6
; NumVGPRsForWavesPerEU: 1
; AccumOffset: 4
; Occupancy: 8
; WaveLimiterHint : 0
; COMPUTE_PGM_RSRC2:SCRATCH_EN: 0
; COMPUTE_PGM_RSRC2:USER_SGPR: 2
; COMPUTE_PGM_RSRC2:TRAP_HANDLER: 0
; COMPUTE_PGM_RSRC2:TGID_X_EN: 1
; COMPUTE_PGM_RSRC2:TGID_Y_EN: 0
; COMPUTE_PGM_RSRC2:TGID_Z_EN: 0
; COMPUTE_PGM_RSRC2:TIDIG_COMP_CNT: 0
; COMPUTE_PGM_RSRC3_GFX90A:ACCUM_OFFSET: 0
; COMPUTE_PGM_RSRC3_GFX90A:TG_SPLIT: 0
	.section	.text._ZN7rocprim17ROCPRIM_400000_NS6detail17trampoline_kernelINS0_14default_configENS1_35radix_sort_onesweep_config_selectorIiiEEZZNS1_29radix_sort_onesweep_iterationIS3_Lb0EN6thrust23THRUST_200600_302600_NS6detail15normal_iteratorINS8_10device_ptrIiEEEESD_SD_SD_jNS0_19identity_decomposerENS1_16block_id_wrapperIjLb1EEEEE10hipError_tT1_PNSt15iterator_traitsISI_E10value_typeET2_T3_PNSJ_ISO_E10value_typeET4_T5_PST_SU_PNS1_23onesweep_lookback_stateEbbT6_jjT7_P12ihipStream_tbENKUlT_T0_SI_SN_E_clISD_SD_SD_SD_EEDaS11_S12_SI_SN_EUlS11_E_NS1_11comp_targetILNS1_3genE10ELNS1_11target_archE1201ELNS1_3gpuE5ELNS1_3repE0EEENS1_47radix_sort_onesweep_sort_config_static_selectorELNS0_4arch9wavefront6targetE1EEEvSI_,"axG",@progbits,_ZN7rocprim17ROCPRIM_400000_NS6detail17trampoline_kernelINS0_14default_configENS1_35radix_sort_onesweep_config_selectorIiiEEZZNS1_29radix_sort_onesweep_iterationIS3_Lb0EN6thrust23THRUST_200600_302600_NS6detail15normal_iteratorINS8_10device_ptrIiEEEESD_SD_SD_jNS0_19identity_decomposerENS1_16block_id_wrapperIjLb1EEEEE10hipError_tT1_PNSt15iterator_traitsISI_E10value_typeET2_T3_PNSJ_ISO_E10value_typeET4_T5_PST_SU_PNS1_23onesweep_lookback_stateEbbT6_jjT7_P12ihipStream_tbENKUlT_T0_SI_SN_E_clISD_SD_SD_SD_EEDaS11_S12_SI_SN_EUlS11_E_NS1_11comp_targetILNS1_3genE10ELNS1_11target_archE1201ELNS1_3gpuE5ELNS1_3repE0EEENS1_47radix_sort_onesweep_sort_config_static_selectorELNS0_4arch9wavefront6targetE1EEEvSI_,comdat
	.protected	_ZN7rocprim17ROCPRIM_400000_NS6detail17trampoline_kernelINS0_14default_configENS1_35radix_sort_onesweep_config_selectorIiiEEZZNS1_29radix_sort_onesweep_iterationIS3_Lb0EN6thrust23THRUST_200600_302600_NS6detail15normal_iteratorINS8_10device_ptrIiEEEESD_SD_SD_jNS0_19identity_decomposerENS1_16block_id_wrapperIjLb1EEEEE10hipError_tT1_PNSt15iterator_traitsISI_E10value_typeET2_T3_PNSJ_ISO_E10value_typeET4_T5_PST_SU_PNS1_23onesweep_lookback_stateEbbT6_jjT7_P12ihipStream_tbENKUlT_T0_SI_SN_E_clISD_SD_SD_SD_EEDaS11_S12_SI_SN_EUlS11_E_NS1_11comp_targetILNS1_3genE10ELNS1_11target_archE1201ELNS1_3gpuE5ELNS1_3repE0EEENS1_47radix_sort_onesweep_sort_config_static_selectorELNS0_4arch9wavefront6targetE1EEEvSI_ ; -- Begin function _ZN7rocprim17ROCPRIM_400000_NS6detail17trampoline_kernelINS0_14default_configENS1_35radix_sort_onesweep_config_selectorIiiEEZZNS1_29radix_sort_onesweep_iterationIS3_Lb0EN6thrust23THRUST_200600_302600_NS6detail15normal_iteratorINS8_10device_ptrIiEEEESD_SD_SD_jNS0_19identity_decomposerENS1_16block_id_wrapperIjLb1EEEEE10hipError_tT1_PNSt15iterator_traitsISI_E10value_typeET2_T3_PNSJ_ISO_E10value_typeET4_T5_PST_SU_PNS1_23onesweep_lookback_stateEbbT6_jjT7_P12ihipStream_tbENKUlT_T0_SI_SN_E_clISD_SD_SD_SD_EEDaS11_S12_SI_SN_EUlS11_E_NS1_11comp_targetILNS1_3genE10ELNS1_11target_archE1201ELNS1_3gpuE5ELNS1_3repE0EEENS1_47radix_sort_onesweep_sort_config_static_selectorELNS0_4arch9wavefront6targetE1EEEvSI_
	.globl	_ZN7rocprim17ROCPRIM_400000_NS6detail17trampoline_kernelINS0_14default_configENS1_35radix_sort_onesweep_config_selectorIiiEEZZNS1_29radix_sort_onesweep_iterationIS3_Lb0EN6thrust23THRUST_200600_302600_NS6detail15normal_iteratorINS8_10device_ptrIiEEEESD_SD_SD_jNS0_19identity_decomposerENS1_16block_id_wrapperIjLb1EEEEE10hipError_tT1_PNSt15iterator_traitsISI_E10value_typeET2_T3_PNSJ_ISO_E10value_typeET4_T5_PST_SU_PNS1_23onesweep_lookback_stateEbbT6_jjT7_P12ihipStream_tbENKUlT_T0_SI_SN_E_clISD_SD_SD_SD_EEDaS11_S12_SI_SN_EUlS11_E_NS1_11comp_targetILNS1_3genE10ELNS1_11target_archE1201ELNS1_3gpuE5ELNS1_3repE0EEENS1_47radix_sort_onesweep_sort_config_static_selectorELNS0_4arch9wavefront6targetE1EEEvSI_
	.p2align	8
	.type	_ZN7rocprim17ROCPRIM_400000_NS6detail17trampoline_kernelINS0_14default_configENS1_35radix_sort_onesweep_config_selectorIiiEEZZNS1_29radix_sort_onesweep_iterationIS3_Lb0EN6thrust23THRUST_200600_302600_NS6detail15normal_iteratorINS8_10device_ptrIiEEEESD_SD_SD_jNS0_19identity_decomposerENS1_16block_id_wrapperIjLb1EEEEE10hipError_tT1_PNSt15iterator_traitsISI_E10value_typeET2_T3_PNSJ_ISO_E10value_typeET4_T5_PST_SU_PNS1_23onesweep_lookback_stateEbbT6_jjT7_P12ihipStream_tbENKUlT_T0_SI_SN_E_clISD_SD_SD_SD_EEDaS11_S12_SI_SN_EUlS11_E_NS1_11comp_targetILNS1_3genE10ELNS1_11target_archE1201ELNS1_3gpuE5ELNS1_3repE0EEENS1_47radix_sort_onesweep_sort_config_static_selectorELNS0_4arch9wavefront6targetE1EEEvSI_,@function
_ZN7rocprim17ROCPRIM_400000_NS6detail17trampoline_kernelINS0_14default_configENS1_35radix_sort_onesweep_config_selectorIiiEEZZNS1_29radix_sort_onesweep_iterationIS3_Lb0EN6thrust23THRUST_200600_302600_NS6detail15normal_iteratorINS8_10device_ptrIiEEEESD_SD_SD_jNS0_19identity_decomposerENS1_16block_id_wrapperIjLb1EEEEE10hipError_tT1_PNSt15iterator_traitsISI_E10value_typeET2_T3_PNSJ_ISO_E10value_typeET4_T5_PST_SU_PNS1_23onesweep_lookback_stateEbbT6_jjT7_P12ihipStream_tbENKUlT_T0_SI_SN_E_clISD_SD_SD_SD_EEDaS11_S12_SI_SN_EUlS11_E_NS1_11comp_targetILNS1_3genE10ELNS1_11target_archE1201ELNS1_3gpuE5ELNS1_3repE0EEENS1_47radix_sort_onesweep_sort_config_static_selectorELNS0_4arch9wavefront6targetE1EEEvSI_: ; @_ZN7rocprim17ROCPRIM_400000_NS6detail17trampoline_kernelINS0_14default_configENS1_35radix_sort_onesweep_config_selectorIiiEEZZNS1_29radix_sort_onesweep_iterationIS3_Lb0EN6thrust23THRUST_200600_302600_NS6detail15normal_iteratorINS8_10device_ptrIiEEEESD_SD_SD_jNS0_19identity_decomposerENS1_16block_id_wrapperIjLb1EEEEE10hipError_tT1_PNSt15iterator_traitsISI_E10value_typeET2_T3_PNSJ_ISO_E10value_typeET4_T5_PST_SU_PNS1_23onesweep_lookback_stateEbbT6_jjT7_P12ihipStream_tbENKUlT_T0_SI_SN_E_clISD_SD_SD_SD_EEDaS11_S12_SI_SN_EUlS11_E_NS1_11comp_targetILNS1_3genE10ELNS1_11target_archE1201ELNS1_3gpuE5ELNS1_3repE0EEENS1_47radix_sort_onesweep_sort_config_static_selectorELNS0_4arch9wavefront6targetE1EEEvSI_
; %bb.0:
	.section	.rodata,"a",@progbits
	.p2align	6, 0x0
	.amdhsa_kernel _ZN7rocprim17ROCPRIM_400000_NS6detail17trampoline_kernelINS0_14default_configENS1_35radix_sort_onesweep_config_selectorIiiEEZZNS1_29radix_sort_onesweep_iterationIS3_Lb0EN6thrust23THRUST_200600_302600_NS6detail15normal_iteratorINS8_10device_ptrIiEEEESD_SD_SD_jNS0_19identity_decomposerENS1_16block_id_wrapperIjLb1EEEEE10hipError_tT1_PNSt15iterator_traitsISI_E10value_typeET2_T3_PNSJ_ISO_E10value_typeET4_T5_PST_SU_PNS1_23onesweep_lookback_stateEbbT6_jjT7_P12ihipStream_tbENKUlT_T0_SI_SN_E_clISD_SD_SD_SD_EEDaS11_S12_SI_SN_EUlS11_E_NS1_11comp_targetILNS1_3genE10ELNS1_11target_archE1201ELNS1_3gpuE5ELNS1_3repE0EEENS1_47radix_sort_onesweep_sort_config_static_selectorELNS0_4arch9wavefront6targetE1EEEvSI_
		.amdhsa_group_segment_fixed_size 0
		.amdhsa_private_segment_fixed_size 0
		.amdhsa_kernarg_size 88
		.amdhsa_user_sgpr_count 2
		.amdhsa_user_sgpr_dispatch_ptr 0
		.amdhsa_user_sgpr_queue_ptr 0
		.amdhsa_user_sgpr_kernarg_segment_ptr 1
		.amdhsa_user_sgpr_dispatch_id 0
		.amdhsa_user_sgpr_kernarg_preload_length 0
		.amdhsa_user_sgpr_kernarg_preload_offset 0
		.amdhsa_user_sgpr_private_segment_size 0
		.amdhsa_uses_dynamic_stack 0
		.amdhsa_enable_private_segment 0
		.amdhsa_system_sgpr_workgroup_id_x 1
		.amdhsa_system_sgpr_workgroup_id_y 0
		.amdhsa_system_sgpr_workgroup_id_z 0
		.amdhsa_system_sgpr_workgroup_info 0
		.amdhsa_system_vgpr_workitem_id 0
		.amdhsa_next_free_vgpr 1
		.amdhsa_next_free_sgpr 0
		.amdhsa_accum_offset 4
		.amdhsa_reserve_vcc 0
		.amdhsa_float_round_mode_32 0
		.amdhsa_float_round_mode_16_64 0
		.amdhsa_float_denorm_mode_32 3
		.amdhsa_float_denorm_mode_16_64 3
		.amdhsa_dx10_clamp 1
		.amdhsa_ieee_mode 1
		.amdhsa_fp16_overflow 0
		.amdhsa_tg_split 0
		.amdhsa_exception_fp_ieee_invalid_op 0
		.amdhsa_exception_fp_denorm_src 0
		.amdhsa_exception_fp_ieee_div_zero 0
		.amdhsa_exception_fp_ieee_overflow 0
		.amdhsa_exception_fp_ieee_underflow 0
		.amdhsa_exception_fp_ieee_inexact 0
		.amdhsa_exception_int_div_zero 0
	.end_amdhsa_kernel
	.section	.text._ZN7rocprim17ROCPRIM_400000_NS6detail17trampoline_kernelINS0_14default_configENS1_35radix_sort_onesweep_config_selectorIiiEEZZNS1_29radix_sort_onesweep_iterationIS3_Lb0EN6thrust23THRUST_200600_302600_NS6detail15normal_iteratorINS8_10device_ptrIiEEEESD_SD_SD_jNS0_19identity_decomposerENS1_16block_id_wrapperIjLb1EEEEE10hipError_tT1_PNSt15iterator_traitsISI_E10value_typeET2_T3_PNSJ_ISO_E10value_typeET4_T5_PST_SU_PNS1_23onesweep_lookback_stateEbbT6_jjT7_P12ihipStream_tbENKUlT_T0_SI_SN_E_clISD_SD_SD_SD_EEDaS11_S12_SI_SN_EUlS11_E_NS1_11comp_targetILNS1_3genE10ELNS1_11target_archE1201ELNS1_3gpuE5ELNS1_3repE0EEENS1_47radix_sort_onesweep_sort_config_static_selectorELNS0_4arch9wavefront6targetE1EEEvSI_,"axG",@progbits,_ZN7rocprim17ROCPRIM_400000_NS6detail17trampoline_kernelINS0_14default_configENS1_35radix_sort_onesweep_config_selectorIiiEEZZNS1_29radix_sort_onesweep_iterationIS3_Lb0EN6thrust23THRUST_200600_302600_NS6detail15normal_iteratorINS8_10device_ptrIiEEEESD_SD_SD_jNS0_19identity_decomposerENS1_16block_id_wrapperIjLb1EEEEE10hipError_tT1_PNSt15iterator_traitsISI_E10value_typeET2_T3_PNSJ_ISO_E10value_typeET4_T5_PST_SU_PNS1_23onesweep_lookback_stateEbbT6_jjT7_P12ihipStream_tbENKUlT_T0_SI_SN_E_clISD_SD_SD_SD_EEDaS11_S12_SI_SN_EUlS11_E_NS1_11comp_targetILNS1_3genE10ELNS1_11target_archE1201ELNS1_3gpuE5ELNS1_3repE0EEENS1_47radix_sort_onesweep_sort_config_static_selectorELNS0_4arch9wavefront6targetE1EEEvSI_,comdat
.Lfunc_end828:
	.size	_ZN7rocprim17ROCPRIM_400000_NS6detail17trampoline_kernelINS0_14default_configENS1_35radix_sort_onesweep_config_selectorIiiEEZZNS1_29radix_sort_onesweep_iterationIS3_Lb0EN6thrust23THRUST_200600_302600_NS6detail15normal_iteratorINS8_10device_ptrIiEEEESD_SD_SD_jNS0_19identity_decomposerENS1_16block_id_wrapperIjLb1EEEEE10hipError_tT1_PNSt15iterator_traitsISI_E10value_typeET2_T3_PNSJ_ISO_E10value_typeET4_T5_PST_SU_PNS1_23onesweep_lookback_stateEbbT6_jjT7_P12ihipStream_tbENKUlT_T0_SI_SN_E_clISD_SD_SD_SD_EEDaS11_S12_SI_SN_EUlS11_E_NS1_11comp_targetILNS1_3genE10ELNS1_11target_archE1201ELNS1_3gpuE5ELNS1_3repE0EEENS1_47radix_sort_onesweep_sort_config_static_selectorELNS0_4arch9wavefront6targetE1EEEvSI_, .Lfunc_end828-_ZN7rocprim17ROCPRIM_400000_NS6detail17trampoline_kernelINS0_14default_configENS1_35radix_sort_onesweep_config_selectorIiiEEZZNS1_29radix_sort_onesweep_iterationIS3_Lb0EN6thrust23THRUST_200600_302600_NS6detail15normal_iteratorINS8_10device_ptrIiEEEESD_SD_SD_jNS0_19identity_decomposerENS1_16block_id_wrapperIjLb1EEEEE10hipError_tT1_PNSt15iterator_traitsISI_E10value_typeET2_T3_PNSJ_ISO_E10value_typeET4_T5_PST_SU_PNS1_23onesweep_lookback_stateEbbT6_jjT7_P12ihipStream_tbENKUlT_T0_SI_SN_E_clISD_SD_SD_SD_EEDaS11_S12_SI_SN_EUlS11_E_NS1_11comp_targetILNS1_3genE10ELNS1_11target_archE1201ELNS1_3gpuE5ELNS1_3repE0EEENS1_47radix_sort_onesweep_sort_config_static_selectorELNS0_4arch9wavefront6targetE1EEEvSI_
                                        ; -- End function
	.set _ZN7rocprim17ROCPRIM_400000_NS6detail17trampoline_kernelINS0_14default_configENS1_35radix_sort_onesweep_config_selectorIiiEEZZNS1_29radix_sort_onesweep_iterationIS3_Lb0EN6thrust23THRUST_200600_302600_NS6detail15normal_iteratorINS8_10device_ptrIiEEEESD_SD_SD_jNS0_19identity_decomposerENS1_16block_id_wrapperIjLb1EEEEE10hipError_tT1_PNSt15iterator_traitsISI_E10value_typeET2_T3_PNSJ_ISO_E10value_typeET4_T5_PST_SU_PNS1_23onesweep_lookback_stateEbbT6_jjT7_P12ihipStream_tbENKUlT_T0_SI_SN_E_clISD_SD_SD_SD_EEDaS11_S12_SI_SN_EUlS11_E_NS1_11comp_targetILNS1_3genE10ELNS1_11target_archE1201ELNS1_3gpuE5ELNS1_3repE0EEENS1_47radix_sort_onesweep_sort_config_static_selectorELNS0_4arch9wavefront6targetE1EEEvSI_.num_vgpr, 0
	.set _ZN7rocprim17ROCPRIM_400000_NS6detail17trampoline_kernelINS0_14default_configENS1_35radix_sort_onesweep_config_selectorIiiEEZZNS1_29radix_sort_onesweep_iterationIS3_Lb0EN6thrust23THRUST_200600_302600_NS6detail15normal_iteratorINS8_10device_ptrIiEEEESD_SD_SD_jNS0_19identity_decomposerENS1_16block_id_wrapperIjLb1EEEEE10hipError_tT1_PNSt15iterator_traitsISI_E10value_typeET2_T3_PNSJ_ISO_E10value_typeET4_T5_PST_SU_PNS1_23onesweep_lookback_stateEbbT6_jjT7_P12ihipStream_tbENKUlT_T0_SI_SN_E_clISD_SD_SD_SD_EEDaS11_S12_SI_SN_EUlS11_E_NS1_11comp_targetILNS1_3genE10ELNS1_11target_archE1201ELNS1_3gpuE5ELNS1_3repE0EEENS1_47radix_sort_onesweep_sort_config_static_selectorELNS0_4arch9wavefront6targetE1EEEvSI_.num_agpr, 0
	.set _ZN7rocprim17ROCPRIM_400000_NS6detail17trampoline_kernelINS0_14default_configENS1_35radix_sort_onesweep_config_selectorIiiEEZZNS1_29radix_sort_onesweep_iterationIS3_Lb0EN6thrust23THRUST_200600_302600_NS6detail15normal_iteratorINS8_10device_ptrIiEEEESD_SD_SD_jNS0_19identity_decomposerENS1_16block_id_wrapperIjLb1EEEEE10hipError_tT1_PNSt15iterator_traitsISI_E10value_typeET2_T3_PNSJ_ISO_E10value_typeET4_T5_PST_SU_PNS1_23onesweep_lookback_stateEbbT6_jjT7_P12ihipStream_tbENKUlT_T0_SI_SN_E_clISD_SD_SD_SD_EEDaS11_S12_SI_SN_EUlS11_E_NS1_11comp_targetILNS1_3genE10ELNS1_11target_archE1201ELNS1_3gpuE5ELNS1_3repE0EEENS1_47radix_sort_onesweep_sort_config_static_selectorELNS0_4arch9wavefront6targetE1EEEvSI_.numbered_sgpr, 0
	.set _ZN7rocprim17ROCPRIM_400000_NS6detail17trampoline_kernelINS0_14default_configENS1_35radix_sort_onesweep_config_selectorIiiEEZZNS1_29radix_sort_onesweep_iterationIS3_Lb0EN6thrust23THRUST_200600_302600_NS6detail15normal_iteratorINS8_10device_ptrIiEEEESD_SD_SD_jNS0_19identity_decomposerENS1_16block_id_wrapperIjLb1EEEEE10hipError_tT1_PNSt15iterator_traitsISI_E10value_typeET2_T3_PNSJ_ISO_E10value_typeET4_T5_PST_SU_PNS1_23onesweep_lookback_stateEbbT6_jjT7_P12ihipStream_tbENKUlT_T0_SI_SN_E_clISD_SD_SD_SD_EEDaS11_S12_SI_SN_EUlS11_E_NS1_11comp_targetILNS1_3genE10ELNS1_11target_archE1201ELNS1_3gpuE5ELNS1_3repE0EEENS1_47radix_sort_onesweep_sort_config_static_selectorELNS0_4arch9wavefront6targetE1EEEvSI_.num_named_barrier, 0
	.set _ZN7rocprim17ROCPRIM_400000_NS6detail17trampoline_kernelINS0_14default_configENS1_35radix_sort_onesweep_config_selectorIiiEEZZNS1_29radix_sort_onesweep_iterationIS3_Lb0EN6thrust23THRUST_200600_302600_NS6detail15normal_iteratorINS8_10device_ptrIiEEEESD_SD_SD_jNS0_19identity_decomposerENS1_16block_id_wrapperIjLb1EEEEE10hipError_tT1_PNSt15iterator_traitsISI_E10value_typeET2_T3_PNSJ_ISO_E10value_typeET4_T5_PST_SU_PNS1_23onesweep_lookback_stateEbbT6_jjT7_P12ihipStream_tbENKUlT_T0_SI_SN_E_clISD_SD_SD_SD_EEDaS11_S12_SI_SN_EUlS11_E_NS1_11comp_targetILNS1_3genE10ELNS1_11target_archE1201ELNS1_3gpuE5ELNS1_3repE0EEENS1_47radix_sort_onesweep_sort_config_static_selectorELNS0_4arch9wavefront6targetE1EEEvSI_.private_seg_size, 0
	.set _ZN7rocprim17ROCPRIM_400000_NS6detail17trampoline_kernelINS0_14default_configENS1_35radix_sort_onesweep_config_selectorIiiEEZZNS1_29radix_sort_onesweep_iterationIS3_Lb0EN6thrust23THRUST_200600_302600_NS6detail15normal_iteratorINS8_10device_ptrIiEEEESD_SD_SD_jNS0_19identity_decomposerENS1_16block_id_wrapperIjLb1EEEEE10hipError_tT1_PNSt15iterator_traitsISI_E10value_typeET2_T3_PNSJ_ISO_E10value_typeET4_T5_PST_SU_PNS1_23onesweep_lookback_stateEbbT6_jjT7_P12ihipStream_tbENKUlT_T0_SI_SN_E_clISD_SD_SD_SD_EEDaS11_S12_SI_SN_EUlS11_E_NS1_11comp_targetILNS1_3genE10ELNS1_11target_archE1201ELNS1_3gpuE5ELNS1_3repE0EEENS1_47radix_sort_onesweep_sort_config_static_selectorELNS0_4arch9wavefront6targetE1EEEvSI_.uses_vcc, 0
	.set _ZN7rocprim17ROCPRIM_400000_NS6detail17trampoline_kernelINS0_14default_configENS1_35radix_sort_onesweep_config_selectorIiiEEZZNS1_29radix_sort_onesweep_iterationIS3_Lb0EN6thrust23THRUST_200600_302600_NS6detail15normal_iteratorINS8_10device_ptrIiEEEESD_SD_SD_jNS0_19identity_decomposerENS1_16block_id_wrapperIjLb1EEEEE10hipError_tT1_PNSt15iterator_traitsISI_E10value_typeET2_T3_PNSJ_ISO_E10value_typeET4_T5_PST_SU_PNS1_23onesweep_lookback_stateEbbT6_jjT7_P12ihipStream_tbENKUlT_T0_SI_SN_E_clISD_SD_SD_SD_EEDaS11_S12_SI_SN_EUlS11_E_NS1_11comp_targetILNS1_3genE10ELNS1_11target_archE1201ELNS1_3gpuE5ELNS1_3repE0EEENS1_47radix_sort_onesweep_sort_config_static_selectorELNS0_4arch9wavefront6targetE1EEEvSI_.uses_flat_scratch, 0
	.set _ZN7rocprim17ROCPRIM_400000_NS6detail17trampoline_kernelINS0_14default_configENS1_35radix_sort_onesweep_config_selectorIiiEEZZNS1_29radix_sort_onesweep_iterationIS3_Lb0EN6thrust23THRUST_200600_302600_NS6detail15normal_iteratorINS8_10device_ptrIiEEEESD_SD_SD_jNS0_19identity_decomposerENS1_16block_id_wrapperIjLb1EEEEE10hipError_tT1_PNSt15iterator_traitsISI_E10value_typeET2_T3_PNSJ_ISO_E10value_typeET4_T5_PST_SU_PNS1_23onesweep_lookback_stateEbbT6_jjT7_P12ihipStream_tbENKUlT_T0_SI_SN_E_clISD_SD_SD_SD_EEDaS11_S12_SI_SN_EUlS11_E_NS1_11comp_targetILNS1_3genE10ELNS1_11target_archE1201ELNS1_3gpuE5ELNS1_3repE0EEENS1_47radix_sort_onesweep_sort_config_static_selectorELNS0_4arch9wavefront6targetE1EEEvSI_.has_dyn_sized_stack, 0
	.set _ZN7rocprim17ROCPRIM_400000_NS6detail17trampoline_kernelINS0_14default_configENS1_35radix_sort_onesweep_config_selectorIiiEEZZNS1_29radix_sort_onesweep_iterationIS3_Lb0EN6thrust23THRUST_200600_302600_NS6detail15normal_iteratorINS8_10device_ptrIiEEEESD_SD_SD_jNS0_19identity_decomposerENS1_16block_id_wrapperIjLb1EEEEE10hipError_tT1_PNSt15iterator_traitsISI_E10value_typeET2_T3_PNSJ_ISO_E10value_typeET4_T5_PST_SU_PNS1_23onesweep_lookback_stateEbbT6_jjT7_P12ihipStream_tbENKUlT_T0_SI_SN_E_clISD_SD_SD_SD_EEDaS11_S12_SI_SN_EUlS11_E_NS1_11comp_targetILNS1_3genE10ELNS1_11target_archE1201ELNS1_3gpuE5ELNS1_3repE0EEENS1_47radix_sort_onesweep_sort_config_static_selectorELNS0_4arch9wavefront6targetE1EEEvSI_.has_recursion, 0
	.set _ZN7rocprim17ROCPRIM_400000_NS6detail17trampoline_kernelINS0_14default_configENS1_35radix_sort_onesweep_config_selectorIiiEEZZNS1_29radix_sort_onesweep_iterationIS3_Lb0EN6thrust23THRUST_200600_302600_NS6detail15normal_iteratorINS8_10device_ptrIiEEEESD_SD_SD_jNS0_19identity_decomposerENS1_16block_id_wrapperIjLb1EEEEE10hipError_tT1_PNSt15iterator_traitsISI_E10value_typeET2_T3_PNSJ_ISO_E10value_typeET4_T5_PST_SU_PNS1_23onesweep_lookback_stateEbbT6_jjT7_P12ihipStream_tbENKUlT_T0_SI_SN_E_clISD_SD_SD_SD_EEDaS11_S12_SI_SN_EUlS11_E_NS1_11comp_targetILNS1_3genE10ELNS1_11target_archE1201ELNS1_3gpuE5ELNS1_3repE0EEENS1_47radix_sort_onesweep_sort_config_static_selectorELNS0_4arch9wavefront6targetE1EEEvSI_.has_indirect_call, 0
	.section	.AMDGPU.csdata,"",@progbits
; Kernel info:
; codeLenInByte = 0
; TotalNumSgprs: 6
; NumVgprs: 0
; NumAgprs: 0
; TotalNumVgprs: 0
; ScratchSize: 0
; MemoryBound: 0
; FloatMode: 240
; IeeeMode: 1
; LDSByteSize: 0 bytes/workgroup (compile time only)
; SGPRBlocks: 0
; VGPRBlocks: 0
; NumSGPRsForWavesPerEU: 6
; NumVGPRsForWavesPerEU: 1
; AccumOffset: 4
; Occupancy: 8
; WaveLimiterHint : 0
; COMPUTE_PGM_RSRC2:SCRATCH_EN: 0
; COMPUTE_PGM_RSRC2:USER_SGPR: 2
; COMPUTE_PGM_RSRC2:TRAP_HANDLER: 0
; COMPUTE_PGM_RSRC2:TGID_X_EN: 1
; COMPUTE_PGM_RSRC2:TGID_Y_EN: 0
; COMPUTE_PGM_RSRC2:TGID_Z_EN: 0
; COMPUTE_PGM_RSRC2:TIDIG_COMP_CNT: 0
; COMPUTE_PGM_RSRC3_GFX90A:ACCUM_OFFSET: 0
; COMPUTE_PGM_RSRC3_GFX90A:TG_SPLIT: 0
	.section	.text._ZN7rocprim17ROCPRIM_400000_NS6detail17trampoline_kernelINS0_14default_configENS1_35radix_sort_onesweep_config_selectorIiiEEZZNS1_29radix_sort_onesweep_iterationIS3_Lb0EN6thrust23THRUST_200600_302600_NS6detail15normal_iteratorINS8_10device_ptrIiEEEESD_SD_SD_jNS0_19identity_decomposerENS1_16block_id_wrapperIjLb1EEEEE10hipError_tT1_PNSt15iterator_traitsISI_E10value_typeET2_T3_PNSJ_ISO_E10value_typeET4_T5_PST_SU_PNS1_23onesweep_lookback_stateEbbT6_jjT7_P12ihipStream_tbENKUlT_T0_SI_SN_E_clISD_SD_SD_SD_EEDaS11_S12_SI_SN_EUlS11_E_NS1_11comp_targetILNS1_3genE9ELNS1_11target_archE1100ELNS1_3gpuE3ELNS1_3repE0EEENS1_47radix_sort_onesweep_sort_config_static_selectorELNS0_4arch9wavefront6targetE1EEEvSI_,"axG",@progbits,_ZN7rocprim17ROCPRIM_400000_NS6detail17trampoline_kernelINS0_14default_configENS1_35radix_sort_onesweep_config_selectorIiiEEZZNS1_29radix_sort_onesweep_iterationIS3_Lb0EN6thrust23THRUST_200600_302600_NS6detail15normal_iteratorINS8_10device_ptrIiEEEESD_SD_SD_jNS0_19identity_decomposerENS1_16block_id_wrapperIjLb1EEEEE10hipError_tT1_PNSt15iterator_traitsISI_E10value_typeET2_T3_PNSJ_ISO_E10value_typeET4_T5_PST_SU_PNS1_23onesweep_lookback_stateEbbT6_jjT7_P12ihipStream_tbENKUlT_T0_SI_SN_E_clISD_SD_SD_SD_EEDaS11_S12_SI_SN_EUlS11_E_NS1_11comp_targetILNS1_3genE9ELNS1_11target_archE1100ELNS1_3gpuE3ELNS1_3repE0EEENS1_47radix_sort_onesweep_sort_config_static_selectorELNS0_4arch9wavefront6targetE1EEEvSI_,comdat
	.protected	_ZN7rocprim17ROCPRIM_400000_NS6detail17trampoline_kernelINS0_14default_configENS1_35radix_sort_onesweep_config_selectorIiiEEZZNS1_29radix_sort_onesweep_iterationIS3_Lb0EN6thrust23THRUST_200600_302600_NS6detail15normal_iteratorINS8_10device_ptrIiEEEESD_SD_SD_jNS0_19identity_decomposerENS1_16block_id_wrapperIjLb1EEEEE10hipError_tT1_PNSt15iterator_traitsISI_E10value_typeET2_T3_PNSJ_ISO_E10value_typeET4_T5_PST_SU_PNS1_23onesweep_lookback_stateEbbT6_jjT7_P12ihipStream_tbENKUlT_T0_SI_SN_E_clISD_SD_SD_SD_EEDaS11_S12_SI_SN_EUlS11_E_NS1_11comp_targetILNS1_3genE9ELNS1_11target_archE1100ELNS1_3gpuE3ELNS1_3repE0EEENS1_47radix_sort_onesweep_sort_config_static_selectorELNS0_4arch9wavefront6targetE1EEEvSI_ ; -- Begin function _ZN7rocprim17ROCPRIM_400000_NS6detail17trampoline_kernelINS0_14default_configENS1_35radix_sort_onesweep_config_selectorIiiEEZZNS1_29radix_sort_onesweep_iterationIS3_Lb0EN6thrust23THRUST_200600_302600_NS6detail15normal_iteratorINS8_10device_ptrIiEEEESD_SD_SD_jNS0_19identity_decomposerENS1_16block_id_wrapperIjLb1EEEEE10hipError_tT1_PNSt15iterator_traitsISI_E10value_typeET2_T3_PNSJ_ISO_E10value_typeET4_T5_PST_SU_PNS1_23onesweep_lookback_stateEbbT6_jjT7_P12ihipStream_tbENKUlT_T0_SI_SN_E_clISD_SD_SD_SD_EEDaS11_S12_SI_SN_EUlS11_E_NS1_11comp_targetILNS1_3genE9ELNS1_11target_archE1100ELNS1_3gpuE3ELNS1_3repE0EEENS1_47radix_sort_onesweep_sort_config_static_selectorELNS0_4arch9wavefront6targetE1EEEvSI_
	.globl	_ZN7rocprim17ROCPRIM_400000_NS6detail17trampoline_kernelINS0_14default_configENS1_35radix_sort_onesweep_config_selectorIiiEEZZNS1_29radix_sort_onesweep_iterationIS3_Lb0EN6thrust23THRUST_200600_302600_NS6detail15normal_iteratorINS8_10device_ptrIiEEEESD_SD_SD_jNS0_19identity_decomposerENS1_16block_id_wrapperIjLb1EEEEE10hipError_tT1_PNSt15iterator_traitsISI_E10value_typeET2_T3_PNSJ_ISO_E10value_typeET4_T5_PST_SU_PNS1_23onesweep_lookback_stateEbbT6_jjT7_P12ihipStream_tbENKUlT_T0_SI_SN_E_clISD_SD_SD_SD_EEDaS11_S12_SI_SN_EUlS11_E_NS1_11comp_targetILNS1_3genE9ELNS1_11target_archE1100ELNS1_3gpuE3ELNS1_3repE0EEENS1_47radix_sort_onesweep_sort_config_static_selectorELNS0_4arch9wavefront6targetE1EEEvSI_
	.p2align	8
	.type	_ZN7rocprim17ROCPRIM_400000_NS6detail17trampoline_kernelINS0_14default_configENS1_35radix_sort_onesweep_config_selectorIiiEEZZNS1_29radix_sort_onesweep_iterationIS3_Lb0EN6thrust23THRUST_200600_302600_NS6detail15normal_iteratorINS8_10device_ptrIiEEEESD_SD_SD_jNS0_19identity_decomposerENS1_16block_id_wrapperIjLb1EEEEE10hipError_tT1_PNSt15iterator_traitsISI_E10value_typeET2_T3_PNSJ_ISO_E10value_typeET4_T5_PST_SU_PNS1_23onesweep_lookback_stateEbbT6_jjT7_P12ihipStream_tbENKUlT_T0_SI_SN_E_clISD_SD_SD_SD_EEDaS11_S12_SI_SN_EUlS11_E_NS1_11comp_targetILNS1_3genE9ELNS1_11target_archE1100ELNS1_3gpuE3ELNS1_3repE0EEENS1_47radix_sort_onesweep_sort_config_static_selectorELNS0_4arch9wavefront6targetE1EEEvSI_,@function
_ZN7rocprim17ROCPRIM_400000_NS6detail17trampoline_kernelINS0_14default_configENS1_35radix_sort_onesweep_config_selectorIiiEEZZNS1_29radix_sort_onesweep_iterationIS3_Lb0EN6thrust23THRUST_200600_302600_NS6detail15normal_iteratorINS8_10device_ptrIiEEEESD_SD_SD_jNS0_19identity_decomposerENS1_16block_id_wrapperIjLb1EEEEE10hipError_tT1_PNSt15iterator_traitsISI_E10value_typeET2_T3_PNSJ_ISO_E10value_typeET4_T5_PST_SU_PNS1_23onesweep_lookback_stateEbbT6_jjT7_P12ihipStream_tbENKUlT_T0_SI_SN_E_clISD_SD_SD_SD_EEDaS11_S12_SI_SN_EUlS11_E_NS1_11comp_targetILNS1_3genE9ELNS1_11target_archE1100ELNS1_3gpuE3ELNS1_3repE0EEENS1_47radix_sort_onesweep_sort_config_static_selectorELNS0_4arch9wavefront6targetE1EEEvSI_: ; @_ZN7rocprim17ROCPRIM_400000_NS6detail17trampoline_kernelINS0_14default_configENS1_35radix_sort_onesweep_config_selectorIiiEEZZNS1_29radix_sort_onesweep_iterationIS3_Lb0EN6thrust23THRUST_200600_302600_NS6detail15normal_iteratorINS8_10device_ptrIiEEEESD_SD_SD_jNS0_19identity_decomposerENS1_16block_id_wrapperIjLb1EEEEE10hipError_tT1_PNSt15iterator_traitsISI_E10value_typeET2_T3_PNSJ_ISO_E10value_typeET4_T5_PST_SU_PNS1_23onesweep_lookback_stateEbbT6_jjT7_P12ihipStream_tbENKUlT_T0_SI_SN_E_clISD_SD_SD_SD_EEDaS11_S12_SI_SN_EUlS11_E_NS1_11comp_targetILNS1_3genE9ELNS1_11target_archE1100ELNS1_3gpuE3ELNS1_3repE0EEENS1_47radix_sort_onesweep_sort_config_static_selectorELNS0_4arch9wavefront6targetE1EEEvSI_
; %bb.0:
	.section	.rodata,"a",@progbits
	.p2align	6, 0x0
	.amdhsa_kernel _ZN7rocprim17ROCPRIM_400000_NS6detail17trampoline_kernelINS0_14default_configENS1_35radix_sort_onesweep_config_selectorIiiEEZZNS1_29radix_sort_onesweep_iterationIS3_Lb0EN6thrust23THRUST_200600_302600_NS6detail15normal_iteratorINS8_10device_ptrIiEEEESD_SD_SD_jNS0_19identity_decomposerENS1_16block_id_wrapperIjLb1EEEEE10hipError_tT1_PNSt15iterator_traitsISI_E10value_typeET2_T3_PNSJ_ISO_E10value_typeET4_T5_PST_SU_PNS1_23onesweep_lookback_stateEbbT6_jjT7_P12ihipStream_tbENKUlT_T0_SI_SN_E_clISD_SD_SD_SD_EEDaS11_S12_SI_SN_EUlS11_E_NS1_11comp_targetILNS1_3genE9ELNS1_11target_archE1100ELNS1_3gpuE3ELNS1_3repE0EEENS1_47radix_sort_onesweep_sort_config_static_selectorELNS0_4arch9wavefront6targetE1EEEvSI_
		.amdhsa_group_segment_fixed_size 0
		.amdhsa_private_segment_fixed_size 0
		.amdhsa_kernarg_size 88
		.amdhsa_user_sgpr_count 2
		.amdhsa_user_sgpr_dispatch_ptr 0
		.amdhsa_user_sgpr_queue_ptr 0
		.amdhsa_user_sgpr_kernarg_segment_ptr 1
		.amdhsa_user_sgpr_dispatch_id 0
		.amdhsa_user_sgpr_kernarg_preload_length 0
		.amdhsa_user_sgpr_kernarg_preload_offset 0
		.amdhsa_user_sgpr_private_segment_size 0
		.amdhsa_uses_dynamic_stack 0
		.amdhsa_enable_private_segment 0
		.amdhsa_system_sgpr_workgroup_id_x 1
		.amdhsa_system_sgpr_workgroup_id_y 0
		.amdhsa_system_sgpr_workgroup_id_z 0
		.amdhsa_system_sgpr_workgroup_info 0
		.amdhsa_system_vgpr_workitem_id 0
		.amdhsa_next_free_vgpr 1
		.amdhsa_next_free_sgpr 0
		.amdhsa_accum_offset 4
		.amdhsa_reserve_vcc 0
		.amdhsa_float_round_mode_32 0
		.amdhsa_float_round_mode_16_64 0
		.amdhsa_float_denorm_mode_32 3
		.amdhsa_float_denorm_mode_16_64 3
		.amdhsa_dx10_clamp 1
		.amdhsa_ieee_mode 1
		.amdhsa_fp16_overflow 0
		.amdhsa_tg_split 0
		.amdhsa_exception_fp_ieee_invalid_op 0
		.amdhsa_exception_fp_denorm_src 0
		.amdhsa_exception_fp_ieee_div_zero 0
		.amdhsa_exception_fp_ieee_overflow 0
		.amdhsa_exception_fp_ieee_underflow 0
		.amdhsa_exception_fp_ieee_inexact 0
		.amdhsa_exception_int_div_zero 0
	.end_amdhsa_kernel
	.section	.text._ZN7rocprim17ROCPRIM_400000_NS6detail17trampoline_kernelINS0_14default_configENS1_35radix_sort_onesweep_config_selectorIiiEEZZNS1_29radix_sort_onesweep_iterationIS3_Lb0EN6thrust23THRUST_200600_302600_NS6detail15normal_iteratorINS8_10device_ptrIiEEEESD_SD_SD_jNS0_19identity_decomposerENS1_16block_id_wrapperIjLb1EEEEE10hipError_tT1_PNSt15iterator_traitsISI_E10value_typeET2_T3_PNSJ_ISO_E10value_typeET4_T5_PST_SU_PNS1_23onesweep_lookback_stateEbbT6_jjT7_P12ihipStream_tbENKUlT_T0_SI_SN_E_clISD_SD_SD_SD_EEDaS11_S12_SI_SN_EUlS11_E_NS1_11comp_targetILNS1_3genE9ELNS1_11target_archE1100ELNS1_3gpuE3ELNS1_3repE0EEENS1_47radix_sort_onesweep_sort_config_static_selectorELNS0_4arch9wavefront6targetE1EEEvSI_,"axG",@progbits,_ZN7rocprim17ROCPRIM_400000_NS6detail17trampoline_kernelINS0_14default_configENS1_35radix_sort_onesweep_config_selectorIiiEEZZNS1_29radix_sort_onesweep_iterationIS3_Lb0EN6thrust23THRUST_200600_302600_NS6detail15normal_iteratorINS8_10device_ptrIiEEEESD_SD_SD_jNS0_19identity_decomposerENS1_16block_id_wrapperIjLb1EEEEE10hipError_tT1_PNSt15iterator_traitsISI_E10value_typeET2_T3_PNSJ_ISO_E10value_typeET4_T5_PST_SU_PNS1_23onesweep_lookback_stateEbbT6_jjT7_P12ihipStream_tbENKUlT_T0_SI_SN_E_clISD_SD_SD_SD_EEDaS11_S12_SI_SN_EUlS11_E_NS1_11comp_targetILNS1_3genE9ELNS1_11target_archE1100ELNS1_3gpuE3ELNS1_3repE0EEENS1_47radix_sort_onesweep_sort_config_static_selectorELNS0_4arch9wavefront6targetE1EEEvSI_,comdat
.Lfunc_end829:
	.size	_ZN7rocprim17ROCPRIM_400000_NS6detail17trampoline_kernelINS0_14default_configENS1_35radix_sort_onesweep_config_selectorIiiEEZZNS1_29radix_sort_onesweep_iterationIS3_Lb0EN6thrust23THRUST_200600_302600_NS6detail15normal_iteratorINS8_10device_ptrIiEEEESD_SD_SD_jNS0_19identity_decomposerENS1_16block_id_wrapperIjLb1EEEEE10hipError_tT1_PNSt15iterator_traitsISI_E10value_typeET2_T3_PNSJ_ISO_E10value_typeET4_T5_PST_SU_PNS1_23onesweep_lookback_stateEbbT6_jjT7_P12ihipStream_tbENKUlT_T0_SI_SN_E_clISD_SD_SD_SD_EEDaS11_S12_SI_SN_EUlS11_E_NS1_11comp_targetILNS1_3genE9ELNS1_11target_archE1100ELNS1_3gpuE3ELNS1_3repE0EEENS1_47radix_sort_onesweep_sort_config_static_selectorELNS0_4arch9wavefront6targetE1EEEvSI_, .Lfunc_end829-_ZN7rocprim17ROCPRIM_400000_NS6detail17trampoline_kernelINS0_14default_configENS1_35radix_sort_onesweep_config_selectorIiiEEZZNS1_29radix_sort_onesweep_iterationIS3_Lb0EN6thrust23THRUST_200600_302600_NS6detail15normal_iteratorINS8_10device_ptrIiEEEESD_SD_SD_jNS0_19identity_decomposerENS1_16block_id_wrapperIjLb1EEEEE10hipError_tT1_PNSt15iterator_traitsISI_E10value_typeET2_T3_PNSJ_ISO_E10value_typeET4_T5_PST_SU_PNS1_23onesweep_lookback_stateEbbT6_jjT7_P12ihipStream_tbENKUlT_T0_SI_SN_E_clISD_SD_SD_SD_EEDaS11_S12_SI_SN_EUlS11_E_NS1_11comp_targetILNS1_3genE9ELNS1_11target_archE1100ELNS1_3gpuE3ELNS1_3repE0EEENS1_47radix_sort_onesweep_sort_config_static_selectorELNS0_4arch9wavefront6targetE1EEEvSI_
                                        ; -- End function
	.set _ZN7rocprim17ROCPRIM_400000_NS6detail17trampoline_kernelINS0_14default_configENS1_35radix_sort_onesweep_config_selectorIiiEEZZNS1_29radix_sort_onesweep_iterationIS3_Lb0EN6thrust23THRUST_200600_302600_NS6detail15normal_iteratorINS8_10device_ptrIiEEEESD_SD_SD_jNS0_19identity_decomposerENS1_16block_id_wrapperIjLb1EEEEE10hipError_tT1_PNSt15iterator_traitsISI_E10value_typeET2_T3_PNSJ_ISO_E10value_typeET4_T5_PST_SU_PNS1_23onesweep_lookback_stateEbbT6_jjT7_P12ihipStream_tbENKUlT_T0_SI_SN_E_clISD_SD_SD_SD_EEDaS11_S12_SI_SN_EUlS11_E_NS1_11comp_targetILNS1_3genE9ELNS1_11target_archE1100ELNS1_3gpuE3ELNS1_3repE0EEENS1_47radix_sort_onesweep_sort_config_static_selectorELNS0_4arch9wavefront6targetE1EEEvSI_.num_vgpr, 0
	.set _ZN7rocprim17ROCPRIM_400000_NS6detail17trampoline_kernelINS0_14default_configENS1_35radix_sort_onesweep_config_selectorIiiEEZZNS1_29radix_sort_onesweep_iterationIS3_Lb0EN6thrust23THRUST_200600_302600_NS6detail15normal_iteratorINS8_10device_ptrIiEEEESD_SD_SD_jNS0_19identity_decomposerENS1_16block_id_wrapperIjLb1EEEEE10hipError_tT1_PNSt15iterator_traitsISI_E10value_typeET2_T3_PNSJ_ISO_E10value_typeET4_T5_PST_SU_PNS1_23onesweep_lookback_stateEbbT6_jjT7_P12ihipStream_tbENKUlT_T0_SI_SN_E_clISD_SD_SD_SD_EEDaS11_S12_SI_SN_EUlS11_E_NS1_11comp_targetILNS1_3genE9ELNS1_11target_archE1100ELNS1_3gpuE3ELNS1_3repE0EEENS1_47radix_sort_onesweep_sort_config_static_selectorELNS0_4arch9wavefront6targetE1EEEvSI_.num_agpr, 0
	.set _ZN7rocprim17ROCPRIM_400000_NS6detail17trampoline_kernelINS0_14default_configENS1_35radix_sort_onesweep_config_selectorIiiEEZZNS1_29radix_sort_onesweep_iterationIS3_Lb0EN6thrust23THRUST_200600_302600_NS6detail15normal_iteratorINS8_10device_ptrIiEEEESD_SD_SD_jNS0_19identity_decomposerENS1_16block_id_wrapperIjLb1EEEEE10hipError_tT1_PNSt15iterator_traitsISI_E10value_typeET2_T3_PNSJ_ISO_E10value_typeET4_T5_PST_SU_PNS1_23onesweep_lookback_stateEbbT6_jjT7_P12ihipStream_tbENKUlT_T0_SI_SN_E_clISD_SD_SD_SD_EEDaS11_S12_SI_SN_EUlS11_E_NS1_11comp_targetILNS1_3genE9ELNS1_11target_archE1100ELNS1_3gpuE3ELNS1_3repE0EEENS1_47radix_sort_onesweep_sort_config_static_selectorELNS0_4arch9wavefront6targetE1EEEvSI_.numbered_sgpr, 0
	.set _ZN7rocprim17ROCPRIM_400000_NS6detail17trampoline_kernelINS0_14default_configENS1_35radix_sort_onesweep_config_selectorIiiEEZZNS1_29radix_sort_onesweep_iterationIS3_Lb0EN6thrust23THRUST_200600_302600_NS6detail15normal_iteratorINS8_10device_ptrIiEEEESD_SD_SD_jNS0_19identity_decomposerENS1_16block_id_wrapperIjLb1EEEEE10hipError_tT1_PNSt15iterator_traitsISI_E10value_typeET2_T3_PNSJ_ISO_E10value_typeET4_T5_PST_SU_PNS1_23onesweep_lookback_stateEbbT6_jjT7_P12ihipStream_tbENKUlT_T0_SI_SN_E_clISD_SD_SD_SD_EEDaS11_S12_SI_SN_EUlS11_E_NS1_11comp_targetILNS1_3genE9ELNS1_11target_archE1100ELNS1_3gpuE3ELNS1_3repE0EEENS1_47radix_sort_onesweep_sort_config_static_selectorELNS0_4arch9wavefront6targetE1EEEvSI_.num_named_barrier, 0
	.set _ZN7rocprim17ROCPRIM_400000_NS6detail17trampoline_kernelINS0_14default_configENS1_35radix_sort_onesweep_config_selectorIiiEEZZNS1_29radix_sort_onesweep_iterationIS3_Lb0EN6thrust23THRUST_200600_302600_NS6detail15normal_iteratorINS8_10device_ptrIiEEEESD_SD_SD_jNS0_19identity_decomposerENS1_16block_id_wrapperIjLb1EEEEE10hipError_tT1_PNSt15iterator_traitsISI_E10value_typeET2_T3_PNSJ_ISO_E10value_typeET4_T5_PST_SU_PNS1_23onesweep_lookback_stateEbbT6_jjT7_P12ihipStream_tbENKUlT_T0_SI_SN_E_clISD_SD_SD_SD_EEDaS11_S12_SI_SN_EUlS11_E_NS1_11comp_targetILNS1_3genE9ELNS1_11target_archE1100ELNS1_3gpuE3ELNS1_3repE0EEENS1_47radix_sort_onesweep_sort_config_static_selectorELNS0_4arch9wavefront6targetE1EEEvSI_.private_seg_size, 0
	.set _ZN7rocprim17ROCPRIM_400000_NS6detail17trampoline_kernelINS0_14default_configENS1_35radix_sort_onesweep_config_selectorIiiEEZZNS1_29radix_sort_onesweep_iterationIS3_Lb0EN6thrust23THRUST_200600_302600_NS6detail15normal_iteratorINS8_10device_ptrIiEEEESD_SD_SD_jNS0_19identity_decomposerENS1_16block_id_wrapperIjLb1EEEEE10hipError_tT1_PNSt15iterator_traitsISI_E10value_typeET2_T3_PNSJ_ISO_E10value_typeET4_T5_PST_SU_PNS1_23onesweep_lookback_stateEbbT6_jjT7_P12ihipStream_tbENKUlT_T0_SI_SN_E_clISD_SD_SD_SD_EEDaS11_S12_SI_SN_EUlS11_E_NS1_11comp_targetILNS1_3genE9ELNS1_11target_archE1100ELNS1_3gpuE3ELNS1_3repE0EEENS1_47radix_sort_onesweep_sort_config_static_selectorELNS0_4arch9wavefront6targetE1EEEvSI_.uses_vcc, 0
	.set _ZN7rocprim17ROCPRIM_400000_NS6detail17trampoline_kernelINS0_14default_configENS1_35radix_sort_onesweep_config_selectorIiiEEZZNS1_29radix_sort_onesweep_iterationIS3_Lb0EN6thrust23THRUST_200600_302600_NS6detail15normal_iteratorINS8_10device_ptrIiEEEESD_SD_SD_jNS0_19identity_decomposerENS1_16block_id_wrapperIjLb1EEEEE10hipError_tT1_PNSt15iterator_traitsISI_E10value_typeET2_T3_PNSJ_ISO_E10value_typeET4_T5_PST_SU_PNS1_23onesweep_lookback_stateEbbT6_jjT7_P12ihipStream_tbENKUlT_T0_SI_SN_E_clISD_SD_SD_SD_EEDaS11_S12_SI_SN_EUlS11_E_NS1_11comp_targetILNS1_3genE9ELNS1_11target_archE1100ELNS1_3gpuE3ELNS1_3repE0EEENS1_47radix_sort_onesweep_sort_config_static_selectorELNS0_4arch9wavefront6targetE1EEEvSI_.uses_flat_scratch, 0
	.set _ZN7rocprim17ROCPRIM_400000_NS6detail17trampoline_kernelINS0_14default_configENS1_35radix_sort_onesweep_config_selectorIiiEEZZNS1_29radix_sort_onesweep_iterationIS3_Lb0EN6thrust23THRUST_200600_302600_NS6detail15normal_iteratorINS8_10device_ptrIiEEEESD_SD_SD_jNS0_19identity_decomposerENS1_16block_id_wrapperIjLb1EEEEE10hipError_tT1_PNSt15iterator_traitsISI_E10value_typeET2_T3_PNSJ_ISO_E10value_typeET4_T5_PST_SU_PNS1_23onesweep_lookback_stateEbbT6_jjT7_P12ihipStream_tbENKUlT_T0_SI_SN_E_clISD_SD_SD_SD_EEDaS11_S12_SI_SN_EUlS11_E_NS1_11comp_targetILNS1_3genE9ELNS1_11target_archE1100ELNS1_3gpuE3ELNS1_3repE0EEENS1_47radix_sort_onesweep_sort_config_static_selectorELNS0_4arch9wavefront6targetE1EEEvSI_.has_dyn_sized_stack, 0
	.set _ZN7rocprim17ROCPRIM_400000_NS6detail17trampoline_kernelINS0_14default_configENS1_35radix_sort_onesweep_config_selectorIiiEEZZNS1_29radix_sort_onesweep_iterationIS3_Lb0EN6thrust23THRUST_200600_302600_NS6detail15normal_iteratorINS8_10device_ptrIiEEEESD_SD_SD_jNS0_19identity_decomposerENS1_16block_id_wrapperIjLb1EEEEE10hipError_tT1_PNSt15iterator_traitsISI_E10value_typeET2_T3_PNSJ_ISO_E10value_typeET4_T5_PST_SU_PNS1_23onesweep_lookback_stateEbbT6_jjT7_P12ihipStream_tbENKUlT_T0_SI_SN_E_clISD_SD_SD_SD_EEDaS11_S12_SI_SN_EUlS11_E_NS1_11comp_targetILNS1_3genE9ELNS1_11target_archE1100ELNS1_3gpuE3ELNS1_3repE0EEENS1_47radix_sort_onesweep_sort_config_static_selectorELNS0_4arch9wavefront6targetE1EEEvSI_.has_recursion, 0
	.set _ZN7rocprim17ROCPRIM_400000_NS6detail17trampoline_kernelINS0_14default_configENS1_35radix_sort_onesweep_config_selectorIiiEEZZNS1_29radix_sort_onesweep_iterationIS3_Lb0EN6thrust23THRUST_200600_302600_NS6detail15normal_iteratorINS8_10device_ptrIiEEEESD_SD_SD_jNS0_19identity_decomposerENS1_16block_id_wrapperIjLb1EEEEE10hipError_tT1_PNSt15iterator_traitsISI_E10value_typeET2_T3_PNSJ_ISO_E10value_typeET4_T5_PST_SU_PNS1_23onesweep_lookback_stateEbbT6_jjT7_P12ihipStream_tbENKUlT_T0_SI_SN_E_clISD_SD_SD_SD_EEDaS11_S12_SI_SN_EUlS11_E_NS1_11comp_targetILNS1_3genE9ELNS1_11target_archE1100ELNS1_3gpuE3ELNS1_3repE0EEENS1_47radix_sort_onesweep_sort_config_static_selectorELNS0_4arch9wavefront6targetE1EEEvSI_.has_indirect_call, 0
	.section	.AMDGPU.csdata,"",@progbits
; Kernel info:
; codeLenInByte = 0
; TotalNumSgprs: 6
; NumVgprs: 0
; NumAgprs: 0
; TotalNumVgprs: 0
; ScratchSize: 0
; MemoryBound: 0
; FloatMode: 240
; IeeeMode: 1
; LDSByteSize: 0 bytes/workgroup (compile time only)
; SGPRBlocks: 0
; VGPRBlocks: 0
; NumSGPRsForWavesPerEU: 6
; NumVGPRsForWavesPerEU: 1
; AccumOffset: 4
; Occupancy: 8
; WaveLimiterHint : 0
; COMPUTE_PGM_RSRC2:SCRATCH_EN: 0
; COMPUTE_PGM_RSRC2:USER_SGPR: 2
; COMPUTE_PGM_RSRC2:TRAP_HANDLER: 0
; COMPUTE_PGM_RSRC2:TGID_X_EN: 1
; COMPUTE_PGM_RSRC2:TGID_Y_EN: 0
; COMPUTE_PGM_RSRC2:TGID_Z_EN: 0
; COMPUTE_PGM_RSRC2:TIDIG_COMP_CNT: 0
; COMPUTE_PGM_RSRC3_GFX90A:ACCUM_OFFSET: 0
; COMPUTE_PGM_RSRC3_GFX90A:TG_SPLIT: 0
	.section	.text._ZN7rocprim17ROCPRIM_400000_NS6detail17trampoline_kernelINS0_14default_configENS1_35radix_sort_onesweep_config_selectorIiiEEZZNS1_29radix_sort_onesweep_iterationIS3_Lb0EN6thrust23THRUST_200600_302600_NS6detail15normal_iteratorINS8_10device_ptrIiEEEESD_SD_SD_jNS0_19identity_decomposerENS1_16block_id_wrapperIjLb1EEEEE10hipError_tT1_PNSt15iterator_traitsISI_E10value_typeET2_T3_PNSJ_ISO_E10value_typeET4_T5_PST_SU_PNS1_23onesweep_lookback_stateEbbT6_jjT7_P12ihipStream_tbENKUlT_T0_SI_SN_E_clISD_SD_SD_SD_EEDaS11_S12_SI_SN_EUlS11_E_NS1_11comp_targetILNS1_3genE8ELNS1_11target_archE1030ELNS1_3gpuE2ELNS1_3repE0EEENS1_47radix_sort_onesweep_sort_config_static_selectorELNS0_4arch9wavefront6targetE1EEEvSI_,"axG",@progbits,_ZN7rocprim17ROCPRIM_400000_NS6detail17trampoline_kernelINS0_14default_configENS1_35radix_sort_onesweep_config_selectorIiiEEZZNS1_29radix_sort_onesweep_iterationIS3_Lb0EN6thrust23THRUST_200600_302600_NS6detail15normal_iteratorINS8_10device_ptrIiEEEESD_SD_SD_jNS0_19identity_decomposerENS1_16block_id_wrapperIjLb1EEEEE10hipError_tT1_PNSt15iterator_traitsISI_E10value_typeET2_T3_PNSJ_ISO_E10value_typeET4_T5_PST_SU_PNS1_23onesweep_lookback_stateEbbT6_jjT7_P12ihipStream_tbENKUlT_T0_SI_SN_E_clISD_SD_SD_SD_EEDaS11_S12_SI_SN_EUlS11_E_NS1_11comp_targetILNS1_3genE8ELNS1_11target_archE1030ELNS1_3gpuE2ELNS1_3repE0EEENS1_47radix_sort_onesweep_sort_config_static_selectorELNS0_4arch9wavefront6targetE1EEEvSI_,comdat
	.protected	_ZN7rocprim17ROCPRIM_400000_NS6detail17trampoline_kernelINS0_14default_configENS1_35radix_sort_onesweep_config_selectorIiiEEZZNS1_29radix_sort_onesweep_iterationIS3_Lb0EN6thrust23THRUST_200600_302600_NS6detail15normal_iteratorINS8_10device_ptrIiEEEESD_SD_SD_jNS0_19identity_decomposerENS1_16block_id_wrapperIjLb1EEEEE10hipError_tT1_PNSt15iterator_traitsISI_E10value_typeET2_T3_PNSJ_ISO_E10value_typeET4_T5_PST_SU_PNS1_23onesweep_lookback_stateEbbT6_jjT7_P12ihipStream_tbENKUlT_T0_SI_SN_E_clISD_SD_SD_SD_EEDaS11_S12_SI_SN_EUlS11_E_NS1_11comp_targetILNS1_3genE8ELNS1_11target_archE1030ELNS1_3gpuE2ELNS1_3repE0EEENS1_47radix_sort_onesweep_sort_config_static_selectorELNS0_4arch9wavefront6targetE1EEEvSI_ ; -- Begin function _ZN7rocprim17ROCPRIM_400000_NS6detail17trampoline_kernelINS0_14default_configENS1_35radix_sort_onesweep_config_selectorIiiEEZZNS1_29radix_sort_onesweep_iterationIS3_Lb0EN6thrust23THRUST_200600_302600_NS6detail15normal_iteratorINS8_10device_ptrIiEEEESD_SD_SD_jNS0_19identity_decomposerENS1_16block_id_wrapperIjLb1EEEEE10hipError_tT1_PNSt15iterator_traitsISI_E10value_typeET2_T3_PNSJ_ISO_E10value_typeET4_T5_PST_SU_PNS1_23onesweep_lookback_stateEbbT6_jjT7_P12ihipStream_tbENKUlT_T0_SI_SN_E_clISD_SD_SD_SD_EEDaS11_S12_SI_SN_EUlS11_E_NS1_11comp_targetILNS1_3genE8ELNS1_11target_archE1030ELNS1_3gpuE2ELNS1_3repE0EEENS1_47radix_sort_onesweep_sort_config_static_selectorELNS0_4arch9wavefront6targetE1EEEvSI_
	.globl	_ZN7rocprim17ROCPRIM_400000_NS6detail17trampoline_kernelINS0_14default_configENS1_35radix_sort_onesweep_config_selectorIiiEEZZNS1_29radix_sort_onesweep_iterationIS3_Lb0EN6thrust23THRUST_200600_302600_NS6detail15normal_iteratorINS8_10device_ptrIiEEEESD_SD_SD_jNS0_19identity_decomposerENS1_16block_id_wrapperIjLb1EEEEE10hipError_tT1_PNSt15iterator_traitsISI_E10value_typeET2_T3_PNSJ_ISO_E10value_typeET4_T5_PST_SU_PNS1_23onesweep_lookback_stateEbbT6_jjT7_P12ihipStream_tbENKUlT_T0_SI_SN_E_clISD_SD_SD_SD_EEDaS11_S12_SI_SN_EUlS11_E_NS1_11comp_targetILNS1_3genE8ELNS1_11target_archE1030ELNS1_3gpuE2ELNS1_3repE0EEENS1_47radix_sort_onesweep_sort_config_static_selectorELNS0_4arch9wavefront6targetE1EEEvSI_
	.p2align	8
	.type	_ZN7rocprim17ROCPRIM_400000_NS6detail17trampoline_kernelINS0_14default_configENS1_35radix_sort_onesweep_config_selectorIiiEEZZNS1_29radix_sort_onesweep_iterationIS3_Lb0EN6thrust23THRUST_200600_302600_NS6detail15normal_iteratorINS8_10device_ptrIiEEEESD_SD_SD_jNS0_19identity_decomposerENS1_16block_id_wrapperIjLb1EEEEE10hipError_tT1_PNSt15iterator_traitsISI_E10value_typeET2_T3_PNSJ_ISO_E10value_typeET4_T5_PST_SU_PNS1_23onesweep_lookback_stateEbbT6_jjT7_P12ihipStream_tbENKUlT_T0_SI_SN_E_clISD_SD_SD_SD_EEDaS11_S12_SI_SN_EUlS11_E_NS1_11comp_targetILNS1_3genE8ELNS1_11target_archE1030ELNS1_3gpuE2ELNS1_3repE0EEENS1_47radix_sort_onesweep_sort_config_static_selectorELNS0_4arch9wavefront6targetE1EEEvSI_,@function
_ZN7rocprim17ROCPRIM_400000_NS6detail17trampoline_kernelINS0_14default_configENS1_35radix_sort_onesweep_config_selectorIiiEEZZNS1_29radix_sort_onesweep_iterationIS3_Lb0EN6thrust23THRUST_200600_302600_NS6detail15normal_iteratorINS8_10device_ptrIiEEEESD_SD_SD_jNS0_19identity_decomposerENS1_16block_id_wrapperIjLb1EEEEE10hipError_tT1_PNSt15iterator_traitsISI_E10value_typeET2_T3_PNSJ_ISO_E10value_typeET4_T5_PST_SU_PNS1_23onesweep_lookback_stateEbbT6_jjT7_P12ihipStream_tbENKUlT_T0_SI_SN_E_clISD_SD_SD_SD_EEDaS11_S12_SI_SN_EUlS11_E_NS1_11comp_targetILNS1_3genE8ELNS1_11target_archE1030ELNS1_3gpuE2ELNS1_3repE0EEENS1_47radix_sort_onesweep_sort_config_static_selectorELNS0_4arch9wavefront6targetE1EEEvSI_: ; @_ZN7rocprim17ROCPRIM_400000_NS6detail17trampoline_kernelINS0_14default_configENS1_35radix_sort_onesweep_config_selectorIiiEEZZNS1_29radix_sort_onesweep_iterationIS3_Lb0EN6thrust23THRUST_200600_302600_NS6detail15normal_iteratorINS8_10device_ptrIiEEEESD_SD_SD_jNS0_19identity_decomposerENS1_16block_id_wrapperIjLb1EEEEE10hipError_tT1_PNSt15iterator_traitsISI_E10value_typeET2_T3_PNSJ_ISO_E10value_typeET4_T5_PST_SU_PNS1_23onesweep_lookback_stateEbbT6_jjT7_P12ihipStream_tbENKUlT_T0_SI_SN_E_clISD_SD_SD_SD_EEDaS11_S12_SI_SN_EUlS11_E_NS1_11comp_targetILNS1_3genE8ELNS1_11target_archE1030ELNS1_3gpuE2ELNS1_3repE0EEENS1_47radix_sort_onesweep_sort_config_static_selectorELNS0_4arch9wavefront6targetE1EEEvSI_
; %bb.0:
	.section	.rodata,"a",@progbits
	.p2align	6, 0x0
	.amdhsa_kernel _ZN7rocprim17ROCPRIM_400000_NS6detail17trampoline_kernelINS0_14default_configENS1_35radix_sort_onesweep_config_selectorIiiEEZZNS1_29radix_sort_onesweep_iterationIS3_Lb0EN6thrust23THRUST_200600_302600_NS6detail15normal_iteratorINS8_10device_ptrIiEEEESD_SD_SD_jNS0_19identity_decomposerENS1_16block_id_wrapperIjLb1EEEEE10hipError_tT1_PNSt15iterator_traitsISI_E10value_typeET2_T3_PNSJ_ISO_E10value_typeET4_T5_PST_SU_PNS1_23onesweep_lookback_stateEbbT6_jjT7_P12ihipStream_tbENKUlT_T0_SI_SN_E_clISD_SD_SD_SD_EEDaS11_S12_SI_SN_EUlS11_E_NS1_11comp_targetILNS1_3genE8ELNS1_11target_archE1030ELNS1_3gpuE2ELNS1_3repE0EEENS1_47radix_sort_onesweep_sort_config_static_selectorELNS0_4arch9wavefront6targetE1EEEvSI_
		.amdhsa_group_segment_fixed_size 0
		.amdhsa_private_segment_fixed_size 0
		.amdhsa_kernarg_size 88
		.amdhsa_user_sgpr_count 2
		.amdhsa_user_sgpr_dispatch_ptr 0
		.amdhsa_user_sgpr_queue_ptr 0
		.amdhsa_user_sgpr_kernarg_segment_ptr 1
		.amdhsa_user_sgpr_dispatch_id 0
		.amdhsa_user_sgpr_kernarg_preload_length 0
		.amdhsa_user_sgpr_kernarg_preload_offset 0
		.amdhsa_user_sgpr_private_segment_size 0
		.amdhsa_uses_dynamic_stack 0
		.amdhsa_enable_private_segment 0
		.amdhsa_system_sgpr_workgroup_id_x 1
		.amdhsa_system_sgpr_workgroup_id_y 0
		.amdhsa_system_sgpr_workgroup_id_z 0
		.amdhsa_system_sgpr_workgroup_info 0
		.amdhsa_system_vgpr_workitem_id 0
		.amdhsa_next_free_vgpr 1
		.amdhsa_next_free_sgpr 0
		.amdhsa_accum_offset 4
		.amdhsa_reserve_vcc 0
		.amdhsa_float_round_mode_32 0
		.amdhsa_float_round_mode_16_64 0
		.amdhsa_float_denorm_mode_32 3
		.amdhsa_float_denorm_mode_16_64 3
		.amdhsa_dx10_clamp 1
		.amdhsa_ieee_mode 1
		.amdhsa_fp16_overflow 0
		.amdhsa_tg_split 0
		.amdhsa_exception_fp_ieee_invalid_op 0
		.amdhsa_exception_fp_denorm_src 0
		.amdhsa_exception_fp_ieee_div_zero 0
		.amdhsa_exception_fp_ieee_overflow 0
		.amdhsa_exception_fp_ieee_underflow 0
		.amdhsa_exception_fp_ieee_inexact 0
		.amdhsa_exception_int_div_zero 0
	.end_amdhsa_kernel
	.section	.text._ZN7rocprim17ROCPRIM_400000_NS6detail17trampoline_kernelINS0_14default_configENS1_35radix_sort_onesweep_config_selectorIiiEEZZNS1_29radix_sort_onesweep_iterationIS3_Lb0EN6thrust23THRUST_200600_302600_NS6detail15normal_iteratorINS8_10device_ptrIiEEEESD_SD_SD_jNS0_19identity_decomposerENS1_16block_id_wrapperIjLb1EEEEE10hipError_tT1_PNSt15iterator_traitsISI_E10value_typeET2_T3_PNSJ_ISO_E10value_typeET4_T5_PST_SU_PNS1_23onesweep_lookback_stateEbbT6_jjT7_P12ihipStream_tbENKUlT_T0_SI_SN_E_clISD_SD_SD_SD_EEDaS11_S12_SI_SN_EUlS11_E_NS1_11comp_targetILNS1_3genE8ELNS1_11target_archE1030ELNS1_3gpuE2ELNS1_3repE0EEENS1_47radix_sort_onesweep_sort_config_static_selectorELNS0_4arch9wavefront6targetE1EEEvSI_,"axG",@progbits,_ZN7rocprim17ROCPRIM_400000_NS6detail17trampoline_kernelINS0_14default_configENS1_35radix_sort_onesweep_config_selectorIiiEEZZNS1_29radix_sort_onesweep_iterationIS3_Lb0EN6thrust23THRUST_200600_302600_NS6detail15normal_iteratorINS8_10device_ptrIiEEEESD_SD_SD_jNS0_19identity_decomposerENS1_16block_id_wrapperIjLb1EEEEE10hipError_tT1_PNSt15iterator_traitsISI_E10value_typeET2_T3_PNSJ_ISO_E10value_typeET4_T5_PST_SU_PNS1_23onesweep_lookback_stateEbbT6_jjT7_P12ihipStream_tbENKUlT_T0_SI_SN_E_clISD_SD_SD_SD_EEDaS11_S12_SI_SN_EUlS11_E_NS1_11comp_targetILNS1_3genE8ELNS1_11target_archE1030ELNS1_3gpuE2ELNS1_3repE0EEENS1_47radix_sort_onesweep_sort_config_static_selectorELNS0_4arch9wavefront6targetE1EEEvSI_,comdat
.Lfunc_end830:
	.size	_ZN7rocprim17ROCPRIM_400000_NS6detail17trampoline_kernelINS0_14default_configENS1_35radix_sort_onesweep_config_selectorIiiEEZZNS1_29radix_sort_onesweep_iterationIS3_Lb0EN6thrust23THRUST_200600_302600_NS6detail15normal_iteratorINS8_10device_ptrIiEEEESD_SD_SD_jNS0_19identity_decomposerENS1_16block_id_wrapperIjLb1EEEEE10hipError_tT1_PNSt15iterator_traitsISI_E10value_typeET2_T3_PNSJ_ISO_E10value_typeET4_T5_PST_SU_PNS1_23onesweep_lookback_stateEbbT6_jjT7_P12ihipStream_tbENKUlT_T0_SI_SN_E_clISD_SD_SD_SD_EEDaS11_S12_SI_SN_EUlS11_E_NS1_11comp_targetILNS1_3genE8ELNS1_11target_archE1030ELNS1_3gpuE2ELNS1_3repE0EEENS1_47radix_sort_onesweep_sort_config_static_selectorELNS0_4arch9wavefront6targetE1EEEvSI_, .Lfunc_end830-_ZN7rocprim17ROCPRIM_400000_NS6detail17trampoline_kernelINS0_14default_configENS1_35radix_sort_onesweep_config_selectorIiiEEZZNS1_29radix_sort_onesweep_iterationIS3_Lb0EN6thrust23THRUST_200600_302600_NS6detail15normal_iteratorINS8_10device_ptrIiEEEESD_SD_SD_jNS0_19identity_decomposerENS1_16block_id_wrapperIjLb1EEEEE10hipError_tT1_PNSt15iterator_traitsISI_E10value_typeET2_T3_PNSJ_ISO_E10value_typeET4_T5_PST_SU_PNS1_23onesweep_lookback_stateEbbT6_jjT7_P12ihipStream_tbENKUlT_T0_SI_SN_E_clISD_SD_SD_SD_EEDaS11_S12_SI_SN_EUlS11_E_NS1_11comp_targetILNS1_3genE8ELNS1_11target_archE1030ELNS1_3gpuE2ELNS1_3repE0EEENS1_47radix_sort_onesweep_sort_config_static_selectorELNS0_4arch9wavefront6targetE1EEEvSI_
                                        ; -- End function
	.set _ZN7rocprim17ROCPRIM_400000_NS6detail17trampoline_kernelINS0_14default_configENS1_35radix_sort_onesweep_config_selectorIiiEEZZNS1_29radix_sort_onesweep_iterationIS3_Lb0EN6thrust23THRUST_200600_302600_NS6detail15normal_iteratorINS8_10device_ptrIiEEEESD_SD_SD_jNS0_19identity_decomposerENS1_16block_id_wrapperIjLb1EEEEE10hipError_tT1_PNSt15iterator_traitsISI_E10value_typeET2_T3_PNSJ_ISO_E10value_typeET4_T5_PST_SU_PNS1_23onesweep_lookback_stateEbbT6_jjT7_P12ihipStream_tbENKUlT_T0_SI_SN_E_clISD_SD_SD_SD_EEDaS11_S12_SI_SN_EUlS11_E_NS1_11comp_targetILNS1_3genE8ELNS1_11target_archE1030ELNS1_3gpuE2ELNS1_3repE0EEENS1_47radix_sort_onesweep_sort_config_static_selectorELNS0_4arch9wavefront6targetE1EEEvSI_.num_vgpr, 0
	.set _ZN7rocprim17ROCPRIM_400000_NS6detail17trampoline_kernelINS0_14default_configENS1_35radix_sort_onesweep_config_selectorIiiEEZZNS1_29radix_sort_onesweep_iterationIS3_Lb0EN6thrust23THRUST_200600_302600_NS6detail15normal_iteratorINS8_10device_ptrIiEEEESD_SD_SD_jNS0_19identity_decomposerENS1_16block_id_wrapperIjLb1EEEEE10hipError_tT1_PNSt15iterator_traitsISI_E10value_typeET2_T3_PNSJ_ISO_E10value_typeET4_T5_PST_SU_PNS1_23onesweep_lookback_stateEbbT6_jjT7_P12ihipStream_tbENKUlT_T0_SI_SN_E_clISD_SD_SD_SD_EEDaS11_S12_SI_SN_EUlS11_E_NS1_11comp_targetILNS1_3genE8ELNS1_11target_archE1030ELNS1_3gpuE2ELNS1_3repE0EEENS1_47radix_sort_onesweep_sort_config_static_selectorELNS0_4arch9wavefront6targetE1EEEvSI_.num_agpr, 0
	.set _ZN7rocprim17ROCPRIM_400000_NS6detail17trampoline_kernelINS0_14default_configENS1_35radix_sort_onesweep_config_selectorIiiEEZZNS1_29radix_sort_onesweep_iterationIS3_Lb0EN6thrust23THRUST_200600_302600_NS6detail15normal_iteratorINS8_10device_ptrIiEEEESD_SD_SD_jNS0_19identity_decomposerENS1_16block_id_wrapperIjLb1EEEEE10hipError_tT1_PNSt15iterator_traitsISI_E10value_typeET2_T3_PNSJ_ISO_E10value_typeET4_T5_PST_SU_PNS1_23onesweep_lookback_stateEbbT6_jjT7_P12ihipStream_tbENKUlT_T0_SI_SN_E_clISD_SD_SD_SD_EEDaS11_S12_SI_SN_EUlS11_E_NS1_11comp_targetILNS1_3genE8ELNS1_11target_archE1030ELNS1_3gpuE2ELNS1_3repE0EEENS1_47radix_sort_onesweep_sort_config_static_selectorELNS0_4arch9wavefront6targetE1EEEvSI_.numbered_sgpr, 0
	.set _ZN7rocprim17ROCPRIM_400000_NS6detail17trampoline_kernelINS0_14default_configENS1_35radix_sort_onesweep_config_selectorIiiEEZZNS1_29radix_sort_onesweep_iterationIS3_Lb0EN6thrust23THRUST_200600_302600_NS6detail15normal_iteratorINS8_10device_ptrIiEEEESD_SD_SD_jNS0_19identity_decomposerENS1_16block_id_wrapperIjLb1EEEEE10hipError_tT1_PNSt15iterator_traitsISI_E10value_typeET2_T3_PNSJ_ISO_E10value_typeET4_T5_PST_SU_PNS1_23onesweep_lookback_stateEbbT6_jjT7_P12ihipStream_tbENKUlT_T0_SI_SN_E_clISD_SD_SD_SD_EEDaS11_S12_SI_SN_EUlS11_E_NS1_11comp_targetILNS1_3genE8ELNS1_11target_archE1030ELNS1_3gpuE2ELNS1_3repE0EEENS1_47radix_sort_onesweep_sort_config_static_selectorELNS0_4arch9wavefront6targetE1EEEvSI_.num_named_barrier, 0
	.set _ZN7rocprim17ROCPRIM_400000_NS6detail17trampoline_kernelINS0_14default_configENS1_35radix_sort_onesweep_config_selectorIiiEEZZNS1_29radix_sort_onesweep_iterationIS3_Lb0EN6thrust23THRUST_200600_302600_NS6detail15normal_iteratorINS8_10device_ptrIiEEEESD_SD_SD_jNS0_19identity_decomposerENS1_16block_id_wrapperIjLb1EEEEE10hipError_tT1_PNSt15iterator_traitsISI_E10value_typeET2_T3_PNSJ_ISO_E10value_typeET4_T5_PST_SU_PNS1_23onesweep_lookback_stateEbbT6_jjT7_P12ihipStream_tbENKUlT_T0_SI_SN_E_clISD_SD_SD_SD_EEDaS11_S12_SI_SN_EUlS11_E_NS1_11comp_targetILNS1_3genE8ELNS1_11target_archE1030ELNS1_3gpuE2ELNS1_3repE0EEENS1_47radix_sort_onesweep_sort_config_static_selectorELNS0_4arch9wavefront6targetE1EEEvSI_.private_seg_size, 0
	.set _ZN7rocprim17ROCPRIM_400000_NS6detail17trampoline_kernelINS0_14default_configENS1_35radix_sort_onesweep_config_selectorIiiEEZZNS1_29radix_sort_onesweep_iterationIS3_Lb0EN6thrust23THRUST_200600_302600_NS6detail15normal_iteratorINS8_10device_ptrIiEEEESD_SD_SD_jNS0_19identity_decomposerENS1_16block_id_wrapperIjLb1EEEEE10hipError_tT1_PNSt15iterator_traitsISI_E10value_typeET2_T3_PNSJ_ISO_E10value_typeET4_T5_PST_SU_PNS1_23onesweep_lookback_stateEbbT6_jjT7_P12ihipStream_tbENKUlT_T0_SI_SN_E_clISD_SD_SD_SD_EEDaS11_S12_SI_SN_EUlS11_E_NS1_11comp_targetILNS1_3genE8ELNS1_11target_archE1030ELNS1_3gpuE2ELNS1_3repE0EEENS1_47radix_sort_onesweep_sort_config_static_selectorELNS0_4arch9wavefront6targetE1EEEvSI_.uses_vcc, 0
	.set _ZN7rocprim17ROCPRIM_400000_NS6detail17trampoline_kernelINS0_14default_configENS1_35radix_sort_onesweep_config_selectorIiiEEZZNS1_29radix_sort_onesweep_iterationIS3_Lb0EN6thrust23THRUST_200600_302600_NS6detail15normal_iteratorINS8_10device_ptrIiEEEESD_SD_SD_jNS0_19identity_decomposerENS1_16block_id_wrapperIjLb1EEEEE10hipError_tT1_PNSt15iterator_traitsISI_E10value_typeET2_T3_PNSJ_ISO_E10value_typeET4_T5_PST_SU_PNS1_23onesweep_lookback_stateEbbT6_jjT7_P12ihipStream_tbENKUlT_T0_SI_SN_E_clISD_SD_SD_SD_EEDaS11_S12_SI_SN_EUlS11_E_NS1_11comp_targetILNS1_3genE8ELNS1_11target_archE1030ELNS1_3gpuE2ELNS1_3repE0EEENS1_47radix_sort_onesweep_sort_config_static_selectorELNS0_4arch9wavefront6targetE1EEEvSI_.uses_flat_scratch, 0
	.set _ZN7rocprim17ROCPRIM_400000_NS6detail17trampoline_kernelINS0_14default_configENS1_35radix_sort_onesweep_config_selectorIiiEEZZNS1_29radix_sort_onesweep_iterationIS3_Lb0EN6thrust23THRUST_200600_302600_NS6detail15normal_iteratorINS8_10device_ptrIiEEEESD_SD_SD_jNS0_19identity_decomposerENS1_16block_id_wrapperIjLb1EEEEE10hipError_tT1_PNSt15iterator_traitsISI_E10value_typeET2_T3_PNSJ_ISO_E10value_typeET4_T5_PST_SU_PNS1_23onesweep_lookback_stateEbbT6_jjT7_P12ihipStream_tbENKUlT_T0_SI_SN_E_clISD_SD_SD_SD_EEDaS11_S12_SI_SN_EUlS11_E_NS1_11comp_targetILNS1_3genE8ELNS1_11target_archE1030ELNS1_3gpuE2ELNS1_3repE0EEENS1_47radix_sort_onesweep_sort_config_static_selectorELNS0_4arch9wavefront6targetE1EEEvSI_.has_dyn_sized_stack, 0
	.set _ZN7rocprim17ROCPRIM_400000_NS6detail17trampoline_kernelINS0_14default_configENS1_35radix_sort_onesweep_config_selectorIiiEEZZNS1_29radix_sort_onesweep_iterationIS3_Lb0EN6thrust23THRUST_200600_302600_NS6detail15normal_iteratorINS8_10device_ptrIiEEEESD_SD_SD_jNS0_19identity_decomposerENS1_16block_id_wrapperIjLb1EEEEE10hipError_tT1_PNSt15iterator_traitsISI_E10value_typeET2_T3_PNSJ_ISO_E10value_typeET4_T5_PST_SU_PNS1_23onesweep_lookback_stateEbbT6_jjT7_P12ihipStream_tbENKUlT_T0_SI_SN_E_clISD_SD_SD_SD_EEDaS11_S12_SI_SN_EUlS11_E_NS1_11comp_targetILNS1_3genE8ELNS1_11target_archE1030ELNS1_3gpuE2ELNS1_3repE0EEENS1_47radix_sort_onesweep_sort_config_static_selectorELNS0_4arch9wavefront6targetE1EEEvSI_.has_recursion, 0
	.set _ZN7rocprim17ROCPRIM_400000_NS6detail17trampoline_kernelINS0_14default_configENS1_35radix_sort_onesweep_config_selectorIiiEEZZNS1_29radix_sort_onesweep_iterationIS3_Lb0EN6thrust23THRUST_200600_302600_NS6detail15normal_iteratorINS8_10device_ptrIiEEEESD_SD_SD_jNS0_19identity_decomposerENS1_16block_id_wrapperIjLb1EEEEE10hipError_tT1_PNSt15iterator_traitsISI_E10value_typeET2_T3_PNSJ_ISO_E10value_typeET4_T5_PST_SU_PNS1_23onesweep_lookback_stateEbbT6_jjT7_P12ihipStream_tbENKUlT_T0_SI_SN_E_clISD_SD_SD_SD_EEDaS11_S12_SI_SN_EUlS11_E_NS1_11comp_targetILNS1_3genE8ELNS1_11target_archE1030ELNS1_3gpuE2ELNS1_3repE0EEENS1_47radix_sort_onesweep_sort_config_static_selectorELNS0_4arch9wavefront6targetE1EEEvSI_.has_indirect_call, 0
	.section	.AMDGPU.csdata,"",@progbits
; Kernel info:
; codeLenInByte = 0
; TotalNumSgprs: 6
; NumVgprs: 0
; NumAgprs: 0
; TotalNumVgprs: 0
; ScratchSize: 0
; MemoryBound: 0
; FloatMode: 240
; IeeeMode: 1
; LDSByteSize: 0 bytes/workgroup (compile time only)
; SGPRBlocks: 0
; VGPRBlocks: 0
; NumSGPRsForWavesPerEU: 6
; NumVGPRsForWavesPerEU: 1
; AccumOffset: 4
; Occupancy: 8
; WaveLimiterHint : 0
; COMPUTE_PGM_RSRC2:SCRATCH_EN: 0
; COMPUTE_PGM_RSRC2:USER_SGPR: 2
; COMPUTE_PGM_RSRC2:TRAP_HANDLER: 0
; COMPUTE_PGM_RSRC2:TGID_X_EN: 1
; COMPUTE_PGM_RSRC2:TGID_Y_EN: 0
; COMPUTE_PGM_RSRC2:TGID_Z_EN: 0
; COMPUTE_PGM_RSRC2:TIDIG_COMP_CNT: 0
; COMPUTE_PGM_RSRC3_GFX90A:ACCUM_OFFSET: 0
; COMPUTE_PGM_RSRC3_GFX90A:TG_SPLIT: 0
	.section	.text._ZN7rocprim17ROCPRIM_400000_NS6detail17trampoline_kernelINS0_14default_configENS1_35radix_sort_onesweep_config_selectorIiiEEZZNS1_29radix_sort_onesweep_iterationIS3_Lb0EN6thrust23THRUST_200600_302600_NS6detail15normal_iteratorINS8_10device_ptrIiEEEESD_SD_SD_jNS0_19identity_decomposerENS1_16block_id_wrapperIjLb1EEEEE10hipError_tT1_PNSt15iterator_traitsISI_E10value_typeET2_T3_PNSJ_ISO_E10value_typeET4_T5_PST_SU_PNS1_23onesweep_lookback_stateEbbT6_jjT7_P12ihipStream_tbENKUlT_T0_SI_SN_E_clISD_PiSD_S15_EEDaS11_S12_SI_SN_EUlS11_E_NS1_11comp_targetILNS1_3genE0ELNS1_11target_archE4294967295ELNS1_3gpuE0ELNS1_3repE0EEENS1_47radix_sort_onesweep_sort_config_static_selectorELNS0_4arch9wavefront6targetE1EEEvSI_,"axG",@progbits,_ZN7rocprim17ROCPRIM_400000_NS6detail17trampoline_kernelINS0_14default_configENS1_35radix_sort_onesweep_config_selectorIiiEEZZNS1_29radix_sort_onesweep_iterationIS3_Lb0EN6thrust23THRUST_200600_302600_NS6detail15normal_iteratorINS8_10device_ptrIiEEEESD_SD_SD_jNS0_19identity_decomposerENS1_16block_id_wrapperIjLb1EEEEE10hipError_tT1_PNSt15iterator_traitsISI_E10value_typeET2_T3_PNSJ_ISO_E10value_typeET4_T5_PST_SU_PNS1_23onesweep_lookback_stateEbbT6_jjT7_P12ihipStream_tbENKUlT_T0_SI_SN_E_clISD_PiSD_S15_EEDaS11_S12_SI_SN_EUlS11_E_NS1_11comp_targetILNS1_3genE0ELNS1_11target_archE4294967295ELNS1_3gpuE0ELNS1_3repE0EEENS1_47radix_sort_onesweep_sort_config_static_selectorELNS0_4arch9wavefront6targetE1EEEvSI_,comdat
	.protected	_ZN7rocprim17ROCPRIM_400000_NS6detail17trampoline_kernelINS0_14default_configENS1_35radix_sort_onesweep_config_selectorIiiEEZZNS1_29radix_sort_onesweep_iterationIS3_Lb0EN6thrust23THRUST_200600_302600_NS6detail15normal_iteratorINS8_10device_ptrIiEEEESD_SD_SD_jNS0_19identity_decomposerENS1_16block_id_wrapperIjLb1EEEEE10hipError_tT1_PNSt15iterator_traitsISI_E10value_typeET2_T3_PNSJ_ISO_E10value_typeET4_T5_PST_SU_PNS1_23onesweep_lookback_stateEbbT6_jjT7_P12ihipStream_tbENKUlT_T0_SI_SN_E_clISD_PiSD_S15_EEDaS11_S12_SI_SN_EUlS11_E_NS1_11comp_targetILNS1_3genE0ELNS1_11target_archE4294967295ELNS1_3gpuE0ELNS1_3repE0EEENS1_47radix_sort_onesweep_sort_config_static_selectorELNS0_4arch9wavefront6targetE1EEEvSI_ ; -- Begin function _ZN7rocprim17ROCPRIM_400000_NS6detail17trampoline_kernelINS0_14default_configENS1_35radix_sort_onesweep_config_selectorIiiEEZZNS1_29radix_sort_onesweep_iterationIS3_Lb0EN6thrust23THRUST_200600_302600_NS6detail15normal_iteratorINS8_10device_ptrIiEEEESD_SD_SD_jNS0_19identity_decomposerENS1_16block_id_wrapperIjLb1EEEEE10hipError_tT1_PNSt15iterator_traitsISI_E10value_typeET2_T3_PNSJ_ISO_E10value_typeET4_T5_PST_SU_PNS1_23onesweep_lookback_stateEbbT6_jjT7_P12ihipStream_tbENKUlT_T0_SI_SN_E_clISD_PiSD_S15_EEDaS11_S12_SI_SN_EUlS11_E_NS1_11comp_targetILNS1_3genE0ELNS1_11target_archE4294967295ELNS1_3gpuE0ELNS1_3repE0EEENS1_47radix_sort_onesweep_sort_config_static_selectorELNS0_4arch9wavefront6targetE1EEEvSI_
	.globl	_ZN7rocprim17ROCPRIM_400000_NS6detail17trampoline_kernelINS0_14default_configENS1_35radix_sort_onesweep_config_selectorIiiEEZZNS1_29radix_sort_onesweep_iterationIS3_Lb0EN6thrust23THRUST_200600_302600_NS6detail15normal_iteratorINS8_10device_ptrIiEEEESD_SD_SD_jNS0_19identity_decomposerENS1_16block_id_wrapperIjLb1EEEEE10hipError_tT1_PNSt15iterator_traitsISI_E10value_typeET2_T3_PNSJ_ISO_E10value_typeET4_T5_PST_SU_PNS1_23onesweep_lookback_stateEbbT6_jjT7_P12ihipStream_tbENKUlT_T0_SI_SN_E_clISD_PiSD_S15_EEDaS11_S12_SI_SN_EUlS11_E_NS1_11comp_targetILNS1_3genE0ELNS1_11target_archE4294967295ELNS1_3gpuE0ELNS1_3repE0EEENS1_47radix_sort_onesweep_sort_config_static_selectorELNS0_4arch9wavefront6targetE1EEEvSI_
	.p2align	8
	.type	_ZN7rocprim17ROCPRIM_400000_NS6detail17trampoline_kernelINS0_14default_configENS1_35radix_sort_onesweep_config_selectorIiiEEZZNS1_29radix_sort_onesweep_iterationIS3_Lb0EN6thrust23THRUST_200600_302600_NS6detail15normal_iteratorINS8_10device_ptrIiEEEESD_SD_SD_jNS0_19identity_decomposerENS1_16block_id_wrapperIjLb1EEEEE10hipError_tT1_PNSt15iterator_traitsISI_E10value_typeET2_T3_PNSJ_ISO_E10value_typeET4_T5_PST_SU_PNS1_23onesweep_lookback_stateEbbT6_jjT7_P12ihipStream_tbENKUlT_T0_SI_SN_E_clISD_PiSD_S15_EEDaS11_S12_SI_SN_EUlS11_E_NS1_11comp_targetILNS1_3genE0ELNS1_11target_archE4294967295ELNS1_3gpuE0ELNS1_3repE0EEENS1_47radix_sort_onesweep_sort_config_static_selectorELNS0_4arch9wavefront6targetE1EEEvSI_,@function
_ZN7rocprim17ROCPRIM_400000_NS6detail17trampoline_kernelINS0_14default_configENS1_35radix_sort_onesweep_config_selectorIiiEEZZNS1_29radix_sort_onesweep_iterationIS3_Lb0EN6thrust23THRUST_200600_302600_NS6detail15normal_iteratorINS8_10device_ptrIiEEEESD_SD_SD_jNS0_19identity_decomposerENS1_16block_id_wrapperIjLb1EEEEE10hipError_tT1_PNSt15iterator_traitsISI_E10value_typeET2_T3_PNSJ_ISO_E10value_typeET4_T5_PST_SU_PNS1_23onesweep_lookback_stateEbbT6_jjT7_P12ihipStream_tbENKUlT_T0_SI_SN_E_clISD_PiSD_S15_EEDaS11_S12_SI_SN_EUlS11_E_NS1_11comp_targetILNS1_3genE0ELNS1_11target_archE4294967295ELNS1_3gpuE0ELNS1_3repE0EEENS1_47radix_sort_onesweep_sort_config_static_selectorELNS0_4arch9wavefront6targetE1EEEvSI_: ; @_ZN7rocprim17ROCPRIM_400000_NS6detail17trampoline_kernelINS0_14default_configENS1_35radix_sort_onesweep_config_selectorIiiEEZZNS1_29radix_sort_onesweep_iterationIS3_Lb0EN6thrust23THRUST_200600_302600_NS6detail15normal_iteratorINS8_10device_ptrIiEEEESD_SD_SD_jNS0_19identity_decomposerENS1_16block_id_wrapperIjLb1EEEEE10hipError_tT1_PNSt15iterator_traitsISI_E10value_typeET2_T3_PNSJ_ISO_E10value_typeET4_T5_PST_SU_PNS1_23onesweep_lookback_stateEbbT6_jjT7_P12ihipStream_tbENKUlT_T0_SI_SN_E_clISD_PiSD_S15_EEDaS11_S12_SI_SN_EUlS11_E_NS1_11comp_targetILNS1_3genE0ELNS1_11target_archE4294967295ELNS1_3gpuE0ELNS1_3repE0EEENS1_47radix_sort_onesweep_sort_config_static_selectorELNS0_4arch9wavefront6targetE1EEEvSI_
; %bb.0:
	.section	.rodata,"a",@progbits
	.p2align	6, 0x0
	.amdhsa_kernel _ZN7rocprim17ROCPRIM_400000_NS6detail17trampoline_kernelINS0_14default_configENS1_35radix_sort_onesweep_config_selectorIiiEEZZNS1_29radix_sort_onesweep_iterationIS3_Lb0EN6thrust23THRUST_200600_302600_NS6detail15normal_iteratorINS8_10device_ptrIiEEEESD_SD_SD_jNS0_19identity_decomposerENS1_16block_id_wrapperIjLb1EEEEE10hipError_tT1_PNSt15iterator_traitsISI_E10value_typeET2_T3_PNSJ_ISO_E10value_typeET4_T5_PST_SU_PNS1_23onesweep_lookback_stateEbbT6_jjT7_P12ihipStream_tbENKUlT_T0_SI_SN_E_clISD_PiSD_S15_EEDaS11_S12_SI_SN_EUlS11_E_NS1_11comp_targetILNS1_3genE0ELNS1_11target_archE4294967295ELNS1_3gpuE0ELNS1_3repE0EEENS1_47radix_sort_onesweep_sort_config_static_selectorELNS0_4arch9wavefront6targetE1EEEvSI_
		.amdhsa_group_segment_fixed_size 0
		.amdhsa_private_segment_fixed_size 0
		.amdhsa_kernarg_size 88
		.amdhsa_user_sgpr_count 2
		.amdhsa_user_sgpr_dispatch_ptr 0
		.amdhsa_user_sgpr_queue_ptr 0
		.amdhsa_user_sgpr_kernarg_segment_ptr 1
		.amdhsa_user_sgpr_dispatch_id 0
		.amdhsa_user_sgpr_kernarg_preload_length 0
		.amdhsa_user_sgpr_kernarg_preload_offset 0
		.amdhsa_user_sgpr_private_segment_size 0
		.amdhsa_uses_dynamic_stack 0
		.amdhsa_enable_private_segment 0
		.amdhsa_system_sgpr_workgroup_id_x 1
		.amdhsa_system_sgpr_workgroup_id_y 0
		.amdhsa_system_sgpr_workgroup_id_z 0
		.amdhsa_system_sgpr_workgroup_info 0
		.amdhsa_system_vgpr_workitem_id 0
		.amdhsa_next_free_vgpr 1
		.amdhsa_next_free_sgpr 0
		.amdhsa_accum_offset 4
		.amdhsa_reserve_vcc 0
		.amdhsa_float_round_mode_32 0
		.amdhsa_float_round_mode_16_64 0
		.amdhsa_float_denorm_mode_32 3
		.amdhsa_float_denorm_mode_16_64 3
		.amdhsa_dx10_clamp 1
		.amdhsa_ieee_mode 1
		.amdhsa_fp16_overflow 0
		.amdhsa_tg_split 0
		.amdhsa_exception_fp_ieee_invalid_op 0
		.amdhsa_exception_fp_denorm_src 0
		.amdhsa_exception_fp_ieee_div_zero 0
		.amdhsa_exception_fp_ieee_overflow 0
		.amdhsa_exception_fp_ieee_underflow 0
		.amdhsa_exception_fp_ieee_inexact 0
		.amdhsa_exception_int_div_zero 0
	.end_amdhsa_kernel
	.section	.text._ZN7rocprim17ROCPRIM_400000_NS6detail17trampoline_kernelINS0_14default_configENS1_35radix_sort_onesweep_config_selectorIiiEEZZNS1_29radix_sort_onesweep_iterationIS3_Lb0EN6thrust23THRUST_200600_302600_NS6detail15normal_iteratorINS8_10device_ptrIiEEEESD_SD_SD_jNS0_19identity_decomposerENS1_16block_id_wrapperIjLb1EEEEE10hipError_tT1_PNSt15iterator_traitsISI_E10value_typeET2_T3_PNSJ_ISO_E10value_typeET4_T5_PST_SU_PNS1_23onesweep_lookback_stateEbbT6_jjT7_P12ihipStream_tbENKUlT_T0_SI_SN_E_clISD_PiSD_S15_EEDaS11_S12_SI_SN_EUlS11_E_NS1_11comp_targetILNS1_3genE0ELNS1_11target_archE4294967295ELNS1_3gpuE0ELNS1_3repE0EEENS1_47radix_sort_onesweep_sort_config_static_selectorELNS0_4arch9wavefront6targetE1EEEvSI_,"axG",@progbits,_ZN7rocprim17ROCPRIM_400000_NS6detail17trampoline_kernelINS0_14default_configENS1_35radix_sort_onesweep_config_selectorIiiEEZZNS1_29radix_sort_onesweep_iterationIS3_Lb0EN6thrust23THRUST_200600_302600_NS6detail15normal_iteratorINS8_10device_ptrIiEEEESD_SD_SD_jNS0_19identity_decomposerENS1_16block_id_wrapperIjLb1EEEEE10hipError_tT1_PNSt15iterator_traitsISI_E10value_typeET2_T3_PNSJ_ISO_E10value_typeET4_T5_PST_SU_PNS1_23onesweep_lookback_stateEbbT6_jjT7_P12ihipStream_tbENKUlT_T0_SI_SN_E_clISD_PiSD_S15_EEDaS11_S12_SI_SN_EUlS11_E_NS1_11comp_targetILNS1_3genE0ELNS1_11target_archE4294967295ELNS1_3gpuE0ELNS1_3repE0EEENS1_47radix_sort_onesweep_sort_config_static_selectorELNS0_4arch9wavefront6targetE1EEEvSI_,comdat
.Lfunc_end831:
	.size	_ZN7rocprim17ROCPRIM_400000_NS6detail17trampoline_kernelINS0_14default_configENS1_35radix_sort_onesweep_config_selectorIiiEEZZNS1_29radix_sort_onesweep_iterationIS3_Lb0EN6thrust23THRUST_200600_302600_NS6detail15normal_iteratorINS8_10device_ptrIiEEEESD_SD_SD_jNS0_19identity_decomposerENS1_16block_id_wrapperIjLb1EEEEE10hipError_tT1_PNSt15iterator_traitsISI_E10value_typeET2_T3_PNSJ_ISO_E10value_typeET4_T5_PST_SU_PNS1_23onesweep_lookback_stateEbbT6_jjT7_P12ihipStream_tbENKUlT_T0_SI_SN_E_clISD_PiSD_S15_EEDaS11_S12_SI_SN_EUlS11_E_NS1_11comp_targetILNS1_3genE0ELNS1_11target_archE4294967295ELNS1_3gpuE0ELNS1_3repE0EEENS1_47radix_sort_onesweep_sort_config_static_selectorELNS0_4arch9wavefront6targetE1EEEvSI_, .Lfunc_end831-_ZN7rocprim17ROCPRIM_400000_NS6detail17trampoline_kernelINS0_14default_configENS1_35radix_sort_onesweep_config_selectorIiiEEZZNS1_29radix_sort_onesweep_iterationIS3_Lb0EN6thrust23THRUST_200600_302600_NS6detail15normal_iteratorINS8_10device_ptrIiEEEESD_SD_SD_jNS0_19identity_decomposerENS1_16block_id_wrapperIjLb1EEEEE10hipError_tT1_PNSt15iterator_traitsISI_E10value_typeET2_T3_PNSJ_ISO_E10value_typeET4_T5_PST_SU_PNS1_23onesweep_lookback_stateEbbT6_jjT7_P12ihipStream_tbENKUlT_T0_SI_SN_E_clISD_PiSD_S15_EEDaS11_S12_SI_SN_EUlS11_E_NS1_11comp_targetILNS1_3genE0ELNS1_11target_archE4294967295ELNS1_3gpuE0ELNS1_3repE0EEENS1_47radix_sort_onesweep_sort_config_static_selectorELNS0_4arch9wavefront6targetE1EEEvSI_
                                        ; -- End function
	.set _ZN7rocprim17ROCPRIM_400000_NS6detail17trampoline_kernelINS0_14default_configENS1_35radix_sort_onesweep_config_selectorIiiEEZZNS1_29radix_sort_onesweep_iterationIS3_Lb0EN6thrust23THRUST_200600_302600_NS6detail15normal_iteratorINS8_10device_ptrIiEEEESD_SD_SD_jNS0_19identity_decomposerENS1_16block_id_wrapperIjLb1EEEEE10hipError_tT1_PNSt15iterator_traitsISI_E10value_typeET2_T3_PNSJ_ISO_E10value_typeET4_T5_PST_SU_PNS1_23onesweep_lookback_stateEbbT6_jjT7_P12ihipStream_tbENKUlT_T0_SI_SN_E_clISD_PiSD_S15_EEDaS11_S12_SI_SN_EUlS11_E_NS1_11comp_targetILNS1_3genE0ELNS1_11target_archE4294967295ELNS1_3gpuE0ELNS1_3repE0EEENS1_47radix_sort_onesweep_sort_config_static_selectorELNS0_4arch9wavefront6targetE1EEEvSI_.num_vgpr, 0
	.set _ZN7rocprim17ROCPRIM_400000_NS6detail17trampoline_kernelINS0_14default_configENS1_35radix_sort_onesweep_config_selectorIiiEEZZNS1_29radix_sort_onesweep_iterationIS3_Lb0EN6thrust23THRUST_200600_302600_NS6detail15normal_iteratorINS8_10device_ptrIiEEEESD_SD_SD_jNS0_19identity_decomposerENS1_16block_id_wrapperIjLb1EEEEE10hipError_tT1_PNSt15iterator_traitsISI_E10value_typeET2_T3_PNSJ_ISO_E10value_typeET4_T5_PST_SU_PNS1_23onesweep_lookback_stateEbbT6_jjT7_P12ihipStream_tbENKUlT_T0_SI_SN_E_clISD_PiSD_S15_EEDaS11_S12_SI_SN_EUlS11_E_NS1_11comp_targetILNS1_3genE0ELNS1_11target_archE4294967295ELNS1_3gpuE0ELNS1_3repE0EEENS1_47radix_sort_onesweep_sort_config_static_selectorELNS0_4arch9wavefront6targetE1EEEvSI_.num_agpr, 0
	.set _ZN7rocprim17ROCPRIM_400000_NS6detail17trampoline_kernelINS0_14default_configENS1_35radix_sort_onesweep_config_selectorIiiEEZZNS1_29radix_sort_onesweep_iterationIS3_Lb0EN6thrust23THRUST_200600_302600_NS6detail15normal_iteratorINS8_10device_ptrIiEEEESD_SD_SD_jNS0_19identity_decomposerENS1_16block_id_wrapperIjLb1EEEEE10hipError_tT1_PNSt15iterator_traitsISI_E10value_typeET2_T3_PNSJ_ISO_E10value_typeET4_T5_PST_SU_PNS1_23onesweep_lookback_stateEbbT6_jjT7_P12ihipStream_tbENKUlT_T0_SI_SN_E_clISD_PiSD_S15_EEDaS11_S12_SI_SN_EUlS11_E_NS1_11comp_targetILNS1_3genE0ELNS1_11target_archE4294967295ELNS1_3gpuE0ELNS1_3repE0EEENS1_47radix_sort_onesweep_sort_config_static_selectorELNS0_4arch9wavefront6targetE1EEEvSI_.numbered_sgpr, 0
	.set _ZN7rocprim17ROCPRIM_400000_NS6detail17trampoline_kernelINS0_14default_configENS1_35radix_sort_onesweep_config_selectorIiiEEZZNS1_29radix_sort_onesweep_iterationIS3_Lb0EN6thrust23THRUST_200600_302600_NS6detail15normal_iteratorINS8_10device_ptrIiEEEESD_SD_SD_jNS0_19identity_decomposerENS1_16block_id_wrapperIjLb1EEEEE10hipError_tT1_PNSt15iterator_traitsISI_E10value_typeET2_T3_PNSJ_ISO_E10value_typeET4_T5_PST_SU_PNS1_23onesweep_lookback_stateEbbT6_jjT7_P12ihipStream_tbENKUlT_T0_SI_SN_E_clISD_PiSD_S15_EEDaS11_S12_SI_SN_EUlS11_E_NS1_11comp_targetILNS1_3genE0ELNS1_11target_archE4294967295ELNS1_3gpuE0ELNS1_3repE0EEENS1_47radix_sort_onesweep_sort_config_static_selectorELNS0_4arch9wavefront6targetE1EEEvSI_.num_named_barrier, 0
	.set _ZN7rocprim17ROCPRIM_400000_NS6detail17trampoline_kernelINS0_14default_configENS1_35radix_sort_onesweep_config_selectorIiiEEZZNS1_29radix_sort_onesweep_iterationIS3_Lb0EN6thrust23THRUST_200600_302600_NS6detail15normal_iteratorINS8_10device_ptrIiEEEESD_SD_SD_jNS0_19identity_decomposerENS1_16block_id_wrapperIjLb1EEEEE10hipError_tT1_PNSt15iterator_traitsISI_E10value_typeET2_T3_PNSJ_ISO_E10value_typeET4_T5_PST_SU_PNS1_23onesweep_lookback_stateEbbT6_jjT7_P12ihipStream_tbENKUlT_T0_SI_SN_E_clISD_PiSD_S15_EEDaS11_S12_SI_SN_EUlS11_E_NS1_11comp_targetILNS1_3genE0ELNS1_11target_archE4294967295ELNS1_3gpuE0ELNS1_3repE0EEENS1_47radix_sort_onesweep_sort_config_static_selectorELNS0_4arch9wavefront6targetE1EEEvSI_.private_seg_size, 0
	.set _ZN7rocprim17ROCPRIM_400000_NS6detail17trampoline_kernelINS0_14default_configENS1_35radix_sort_onesweep_config_selectorIiiEEZZNS1_29radix_sort_onesweep_iterationIS3_Lb0EN6thrust23THRUST_200600_302600_NS6detail15normal_iteratorINS8_10device_ptrIiEEEESD_SD_SD_jNS0_19identity_decomposerENS1_16block_id_wrapperIjLb1EEEEE10hipError_tT1_PNSt15iterator_traitsISI_E10value_typeET2_T3_PNSJ_ISO_E10value_typeET4_T5_PST_SU_PNS1_23onesweep_lookback_stateEbbT6_jjT7_P12ihipStream_tbENKUlT_T0_SI_SN_E_clISD_PiSD_S15_EEDaS11_S12_SI_SN_EUlS11_E_NS1_11comp_targetILNS1_3genE0ELNS1_11target_archE4294967295ELNS1_3gpuE0ELNS1_3repE0EEENS1_47radix_sort_onesweep_sort_config_static_selectorELNS0_4arch9wavefront6targetE1EEEvSI_.uses_vcc, 0
	.set _ZN7rocprim17ROCPRIM_400000_NS6detail17trampoline_kernelINS0_14default_configENS1_35radix_sort_onesweep_config_selectorIiiEEZZNS1_29radix_sort_onesweep_iterationIS3_Lb0EN6thrust23THRUST_200600_302600_NS6detail15normal_iteratorINS8_10device_ptrIiEEEESD_SD_SD_jNS0_19identity_decomposerENS1_16block_id_wrapperIjLb1EEEEE10hipError_tT1_PNSt15iterator_traitsISI_E10value_typeET2_T3_PNSJ_ISO_E10value_typeET4_T5_PST_SU_PNS1_23onesweep_lookback_stateEbbT6_jjT7_P12ihipStream_tbENKUlT_T0_SI_SN_E_clISD_PiSD_S15_EEDaS11_S12_SI_SN_EUlS11_E_NS1_11comp_targetILNS1_3genE0ELNS1_11target_archE4294967295ELNS1_3gpuE0ELNS1_3repE0EEENS1_47radix_sort_onesweep_sort_config_static_selectorELNS0_4arch9wavefront6targetE1EEEvSI_.uses_flat_scratch, 0
	.set _ZN7rocprim17ROCPRIM_400000_NS6detail17trampoline_kernelINS0_14default_configENS1_35radix_sort_onesweep_config_selectorIiiEEZZNS1_29radix_sort_onesweep_iterationIS3_Lb0EN6thrust23THRUST_200600_302600_NS6detail15normal_iteratorINS8_10device_ptrIiEEEESD_SD_SD_jNS0_19identity_decomposerENS1_16block_id_wrapperIjLb1EEEEE10hipError_tT1_PNSt15iterator_traitsISI_E10value_typeET2_T3_PNSJ_ISO_E10value_typeET4_T5_PST_SU_PNS1_23onesweep_lookback_stateEbbT6_jjT7_P12ihipStream_tbENKUlT_T0_SI_SN_E_clISD_PiSD_S15_EEDaS11_S12_SI_SN_EUlS11_E_NS1_11comp_targetILNS1_3genE0ELNS1_11target_archE4294967295ELNS1_3gpuE0ELNS1_3repE0EEENS1_47radix_sort_onesweep_sort_config_static_selectorELNS0_4arch9wavefront6targetE1EEEvSI_.has_dyn_sized_stack, 0
	.set _ZN7rocprim17ROCPRIM_400000_NS6detail17trampoline_kernelINS0_14default_configENS1_35radix_sort_onesweep_config_selectorIiiEEZZNS1_29radix_sort_onesweep_iterationIS3_Lb0EN6thrust23THRUST_200600_302600_NS6detail15normal_iteratorINS8_10device_ptrIiEEEESD_SD_SD_jNS0_19identity_decomposerENS1_16block_id_wrapperIjLb1EEEEE10hipError_tT1_PNSt15iterator_traitsISI_E10value_typeET2_T3_PNSJ_ISO_E10value_typeET4_T5_PST_SU_PNS1_23onesweep_lookback_stateEbbT6_jjT7_P12ihipStream_tbENKUlT_T0_SI_SN_E_clISD_PiSD_S15_EEDaS11_S12_SI_SN_EUlS11_E_NS1_11comp_targetILNS1_3genE0ELNS1_11target_archE4294967295ELNS1_3gpuE0ELNS1_3repE0EEENS1_47radix_sort_onesweep_sort_config_static_selectorELNS0_4arch9wavefront6targetE1EEEvSI_.has_recursion, 0
	.set _ZN7rocprim17ROCPRIM_400000_NS6detail17trampoline_kernelINS0_14default_configENS1_35radix_sort_onesweep_config_selectorIiiEEZZNS1_29radix_sort_onesweep_iterationIS3_Lb0EN6thrust23THRUST_200600_302600_NS6detail15normal_iteratorINS8_10device_ptrIiEEEESD_SD_SD_jNS0_19identity_decomposerENS1_16block_id_wrapperIjLb1EEEEE10hipError_tT1_PNSt15iterator_traitsISI_E10value_typeET2_T3_PNSJ_ISO_E10value_typeET4_T5_PST_SU_PNS1_23onesweep_lookback_stateEbbT6_jjT7_P12ihipStream_tbENKUlT_T0_SI_SN_E_clISD_PiSD_S15_EEDaS11_S12_SI_SN_EUlS11_E_NS1_11comp_targetILNS1_3genE0ELNS1_11target_archE4294967295ELNS1_3gpuE0ELNS1_3repE0EEENS1_47radix_sort_onesweep_sort_config_static_selectorELNS0_4arch9wavefront6targetE1EEEvSI_.has_indirect_call, 0
	.section	.AMDGPU.csdata,"",@progbits
; Kernel info:
; codeLenInByte = 0
; TotalNumSgprs: 6
; NumVgprs: 0
; NumAgprs: 0
; TotalNumVgprs: 0
; ScratchSize: 0
; MemoryBound: 0
; FloatMode: 240
; IeeeMode: 1
; LDSByteSize: 0 bytes/workgroup (compile time only)
; SGPRBlocks: 0
; VGPRBlocks: 0
; NumSGPRsForWavesPerEU: 6
; NumVGPRsForWavesPerEU: 1
; AccumOffset: 4
; Occupancy: 8
; WaveLimiterHint : 0
; COMPUTE_PGM_RSRC2:SCRATCH_EN: 0
; COMPUTE_PGM_RSRC2:USER_SGPR: 2
; COMPUTE_PGM_RSRC2:TRAP_HANDLER: 0
; COMPUTE_PGM_RSRC2:TGID_X_EN: 1
; COMPUTE_PGM_RSRC2:TGID_Y_EN: 0
; COMPUTE_PGM_RSRC2:TGID_Z_EN: 0
; COMPUTE_PGM_RSRC2:TIDIG_COMP_CNT: 0
; COMPUTE_PGM_RSRC3_GFX90A:ACCUM_OFFSET: 0
; COMPUTE_PGM_RSRC3_GFX90A:TG_SPLIT: 0
	.section	.text._ZN7rocprim17ROCPRIM_400000_NS6detail17trampoline_kernelINS0_14default_configENS1_35radix_sort_onesweep_config_selectorIiiEEZZNS1_29radix_sort_onesweep_iterationIS3_Lb0EN6thrust23THRUST_200600_302600_NS6detail15normal_iteratorINS8_10device_ptrIiEEEESD_SD_SD_jNS0_19identity_decomposerENS1_16block_id_wrapperIjLb1EEEEE10hipError_tT1_PNSt15iterator_traitsISI_E10value_typeET2_T3_PNSJ_ISO_E10value_typeET4_T5_PST_SU_PNS1_23onesweep_lookback_stateEbbT6_jjT7_P12ihipStream_tbENKUlT_T0_SI_SN_E_clISD_PiSD_S15_EEDaS11_S12_SI_SN_EUlS11_E_NS1_11comp_targetILNS1_3genE6ELNS1_11target_archE950ELNS1_3gpuE13ELNS1_3repE0EEENS1_47radix_sort_onesweep_sort_config_static_selectorELNS0_4arch9wavefront6targetE1EEEvSI_,"axG",@progbits,_ZN7rocprim17ROCPRIM_400000_NS6detail17trampoline_kernelINS0_14default_configENS1_35radix_sort_onesweep_config_selectorIiiEEZZNS1_29radix_sort_onesweep_iterationIS3_Lb0EN6thrust23THRUST_200600_302600_NS6detail15normal_iteratorINS8_10device_ptrIiEEEESD_SD_SD_jNS0_19identity_decomposerENS1_16block_id_wrapperIjLb1EEEEE10hipError_tT1_PNSt15iterator_traitsISI_E10value_typeET2_T3_PNSJ_ISO_E10value_typeET4_T5_PST_SU_PNS1_23onesweep_lookback_stateEbbT6_jjT7_P12ihipStream_tbENKUlT_T0_SI_SN_E_clISD_PiSD_S15_EEDaS11_S12_SI_SN_EUlS11_E_NS1_11comp_targetILNS1_3genE6ELNS1_11target_archE950ELNS1_3gpuE13ELNS1_3repE0EEENS1_47radix_sort_onesweep_sort_config_static_selectorELNS0_4arch9wavefront6targetE1EEEvSI_,comdat
	.protected	_ZN7rocprim17ROCPRIM_400000_NS6detail17trampoline_kernelINS0_14default_configENS1_35radix_sort_onesweep_config_selectorIiiEEZZNS1_29radix_sort_onesweep_iterationIS3_Lb0EN6thrust23THRUST_200600_302600_NS6detail15normal_iteratorINS8_10device_ptrIiEEEESD_SD_SD_jNS0_19identity_decomposerENS1_16block_id_wrapperIjLb1EEEEE10hipError_tT1_PNSt15iterator_traitsISI_E10value_typeET2_T3_PNSJ_ISO_E10value_typeET4_T5_PST_SU_PNS1_23onesweep_lookback_stateEbbT6_jjT7_P12ihipStream_tbENKUlT_T0_SI_SN_E_clISD_PiSD_S15_EEDaS11_S12_SI_SN_EUlS11_E_NS1_11comp_targetILNS1_3genE6ELNS1_11target_archE950ELNS1_3gpuE13ELNS1_3repE0EEENS1_47radix_sort_onesweep_sort_config_static_selectorELNS0_4arch9wavefront6targetE1EEEvSI_ ; -- Begin function _ZN7rocprim17ROCPRIM_400000_NS6detail17trampoline_kernelINS0_14default_configENS1_35radix_sort_onesweep_config_selectorIiiEEZZNS1_29radix_sort_onesweep_iterationIS3_Lb0EN6thrust23THRUST_200600_302600_NS6detail15normal_iteratorINS8_10device_ptrIiEEEESD_SD_SD_jNS0_19identity_decomposerENS1_16block_id_wrapperIjLb1EEEEE10hipError_tT1_PNSt15iterator_traitsISI_E10value_typeET2_T3_PNSJ_ISO_E10value_typeET4_T5_PST_SU_PNS1_23onesweep_lookback_stateEbbT6_jjT7_P12ihipStream_tbENKUlT_T0_SI_SN_E_clISD_PiSD_S15_EEDaS11_S12_SI_SN_EUlS11_E_NS1_11comp_targetILNS1_3genE6ELNS1_11target_archE950ELNS1_3gpuE13ELNS1_3repE0EEENS1_47radix_sort_onesweep_sort_config_static_selectorELNS0_4arch9wavefront6targetE1EEEvSI_
	.globl	_ZN7rocprim17ROCPRIM_400000_NS6detail17trampoline_kernelINS0_14default_configENS1_35radix_sort_onesweep_config_selectorIiiEEZZNS1_29radix_sort_onesweep_iterationIS3_Lb0EN6thrust23THRUST_200600_302600_NS6detail15normal_iteratorINS8_10device_ptrIiEEEESD_SD_SD_jNS0_19identity_decomposerENS1_16block_id_wrapperIjLb1EEEEE10hipError_tT1_PNSt15iterator_traitsISI_E10value_typeET2_T3_PNSJ_ISO_E10value_typeET4_T5_PST_SU_PNS1_23onesweep_lookback_stateEbbT6_jjT7_P12ihipStream_tbENKUlT_T0_SI_SN_E_clISD_PiSD_S15_EEDaS11_S12_SI_SN_EUlS11_E_NS1_11comp_targetILNS1_3genE6ELNS1_11target_archE950ELNS1_3gpuE13ELNS1_3repE0EEENS1_47radix_sort_onesweep_sort_config_static_selectorELNS0_4arch9wavefront6targetE1EEEvSI_
	.p2align	8
	.type	_ZN7rocprim17ROCPRIM_400000_NS6detail17trampoline_kernelINS0_14default_configENS1_35radix_sort_onesweep_config_selectorIiiEEZZNS1_29radix_sort_onesweep_iterationIS3_Lb0EN6thrust23THRUST_200600_302600_NS6detail15normal_iteratorINS8_10device_ptrIiEEEESD_SD_SD_jNS0_19identity_decomposerENS1_16block_id_wrapperIjLb1EEEEE10hipError_tT1_PNSt15iterator_traitsISI_E10value_typeET2_T3_PNSJ_ISO_E10value_typeET4_T5_PST_SU_PNS1_23onesweep_lookback_stateEbbT6_jjT7_P12ihipStream_tbENKUlT_T0_SI_SN_E_clISD_PiSD_S15_EEDaS11_S12_SI_SN_EUlS11_E_NS1_11comp_targetILNS1_3genE6ELNS1_11target_archE950ELNS1_3gpuE13ELNS1_3repE0EEENS1_47radix_sort_onesweep_sort_config_static_selectorELNS0_4arch9wavefront6targetE1EEEvSI_,@function
_ZN7rocprim17ROCPRIM_400000_NS6detail17trampoline_kernelINS0_14default_configENS1_35radix_sort_onesweep_config_selectorIiiEEZZNS1_29radix_sort_onesweep_iterationIS3_Lb0EN6thrust23THRUST_200600_302600_NS6detail15normal_iteratorINS8_10device_ptrIiEEEESD_SD_SD_jNS0_19identity_decomposerENS1_16block_id_wrapperIjLb1EEEEE10hipError_tT1_PNSt15iterator_traitsISI_E10value_typeET2_T3_PNSJ_ISO_E10value_typeET4_T5_PST_SU_PNS1_23onesweep_lookback_stateEbbT6_jjT7_P12ihipStream_tbENKUlT_T0_SI_SN_E_clISD_PiSD_S15_EEDaS11_S12_SI_SN_EUlS11_E_NS1_11comp_targetILNS1_3genE6ELNS1_11target_archE950ELNS1_3gpuE13ELNS1_3repE0EEENS1_47radix_sort_onesweep_sort_config_static_selectorELNS0_4arch9wavefront6targetE1EEEvSI_: ; @_ZN7rocprim17ROCPRIM_400000_NS6detail17trampoline_kernelINS0_14default_configENS1_35radix_sort_onesweep_config_selectorIiiEEZZNS1_29radix_sort_onesweep_iterationIS3_Lb0EN6thrust23THRUST_200600_302600_NS6detail15normal_iteratorINS8_10device_ptrIiEEEESD_SD_SD_jNS0_19identity_decomposerENS1_16block_id_wrapperIjLb1EEEEE10hipError_tT1_PNSt15iterator_traitsISI_E10value_typeET2_T3_PNSJ_ISO_E10value_typeET4_T5_PST_SU_PNS1_23onesweep_lookback_stateEbbT6_jjT7_P12ihipStream_tbENKUlT_T0_SI_SN_E_clISD_PiSD_S15_EEDaS11_S12_SI_SN_EUlS11_E_NS1_11comp_targetILNS1_3genE6ELNS1_11target_archE950ELNS1_3gpuE13ELNS1_3repE0EEENS1_47radix_sort_onesweep_sort_config_static_selectorELNS0_4arch9wavefront6targetE1EEEvSI_
; %bb.0:
	s_load_dwordx4 s[60:63], s[0:1], 0x28
	s_load_dwordx2 s[68:69], s[0:1], 0x38
	s_load_dwordx4 s[64:67], s[0:1], 0x44
	v_and_b32_e32 v2, 0x3ff, v0
	v_cmp_eq_u32_e64 s[44:45], 0, v2
	s_and_saveexec_b64 s[4:5], s[44:45]
	s_cbranch_execz .LBB832_4
; %bb.1:
	s_mov_b64 s[8:9], exec
	v_mbcnt_lo_u32_b32 v1, s8, 0
	v_mbcnt_hi_u32_b32 v1, s9, v1
	v_cmp_eq_u32_e32 vcc, 0, v1
                                        ; implicit-def: $vgpr3
	s_and_saveexec_b64 s[6:7], vcc
	s_cbranch_execz .LBB832_3
; %bb.2:
	s_load_dwordx2 s[10:11], s[0:1], 0x50
	s_bcnt1_i32_b64 s3, s[8:9]
	v_mov_b32_e32 v3, 0
	v_mov_b32_e32 v4, s3
	s_waitcnt lgkmcnt(0)
	global_atomic_add v3, v3, v4, s[10:11] sc0
.LBB832_3:
	s_or_b64 exec, exec, s[6:7]
	s_waitcnt vmcnt(0)
	v_readfirstlane_b32 s3, v3
	v_mov_b32_e32 v3, 0
	s_nop 0
	v_add_u32_e32 v1, s3, v1
	ds_write_b32 v3, v1 offset:20544
.LBB832_4:
	s_or_b64 exec, exec, s[4:5]
	v_mov_b32_e32 v5, 0
	s_load_dwordx8 s[52:59], s[0:1], 0x0
	s_load_dword s3, s[0:1], 0x20
	s_waitcnt lgkmcnt(0)
	s_barrier
	ds_read_b32 v1, v5 offset:20544
	s_mov_b64 s[4:5], -1
	v_mbcnt_lo_u32_b32 v3, -1, 0
	s_waitcnt lgkmcnt(0)
	s_barrier
	v_cmp_le_u32_e32 vcc, s66, v1
	v_readfirstlane_b32 s33, v1
	v_lshlrev_b32_e32 v1, 4, v2
	s_cbranch_vccz .LBB832_208
; %bb.5:
	s_lshl_b32 s4, s66, 14
	s_sub_i32 s3, s3, s4
	s_lshl_b32 s4, s33, 14
	s_mov_b32 s5, 0
	s_lshl_b64 s[66:67], s[4:5], 2
	v_mbcnt_hi_u32_b32 v12, -1, v3
	s_add_u32 s4, s52, s66
	v_and_b32_e32 v10, 63, v12
	s_addc_u32 s5, s53, s67
	v_and_b32_e32 v11, 0x3c00, v1
	v_lshlrev_b32_e32 v4, 2, v10
	v_lshl_add_u64 v[8:9], s[4:5], 0, v[4:5]
	v_lshlrev_b32_e32 v6, 2, v11
	v_mov_b32_e32 v7, v5
	v_or_b32_e32 v10, v10, v11
	v_mov_b32_e32 v14, -1
	v_lshl_add_u64 v[8:9], v[8:9], 0, v[6:7]
	v_cmp_gt_u32_e32 vcc, s3, v10
	v_mov_b32_e32 v5, -1
	s_and_saveexec_b64 s[4:5], vcc
	s_cbranch_execz .LBB832_7
; %bb.6:
	global_load_dword v5, v[8:9], off
	s_waitcnt vmcnt(0)
	v_xor_b32_e32 v5, 0x80000000, v5
.LBB832_7:
	s_or_b64 exec, exec, s[4:5]
	v_or_b32_e32 v7, 64, v10
	v_cmp_gt_u32_e64 s[4:5], s3, v7
	s_and_saveexec_b64 s[6:7], s[4:5]
	s_cbranch_execz .LBB832_9
; %bb.8:
	global_load_dword v7, v[8:9], off offset:256
	s_waitcnt vmcnt(0)
	v_xor_b32_e32 v14, 0x80000000, v7
.LBB832_9:
	s_or_b64 exec, exec, s[6:7]
	v_or_b32_e32 v7, 0x80, v10
	v_cmp_gt_u32_e64 s[6:7], s3, v7
	v_mov_b32_e32 v7, -1
	v_mov_b32_e32 v15, -1
	s_and_saveexec_b64 s[8:9], s[6:7]
	s_cbranch_execz .LBB832_11
; %bb.10:
	global_load_dword v11, v[8:9], off offset:512
	s_waitcnt vmcnt(0)
	v_xor_b32_e32 v15, 0x80000000, v11
.LBB832_11:
	s_or_b64 exec, exec, s[8:9]
	v_or_b32_e32 v11, 0xc0, v10
	v_cmp_gt_u32_e64 s[8:9], s3, v11
	s_and_saveexec_b64 s[10:11], s[8:9]
	s_cbranch_execz .LBB832_13
; %bb.12:
	global_load_dword v7, v[8:9], off offset:768
	s_waitcnt vmcnt(0)
	v_xor_b32_e32 v7, 0x80000000, v7
.LBB832_13:
	s_or_b64 exec, exec, s[10:11]
	v_or_b32_e32 v11, 0x100, v10
	v_cmp_gt_u32_e64 s[10:11], s3, v11
	v_mov_b32_e32 v16, -1
	v_mov_b32_e32 v17, -1
	s_and_saveexec_b64 s[12:13], s[10:11]
	s_cbranch_execz .LBB832_15
; %bb.14:
	global_load_dword v11, v[8:9], off offset:1024
	s_waitcnt vmcnt(0)
	v_xor_b32_e32 v17, 0x80000000, v11
.LBB832_15:
	;; [unrolled: 22-line block ×7, first 2 shown]
	s_or_b64 exec, exec, s[34:35]
	v_or_b32_e32 v10, 0x3c0, v10
	v_cmp_gt_u32_e64 s[34:35], s3, v10
	s_and_saveexec_b64 s[36:37], s[34:35]
	s_cbranch_execz .LBB832_37
; %bb.36:
	global_load_dword v8, v[8:9], off offset:3840
	s_waitcnt vmcnt(0)
	v_xor_b32_e32 v26, 0x80000000, v8
.LBB832_37:
	s_or_b64 exec, exec, s[36:37]
	s_load_dword s36, s[0:1], 0x64
	s_load_dword s70, s[0:1], 0x58
	s_add_u32 s37, s0, 0x58
	s_addc_u32 s38, s1, 0
	v_mov_b32_e32 v9, 0
	s_waitcnt lgkmcnt(0)
	s_lshr_b32 s39, s36, 16
	s_cmp_lt_u32 s2, s70
	s_cselect_b32 s36, 12, 18
	s_add_u32 s36, s37, s36
	s_addc_u32 s37, s38, 0
	global_load_ushort v40, v9, s[36:37]
	v_lshrrev_b32_e32 v29, s64, v5
	s_lshl_b32 s36, -1, s65
	v_bfe_u32 v8, v0, 10, 10
	v_bfe_u32 v11, v0, 20, 10
	v_bitop3_b32 v38, v29, s36, v29 bitop3:0x30
	s_movk_i32 s72, 0x44
	v_mad_u32_u24 v42, v11, s39, v8
	v_and_b32_e32 v8, 1, v38
	v_lshlrev_b32_e32 v11, 30, v38
	v_mov_b32_e32 v10, v9
	v_mov_b32_e32 v30, v9
	s_not_b32 s71, s36
	v_mul_lo_u32 v43, v38, s72
	v_lshlrev_b32_e32 v29, 29, v38
	v_lshlrev_b32_e32 v31, 28, v38
	;; [unrolled: 1-line block ×6, first 2 shown]
	v_lshl_add_u64 v[38:39], v[8:9], 0, -1
	v_cmp_ne_u32_e64 s[36:37], 0, v8
	v_not_b32_e32 v8, v11
	v_mov_b32_e32 v28, v9
	v_mov_b32_e32 v32, v9
	v_cmp_gt_i64_e64 s[38:39], 0, v[10:11]
	v_not_b32_e32 v10, v29
	v_cmp_gt_i64_e64 s[42:43], 0, v[30:31]
	v_not_b32_e32 v11, v31
	v_xor_b32_e32 v31, s37, v39
	v_ashrrev_i32_e32 v8, 31, v8
	v_mov_b32_e32 v34, v9
	v_cmp_gt_i64_e64 s[40:41], 0, v[28:29]
	v_cmp_gt_i64_e64 s[46:47], 0, v[32:33]
	v_not_b32_e32 v28, v33
	v_xor_b32_e32 v32, s36, v38
	v_ashrrev_i32_e32 v10, 31, v10
	v_and_b32_e32 v31, exec_hi, v31
	v_xor_b32_e32 v33, s39, v8
	v_cmp_gt_i64_e64 s[48:49], 0, v[34:35]
	v_ashrrev_i32_e32 v11, 31, v11
	v_and_b32_e32 v32, exec_lo, v32
	v_xor_b32_e32 v8, s38, v8
	v_xor_b32_e32 v34, s41, v10
	v_and_b32_e32 v31, v31, v33
	v_mov_b32_e32 v36, v9
	v_not_b32_e32 v29, v35
	v_ashrrev_i32_e32 v28, 31, v28
	v_xor_b32_e32 v10, s40, v10
	v_xor_b32_e32 v35, s43, v11
	v_and_b32_e32 v8, v32, v8
	v_and_b32_e32 v31, v31, v34
	v_cmp_gt_i64_e64 s[50:51], 0, v[36:37]
	v_not_b32_e32 v30, v37
	v_ashrrev_i32_e32 v29, 31, v29
	v_xor_b32_e32 v36, s47, v28
	v_and_b32_e32 v8, v8, v10
	v_and_b32_e32 v10, v31, v35
	v_ashrrev_i32_e32 v30, 31, v30
	v_xor_b32_e32 v11, s42, v11
	v_xor_b32_e32 v37, s49, v29
	v_and_b32_e32 v10, v10, v36
	v_xor_b32_e32 v28, s46, v28
	v_xor_b32_e32 v38, s51, v30
	v_and_b32_e32 v8, v8, v11
	v_and_b32_e32 v10, v10, v37
	;; [unrolled: 1-line block ×4, first 2 shown]
	v_xor_b32_e32 v29, s48, v29
	v_xor_b32_e32 v30, s50, v30
	v_and_b32_e32 v8, v8, v29
	v_and_b32_e32 v8, v8, v30
	v_mul_u32_u24_e32 v13, 20, v2
	ds_write2_b32 v13, v9, v9 offset0:16 offset1:17
	ds_write2_b32 v13, v9, v9 offset0:18 offset1:19
	ds_write_b32 v13, v9 offset:80
	s_waitcnt lgkmcnt(0)
	s_barrier
	s_waitcnt vmcnt(0)
	; wave barrier
	v_mad_u64_u32 v[10:11], s[36:37], v42, v40, v[2:3]
	v_lshrrev_b32_e32 v39, 6, v10
	v_mov_b32_e32 v40, v9
	v_not_b32_e32 v10, v41
	v_cmp_gt_i64_e64 s[36:37], 0, v[40:41]
	v_ashrrev_i32_e32 v10, 31, v10
	v_lshl_add_u32 v32, v39, 2, v43
	v_xor_b32_e32 v11, s37, v10
	v_xor_b32_e32 v10, s36, v10
	v_and_b32_e32 v10, v8, v10
	v_and_b32_e32 v11, v28, v11
	v_mbcnt_lo_u32_b32 v8, v10, 0
	v_mbcnt_hi_u32_b32 v29, v11, v8
	v_cmp_eq_u32_e64 s[36:37], 0, v29
	v_cmp_ne_u64_e64 s[38:39], 0, v[10:11]
	s_and_b64 s[38:39], s[38:39], s[36:37]
	s_and_saveexec_b64 s[36:37], s[38:39]
; %bb.38:
	v_bcnt_u32_b32 v8, v10, 0
	v_bcnt_u32_b32 v8, v11, v8
	ds_write_b32 v32, v8 offset:64
; %bb.39:
	s_or_b64 exec, exec, s[36:37]
	v_lshrrev_b32_e32 v8, s64, v14
	v_and_b32_e32 v30, s71, v8
	v_mul_lo_u32 v8, v30, s72
	v_lshl_add_u32 v34, v39, 2, v8
	v_and_b32_e32 v8, 1, v30
	v_lshl_add_u64 v[10:11], v[8:9], 0, -1
	v_cmp_ne_u32_e64 s[36:37], 0, v8
	; wave barrier
	s_nop 1
	v_xor_b32_e32 v10, s36, v10
	v_xor_b32_e32 v8, s37, v11
	v_and_b32_e32 v31, exec_lo, v10
	v_lshlrev_b32_e32 v11, 30, v30
	v_mov_b32_e32 v10, v9
	v_cmp_gt_i64_e64 s[36:37], 0, v[10:11]
	v_not_b32_e32 v10, v11
	v_ashrrev_i32_e32 v10, 31, v10
	v_and_b32_e32 v8, exec_hi, v8
	v_xor_b32_e32 v11, s37, v10
	v_xor_b32_e32 v10, s36, v10
	v_and_b32_e32 v8, v8, v11
	v_and_b32_e32 v31, v31, v10
	v_lshlrev_b32_e32 v11, 29, v30
	v_mov_b32_e32 v10, v9
	v_cmp_gt_i64_e64 s[36:37], 0, v[10:11]
	v_not_b32_e32 v10, v11
	v_ashrrev_i32_e32 v10, 31, v10
	v_xor_b32_e32 v11, s37, v10
	v_xor_b32_e32 v10, s36, v10
	v_and_b32_e32 v8, v8, v11
	v_and_b32_e32 v31, v31, v10
	v_lshlrev_b32_e32 v11, 28, v30
	v_mov_b32_e32 v10, v9
	v_cmp_gt_i64_e64 s[36:37], 0, v[10:11]
	v_not_b32_e32 v10, v11
	v_ashrrev_i32_e32 v10, 31, v10
	v_xor_b32_e32 v11, s37, v10
	v_xor_b32_e32 v10, s36, v10
	v_and_b32_e32 v8, v8, v11
	v_and_b32_e32 v31, v31, v10
	v_lshlrev_b32_e32 v11, 27, v30
	v_mov_b32_e32 v10, v9
	v_cmp_gt_i64_e64 s[36:37], 0, v[10:11]
	v_not_b32_e32 v10, v11
	v_ashrrev_i32_e32 v10, 31, v10
	v_xor_b32_e32 v11, s37, v10
	v_xor_b32_e32 v10, s36, v10
	v_and_b32_e32 v8, v8, v11
	v_and_b32_e32 v31, v31, v10
	v_lshlrev_b32_e32 v11, 26, v30
	v_mov_b32_e32 v10, v9
	v_cmp_gt_i64_e64 s[36:37], 0, v[10:11]
	v_not_b32_e32 v10, v11
	v_ashrrev_i32_e32 v10, 31, v10
	v_xor_b32_e32 v11, s37, v10
	v_xor_b32_e32 v10, s36, v10
	v_and_b32_e32 v8, v8, v11
	v_and_b32_e32 v31, v31, v10
	v_lshlrev_b32_e32 v11, 25, v30
	v_mov_b32_e32 v10, v9
	v_cmp_gt_i64_e64 s[36:37], 0, v[10:11]
	v_not_b32_e32 v10, v11
	v_ashrrev_i32_e32 v10, 31, v10
	v_xor_b32_e32 v11, s37, v10
	v_xor_b32_e32 v10, s36, v10
	v_and_b32_e32 v8, v8, v11
	v_lshlrev_b32_e32 v11, 24, v30
	v_and_b32_e32 v31, v31, v10
	v_mov_b32_e32 v10, v9
	v_not_b32_e32 v9, v11
	v_cmp_gt_i64_e64 s[36:37], 0, v[10:11]
	v_ashrrev_i32_e32 v9, 31, v9
	ds_read_b32 v28, v34 offset:64
	v_xor_b32_e32 v10, s37, v9
	v_xor_b32_e32 v11, s36, v9
	v_and_b32_e32 v9, v8, v10
	v_and_b32_e32 v8, v31, v11
	v_mbcnt_lo_u32_b32 v10, v8, 0
	v_mbcnt_hi_u32_b32 v30, v9, v10
	v_cmp_eq_u32_e64 s[36:37], 0, v30
	v_cmp_ne_u64_e64 s[38:39], 0, v[8:9]
	s_and_b64 s[38:39], s[38:39], s[36:37]
	; wave barrier
	s_and_saveexec_b64 s[36:37], s[38:39]
	s_cbranch_execz .LBB832_41
; %bb.40:
	v_bcnt_u32_b32 v8, v8, 0
	v_bcnt_u32_b32 v8, v9, v8
	s_waitcnt lgkmcnt(0)
	v_add_u32_e32 v8, v28, v8
	ds_write_b32 v34, v8 offset:64
.LBB832_41:
	s_or_b64 exec, exec, s[36:37]
	v_lshrrev_b32_e32 v8, s64, v15
	v_and_b32_e32 v33, s71, v8
	s_movk_i32 s40, 0x44
	v_mul_lo_u32 v8, v33, s40
	v_lshl_add_u32 v37, v39, 2, v8
	v_and_b32_e32 v8, 1, v33
	v_mov_b32_e32 v9, 0
	v_lshl_add_u64 v[10:11], v[8:9], 0, -1
	v_cmp_ne_u32_e64 s[36:37], 0, v8
	; wave barrier
	s_nop 1
	v_xor_b32_e32 v10, s36, v10
	v_xor_b32_e32 v8, s37, v11
	v_and_b32_e32 v35, exec_lo, v10
	v_lshlrev_b32_e32 v11, 30, v33
	v_mov_b32_e32 v10, v9
	v_cmp_gt_i64_e64 s[36:37], 0, v[10:11]
	v_not_b32_e32 v10, v11
	v_ashrrev_i32_e32 v10, 31, v10
	v_and_b32_e32 v8, exec_hi, v8
	v_xor_b32_e32 v11, s37, v10
	v_xor_b32_e32 v10, s36, v10
	v_and_b32_e32 v8, v8, v11
	v_and_b32_e32 v35, v35, v10
	v_lshlrev_b32_e32 v11, 29, v33
	v_mov_b32_e32 v10, v9
	v_cmp_gt_i64_e64 s[36:37], 0, v[10:11]
	v_not_b32_e32 v10, v11
	v_ashrrev_i32_e32 v10, 31, v10
	v_xor_b32_e32 v11, s37, v10
	v_xor_b32_e32 v10, s36, v10
	v_and_b32_e32 v8, v8, v11
	v_and_b32_e32 v35, v35, v10
	v_lshlrev_b32_e32 v11, 28, v33
	v_mov_b32_e32 v10, v9
	v_cmp_gt_i64_e64 s[36:37], 0, v[10:11]
	v_not_b32_e32 v10, v11
	v_ashrrev_i32_e32 v10, 31, v10
	;; [unrolled: 9-line block ×6, first 2 shown]
	v_xor_b32_e32 v11, s37, v10
	v_xor_b32_e32 v10, s36, v10
	ds_read_b32 v31, v37 offset:64
	v_and_b32_e32 v10, v35, v10
	v_and_b32_e32 v11, v8, v11
	v_mbcnt_lo_u32_b32 v8, v10, 0
	v_mbcnt_hi_u32_b32 v33, v11, v8
	v_cmp_eq_u32_e64 s[36:37], 0, v33
	v_cmp_ne_u64_e64 s[38:39], 0, v[10:11]
	s_and_b64 s[38:39], s[38:39], s[36:37]
	; wave barrier
	s_and_saveexec_b64 s[36:37], s[38:39]
	s_cbranch_execz .LBB832_43
; %bb.42:
	v_bcnt_u32_b32 v8, v10, 0
	v_bcnt_u32_b32 v8, v11, v8
	s_waitcnt lgkmcnt(0)
	v_add_u32_e32 v8, v31, v8
	ds_write_b32 v37, v8 offset:64
.LBB832_43:
	s_or_b64 exec, exec, s[36:37]
	v_lshrrev_b32_e32 v8, s64, v7
	v_and_b32_e32 v36, s71, v8
	v_mul_lo_u32 v8, v36, s40
	v_lshl_add_u32 v41, v39, 2, v8
	v_and_b32_e32 v8, 1, v36
	v_lshl_add_u64 v[10:11], v[8:9], 0, -1
	v_cmp_ne_u32_e64 s[36:37], 0, v8
	; wave barrier
	s_nop 1
	v_xor_b32_e32 v10, s36, v10
	v_xor_b32_e32 v8, s37, v11
	v_and_b32_e32 v38, exec_lo, v10
	v_lshlrev_b32_e32 v11, 30, v36
	v_mov_b32_e32 v10, v9
	v_cmp_gt_i64_e64 s[36:37], 0, v[10:11]
	v_not_b32_e32 v10, v11
	v_ashrrev_i32_e32 v10, 31, v10
	v_and_b32_e32 v8, exec_hi, v8
	v_xor_b32_e32 v11, s37, v10
	v_xor_b32_e32 v10, s36, v10
	v_and_b32_e32 v8, v8, v11
	v_and_b32_e32 v38, v38, v10
	v_lshlrev_b32_e32 v11, 29, v36
	v_mov_b32_e32 v10, v9
	v_cmp_gt_i64_e64 s[36:37], 0, v[10:11]
	v_not_b32_e32 v10, v11
	v_ashrrev_i32_e32 v10, 31, v10
	v_xor_b32_e32 v11, s37, v10
	v_xor_b32_e32 v10, s36, v10
	v_and_b32_e32 v8, v8, v11
	v_and_b32_e32 v38, v38, v10
	v_lshlrev_b32_e32 v11, 28, v36
	v_mov_b32_e32 v10, v9
	v_cmp_gt_i64_e64 s[36:37], 0, v[10:11]
	v_not_b32_e32 v10, v11
	v_ashrrev_i32_e32 v10, 31, v10
	;; [unrolled: 9-line block ×5, first 2 shown]
	v_xor_b32_e32 v11, s37, v10
	v_xor_b32_e32 v10, s36, v10
	v_and_b32_e32 v8, v8, v11
	v_lshlrev_b32_e32 v11, 24, v36
	v_and_b32_e32 v38, v38, v10
	v_mov_b32_e32 v10, v9
	v_not_b32_e32 v9, v11
	v_cmp_gt_i64_e64 s[36:37], 0, v[10:11]
	v_ashrrev_i32_e32 v9, 31, v9
	ds_read_b32 v35, v41 offset:64
	v_xor_b32_e32 v10, s37, v9
	v_xor_b32_e32 v11, s36, v9
	v_and_b32_e32 v9, v8, v10
	v_and_b32_e32 v8, v38, v11
	v_mbcnt_lo_u32_b32 v10, v8, 0
	v_mbcnt_hi_u32_b32 v36, v9, v10
	v_cmp_eq_u32_e64 s[36:37], 0, v36
	v_cmp_ne_u64_e64 s[38:39], 0, v[8:9]
	s_and_b64 s[38:39], s[38:39], s[36:37]
	; wave barrier
	s_and_saveexec_b64 s[36:37], s[38:39]
	s_cbranch_execz .LBB832_45
; %bb.44:
	v_bcnt_u32_b32 v8, v8, 0
	v_bcnt_u32_b32 v8, v9, v8
	s_waitcnt lgkmcnt(0)
	v_add_u32_e32 v8, v35, v8
	ds_write_b32 v41, v8 offset:64
.LBB832_45:
	s_or_b64 exec, exec, s[36:37]
	v_lshrrev_b32_e32 v8, s64, v17
	v_and_b32_e32 v40, s71, v8
	v_mul_lo_u32 v8, v40, s40
	v_lshl_add_u32 v44, v39, 2, v8
	v_and_b32_e32 v8, 1, v40
	v_mov_b32_e32 v9, 0
	v_lshl_add_u64 v[10:11], v[8:9], 0, -1
	v_cmp_ne_u32_e64 s[36:37], 0, v8
	; wave barrier
	s_nop 1
	v_xor_b32_e32 v10, s36, v10
	v_xor_b32_e32 v8, s37, v11
	v_and_b32_e32 v42, exec_lo, v10
	v_lshlrev_b32_e32 v11, 30, v40
	v_mov_b32_e32 v10, v9
	v_cmp_gt_i64_e64 s[36:37], 0, v[10:11]
	v_not_b32_e32 v10, v11
	v_ashrrev_i32_e32 v10, 31, v10
	v_and_b32_e32 v8, exec_hi, v8
	v_xor_b32_e32 v11, s37, v10
	v_xor_b32_e32 v10, s36, v10
	v_and_b32_e32 v8, v8, v11
	v_and_b32_e32 v42, v42, v10
	v_lshlrev_b32_e32 v11, 29, v40
	v_mov_b32_e32 v10, v9
	v_cmp_gt_i64_e64 s[36:37], 0, v[10:11]
	v_not_b32_e32 v10, v11
	v_ashrrev_i32_e32 v10, 31, v10
	v_xor_b32_e32 v11, s37, v10
	v_xor_b32_e32 v10, s36, v10
	v_and_b32_e32 v8, v8, v11
	v_and_b32_e32 v42, v42, v10
	v_lshlrev_b32_e32 v11, 28, v40
	v_mov_b32_e32 v10, v9
	v_cmp_gt_i64_e64 s[36:37], 0, v[10:11]
	v_not_b32_e32 v10, v11
	v_ashrrev_i32_e32 v10, 31, v10
	;; [unrolled: 9-line block ×6, first 2 shown]
	v_xor_b32_e32 v11, s37, v10
	v_xor_b32_e32 v10, s36, v10
	ds_read_b32 v38, v44 offset:64
	v_and_b32_e32 v10, v42, v10
	v_and_b32_e32 v11, v8, v11
	v_mbcnt_lo_u32_b32 v8, v10, 0
	v_mbcnt_hi_u32_b32 v40, v11, v8
	v_cmp_eq_u32_e64 s[36:37], 0, v40
	v_cmp_ne_u64_e64 s[38:39], 0, v[10:11]
	s_and_b64 s[38:39], s[38:39], s[36:37]
	; wave barrier
	s_and_saveexec_b64 s[36:37], s[38:39]
	s_cbranch_execz .LBB832_47
; %bb.46:
	v_bcnt_u32_b32 v8, v10, 0
	v_bcnt_u32_b32 v8, v11, v8
	s_waitcnt lgkmcnt(0)
	v_add_u32_e32 v8, v38, v8
	ds_write_b32 v44, v8 offset:64
.LBB832_47:
	s_or_b64 exec, exec, s[36:37]
	v_lshrrev_b32_e32 v8, s64, v16
	v_and_b32_e32 v43, s71, v8
	v_mul_lo_u32 v8, v43, s40
	v_lshl_add_u32 v46, v39, 2, v8
	v_and_b32_e32 v8, 1, v43
	v_lshl_add_u64 v[10:11], v[8:9], 0, -1
	v_cmp_ne_u32_e64 s[36:37], 0, v8
	; wave barrier
	s_nop 1
	v_xor_b32_e32 v10, s36, v10
	v_xor_b32_e32 v8, s37, v11
	v_and_b32_e32 v45, exec_lo, v10
	v_lshlrev_b32_e32 v11, 30, v43
	v_mov_b32_e32 v10, v9
	v_cmp_gt_i64_e64 s[36:37], 0, v[10:11]
	v_not_b32_e32 v10, v11
	v_ashrrev_i32_e32 v10, 31, v10
	v_and_b32_e32 v8, exec_hi, v8
	v_xor_b32_e32 v11, s37, v10
	v_xor_b32_e32 v10, s36, v10
	v_and_b32_e32 v8, v8, v11
	v_and_b32_e32 v45, v45, v10
	v_lshlrev_b32_e32 v11, 29, v43
	v_mov_b32_e32 v10, v9
	v_cmp_gt_i64_e64 s[36:37], 0, v[10:11]
	v_not_b32_e32 v10, v11
	v_ashrrev_i32_e32 v10, 31, v10
	v_xor_b32_e32 v11, s37, v10
	v_xor_b32_e32 v10, s36, v10
	v_and_b32_e32 v8, v8, v11
	v_and_b32_e32 v45, v45, v10
	v_lshlrev_b32_e32 v11, 28, v43
	v_mov_b32_e32 v10, v9
	v_cmp_gt_i64_e64 s[36:37], 0, v[10:11]
	v_not_b32_e32 v10, v11
	v_ashrrev_i32_e32 v10, 31, v10
	v_xor_b32_e32 v11, s37, v10
	v_xor_b32_e32 v10, s36, v10
	v_and_b32_e32 v8, v8, v11
	v_and_b32_e32 v45, v45, v10
	v_lshlrev_b32_e32 v11, 27, v43
	v_mov_b32_e32 v10, v9
	v_cmp_gt_i64_e64 s[36:37], 0, v[10:11]
	v_not_b32_e32 v10, v11
	v_ashrrev_i32_e32 v10, 31, v10
	v_xor_b32_e32 v11, s37, v10
	v_xor_b32_e32 v10, s36, v10
	v_and_b32_e32 v8, v8, v11
	v_and_b32_e32 v45, v45, v10
	v_lshlrev_b32_e32 v11, 26, v43
	v_mov_b32_e32 v10, v9
	v_cmp_gt_i64_e64 s[36:37], 0, v[10:11]
	v_not_b32_e32 v10, v11
	v_ashrrev_i32_e32 v10, 31, v10
	v_xor_b32_e32 v11, s37, v10
	v_xor_b32_e32 v10, s36, v10
	v_and_b32_e32 v8, v8, v11
	v_and_b32_e32 v45, v45, v10
	v_lshlrev_b32_e32 v11, 25, v43
	v_mov_b32_e32 v10, v9
	v_cmp_gt_i64_e64 s[36:37], 0, v[10:11]
	v_not_b32_e32 v10, v11
	v_ashrrev_i32_e32 v10, 31, v10
	v_xor_b32_e32 v11, s37, v10
	v_xor_b32_e32 v10, s36, v10
	v_and_b32_e32 v8, v8, v11
	v_lshlrev_b32_e32 v11, 24, v43
	v_and_b32_e32 v45, v45, v10
	v_mov_b32_e32 v10, v9
	v_not_b32_e32 v9, v11
	v_cmp_gt_i64_e64 s[36:37], 0, v[10:11]
	v_ashrrev_i32_e32 v9, 31, v9
	ds_read_b32 v42, v46 offset:64
	v_xor_b32_e32 v10, s37, v9
	v_xor_b32_e32 v11, s36, v9
	v_and_b32_e32 v9, v8, v10
	v_and_b32_e32 v8, v45, v11
	v_mbcnt_lo_u32_b32 v10, v8, 0
	v_mbcnt_hi_u32_b32 v43, v9, v10
	v_cmp_eq_u32_e64 s[36:37], 0, v43
	v_cmp_ne_u64_e64 s[38:39], 0, v[8:9]
	s_and_b64 s[38:39], s[38:39], s[36:37]
	; wave barrier
	s_and_saveexec_b64 s[36:37], s[38:39]
	s_cbranch_execz .LBB832_49
; %bb.48:
	v_bcnt_u32_b32 v8, v8, 0
	v_bcnt_u32_b32 v8, v9, v8
	s_waitcnt lgkmcnt(0)
	v_add_u32_e32 v8, v42, v8
	ds_write_b32 v46, v8 offset:64
.LBB832_49:
	s_or_b64 exec, exec, s[36:37]
	v_lshrrev_b32_e32 v8, s64, v19
	v_and_b32_e32 v47, s71, v8
	v_mul_lo_u32 v8, v47, s40
	v_lshl_add_u32 v49, v39, 2, v8
	v_and_b32_e32 v8, 1, v47
	v_mov_b32_e32 v9, 0
	v_lshl_add_u64 v[10:11], v[8:9], 0, -1
	v_cmp_ne_u32_e64 s[36:37], 0, v8
	; wave barrier
	s_nop 1
	v_xor_b32_e32 v10, s36, v10
	v_xor_b32_e32 v8, s37, v11
	v_and_b32_e32 v48, exec_lo, v10
	v_lshlrev_b32_e32 v11, 30, v47
	v_mov_b32_e32 v10, v9
	v_cmp_gt_i64_e64 s[36:37], 0, v[10:11]
	v_not_b32_e32 v10, v11
	v_ashrrev_i32_e32 v10, 31, v10
	v_and_b32_e32 v8, exec_hi, v8
	v_xor_b32_e32 v11, s37, v10
	v_xor_b32_e32 v10, s36, v10
	v_and_b32_e32 v8, v8, v11
	v_and_b32_e32 v48, v48, v10
	v_lshlrev_b32_e32 v11, 29, v47
	v_mov_b32_e32 v10, v9
	v_cmp_gt_i64_e64 s[36:37], 0, v[10:11]
	v_not_b32_e32 v10, v11
	v_ashrrev_i32_e32 v10, 31, v10
	v_xor_b32_e32 v11, s37, v10
	v_xor_b32_e32 v10, s36, v10
	v_and_b32_e32 v8, v8, v11
	v_and_b32_e32 v48, v48, v10
	v_lshlrev_b32_e32 v11, 28, v47
	v_mov_b32_e32 v10, v9
	v_cmp_gt_i64_e64 s[36:37], 0, v[10:11]
	v_not_b32_e32 v10, v11
	v_ashrrev_i32_e32 v10, 31, v10
	;; [unrolled: 9-line block ×6, first 2 shown]
	v_xor_b32_e32 v11, s37, v10
	v_xor_b32_e32 v10, s36, v10
	ds_read_b32 v45, v49 offset:64
	v_and_b32_e32 v10, v48, v10
	v_and_b32_e32 v11, v8, v11
	v_mbcnt_lo_u32_b32 v8, v10, 0
	v_mbcnt_hi_u32_b32 v47, v11, v8
	v_cmp_eq_u32_e64 s[36:37], 0, v47
	v_cmp_ne_u64_e64 s[38:39], 0, v[10:11]
	s_and_b64 s[38:39], s[38:39], s[36:37]
	; wave barrier
	s_and_saveexec_b64 s[36:37], s[38:39]
	s_cbranch_execz .LBB832_51
; %bb.50:
	v_bcnt_u32_b32 v8, v10, 0
	v_bcnt_u32_b32 v8, v11, v8
	s_waitcnt lgkmcnt(0)
	v_add_u32_e32 v8, v45, v8
	ds_write_b32 v49, v8 offset:64
.LBB832_51:
	s_or_b64 exec, exec, s[36:37]
	v_lshrrev_b32_e32 v8, s64, v18
	v_and_b32_e32 v50, s71, v8
	v_mul_lo_u32 v8, v50, s40
	v_lshl_add_u32 v52, v39, 2, v8
	v_and_b32_e32 v8, 1, v50
	v_lshl_add_u64 v[10:11], v[8:9], 0, -1
	v_cmp_ne_u32_e64 s[36:37], 0, v8
	; wave barrier
	s_nop 1
	v_xor_b32_e32 v10, s36, v10
	v_xor_b32_e32 v8, s37, v11
	v_and_b32_e32 v51, exec_lo, v10
	v_lshlrev_b32_e32 v11, 30, v50
	v_mov_b32_e32 v10, v9
	v_cmp_gt_i64_e64 s[36:37], 0, v[10:11]
	v_not_b32_e32 v10, v11
	v_ashrrev_i32_e32 v10, 31, v10
	v_and_b32_e32 v8, exec_hi, v8
	v_xor_b32_e32 v11, s37, v10
	v_xor_b32_e32 v10, s36, v10
	v_and_b32_e32 v8, v8, v11
	v_and_b32_e32 v51, v51, v10
	v_lshlrev_b32_e32 v11, 29, v50
	v_mov_b32_e32 v10, v9
	v_cmp_gt_i64_e64 s[36:37], 0, v[10:11]
	v_not_b32_e32 v10, v11
	v_ashrrev_i32_e32 v10, 31, v10
	v_xor_b32_e32 v11, s37, v10
	v_xor_b32_e32 v10, s36, v10
	v_and_b32_e32 v8, v8, v11
	v_and_b32_e32 v51, v51, v10
	v_lshlrev_b32_e32 v11, 28, v50
	v_mov_b32_e32 v10, v9
	v_cmp_gt_i64_e64 s[36:37], 0, v[10:11]
	v_not_b32_e32 v10, v11
	v_ashrrev_i32_e32 v10, 31, v10
	;; [unrolled: 9-line block ×5, first 2 shown]
	v_xor_b32_e32 v11, s37, v10
	v_xor_b32_e32 v10, s36, v10
	v_and_b32_e32 v8, v8, v11
	v_lshlrev_b32_e32 v11, 24, v50
	v_and_b32_e32 v51, v51, v10
	v_mov_b32_e32 v10, v9
	v_not_b32_e32 v9, v11
	v_cmp_gt_i64_e64 s[36:37], 0, v[10:11]
	v_ashrrev_i32_e32 v9, 31, v9
	ds_read_b32 v48, v52 offset:64
	v_xor_b32_e32 v10, s37, v9
	v_xor_b32_e32 v11, s36, v9
	v_and_b32_e32 v9, v8, v10
	v_and_b32_e32 v8, v51, v11
	v_mbcnt_lo_u32_b32 v10, v8, 0
	v_mbcnt_hi_u32_b32 v50, v9, v10
	v_cmp_eq_u32_e64 s[36:37], 0, v50
	v_cmp_ne_u64_e64 s[38:39], 0, v[8:9]
	s_and_b64 s[38:39], s[38:39], s[36:37]
	; wave barrier
	s_and_saveexec_b64 s[36:37], s[38:39]
	s_cbranch_execz .LBB832_53
; %bb.52:
	v_bcnt_u32_b32 v8, v8, 0
	v_bcnt_u32_b32 v8, v9, v8
	s_waitcnt lgkmcnt(0)
	v_add_u32_e32 v8, v48, v8
	ds_write_b32 v52, v8 offset:64
.LBB832_53:
	s_or_b64 exec, exec, s[36:37]
	v_lshrrev_b32_e32 v8, s64, v21
	v_and_b32_e32 v53, s71, v8
	v_mul_lo_u32 v8, v53, s40
	v_lshl_add_u32 v55, v39, 2, v8
	v_and_b32_e32 v8, 1, v53
	v_mov_b32_e32 v9, 0
	v_lshl_add_u64 v[10:11], v[8:9], 0, -1
	v_cmp_ne_u32_e64 s[36:37], 0, v8
	; wave barrier
	s_nop 1
	v_xor_b32_e32 v10, s36, v10
	v_xor_b32_e32 v8, s37, v11
	v_and_b32_e32 v54, exec_lo, v10
	v_lshlrev_b32_e32 v11, 30, v53
	v_mov_b32_e32 v10, v9
	v_cmp_gt_i64_e64 s[36:37], 0, v[10:11]
	v_not_b32_e32 v10, v11
	v_ashrrev_i32_e32 v10, 31, v10
	v_and_b32_e32 v8, exec_hi, v8
	v_xor_b32_e32 v11, s37, v10
	v_xor_b32_e32 v10, s36, v10
	v_and_b32_e32 v8, v8, v11
	v_and_b32_e32 v54, v54, v10
	v_lshlrev_b32_e32 v11, 29, v53
	v_mov_b32_e32 v10, v9
	v_cmp_gt_i64_e64 s[36:37], 0, v[10:11]
	v_not_b32_e32 v10, v11
	v_ashrrev_i32_e32 v10, 31, v10
	v_xor_b32_e32 v11, s37, v10
	v_xor_b32_e32 v10, s36, v10
	v_and_b32_e32 v8, v8, v11
	v_and_b32_e32 v54, v54, v10
	v_lshlrev_b32_e32 v11, 28, v53
	v_mov_b32_e32 v10, v9
	v_cmp_gt_i64_e64 s[36:37], 0, v[10:11]
	v_not_b32_e32 v10, v11
	v_ashrrev_i32_e32 v10, 31, v10
	;; [unrolled: 9-line block ×6, first 2 shown]
	v_xor_b32_e32 v11, s37, v10
	v_xor_b32_e32 v10, s36, v10
	ds_read_b32 v51, v55 offset:64
	v_and_b32_e32 v10, v54, v10
	v_and_b32_e32 v11, v8, v11
	v_mbcnt_lo_u32_b32 v8, v10, 0
	v_mbcnt_hi_u32_b32 v53, v11, v8
	v_cmp_eq_u32_e64 s[36:37], 0, v53
	v_cmp_ne_u64_e64 s[38:39], 0, v[10:11]
	s_and_b64 s[38:39], s[38:39], s[36:37]
	; wave barrier
	s_and_saveexec_b64 s[36:37], s[38:39]
	s_cbranch_execz .LBB832_55
; %bb.54:
	v_bcnt_u32_b32 v8, v10, 0
	v_bcnt_u32_b32 v8, v11, v8
	s_waitcnt lgkmcnt(0)
	v_add_u32_e32 v8, v51, v8
	ds_write_b32 v55, v8 offset:64
.LBB832_55:
	s_or_b64 exec, exec, s[36:37]
	v_lshrrev_b32_e32 v8, s64, v20
	v_and_b32_e32 v56, s71, v8
	v_mul_lo_u32 v8, v56, s40
	v_lshl_add_u32 v58, v39, 2, v8
	v_and_b32_e32 v8, 1, v56
	v_lshl_add_u64 v[10:11], v[8:9], 0, -1
	v_cmp_ne_u32_e64 s[36:37], 0, v8
	; wave barrier
	s_nop 1
	v_xor_b32_e32 v10, s36, v10
	v_xor_b32_e32 v8, s37, v11
	v_and_b32_e32 v57, exec_lo, v10
	v_lshlrev_b32_e32 v11, 30, v56
	v_mov_b32_e32 v10, v9
	v_cmp_gt_i64_e64 s[36:37], 0, v[10:11]
	v_not_b32_e32 v10, v11
	v_ashrrev_i32_e32 v10, 31, v10
	v_and_b32_e32 v8, exec_hi, v8
	v_xor_b32_e32 v11, s37, v10
	v_xor_b32_e32 v10, s36, v10
	v_and_b32_e32 v8, v8, v11
	v_and_b32_e32 v57, v57, v10
	v_lshlrev_b32_e32 v11, 29, v56
	v_mov_b32_e32 v10, v9
	v_cmp_gt_i64_e64 s[36:37], 0, v[10:11]
	v_not_b32_e32 v10, v11
	v_ashrrev_i32_e32 v10, 31, v10
	v_xor_b32_e32 v11, s37, v10
	v_xor_b32_e32 v10, s36, v10
	v_and_b32_e32 v8, v8, v11
	v_and_b32_e32 v57, v57, v10
	v_lshlrev_b32_e32 v11, 28, v56
	v_mov_b32_e32 v10, v9
	v_cmp_gt_i64_e64 s[36:37], 0, v[10:11]
	v_not_b32_e32 v10, v11
	v_ashrrev_i32_e32 v10, 31, v10
	v_xor_b32_e32 v11, s37, v10
	v_xor_b32_e32 v10, s36, v10
	v_and_b32_e32 v8, v8, v11
	v_and_b32_e32 v57, v57, v10
	v_lshlrev_b32_e32 v11, 27, v56
	v_mov_b32_e32 v10, v9
	v_cmp_gt_i64_e64 s[36:37], 0, v[10:11]
	v_not_b32_e32 v10, v11
	v_ashrrev_i32_e32 v10, 31, v10
	v_xor_b32_e32 v11, s37, v10
	v_xor_b32_e32 v10, s36, v10
	v_and_b32_e32 v8, v8, v11
	v_and_b32_e32 v57, v57, v10
	v_lshlrev_b32_e32 v11, 26, v56
	v_mov_b32_e32 v10, v9
	v_cmp_gt_i64_e64 s[36:37], 0, v[10:11]
	v_not_b32_e32 v10, v11
	v_ashrrev_i32_e32 v10, 31, v10
	v_xor_b32_e32 v11, s37, v10
	v_xor_b32_e32 v10, s36, v10
	v_and_b32_e32 v8, v8, v11
	v_and_b32_e32 v57, v57, v10
	v_lshlrev_b32_e32 v11, 25, v56
	v_mov_b32_e32 v10, v9
	v_cmp_gt_i64_e64 s[36:37], 0, v[10:11]
	v_not_b32_e32 v10, v11
	v_ashrrev_i32_e32 v10, 31, v10
	v_xor_b32_e32 v11, s37, v10
	v_xor_b32_e32 v10, s36, v10
	v_and_b32_e32 v8, v8, v11
	v_lshlrev_b32_e32 v11, 24, v56
	v_and_b32_e32 v57, v57, v10
	v_mov_b32_e32 v10, v9
	v_not_b32_e32 v9, v11
	v_cmp_gt_i64_e64 s[36:37], 0, v[10:11]
	v_ashrrev_i32_e32 v9, 31, v9
	ds_read_b32 v54, v58 offset:64
	v_xor_b32_e32 v10, s37, v9
	v_xor_b32_e32 v11, s36, v9
	v_and_b32_e32 v9, v8, v10
	v_and_b32_e32 v8, v57, v11
	v_mbcnt_lo_u32_b32 v10, v8, 0
	v_mbcnt_hi_u32_b32 v56, v9, v10
	v_cmp_eq_u32_e64 s[36:37], 0, v56
	v_cmp_ne_u64_e64 s[38:39], 0, v[8:9]
	s_and_b64 s[38:39], s[38:39], s[36:37]
	; wave barrier
	s_and_saveexec_b64 s[36:37], s[38:39]
	s_cbranch_execz .LBB832_57
; %bb.56:
	v_bcnt_u32_b32 v8, v8, 0
	v_bcnt_u32_b32 v8, v9, v8
	s_waitcnt lgkmcnt(0)
	v_add_u32_e32 v8, v54, v8
	ds_write_b32 v58, v8 offset:64
.LBB832_57:
	s_or_b64 exec, exec, s[36:37]
	v_lshrrev_b32_e32 v8, s64, v23
	v_and_b32_e32 v59, s71, v8
	v_mul_lo_u32 v8, v59, s40
	v_lshl_add_u32 v61, v39, 2, v8
	v_and_b32_e32 v8, 1, v59
	v_mov_b32_e32 v9, 0
	v_lshl_add_u64 v[10:11], v[8:9], 0, -1
	v_cmp_ne_u32_e64 s[36:37], 0, v8
	; wave barrier
	s_nop 1
	v_xor_b32_e32 v10, s36, v10
	v_xor_b32_e32 v8, s37, v11
	v_and_b32_e32 v60, exec_lo, v10
	v_lshlrev_b32_e32 v11, 30, v59
	v_mov_b32_e32 v10, v9
	v_cmp_gt_i64_e64 s[36:37], 0, v[10:11]
	v_not_b32_e32 v10, v11
	v_ashrrev_i32_e32 v10, 31, v10
	v_and_b32_e32 v8, exec_hi, v8
	v_xor_b32_e32 v11, s37, v10
	v_xor_b32_e32 v10, s36, v10
	v_and_b32_e32 v8, v8, v11
	v_and_b32_e32 v60, v60, v10
	v_lshlrev_b32_e32 v11, 29, v59
	v_mov_b32_e32 v10, v9
	v_cmp_gt_i64_e64 s[36:37], 0, v[10:11]
	v_not_b32_e32 v10, v11
	v_ashrrev_i32_e32 v10, 31, v10
	v_xor_b32_e32 v11, s37, v10
	v_xor_b32_e32 v10, s36, v10
	v_and_b32_e32 v8, v8, v11
	v_and_b32_e32 v60, v60, v10
	v_lshlrev_b32_e32 v11, 28, v59
	v_mov_b32_e32 v10, v9
	v_cmp_gt_i64_e64 s[36:37], 0, v[10:11]
	v_not_b32_e32 v10, v11
	v_ashrrev_i32_e32 v10, 31, v10
	;; [unrolled: 9-line block ×6, first 2 shown]
	v_xor_b32_e32 v11, s37, v10
	v_xor_b32_e32 v10, s36, v10
	ds_read_b32 v57, v61 offset:64
	v_and_b32_e32 v10, v60, v10
	v_and_b32_e32 v11, v8, v11
	v_mbcnt_lo_u32_b32 v8, v10, 0
	v_mbcnt_hi_u32_b32 v59, v11, v8
	v_cmp_eq_u32_e64 s[36:37], 0, v59
	v_cmp_ne_u64_e64 s[38:39], 0, v[10:11]
	s_and_b64 s[38:39], s[38:39], s[36:37]
	; wave barrier
	s_and_saveexec_b64 s[36:37], s[38:39]
	s_cbranch_execz .LBB832_59
; %bb.58:
	v_bcnt_u32_b32 v8, v10, 0
	v_bcnt_u32_b32 v8, v11, v8
	s_waitcnt lgkmcnt(0)
	v_add_u32_e32 v8, v57, v8
	ds_write_b32 v61, v8 offset:64
.LBB832_59:
	s_or_b64 exec, exec, s[36:37]
	v_lshrrev_b32_e32 v8, s64, v22
	v_and_b32_e32 v62, s71, v8
	v_mul_lo_u32 v8, v62, s40
	v_lshl_add_u32 v64, v39, 2, v8
	v_and_b32_e32 v8, 1, v62
	v_lshl_add_u64 v[10:11], v[8:9], 0, -1
	v_cmp_ne_u32_e64 s[36:37], 0, v8
	; wave barrier
	s_nop 1
	v_xor_b32_e32 v10, s36, v10
	v_xor_b32_e32 v8, s37, v11
	v_and_b32_e32 v63, exec_lo, v10
	v_lshlrev_b32_e32 v11, 30, v62
	v_mov_b32_e32 v10, v9
	v_cmp_gt_i64_e64 s[36:37], 0, v[10:11]
	v_not_b32_e32 v10, v11
	v_ashrrev_i32_e32 v10, 31, v10
	v_and_b32_e32 v8, exec_hi, v8
	v_xor_b32_e32 v11, s37, v10
	v_xor_b32_e32 v10, s36, v10
	v_and_b32_e32 v8, v8, v11
	v_and_b32_e32 v63, v63, v10
	v_lshlrev_b32_e32 v11, 29, v62
	v_mov_b32_e32 v10, v9
	v_cmp_gt_i64_e64 s[36:37], 0, v[10:11]
	v_not_b32_e32 v10, v11
	v_ashrrev_i32_e32 v10, 31, v10
	v_xor_b32_e32 v11, s37, v10
	v_xor_b32_e32 v10, s36, v10
	v_and_b32_e32 v8, v8, v11
	v_and_b32_e32 v63, v63, v10
	v_lshlrev_b32_e32 v11, 28, v62
	v_mov_b32_e32 v10, v9
	v_cmp_gt_i64_e64 s[36:37], 0, v[10:11]
	v_not_b32_e32 v10, v11
	v_ashrrev_i32_e32 v10, 31, v10
	;; [unrolled: 9-line block ×5, first 2 shown]
	v_xor_b32_e32 v11, s37, v10
	v_xor_b32_e32 v10, s36, v10
	v_and_b32_e32 v8, v8, v11
	v_lshlrev_b32_e32 v11, 24, v62
	v_and_b32_e32 v63, v63, v10
	v_mov_b32_e32 v10, v9
	v_not_b32_e32 v9, v11
	v_cmp_gt_i64_e64 s[36:37], 0, v[10:11]
	v_ashrrev_i32_e32 v9, 31, v9
	ds_read_b32 v60, v64 offset:64
	v_xor_b32_e32 v10, s37, v9
	v_xor_b32_e32 v11, s36, v9
	v_and_b32_e32 v9, v8, v10
	v_and_b32_e32 v8, v63, v11
	v_mbcnt_lo_u32_b32 v10, v8, 0
	v_mbcnt_hi_u32_b32 v62, v9, v10
	v_cmp_eq_u32_e64 s[36:37], 0, v62
	v_cmp_ne_u64_e64 s[38:39], 0, v[8:9]
	s_and_b64 s[38:39], s[38:39], s[36:37]
	; wave barrier
	s_and_saveexec_b64 s[36:37], s[38:39]
	s_cbranch_execz .LBB832_61
; %bb.60:
	v_bcnt_u32_b32 v8, v8, 0
	v_bcnt_u32_b32 v8, v9, v8
	s_waitcnt lgkmcnt(0)
	v_add_u32_e32 v8, v60, v8
	ds_write_b32 v64, v8 offset:64
.LBB832_61:
	s_or_b64 exec, exec, s[36:37]
	v_lshrrev_b32_e32 v8, s64, v25
	v_and_b32_e32 v65, s71, v8
	v_mul_lo_u32 v8, v65, s40
	v_lshl_add_u32 v67, v39, 2, v8
	v_and_b32_e32 v8, 1, v65
	v_mov_b32_e32 v9, 0
	v_lshl_add_u64 v[10:11], v[8:9], 0, -1
	v_cmp_ne_u32_e64 s[36:37], 0, v8
	; wave barrier
	s_nop 1
	v_xor_b32_e32 v10, s36, v10
	v_xor_b32_e32 v8, s37, v11
	v_and_b32_e32 v66, exec_lo, v10
	v_lshlrev_b32_e32 v11, 30, v65
	v_mov_b32_e32 v10, v9
	v_cmp_gt_i64_e64 s[36:37], 0, v[10:11]
	v_not_b32_e32 v10, v11
	v_ashrrev_i32_e32 v10, 31, v10
	v_and_b32_e32 v8, exec_hi, v8
	v_xor_b32_e32 v11, s37, v10
	v_xor_b32_e32 v10, s36, v10
	v_and_b32_e32 v8, v8, v11
	v_and_b32_e32 v66, v66, v10
	v_lshlrev_b32_e32 v11, 29, v65
	v_mov_b32_e32 v10, v9
	v_cmp_gt_i64_e64 s[36:37], 0, v[10:11]
	v_not_b32_e32 v10, v11
	v_ashrrev_i32_e32 v10, 31, v10
	v_xor_b32_e32 v11, s37, v10
	v_xor_b32_e32 v10, s36, v10
	v_and_b32_e32 v8, v8, v11
	v_and_b32_e32 v66, v66, v10
	v_lshlrev_b32_e32 v11, 28, v65
	v_mov_b32_e32 v10, v9
	v_cmp_gt_i64_e64 s[36:37], 0, v[10:11]
	v_not_b32_e32 v10, v11
	v_ashrrev_i32_e32 v10, 31, v10
	;; [unrolled: 9-line block ×6, first 2 shown]
	v_xor_b32_e32 v11, s37, v10
	v_xor_b32_e32 v10, s36, v10
	ds_read_b32 v63, v67 offset:64
	v_and_b32_e32 v10, v66, v10
	v_and_b32_e32 v11, v8, v11
	v_mbcnt_lo_u32_b32 v8, v10, 0
	v_mbcnt_hi_u32_b32 v65, v11, v8
	v_cmp_eq_u32_e64 s[36:37], 0, v65
	v_cmp_ne_u64_e64 s[38:39], 0, v[10:11]
	s_and_b64 s[38:39], s[38:39], s[36:37]
	; wave barrier
	s_and_saveexec_b64 s[36:37], s[38:39]
	s_cbranch_execz .LBB832_63
; %bb.62:
	v_bcnt_u32_b32 v8, v10, 0
	v_bcnt_u32_b32 v8, v11, v8
	s_waitcnt lgkmcnt(0)
	v_add_u32_e32 v8, v63, v8
	ds_write_b32 v67, v8 offset:64
.LBB832_63:
	s_or_b64 exec, exec, s[36:37]
	v_lshrrev_b32_e32 v8, s64, v24
	v_and_b32_e32 v68, s71, v8
	v_mul_lo_u32 v8, v68, s40
	v_lshl_add_u32 v70, v39, 2, v8
	v_and_b32_e32 v8, 1, v68
	v_lshl_add_u64 v[10:11], v[8:9], 0, -1
	v_cmp_ne_u32_e64 s[36:37], 0, v8
	; wave barrier
	s_nop 1
	v_xor_b32_e32 v10, s36, v10
	v_xor_b32_e32 v8, s37, v11
	v_and_b32_e32 v69, exec_lo, v10
	v_lshlrev_b32_e32 v11, 30, v68
	v_mov_b32_e32 v10, v9
	v_cmp_gt_i64_e64 s[36:37], 0, v[10:11]
	v_not_b32_e32 v10, v11
	v_ashrrev_i32_e32 v10, 31, v10
	v_and_b32_e32 v8, exec_hi, v8
	v_xor_b32_e32 v11, s37, v10
	v_xor_b32_e32 v10, s36, v10
	v_and_b32_e32 v8, v8, v11
	v_and_b32_e32 v69, v69, v10
	v_lshlrev_b32_e32 v11, 29, v68
	v_mov_b32_e32 v10, v9
	v_cmp_gt_i64_e64 s[36:37], 0, v[10:11]
	v_not_b32_e32 v10, v11
	v_ashrrev_i32_e32 v10, 31, v10
	v_xor_b32_e32 v11, s37, v10
	v_xor_b32_e32 v10, s36, v10
	v_and_b32_e32 v8, v8, v11
	v_and_b32_e32 v69, v69, v10
	v_lshlrev_b32_e32 v11, 28, v68
	v_mov_b32_e32 v10, v9
	v_cmp_gt_i64_e64 s[36:37], 0, v[10:11]
	v_not_b32_e32 v10, v11
	v_ashrrev_i32_e32 v10, 31, v10
	;; [unrolled: 9-line block ×5, first 2 shown]
	v_xor_b32_e32 v11, s37, v10
	v_xor_b32_e32 v10, s36, v10
	v_and_b32_e32 v8, v8, v11
	v_lshlrev_b32_e32 v11, 24, v68
	v_and_b32_e32 v69, v69, v10
	v_mov_b32_e32 v10, v9
	v_not_b32_e32 v9, v11
	v_cmp_gt_i64_e64 s[36:37], 0, v[10:11]
	v_ashrrev_i32_e32 v9, 31, v9
	ds_read_b32 v66, v70 offset:64
	v_xor_b32_e32 v10, s37, v9
	v_xor_b32_e32 v11, s36, v9
	v_and_b32_e32 v9, v8, v10
	v_and_b32_e32 v8, v69, v11
	v_mbcnt_lo_u32_b32 v10, v8, 0
	v_mbcnt_hi_u32_b32 v68, v9, v10
	v_cmp_eq_u32_e64 s[36:37], 0, v68
	v_cmp_ne_u64_e64 s[38:39], 0, v[8:9]
	s_and_b64 s[38:39], s[38:39], s[36:37]
	; wave barrier
	s_and_saveexec_b64 s[36:37], s[38:39]
	s_cbranch_execz .LBB832_65
; %bb.64:
	v_bcnt_u32_b32 v8, v8, 0
	v_bcnt_u32_b32 v8, v9, v8
	s_waitcnt lgkmcnt(0)
	v_add_u32_e32 v8, v66, v8
	ds_write_b32 v70, v8 offset:64
.LBB832_65:
	s_or_b64 exec, exec, s[36:37]
	v_lshrrev_b32_e32 v8, s64, v27
	v_and_b32_e32 v71, s71, v8
	v_mul_lo_u32 v8, v71, s40
	v_lshl_add_u32 v72, v39, 2, v8
	v_and_b32_e32 v8, 1, v71
	v_mov_b32_e32 v9, 0
	v_lshl_add_u64 v[10:11], v[8:9], 0, -1
	v_cmp_ne_u32_e64 s[36:37], 0, v8
	; wave barrier
	s_nop 1
	v_xor_b32_e32 v10, s36, v10
	v_xor_b32_e32 v8, s37, v11
	v_and_b32_e32 v73, exec_lo, v10
	v_lshlrev_b32_e32 v11, 30, v71
	v_mov_b32_e32 v10, v9
	v_cmp_gt_i64_e64 s[36:37], 0, v[10:11]
	v_not_b32_e32 v10, v11
	v_ashrrev_i32_e32 v10, 31, v10
	v_and_b32_e32 v8, exec_hi, v8
	v_xor_b32_e32 v11, s37, v10
	v_xor_b32_e32 v10, s36, v10
	v_and_b32_e32 v8, v8, v11
	v_and_b32_e32 v73, v73, v10
	v_lshlrev_b32_e32 v11, 29, v71
	v_mov_b32_e32 v10, v9
	v_cmp_gt_i64_e64 s[36:37], 0, v[10:11]
	v_not_b32_e32 v10, v11
	v_ashrrev_i32_e32 v10, 31, v10
	v_xor_b32_e32 v11, s37, v10
	v_xor_b32_e32 v10, s36, v10
	v_and_b32_e32 v8, v8, v11
	v_and_b32_e32 v73, v73, v10
	v_lshlrev_b32_e32 v11, 28, v71
	v_mov_b32_e32 v10, v9
	v_cmp_gt_i64_e64 s[36:37], 0, v[10:11]
	v_not_b32_e32 v10, v11
	v_ashrrev_i32_e32 v10, 31, v10
	;; [unrolled: 9-line block ×6, first 2 shown]
	v_xor_b32_e32 v11, s37, v10
	v_xor_b32_e32 v10, s36, v10
	ds_read_b32 v69, v72 offset:64
	v_and_b32_e32 v10, v73, v10
	v_and_b32_e32 v11, v8, v11
	v_mbcnt_lo_u32_b32 v8, v10, 0
	v_mbcnt_hi_u32_b32 v71, v11, v8
	v_cmp_eq_u32_e64 s[36:37], 0, v71
	v_cmp_ne_u64_e64 s[38:39], 0, v[10:11]
	s_and_b64 s[38:39], s[38:39], s[36:37]
	; wave barrier
	s_and_saveexec_b64 s[36:37], s[38:39]
	s_cbranch_execz .LBB832_67
; %bb.66:
	v_bcnt_u32_b32 v8, v10, 0
	v_bcnt_u32_b32 v8, v11, v8
	s_waitcnt lgkmcnt(0)
	v_add_u32_e32 v8, v69, v8
	ds_write_b32 v72, v8 offset:64
.LBB832_67:
	s_or_b64 exec, exec, s[36:37]
	v_lshrrev_b32_e32 v8, s64, v26
	v_and_b32_e32 v73, s71, v8
	v_mul_lo_u32 v8, v73, s40
	v_lshl_add_u32 v74, v39, 2, v8
	v_and_b32_e32 v8, 1, v73
	v_lshl_add_u64 v[10:11], v[8:9], 0, -1
	v_cmp_ne_u32_e64 s[36:37], 0, v8
	; wave barrier
	s_nop 1
	v_xor_b32_e32 v10, s36, v10
	v_xor_b32_e32 v8, s37, v11
	v_and_b32_e32 v75, exec_lo, v10
	v_lshlrev_b32_e32 v11, 30, v73
	v_mov_b32_e32 v10, v9
	v_cmp_gt_i64_e64 s[36:37], 0, v[10:11]
	v_not_b32_e32 v10, v11
	v_ashrrev_i32_e32 v10, 31, v10
	v_and_b32_e32 v8, exec_hi, v8
	v_xor_b32_e32 v11, s37, v10
	v_xor_b32_e32 v10, s36, v10
	v_and_b32_e32 v8, v8, v11
	v_and_b32_e32 v75, v75, v10
	v_lshlrev_b32_e32 v11, 29, v73
	v_mov_b32_e32 v10, v9
	v_cmp_gt_i64_e64 s[36:37], 0, v[10:11]
	v_not_b32_e32 v10, v11
	v_ashrrev_i32_e32 v10, 31, v10
	v_xor_b32_e32 v11, s37, v10
	v_xor_b32_e32 v10, s36, v10
	v_and_b32_e32 v8, v8, v11
	v_and_b32_e32 v75, v75, v10
	v_lshlrev_b32_e32 v11, 28, v73
	v_mov_b32_e32 v10, v9
	v_cmp_gt_i64_e64 s[36:37], 0, v[10:11]
	v_not_b32_e32 v10, v11
	v_ashrrev_i32_e32 v10, 31, v10
	;; [unrolled: 9-line block ×5, first 2 shown]
	v_xor_b32_e32 v11, s37, v10
	v_xor_b32_e32 v10, s36, v10
	v_and_b32_e32 v8, v8, v11
	v_lshlrev_b32_e32 v11, 24, v73
	v_and_b32_e32 v75, v75, v10
	v_mov_b32_e32 v10, v9
	v_not_b32_e32 v9, v11
	v_cmp_gt_i64_e64 s[36:37], 0, v[10:11]
	v_ashrrev_i32_e32 v9, 31, v9
	ds_read_b32 v39, v74 offset:64
	v_xor_b32_e32 v10, s37, v9
	v_xor_b32_e32 v11, s36, v9
	v_and_b32_e32 v9, v8, v10
	v_and_b32_e32 v8, v75, v11
	v_mbcnt_lo_u32_b32 v10, v8, 0
	v_mbcnt_hi_u32_b32 v73, v9, v10
	v_cmp_eq_u32_e64 s[36:37], 0, v73
	v_cmp_ne_u64_e64 s[38:39], 0, v[8:9]
	s_and_b64 s[38:39], s[38:39], s[36:37]
	; wave barrier
	s_and_saveexec_b64 s[36:37], s[38:39]
	s_cbranch_execz .LBB832_69
; %bb.68:
	v_bcnt_u32_b32 v8, v8, 0
	v_bcnt_u32_b32 v8, v9, v8
	s_waitcnt lgkmcnt(0)
	v_add_u32_e32 v8, v39, v8
	ds_write_b32 v74, v8 offset:64
.LBB832_69:
	s_or_b64 exec, exec, s[36:37]
	; wave barrier
	s_waitcnt lgkmcnt(0)
	s_barrier
	ds_read2_b32 v[10:11], v13 offset0:16 offset1:17
	ds_read2_b32 v[8:9], v13 offset0:18 offset1:19
	ds_read_b32 v75, v13 offset:80
	v_cmp_lt_u32_e64 s[46:47], 31, v12
	s_waitcnt lgkmcnt(1)
	v_add3_u32 v76, v11, v10, v8
	s_waitcnt lgkmcnt(0)
	v_add3_u32 v75, v76, v9, v75
	v_and_b32_e32 v76, 15, v12
	v_cmp_eq_u32_e64 s[36:37], 0, v76
	v_mov_b32_dpp v77, v75 row_shr:1 row_mask:0xf bank_mask:0xf
	v_cmp_lt_u32_e64 s[38:39], 1, v76
	v_cndmask_b32_e64 v77, v77, 0, s[36:37]
	v_add_u32_e32 v75, v77, v75
	v_cmp_lt_u32_e64 s[40:41], 3, v76
	v_cmp_lt_u32_e64 s[42:43], 7, v76
	v_mov_b32_dpp v77, v75 row_shr:2 row_mask:0xf bank_mask:0xf
	v_cndmask_b32_e64 v77, 0, v77, s[38:39]
	v_add_u32_e32 v75, v75, v77
	s_nop 1
	v_mov_b32_dpp v77, v75 row_shr:4 row_mask:0xf bank_mask:0xf
	v_cndmask_b32_e64 v77, 0, v77, s[40:41]
	v_add_u32_e32 v75, v75, v77
	s_nop 1
	v_mov_b32_dpp v77, v75 row_shr:8 row_mask:0xf bank_mask:0xf
	v_cndmask_b32_e64 v76, 0, v77, s[42:43]
	v_add_u32_e32 v75, v75, v76
	v_bfe_i32 v77, v12, 4, 1
	s_nop 0
	v_mov_b32_dpp v76, v75 row_bcast:15 row_mask:0xf bank_mask:0xf
	v_and_b32_e32 v76, v77, v76
	v_add_u32_e32 v75, v75, v76
	v_and_b32_e32 v77, 63, v2
	s_nop 0
	v_mov_b32_dpp v76, v75 row_bcast:31 row_mask:0xf bank_mask:0xf
	v_cndmask_b32_e64 v76, 0, v76, s[46:47]
	v_add_u32_e32 v75, v75, v76
	v_lshrrev_b32_e32 v76, 6, v2
	v_cmp_eq_u32_e64 s[46:47], 63, v77
	s_and_saveexec_b64 s[48:49], s[46:47]
; %bb.70:
	v_lshlrev_b32_e32 v77, 2, v76
	ds_write_b32 v77, v75
; %bb.71:
	s_or_b64 exec, exec, s[48:49]
	v_cmp_gt_u32_e64 s[46:47], 16, v2
	s_waitcnt lgkmcnt(0)
	s_barrier
	s_and_saveexec_b64 s[48:49], s[46:47]
	s_cbranch_execz .LBB832_73
; %bb.72:
	v_lshlrev_b32_e32 v77, 2, v2
	ds_read_b32 v78, v77
	s_waitcnt lgkmcnt(0)
	s_nop 0
	v_mov_b32_dpp v79, v78 row_shr:1 row_mask:0xf bank_mask:0xf
	v_cndmask_b32_e64 v79, v79, 0, s[36:37]
	v_add_u32_e32 v78, v79, v78
	s_nop 1
	v_mov_b32_dpp v79, v78 row_shr:2 row_mask:0xf bank_mask:0xf
	v_cndmask_b32_e64 v79, 0, v79, s[38:39]
	v_add_u32_e32 v78, v78, v79
	s_nop 1
	v_mov_b32_dpp v79, v78 row_shr:4 row_mask:0xf bank_mask:0xf
	v_cndmask_b32_e64 v79, 0, v79, s[40:41]
	v_add_u32_e32 v78, v78, v79
	s_nop 1
	v_mov_b32_dpp v79, v78 row_shr:8 row_mask:0xf bank_mask:0xf
	v_cndmask_b32_e64 v79, 0, v79, s[42:43]
	v_add_u32_e32 v78, v78, v79
	ds_write_b32 v77, v78
.LBB832_73:
	s_or_b64 exec, exec, s[48:49]
	v_cmp_lt_u32_e64 s[36:37], 63, v2
	v_mov_b32_e32 v77, 0
	s_waitcnt lgkmcnt(0)
	s_barrier
	s_and_saveexec_b64 s[38:39], s[36:37]
; %bb.74:
	v_lshl_add_u32 v76, v76, 2, -4
	ds_read_b32 v77, v76
; %bb.75:
	s_or_b64 exec, exec, s[38:39]
	v_subrev_co_u32_e64 v76, s[36:37], 1, v12
	v_and_b32_e32 v78, 64, v12
	v_cmp_lt_i32_e64 s[38:39], v76, v78
	s_waitcnt lgkmcnt(0)
	v_add_u32_e32 v75, v77, v75
	s_movk_i32 s40, 0x100
	v_cndmask_b32_e64 v12, v76, v12, s[38:39]
	v_lshlrev_b32_e32 v12, 2, v12
	ds_bpermute_b32 v12, v12, v75
	v_cmp_gt_u32_e64 s[38:39], s40, v2
	s_waitcnt lgkmcnt(0)
	v_cndmask_b32_e64 v12, v12, v77, s[36:37]
	v_cndmask_b32_e64 v12, v12, 0, s[44:45]
	v_add_u32_e32 v10, v12, v10
	v_add_u32_e32 v11, v10, v11
	;; [unrolled: 1-line block ×4, first 2 shown]
	ds_write2_b32 v13, v12, v10 offset0:16 offset1:17
	ds_write2_b32 v13, v11, v8 offset0:18 offset1:19
	ds_write_b32 v13, v9 offset:80
	s_waitcnt lgkmcnt(0)
	s_barrier
	ds_read_b32 v84, v32 offset:64
	ds_read_b32 v75, v34 offset:64
	;; [unrolled: 1-line block ×16, first 2 shown]
	s_movk_i32 s36, 0xff
	v_cmp_lt_u32_e64 s[36:37], s36, v2
                                        ; implicit-def: $vgpr32
                                        ; implicit-def: $vgpr34
	s_and_saveexec_b64 s[42:43], s[38:39]
	s_cbranch_execz .LBB832_79
; %bb.76:
	v_mul_u32_u24_e32 v8, 0x44, v2
	ds_read_b32 v32, v8 offset:64
	v_add_u32_e32 v9, 1, v2
	v_cmp_ne_u32_e64 s[40:41], s40, v9
	v_mov_b32_e32 v8, 0x4000
	s_and_saveexec_b64 s[46:47], s[40:41]
; %bb.77:
	v_mul_u32_u24_e32 v8, 0x44, v9
	ds_read_b32 v8, v8 offset:64
; %bb.78:
	s_or_b64 exec, exec, s[46:47]
	s_waitcnt lgkmcnt(0)
	v_sub_u32_e32 v34, v8, v32
.LBB832_79:
	s_or_b64 exec, exec, s[42:43]
	v_mov_b32_e32 v9, 0
	v_lshlrev_b32_e32 v37, 2, v2
	s_waitcnt lgkmcnt(0)
	s_barrier
	s_and_saveexec_b64 s[40:41], s[38:39]
	s_cbranch_execz .LBB832_89
; %bb.80:
	v_lshl_add_u32 v8, s33, 8, v2
	v_lshl_add_u64 v[10:11], v[8:9], 2, s[68:69]
	v_or_b32_e32 v8, 2.0, v34
	s_mov_b64 s[42:43], 0
	s_brev_b32 s50, -4
	s_mov_b32 s51, s33
	v_mov_b32_e32 v55, 0
	global_store_dword v[10:11], v8, off sc1
                                        ; implicit-def: $sgpr38_sgpr39
	s_branch .LBB832_83
.LBB832_81:                             ;   in Loop: Header=BB832_83 Depth=1
	s_or_b64 exec, exec, s[48:49]
.LBB832_82:                             ;   in Loop: Header=BB832_83 Depth=1
	s_or_b64 exec, exec, s[46:47]
	v_and_b32_e32 v12, 0x3fffffff, v8
	v_add_u32_e32 v55, v12, v55
	v_cmp_gt_i32_e64 s[38:39], -2.0, v8
	s_and_b64 s[46:47], exec, s[38:39]
	s_or_b64 s[42:43], s[46:47], s[42:43]
	s_andn2_b64 exec, exec, s[42:43]
	s_cbranch_execz .LBB832_88
.LBB832_83:                             ; =>This Loop Header: Depth=1
                                        ;     Child Loop BB832_86 Depth 2
	s_or_b64 s[38:39], s[38:39], exec
	s_cmp_eq_u32 s51, 0
	s_cbranch_scc1 .LBB832_87
; %bb.84:                               ;   in Loop: Header=BB832_83 Depth=1
	s_add_i32 s51, s51, -1
	v_lshl_or_b32 v8, s51, 8, v2
	v_lshl_add_u64 v[12:13], v[8:9], 2, s[68:69]
	global_load_dword v8, v[12:13], off sc1
	s_waitcnt vmcnt(0)
	v_cmp_gt_u32_e64 s[38:39], 2.0, v8
	s_and_saveexec_b64 s[46:47], s[38:39]
	s_cbranch_execz .LBB832_82
; %bb.85:                               ;   in Loop: Header=BB832_83 Depth=1
	s_mov_b64 s[48:49], 0
.LBB832_86:                             ;   Parent Loop BB832_83 Depth=1
                                        ; =>  This Inner Loop Header: Depth=2
	global_load_dword v8, v[12:13], off sc1
	s_waitcnt vmcnt(0)
	v_cmp_lt_u32_e64 s[38:39], s50, v8
	s_or_b64 s[48:49], s[38:39], s[48:49]
	s_andn2_b64 exec, exec, s[48:49]
	s_cbranch_execnz .LBB832_86
	s_branch .LBB832_81
.LBB832_87:                             ;   in Loop: Header=BB832_83 Depth=1
                                        ; implicit-def: $sgpr51
	s_and_b64 s[46:47], exec, s[38:39]
	s_or_b64 s[42:43], s[46:47], s[42:43]
	s_andn2_b64 exec, exec, s[42:43]
	s_cbranch_execnz .LBB832_83
.LBB832_88:
	s_or_b64 exec, exec, s[42:43]
	v_add_u32_e32 v8, v55, v34
	v_or_b32_e32 v8, 0x80000000, v8
	global_store_dword v[10:11], v8, off sc1
	global_load_dword v8, v37, s[60:61]
	v_sub_u32_e32 v9, v55, v32
	s_waitcnt vmcnt(0)
	v_add_u32_e32 v8, v9, v8
	ds_write_b32 v37, v8
.LBB832_89:
	s_or_b64 exec, exec, s[40:41]
	v_add_u32_e32 v10, v84, v29
	v_add3_u32 v8, v30, v28, v75
	v_add3_u32 v9, v33, v31, v76
	;; [unrolled: 1-line block ×15, first 2 shown]
	v_mov_b32_e32 v88, 0x400
	s_movk_i32 s42, 0x400
	v_lshl_add_u32 v11, v11, 2, v88
	v_add3_u32 v12, v73, v49, v39
	v_lshl_add_u32 v13, v13, 2, v88
	v_add3_u32 v29, v71, v44, v69
	v_lshl_add_u32 v39, v87, 2, v88
	v_add3_u32 v41, v68, v41, v66
	v_lshl_add_u32 v44, v86, 2, v88
	v_add3_u32 v46, v65, v46, v63
	v_lshl_add_u32 v49, v85, 2, v88
	v_add3_u32 v52, v62, v52, v60
	v_lshl_add_u32 v55, v55, 2, v88
	v_add3_u32 v57, v59, v58, v57
	v_lshl_add_u32 v58, v84, 2, v88
	v_add3_u32 v54, v56, v83, v54
	v_lshl_add_u32 v56, v74, 2, v88
	v_add3_u32 v51, v53, v82, v51
	v_lshl_add_u32 v53, v72, 2, v88
	v_add3_u32 v48, v50, v81, v48
	v_lshl_add_u32 v50, v70, 2, v88
	v_add3_u32 v45, v47, v80, v45
	v_lshl_add_u32 v47, v67, 2, v88
	v_add3_u32 v42, v43, v79, v42
	v_lshl_add_u32 v43, v64, 2, v88
	v_add3_u32 v38, v40, v78, v38
	v_lshl_add_u32 v40, v61, 2, v88
	v_add3_u32 v35, v36, v77, v35
	v_lshl_add_u32 v36, v9, 2, v88
	v_add3_u32 v31, v33, v76, v31
	v_lshl_add_u32 v33, v8, 2, v88
	v_add3_u32 v28, v30, v75, v28
	v_lshl_add_u32 v30, v10, 2, v88
	s_mov_b32 s43, 0
	s_mov_b32 s46, 0
	s_movk_i32 s47, 0x1000
	v_mov_b32_e32 v9, 0
	s_movk_i32 s48, 0x800
	s_movk_i32 s49, 0xc00
	v_mov_b32_e32 v59, v2
	s_mov_b32 s50, 0
	s_branch .LBB832_91
.LBB832_90:                             ;   in Loop: Header=BB832_91 Depth=1
	s_or_b64 exec, exec, s[40:41]
	s_addk_i32 s50, 0xc000
	s_add_i32 s43, s43, 16
	s_addk_i32 s46, 0xf000
	s_cmp_eq_u32 s50, 0xffff0000
	v_add_u32_e32 v59, 0x1000, v59
	s_barrier
	s_cbranch_scc1 .LBB832_131
.LBB832_91:                             ; =>This Inner Loop Header: Depth=1
	v_add_u32_e32 v8, s46, v10
	v_cmp_gt_u32_e64 s[38:39], s47, v8
	s_and_saveexec_b64 s[40:41], s[38:39]
; %bb.92:                               ;   in Loop: Header=BB832_91 Depth=1
	v_add_u32_e32 v8, s50, v30
	ds_write_b32 v8, v5
; %bb.93:                               ;   in Loop: Header=BB832_91 Depth=1
	s_or_b64 exec, exec, s[40:41]
	v_add_u32_e32 v8, s46, v28
	v_cmp_gt_u32_e64 s[38:39], s47, v8
	s_and_saveexec_b64 s[40:41], s[38:39]
; %bb.94:                               ;   in Loop: Header=BB832_91 Depth=1
	v_add_u32_e32 v8, s50, v33
	ds_write_b32 v8, v14
; %bb.95:                               ;   in Loop: Header=BB832_91 Depth=1
	s_or_b64 exec, exec, s[40:41]
	;; [unrolled: 8-line block ×4, first 2 shown]
	v_add_u32_e32 v8, s46, v38
	v_cmp_gt_u32_e64 s[38:39], s47, v8
	s_and_saveexec_b64 s[40:41], s[38:39]
; %bb.100:                              ;   in Loop: Header=BB832_91 Depth=1
	v_add_u32_e32 v8, s50, v43
	ds_write_b32 v8, v17
; %bb.101:                              ;   in Loop: Header=BB832_91 Depth=1
	s_or_b64 exec, exec, s[40:41]
	v_add_u32_e32 v8, s46, v42
	v_cmp_gt_u32_e64 s[38:39], s47, v8
	s_and_saveexec_b64 s[40:41], s[38:39]
; %bb.102:                              ;   in Loop: Header=BB832_91 Depth=1
	v_add_u32_e32 v8, s50, v47
	ds_write_b32 v8, v16
; %bb.103:                              ;   in Loop: Header=BB832_91 Depth=1
	s_or_b64 exec, exec, s[40:41]
	;; [unrolled: 8-line block ×12, first 2 shown]
	v_cmp_gt_u32_e64 s[38:39], s3, v59
	s_waitcnt lgkmcnt(0)
	s_barrier
	s_and_saveexec_b64 s[40:41], s[38:39]
	s_cbranch_execz .LBB832_125
; %bb.124:                              ;   in Loop: Header=BB832_91 Depth=1
	ds_read_b32 v8, v37 offset:1024
	s_waitcnt lgkmcnt(0)
	v_lshrrev_b32_e32 v60, s64, v8
	v_and_b32_e32 v62, s71, v60
	v_lshlrev_b32_e32 v60, 2, v62
	ds_read_b32 v60, v60
	v_xor_b32_e32 v63, 0x80000000, v8
	s_waitcnt lgkmcnt(0)
	v_add_u32_e32 v8, v59, v60
	v_lshl_add_u64 v[60:61], v[8:9], 2, s[54:55]
	global_store_dword v[60:61], v63, off
	scratch_store_dword off, v62, s43
.LBB832_125:                            ;   in Loop: Header=BB832_91 Depth=1
	s_or_b64 exec, exec, s[40:41]
	v_add_u32_e32 v8, 0x400, v59
	v_cmp_gt_u32_e64 s[38:39], s3, v8
	s_and_saveexec_b64 s[40:41], s[38:39]
	s_cbranch_execz .LBB832_127
; %bb.126:                              ;   in Loop: Header=BB832_91 Depth=1
	ds_read_b32 v8, v37 offset:5120
	s_add_i32 s38, s43, 4
	s_waitcnt lgkmcnt(0)
	v_lshrrev_b32_e32 v60, s64, v8
	v_and_b32_e32 v62, s71, v60
	v_lshlrev_b32_e32 v60, 2, v62
	ds_read_b32 v60, v60
	v_xor_b32_e32 v63, 0x80000000, v8
	s_waitcnt lgkmcnt(0)
	v_add3_u32 v8, v59, v60, s42
	v_lshl_add_u64 v[60:61], v[8:9], 2, s[54:55]
	global_store_dword v[60:61], v63, off
	scratch_store_dword off, v62, s38
.LBB832_127:                            ;   in Loop: Header=BB832_91 Depth=1
	s_or_b64 exec, exec, s[40:41]
	v_add_u32_e32 v8, 0x800, v59
	v_cmp_gt_u32_e64 s[38:39], s3, v8
	s_and_saveexec_b64 s[40:41], s[38:39]
	s_cbranch_execz .LBB832_129
; %bb.128:                              ;   in Loop: Header=BB832_91 Depth=1
	ds_read_b32 v8, v37 offset:9216
	s_add_i32 s38, s43, 8
	s_waitcnt lgkmcnt(0)
	v_lshrrev_b32_e32 v60, s64, v8
	v_and_b32_e32 v62, s71, v60
	v_lshlrev_b32_e32 v60, 2, v62
	ds_read_b32 v60, v60
	v_xor_b32_e32 v63, 0x80000000, v8
	s_waitcnt lgkmcnt(0)
	v_add3_u32 v8, v59, v60, s48
	v_lshl_add_u64 v[60:61], v[8:9], 2, s[54:55]
	global_store_dword v[60:61], v63, off
	scratch_store_dword off, v62, s38
.LBB832_129:                            ;   in Loop: Header=BB832_91 Depth=1
	s_or_b64 exec, exec, s[40:41]
	v_add_u32_e32 v8, 0xc00, v59
	v_cmp_gt_u32_e64 s[38:39], s3, v8
	s_and_saveexec_b64 s[40:41], s[38:39]
	s_cbranch_execz .LBB832_90
; %bb.130:                              ;   in Loop: Header=BB832_91 Depth=1
	ds_read_b32 v8, v37 offset:13312
	s_add_i32 s38, s43, 12
	s_waitcnt lgkmcnt(0)
	v_lshrrev_b32_e32 v60, s64, v8
	v_and_b32_e32 v62, s71, v60
	v_lshlrev_b32_e32 v60, 2, v62
	ds_read_b32 v60, v60
	v_xor_b32_e32 v63, 0x80000000, v8
	s_waitcnt lgkmcnt(0)
	v_add3_u32 v8, v59, v60, s49
	v_lshl_add_u64 v[60:61], v[8:9], 2, s[54:55]
	global_store_dword v[60:61], v63, off
	scratch_store_dword off, v62, s38
	s_branch .LBB832_90
.LBB832_131:
	s_add_u32 s38, s56, s66
	s_addc_u32 s39, s57, s67
	v_mov_b32_e32 v5, 0
	v_lshl_add_u64 v[8:9], s[38:39], 0, v[4:5]
	v_mov_b32_e32 v7, v5
	v_lshl_add_u64 v[4:5], v[8:9], 0, v[6:7]
                                        ; implicit-def: $vgpr6
	s_and_saveexec_b64 s[38:39], vcc
	s_cbranch_execz .LBB832_147
; %bb.132:
	global_load_dword v6, v[4:5], off
	s_or_b64 exec, exec, s[38:39]
                                        ; implicit-def: $vgpr7
	s_and_saveexec_b64 s[38:39], s[4:5]
	s_cbranch_execnz .LBB832_148
.LBB832_133:
	s_or_b64 exec, exec, s[38:39]
                                        ; implicit-def: $vgpr8
	s_and_saveexec_b64 s[4:5], s[6:7]
	s_cbranch_execz .LBB832_149
.LBB832_134:
	global_load_dword v8, v[4:5], off offset:512
	s_or_b64 exec, exec, s[4:5]
                                        ; implicit-def: $vgpr9
	s_and_saveexec_b64 s[4:5], s[8:9]
	s_cbranch_execnz .LBB832_150
.LBB832_135:
	s_or_b64 exec, exec, s[4:5]
                                        ; implicit-def: $vgpr14
	s_and_saveexec_b64 s[4:5], s[10:11]
	s_cbranch_execz .LBB832_151
.LBB832_136:
	global_load_dword v14, v[4:5], off offset:1024
	s_or_b64 exec, exec, s[4:5]
                                        ; implicit-def: $vgpr15
	s_and_saveexec_b64 s[4:5], s[12:13]
	s_cbranch_execnz .LBB832_152
.LBB832_137:
	s_or_b64 exec, exec, s[4:5]
                                        ; implicit-def: $vgpr16
	s_and_saveexec_b64 s[4:5], s[14:15]
	s_cbranch_execz .LBB832_153
.LBB832_138:
	global_load_dword v16, v[4:5], off offset:1536
	s_or_b64 exec, exec, s[4:5]
                                        ; implicit-def: $vgpr17
	s_and_saveexec_b64 s[4:5], s[16:17]
	s_cbranch_execnz .LBB832_154
.LBB832_139:
	s_or_b64 exec, exec, s[4:5]
                                        ; implicit-def: $vgpr18
	s_and_saveexec_b64 s[4:5], s[18:19]
	s_cbranch_execz .LBB832_155
.LBB832_140:
	global_load_dword v18, v[4:5], off offset:2048
	s_or_b64 exec, exec, s[4:5]
                                        ; implicit-def: $vgpr19
	s_and_saveexec_b64 s[4:5], s[20:21]
	s_cbranch_execnz .LBB832_156
.LBB832_141:
	s_or_b64 exec, exec, s[4:5]
                                        ; implicit-def: $vgpr20
	s_and_saveexec_b64 s[4:5], s[22:23]
	s_cbranch_execz .LBB832_157
.LBB832_142:
	global_load_dword v20, v[4:5], off offset:2560
	s_or_b64 exec, exec, s[4:5]
                                        ; implicit-def: $vgpr21
	s_and_saveexec_b64 s[4:5], s[24:25]
	s_cbranch_execnz .LBB832_158
.LBB832_143:
	s_or_b64 exec, exec, s[4:5]
                                        ; implicit-def: $vgpr22
	s_and_saveexec_b64 s[4:5], s[26:27]
	s_cbranch_execz .LBB832_159
.LBB832_144:
	global_load_dword v22, v[4:5], off offset:3072
	s_or_b64 exec, exec, s[4:5]
                                        ; implicit-def: $vgpr23
	s_and_saveexec_b64 s[4:5], s[28:29]
	s_cbranch_execnz .LBB832_160
.LBB832_145:
	s_or_b64 exec, exec, s[4:5]
                                        ; implicit-def: $vgpr24
	s_and_saveexec_b64 s[4:5], s[30:31]
	s_cbranch_execz .LBB832_161
.LBB832_146:
	global_load_dword v24, v[4:5], off offset:3584
	s_or_b64 exec, exec, s[4:5]
                                        ; implicit-def: $vgpr25
	s_and_saveexec_b64 s[4:5], s[34:35]
	s_cbranch_execnz .LBB832_162
	s_branch .LBB832_163
.LBB832_147:
	s_or_b64 exec, exec, s[38:39]
                                        ; implicit-def: $vgpr7
	s_and_saveexec_b64 s[38:39], s[4:5]
	s_cbranch_execz .LBB832_133
.LBB832_148:
	global_load_dword v7, v[4:5], off offset:256
	s_or_b64 exec, exec, s[38:39]
                                        ; implicit-def: $vgpr8
	s_and_saveexec_b64 s[4:5], s[6:7]
	s_cbranch_execnz .LBB832_134
.LBB832_149:
	s_or_b64 exec, exec, s[4:5]
                                        ; implicit-def: $vgpr9
	s_and_saveexec_b64 s[4:5], s[8:9]
	s_cbranch_execz .LBB832_135
.LBB832_150:
	global_load_dword v9, v[4:5], off offset:768
	s_or_b64 exec, exec, s[4:5]
                                        ; implicit-def: $vgpr14
	s_and_saveexec_b64 s[4:5], s[10:11]
	s_cbranch_execnz .LBB832_136
.LBB832_151:
	s_or_b64 exec, exec, s[4:5]
                                        ; implicit-def: $vgpr15
	s_and_saveexec_b64 s[4:5], s[12:13]
	s_cbranch_execz .LBB832_137
.LBB832_152:
	global_load_dword v15, v[4:5], off offset:1280
	s_or_b64 exec, exec, s[4:5]
                                        ; implicit-def: $vgpr16
	s_and_saveexec_b64 s[4:5], s[14:15]
	s_cbranch_execnz .LBB832_138
.LBB832_153:
	s_or_b64 exec, exec, s[4:5]
                                        ; implicit-def: $vgpr17
	s_and_saveexec_b64 s[4:5], s[16:17]
	s_cbranch_execz .LBB832_139
.LBB832_154:
	global_load_dword v17, v[4:5], off offset:1792
	s_or_b64 exec, exec, s[4:5]
                                        ; implicit-def: $vgpr18
	s_and_saveexec_b64 s[4:5], s[18:19]
	s_cbranch_execnz .LBB832_140
.LBB832_155:
	s_or_b64 exec, exec, s[4:5]
                                        ; implicit-def: $vgpr19
	s_and_saveexec_b64 s[4:5], s[20:21]
	s_cbranch_execz .LBB832_141
.LBB832_156:
	global_load_dword v19, v[4:5], off offset:2304
	s_or_b64 exec, exec, s[4:5]
                                        ; implicit-def: $vgpr20
	s_and_saveexec_b64 s[4:5], s[22:23]
	s_cbranch_execnz .LBB832_142
.LBB832_157:
	s_or_b64 exec, exec, s[4:5]
                                        ; implicit-def: $vgpr21
	s_and_saveexec_b64 s[4:5], s[24:25]
	s_cbranch_execz .LBB832_143
.LBB832_158:
	global_load_dword v21, v[4:5], off offset:2816
	s_or_b64 exec, exec, s[4:5]
                                        ; implicit-def: $vgpr22
	s_and_saveexec_b64 s[4:5], s[26:27]
	s_cbranch_execnz .LBB832_144
.LBB832_159:
	s_or_b64 exec, exec, s[4:5]
                                        ; implicit-def: $vgpr23
	s_and_saveexec_b64 s[4:5], s[28:29]
	s_cbranch_execz .LBB832_145
.LBB832_160:
	global_load_dword v23, v[4:5], off offset:3328
	s_or_b64 exec, exec, s[4:5]
                                        ; implicit-def: $vgpr24
	s_and_saveexec_b64 s[4:5], s[30:31]
	s_cbranch_execnz .LBB832_146
.LBB832_161:
	s_or_b64 exec, exec, s[4:5]
                                        ; implicit-def: $vgpr25
	s_and_saveexec_b64 s[4:5], s[34:35]
	s_cbranch_execz .LBB832_163
.LBB832_162:
	global_load_dword v25, v[4:5], off offset:3840
.LBB832_163:
	s_or_b64 exec, exec, s[4:5]
	s_mov_b32 s6, 0
	s_mov_b32 s7, 0
	s_movk_i32 s8, 0x1000
	v_mov_b32_e32 v5, 0
	s_movk_i32 s9, 0x400
	s_movk_i32 s10, 0x800
	;; [unrolled: 1-line block ×3, first 2 shown]
	s_mov_b32 s12, 0
	v_mov_b32_e32 v26, v2
	s_branch .LBB832_165
.LBB832_164:                            ;   in Loop: Header=BB832_165 Depth=1
	s_or_b64 exec, exec, s[4:5]
	s_addk_i32 s12, 0xc000
	s_addk_i32 s7, 0xf000
	s_add_i32 s6, s6, 16
	s_cmp_eq_u32 s12, 0xffff0000
	v_add_u32_e32 v26, 0x1000, v26
	s_barrier
	s_cbranch_scc1 .LBB832_205
.LBB832_165:                            ; =>This Inner Loop Header: Depth=1
	v_add_u32_e32 v4, s7, v10
	v_cmp_gt_u32_e32 vcc, s8, v4
	s_and_saveexec_b64 s[4:5], vcc
	s_cbranch_execz .LBB832_167
; %bb.166:                              ;   in Loop: Header=BB832_165 Depth=1
	v_add_u32_e32 v4, s12, v30
	s_waitcnt vmcnt(0)
	ds_write_b32 v4, v6
.LBB832_167:                            ;   in Loop: Header=BB832_165 Depth=1
	s_or_b64 exec, exec, s[4:5]
	v_add_u32_e32 v4, s7, v28
	v_cmp_gt_u32_e32 vcc, s8, v4
	s_and_saveexec_b64 s[4:5], vcc
	s_cbranch_execz .LBB832_169
; %bb.168:                              ;   in Loop: Header=BB832_165 Depth=1
	v_add_u32_e32 v4, s12, v33
	s_waitcnt vmcnt(0)
	ds_write_b32 v4, v7
.LBB832_169:                            ;   in Loop: Header=BB832_165 Depth=1
	s_or_b64 exec, exec, s[4:5]
	;; [unrolled: 10-line block ×16, first 2 shown]
	v_cmp_gt_u32_e32 vcc, s3, v26
	s_waitcnt lgkmcnt(0)
	s_barrier
	s_and_saveexec_b64 s[4:5], vcc
	s_cbranch_execz .LBB832_199
; %bb.198:                              ;   in Loop: Header=BB832_165 Depth=1
	scratch_load_dword v4, off, s6
	s_waitcnt vmcnt(0)
	v_lshlrev_b32_e32 v4, 2, v4
	ds_read_b32 v4, v4
	ds_read_b32 v27, v37 offset:1024
	s_waitcnt lgkmcnt(1)
	v_add_u32_e32 v4, v26, v4
	v_lshl_add_u64 v[60:61], v[4:5], 2, s[58:59]
	s_waitcnt lgkmcnt(0)
	global_store_dword v[60:61], v27, off
.LBB832_199:                            ;   in Loop: Header=BB832_165 Depth=1
	s_or_b64 exec, exec, s[4:5]
	v_add_u32_e32 v4, 0x400, v26
	v_cmp_gt_u32_e32 vcc, s3, v4
	s_and_saveexec_b64 s[4:5], vcc
	s_cbranch_execz .LBB832_201
; %bb.200:                              ;   in Loop: Header=BB832_165 Depth=1
	s_add_i32 s13, s6, 4
	scratch_load_dword v4, off, s13
	s_waitcnt vmcnt(0)
	v_lshlrev_b32_e32 v4, 2, v4
	ds_read_b32 v4, v4
	ds_read_b32 v27, v37 offset:5120
	s_waitcnt lgkmcnt(1)
	v_add3_u32 v4, v26, v4, s9
	v_lshl_add_u64 v[60:61], v[4:5], 2, s[58:59]
	s_waitcnt lgkmcnt(0)
	global_store_dword v[60:61], v27, off
.LBB832_201:                            ;   in Loop: Header=BB832_165 Depth=1
	s_or_b64 exec, exec, s[4:5]
	v_add_u32_e32 v4, 0x800, v26
	v_cmp_gt_u32_e32 vcc, s3, v4
	s_and_saveexec_b64 s[4:5], vcc
	s_cbranch_execz .LBB832_203
; %bb.202:                              ;   in Loop: Header=BB832_165 Depth=1
	s_add_i32 s13, s6, 8
	scratch_load_dword v4, off, s13
	s_waitcnt vmcnt(0)
	v_lshlrev_b32_e32 v4, 2, v4
	ds_read_b32 v4, v4
	ds_read_b32 v27, v37 offset:9216
	s_waitcnt lgkmcnt(1)
	v_add3_u32 v4, v26, v4, s10
	v_lshl_add_u64 v[60:61], v[4:5], 2, s[58:59]
	s_waitcnt lgkmcnt(0)
	global_store_dword v[60:61], v27, off
.LBB832_203:                            ;   in Loop: Header=BB832_165 Depth=1
	s_or_b64 exec, exec, s[4:5]
	v_add_u32_e32 v4, 0xc00, v26
	v_cmp_gt_u32_e32 vcc, s3, v4
	s_and_saveexec_b64 s[4:5], vcc
	s_cbranch_execz .LBB832_164
; %bb.204:                              ;   in Loop: Header=BB832_165 Depth=1
	s_add_i32 s13, s6, 12
	scratch_load_dword v4, off, s13
	s_waitcnt vmcnt(0)
	v_lshlrev_b32_e32 v4, 2, v4
	ds_read_b32 v4, v4
	ds_read_b32 v27, v37 offset:13312
	s_waitcnt lgkmcnt(1)
	v_add3_u32 v4, v26, v4, s11
	v_lshl_add_u64 v[60:61], v[4:5], 2, s[58:59]
	s_waitcnt lgkmcnt(0)
	global_store_dword v[60:61], v27, off
	s_branch .LBB832_164
.LBB832_205:
	s_add_i32 s70, s70, -1
	s_cmp_eq_u32 s33, s70
	s_cselect_b64 s[4:5], -1, 0
	s_xor_b64 s[6:7], s[36:37], -1
	s_and_b64 s[6:7], s[6:7], s[4:5]
	s_and_saveexec_b64 s[4:5], s[6:7]
	s_cbranch_execz .LBB832_207
; %bb.206:
	ds_read_b32 v4, v37
	s_waitcnt lgkmcnt(0)
	v_add3_u32 v4, v32, v34, v4
	global_store_dword v37, v4, s[62:63]
.LBB832_207:
	s_or_b64 exec, exec, s[4:5]
	s_mov_b64 s[4:5], 0
.LBB832_208:
	s_and_b64 vcc, exec, s[4:5]
	s_cbranch_vccz .LBB832_331
; %bb.209:
	s_lshl_b32 s4, s33, 14
	s_mov_b32 s5, 0
	s_load_dword s12, s[0:1], 0x58
	s_load_dword s3, s[0:1], 0x64
	s_lshl_b64 s[8:9], s[4:5], 2
	v_mbcnt_hi_u32_b32 v10, -1, v3
	s_add_u32 s4, s52, s8
	v_and_b32_e32 v3, 63, v10
	s_waitcnt vmcnt(0)
	v_and_b32_e32 v6, 0x3c00, v1
	v_mov_b32_e32 v1, 0
	s_addc_u32 s5, s53, s9
	v_lshlrev_b32_e32 v4, 2, v3
	v_mov_b32_e32 v5, v1
	v_lshl_add_u64 v[8:9], s[4:5], 0, v[4:5]
	v_lshlrev_b32_e32 v6, 2, v6
	v_mov_b32_e32 v7, v1
	s_add_u32 s0, s0, 0x58
	v_lshl_add_u64 v[8:9], v[8:9], 0, v[6:7]
	s_addc_u32 s1, s1, 0
	s_waitcnt lgkmcnt(0)
	s_lshr_b32 s3, s3, 16
	global_load_dword v3, v[8:9], off
	s_cmp_lt_u32 s2, s12
	s_cselect_b32 s2, 12, 18
	s_add_u32 s0, s0, s2
	s_addc_u32 s1, s1, 0
	global_load_ushort v13, v1, s[0:1]
	v_mul_u32_u24_e32 v11, 20, v2
	ds_write2_b32 v11, v1, v1 offset0:16 offset1:17
	ds_write2_b32 v11, v1, v1 offset0:18 offset1:19
	ds_write_b32 v11, v1 offset:80
	global_load_dword v5, v[8:9], off offset:256
	global_load_dword v7, v[8:9], off offset:512
	;; [unrolled: 1-line block ×15, first 2 shown]
	v_bfe_u32 v14, v0, 10, 10
	v_bfe_u32 v0, v0, 20, 10
	v_mad_u32_u24 v8, v0, s3, v14
	s_lshl_b32 s0, -1, s65
	v_mov_b32_e32 v16, v1
	v_mov_b32_e32 v26, v1
	s_not_b32 s13, s0
	v_mov_b32_e32 v20, v1
	s_movk_i32 s6, 0x44
	s_waitcnt lgkmcnt(0)
	s_barrier
	s_waitcnt vmcnt(16)
	; wave barrier
	v_xor_b32_e32 v3, 0x80000000, v3
	v_lshrrev_b32_e32 v0, s64, v3
	v_bitop3_b32 v14, v0, s0, v0 bitop3:0x30
	v_and_b32_e32 v0, 1, v14
	v_lshlrev_b32_e32 v17, 30, v14
	v_lshlrev_b32_e32 v21, 29, v14
	;; [unrolled: 1-line block ×3, first 2 shown]
	s_waitcnt vmcnt(15)
	v_mad_u64_u32 v[8:9], s[0:1], v8, v13, v[2:3]
	v_lshl_add_u64 v[32:33], v[0:1], 0, -1
	v_cmp_ne_u32_e32 vcc, 0, v0
	v_not_b32_e32 v0, v17
	v_cmp_gt_i64_e64 s[0:1], 0, v[16:17]
	v_not_b32_e32 v9, v21
	v_cmp_gt_i64_e64 s[4:5], 0, v[26:27]
	v_not_b32_e32 v13, v27
	v_lshrrev_b32_e32 v27, 6, v8
	v_xor_b32_e32 v8, vcc_hi, v33
	v_ashrrev_i32_e32 v0, 31, v0
	v_cmp_gt_i64_e64 s[2:3], 0, v[20:21]
	v_xor_b32_e32 v16, vcc_lo, v32
	v_ashrrev_i32_e32 v9, 31, v9
	v_and_b32_e32 v8, exec_hi, v8
	v_xor_b32_e32 v17, s1, v0
	v_ashrrev_i32_e32 v13, 31, v13
	v_and_b32_e32 v16, exec_lo, v16
	v_xor_b32_e32 v0, s0, v0
	v_xor_b32_e32 v20, s3, v9
	v_and_b32_e32 v8, v8, v17
	v_xor_b32_e32 v9, s2, v9
	v_xor_b32_e32 v21, s5, v13
	v_and_b32_e32 v0, v16, v0
	v_and_b32_e32 v8, v8, v20
	;; [unrolled: 1-line block ×4, first 2 shown]
	v_lshlrev_b32_e32 v9, 27, v14
	v_mov_b32_e32 v8, v1
	v_cmp_gt_i64_e32 vcc, 0, v[8:9]
	v_not_b32_e32 v8, v9
	v_xor_b32_e32 v13, s4, v13
	v_ashrrev_i32_e32 v8, 31, v8
	v_and_b32_e32 v0, v0, v13
	v_xor_b32_e32 v9, vcc_hi, v8
	v_xor_b32_e32 v8, vcc_lo, v8
	v_and_b32_e32 v13, v16, v9
	v_and_b32_e32 v0, v0, v8
	v_lshlrev_b32_e32 v9, 26, v14
	v_mov_b32_e32 v8, v1
	v_cmp_gt_i64_e32 vcc, 0, v[8:9]
	v_not_b32_e32 v8, v9
	v_ashrrev_i32_e32 v8, 31, v8
	v_xor_b32_e32 v9, vcc_hi, v8
	v_xor_b32_e32 v8, vcc_lo, v8
	v_and_b32_e32 v13, v13, v9
	v_and_b32_e32 v0, v0, v8
	v_lshlrev_b32_e32 v9, 25, v14
	v_mov_b32_e32 v8, v1
	v_cmp_gt_i64_e32 vcc, 0, v[8:9]
	v_not_b32_e32 v8, v9
	v_ashrrev_i32_e32 v8, 31, v8
	;; [unrolled: 9-line block ×3, first 2 shown]
	v_xor_b32_e32 v9, vcc_hi, v8
	v_xor_b32_e32 v8, vcc_lo, v8
	v_and_b32_e32 v8, v0, v8
	v_and_b32_e32 v9, v13, v9
	v_mbcnt_lo_u32_b32 v0, v8, 0
	v_mul_lo_u32 v18, v14, s6
	v_mbcnt_hi_u32_b32 v14, v9, v0
	v_cmp_eq_u32_e32 vcc, 0, v14
	v_cmp_ne_u64_e64 s[0:1], 0, v[8:9]
	v_lshl_add_u32 v18, v27, 2, v18
	s_and_b64 s[2:3], s[0:1], vcc
	s_and_saveexec_b64 s[0:1], s[2:3]
; %bb.210:
	v_bcnt_u32_b32 v0, v8, 0
	v_bcnt_u32_b32 v0, v9, v0
	ds_write_b32 v18, v0 offset:64
; %bb.211:
	s_or_b64 exec, exec, s[0:1]
	s_waitcnt vmcnt(14)
	v_xor_b32_e32 v5, 0x80000000, v5
	v_lshrrev_b32_e32 v0, s64, v5
	v_and_b32_e32 v16, s13, v0
	v_mul_lo_u32 v0, v16, s6
	v_lshl_add_u32 v21, v27, 2, v0
	v_and_b32_e32 v0, 1, v16
	v_lshl_add_u64 v[8:9], v[0:1], 0, -1
	v_cmp_ne_u32_e32 vcc, 0, v0
	; wave barrier
	s_nop 1
	v_xor_b32_e32 v8, vcc_lo, v8
	v_xor_b32_e32 v0, vcc_hi, v9
	v_and_b32_e32 v17, exec_lo, v8
	v_lshlrev_b32_e32 v9, 30, v16
	v_mov_b32_e32 v8, v1
	v_cmp_gt_i64_e32 vcc, 0, v[8:9]
	v_not_b32_e32 v8, v9
	v_ashrrev_i32_e32 v8, 31, v8
	v_and_b32_e32 v0, exec_hi, v0
	v_xor_b32_e32 v9, vcc_hi, v8
	v_xor_b32_e32 v8, vcc_lo, v8
	v_and_b32_e32 v0, v0, v9
	v_and_b32_e32 v17, v17, v8
	v_lshlrev_b32_e32 v9, 29, v16
	v_mov_b32_e32 v8, v1
	v_cmp_gt_i64_e32 vcc, 0, v[8:9]
	v_not_b32_e32 v8, v9
	v_ashrrev_i32_e32 v8, 31, v8
	v_xor_b32_e32 v9, vcc_hi, v8
	v_xor_b32_e32 v8, vcc_lo, v8
	v_and_b32_e32 v0, v0, v9
	v_and_b32_e32 v17, v17, v8
	v_lshlrev_b32_e32 v9, 28, v16
	v_mov_b32_e32 v8, v1
	v_cmp_gt_i64_e32 vcc, 0, v[8:9]
	v_not_b32_e32 v8, v9
	v_ashrrev_i32_e32 v8, 31, v8
	;; [unrolled: 9-line block ×5, first 2 shown]
	v_xor_b32_e32 v9, vcc_hi, v8
	v_xor_b32_e32 v8, vcc_lo, v8
	v_and_b32_e32 v0, v0, v9
	v_lshlrev_b32_e32 v9, 24, v16
	v_and_b32_e32 v17, v17, v8
	v_mov_b32_e32 v8, v1
	v_not_b32_e32 v1, v9
	v_cmp_gt_i64_e32 vcc, 0, v[8:9]
	v_ashrrev_i32_e32 v1, 31, v1
	ds_read_b32 v13, v21 offset:64
	v_xor_b32_e32 v8, vcc_hi, v1
	v_xor_b32_e32 v9, vcc_lo, v1
	v_and_b32_e32 v1, v0, v8
	v_and_b32_e32 v0, v17, v9
	v_mbcnt_lo_u32_b32 v8, v0, 0
	v_mbcnt_hi_u32_b32 v16, v1, v8
	v_cmp_eq_u32_e32 vcc, 0, v16
	v_cmp_ne_u64_e64 s[0:1], 0, v[0:1]
	s_and_b64 s[2:3], s[0:1], vcc
	; wave barrier
	s_and_saveexec_b64 s[0:1], s[2:3]
	s_cbranch_execz .LBB832_213
; %bb.212:
	v_bcnt_u32_b32 v0, v0, 0
	v_bcnt_u32_b32 v0, v1, v0
	s_waitcnt lgkmcnt(0)
	v_add_u32_e32 v0, v13, v0
	ds_write_b32 v21, v0 offset:64
.LBB832_213:
	s_or_b64 exec, exec, s[0:1]
	s_waitcnt vmcnt(13)
	v_xor_b32_e32 v7, 0x80000000, v7
	v_lshrrev_b32_e32 v0, s64, v7
	v_and_b32_e32 v20, s13, v0
	s_movk_i32 s2, 0x44
	v_mul_lo_u32 v0, v20, s2
	v_lshl_add_u32 v26, v27, 2, v0
	v_and_b32_e32 v0, 1, v20
	v_mov_b32_e32 v1, 0
	v_lshl_add_u64 v[8:9], v[0:1], 0, -1
	v_cmp_ne_u32_e32 vcc, 0, v0
	; wave barrier
	s_nop 1
	v_xor_b32_e32 v8, vcc_lo, v8
	v_xor_b32_e32 v0, vcc_hi, v9
	v_and_b32_e32 v22, exec_lo, v8
	v_lshlrev_b32_e32 v9, 30, v20
	v_mov_b32_e32 v8, v1
	v_cmp_gt_i64_e32 vcc, 0, v[8:9]
	v_not_b32_e32 v8, v9
	v_ashrrev_i32_e32 v8, 31, v8
	v_and_b32_e32 v0, exec_hi, v0
	v_xor_b32_e32 v9, vcc_hi, v8
	v_xor_b32_e32 v8, vcc_lo, v8
	v_and_b32_e32 v0, v0, v9
	v_and_b32_e32 v22, v22, v8
	v_lshlrev_b32_e32 v9, 29, v20
	v_mov_b32_e32 v8, v1
	v_cmp_gt_i64_e32 vcc, 0, v[8:9]
	v_not_b32_e32 v8, v9
	v_ashrrev_i32_e32 v8, 31, v8
	v_xor_b32_e32 v9, vcc_hi, v8
	v_xor_b32_e32 v8, vcc_lo, v8
	v_and_b32_e32 v0, v0, v9
	v_and_b32_e32 v22, v22, v8
	v_lshlrev_b32_e32 v9, 28, v20
	v_mov_b32_e32 v8, v1
	v_cmp_gt_i64_e32 vcc, 0, v[8:9]
	v_not_b32_e32 v8, v9
	v_ashrrev_i32_e32 v8, 31, v8
	v_xor_b32_e32 v9, vcc_hi, v8
	v_xor_b32_e32 v8, vcc_lo, v8
	v_and_b32_e32 v0, v0, v9
	v_and_b32_e32 v22, v22, v8
	v_lshlrev_b32_e32 v9, 27, v20
	v_mov_b32_e32 v8, v1
	v_cmp_gt_i64_e32 vcc, 0, v[8:9]
	v_not_b32_e32 v8, v9
	v_ashrrev_i32_e32 v8, 31, v8
	v_xor_b32_e32 v9, vcc_hi, v8
	v_xor_b32_e32 v8, vcc_lo, v8
	v_and_b32_e32 v0, v0, v9
	v_and_b32_e32 v22, v22, v8
	v_lshlrev_b32_e32 v9, 26, v20
	v_mov_b32_e32 v8, v1
	v_cmp_gt_i64_e32 vcc, 0, v[8:9]
	v_not_b32_e32 v8, v9
	v_ashrrev_i32_e32 v8, 31, v8
	v_xor_b32_e32 v9, vcc_hi, v8
	v_xor_b32_e32 v8, vcc_lo, v8
	v_and_b32_e32 v0, v0, v9
	v_and_b32_e32 v22, v22, v8
	v_lshlrev_b32_e32 v9, 25, v20
	v_mov_b32_e32 v8, v1
	v_cmp_gt_i64_e32 vcc, 0, v[8:9]
	v_not_b32_e32 v8, v9
	v_ashrrev_i32_e32 v8, 31, v8
	v_xor_b32_e32 v9, vcc_hi, v8
	v_xor_b32_e32 v8, vcc_lo, v8
	v_and_b32_e32 v0, v0, v9
	v_and_b32_e32 v22, v22, v8
	v_lshlrev_b32_e32 v9, 24, v20
	v_mov_b32_e32 v8, v1
	v_cmp_gt_i64_e32 vcc, 0, v[8:9]
	v_not_b32_e32 v8, v9
	v_ashrrev_i32_e32 v8, 31, v8
	v_xor_b32_e32 v9, vcc_hi, v8
	v_xor_b32_e32 v8, vcc_lo, v8
	ds_read_b32 v17, v26 offset:64
	v_and_b32_e32 v8, v22, v8
	v_and_b32_e32 v9, v0, v9
	v_mbcnt_lo_u32_b32 v0, v8, 0
	v_mbcnt_hi_u32_b32 v20, v9, v0
	v_cmp_eq_u32_e32 vcc, 0, v20
	v_cmp_ne_u64_e64 s[0:1], 0, v[8:9]
	s_and_b64 s[4:5], s[0:1], vcc
	; wave barrier
	s_and_saveexec_b64 s[0:1], s[4:5]
	s_cbranch_execz .LBB832_215
; %bb.214:
	v_bcnt_u32_b32 v0, v8, 0
	v_bcnt_u32_b32 v0, v9, v0
	s_waitcnt lgkmcnt(0)
	v_add_u32_e32 v0, v17, v0
	ds_write_b32 v26, v0 offset:64
.LBB832_215:
	s_or_b64 exec, exec, s[0:1]
	s_waitcnt vmcnt(12)
	v_xor_b32_e32 v12, 0x80000000, v12
	v_lshrrev_b32_e32 v0, s64, v12
	v_and_b32_e32 v24, s13, v0
	v_mul_lo_u32 v0, v24, s2
	v_lshl_add_u32 v32, v27, 2, v0
	v_and_b32_e32 v0, 1, v24
	v_lshl_add_u64 v[8:9], v[0:1], 0, -1
	v_cmp_ne_u32_e32 vcc, 0, v0
	; wave barrier
	s_nop 1
	v_xor_b32_e32 v8, vcc_lo, v8
	v_xor_b32_e32 v0, vcc_hi, v9
	v_and_b32_e32 v28, exec_lo, v8
	v_lshlrev_b32_e32 v9, 30, v24
	v_mov_b32_e32 v8, v1
	v_cmp_gt_i64_e32 vcc, 0, v[8:9]
	v_not_b32_e32 v8, v9
	v_ashrrev_i32_e32 v8, 31, v8
	v_and_b32_e32 v0, exec_hi, v0
	v_xor_b32_e32 v9, vcc_hi, v8
	v_xor_b32_e32 v8, vcc_lo, v8
	v_and_b32_e32 v0, v0, v9
	v_and_b32_e32 v28, v28, v8
	v_lshlrev_b32_e32 v9, 29, v24
	v_mov_b32_e32 v8, v1
	v_cmp_gt_i64_e32 vcc, 0, v[8:9]
	v_not_b32_e32 v8, v9
	v_ashrrev_i32_e32 v8, 31, v8
	v_xor_b32_e32 v9, vcc_hi, v8
	v_xor_b32_e32 v8, vcc_lo, v8
	v_and_b32_e32 v0, v0, v9
	v_and_b32_e32 v28, v28, v8
	v_lshlrev_b32_e32 v9, 28, v24
	v_mov_b32_e32 v8, v1
	v_cmp_gt_i64_e32 vcc, 0, v[8:9]
	v_not_b32_e32 v8, v9
	v_ashrrev_i32_e32 v8, 31, v8
	;; [unrolled: 9-line block ×5, first 2 shown]
	v_xor_b32_e32 v9, vcc_hi, v8
	v_xor_b32_e32 v8, vcc_lo, v8
	v_and_b32_e32 v0, v0, v9
	v_lshlrev_b32_e32 v9, 24, v24
	v_and_b32_e32 v28, v28, v8
	v_mov_b32_e32 v8, v1
	v_not_b32_e32 v1, v9
	v_cmp_gt_i64_e32 vcc, 0, v[8:9]
	v_ashrrev_i32_e32 v1, 31, v1
	ds_read_b32 v22, v32 offset:64
	v_xor_b32_e32 v8, vcc_hi, v1
	v_xor_b32_e32 v9, vcc_lo, v1
	v_and_b32_e32 v1, v0, v8
	v_and_b32_e32 v0, v28, v9
	v_mbcnt_lo_u32_b32 v8, v0, 0
	v_mbcnt_hi_u32_b32 v24, v1, v8
	v_cmp_eq_u32_e32 vcc, 0, v24
	v_cmp_ne_u64_e64 s[0:1], 0, v[0:1]
	s_and_b64 s[2:3], s[0:1], vcc
	; wave barrier
	s_and_saveexec_b64 s[0:1], s[2:3]
	s_cbranch_execz .LBB832_217
; %bb.216:
	v_bcnt_u32_b32 v0, v0, 0
	v_bcnt_u32_b32 v0, v1, v0
	s_waitcnt lgkmcnt(0)
	v_add_u32_e32 v0, v22, v0
	ds_write_b32 v32, v0 offset:64
.LBB832_217:
	s_or_b64 exec, exec, s[0:1]
	s_waitcnt vmcnt(11)
	v_xor_b32_e32 v15, 0x80000000, v15
	v_lshrrev_b32_e32 v0, s64, v15
	v_and_b32_e32 v30, s13, v0
	s_movk_i32 s2, 0x44
	v_mul_lo_u32 v0, v30, s2
	v_lshl_add_u32 v37, v27, 2, v0
	v_and_b32_e32 v0, 1, v30
	v_mov_b32_e32 v1, 0
	v_lshl_add_u64 v[8:9], v[0:1], 0, -1
	v_cmp_ne_u32_e32 vcc, 0, v0
	; wave barrier
	s_nop 1
	v_xor_b32_e32 v8, vcc_lo, v8
	v_xor_b32_e32 v0, vcc_hi, v9
	v_and_b32_e32 v33, exec_lo, v8
	v_lshlrev_b32_e32 v9, 30, v30
	v_mov_b32_e32 v8, v1
	v_cmp_gt_i64_e32 vcc, 0, v[8:9]
	v_not_b32_e32 v8, v9
	v_ashrrev_i32_e32 v8, 31, v8
	v_and_b32_e32 v0, exec_hi, v0
	v_xor_b32_e32 v9, vcc_hi, v8
	v_xor_b32_e32 v8, vcc_lo, v8
	v_and_b32_e32 v0, v0, v9
	v_and_b32_e32 v33, v33, v8
	v_lshlrev_b32_e32 v9, 29, v30
	v_mov_b32_e32 v8, v1
	v_cmp_gt_i64_e32 vcc, 0, v[8:9]
	v_not_b32_e32 v8, v9
	v_ashrrev_i32_e32 v8, 31, v8
	v_xor_b32_e32 v9, vcc_hi, v8
	v_xor_b32_e32 v8, vcc_lo, v8
	v_and_b32_e32 v0, v0, v9
	v_and_b32_e32 v33, v33, v8
	v_lshlrev_b32_e32 v9, 28, v30
	v_mov_b32_e32 v8, v1
	v_cmp_gt_i64_e32 vcc, 0, v[8:9]
	v_not_b32_e32 v8, v9
	v_ashrrev_i32_e32 v8, 31, v8
	v_xor_b32_e32 v9, vcc_hi, v8
	v_xor_b32_e32 v8, vcc_lo, v8
	v_and_b32_e32 v0, v0, v9
	v_and_b32_e32 v33, v33, v8
	v_lshlrev_b32_e32 v9, 27, v30
	v_mov_b32_e32 v8, v1
	v_cmp_gt_i64_e32 vcc, 0, v[8:9]
	v_not_b32_e32 v8, v9
	v_ashrrev_i32_e32 v8, 31, v8
	v_xor_b32_e32 v9, vcc_hi, v8
	v_xor_b32_e32 v8, vcc_lo, v8
	v_and_b32_e32 v0, v0, v9
	v_and_b32_e32 v33, v33, v8
	v_lshlrev_b32_e32 v9, 26, v30
	v_mov_b32_e32 v8, v1
	v_cmp_gt_i64_e32 vcc, 0, v[8:9]
	v_not_b32_e32 v8, v9
	v_ashrrev_i32_e32 v8, 31, v8
	v_xor_b32_e32 v9, vcc_hi, v8
	v_xor_b32_e32 v8, vcc_lo, v8
	v_and_b32_e32 v0, v0, v9
	v_and_b32_e32 v33, v33, v8
	v_lshlrev_b32_e32 v9, 25, v30
	v_mov_b32_e32 v8, v1
	v_cmp_gt_i64_e32 vcc, 0, v[8:9]
	v_not_b32_e32 v8, v9
	v_ashrrev_i32_e32 v8, 31, v8
	v_xor_b32_e32 v9, vcc_hi, v8
	v_xor_b32_e32 v8, vcc_lo, v8
	v_and_b32_e32 v0, v0, v9
	v_and_b32_e32 v33, v33, v8
	v_lshlrev_b32_e32 v9, 24, v30
	v_mov_b32_e32 v8, v1
	v_cmp_gt_i64_e32 vcc, 0, v[8:9]
	v_not_b32_e32 v8, v9
	v_ashrrev_i32_e32 v8, 31, v8
	v_xor_b32_e32 v9, vcc_hi, v8
	v_xor_b32_e32 v8, vcc_lo, v8
	ds_read_b32 v28, v37 offset:64
	v_and_b32_e32 v8, v33, v8
	v_and_b32_e32 v9, v0, v9
	v_mbcnt_lo_u32_b32 v0, v8, 0
	v_mbcnt_hi_u32_b32 v30, v9, v0
	v_cmp_eq_u32_e32 vcc, 0, v30
	v_cmp_ne_u64_e64 s[0:1], 0, v[8:9]
	s_and_b64 s[4:5], s[0:1], vcc
	; wave barrier
	s_and_saveexec_b64 s[0:1], s[4:5]
	s_cbranch_execz .LBB832_219
; %bb.218:
	v_bcnt_u32_b32 v0, v8, 0
	v_bcnt_u32_b32 v0, v9, v0
	s_waitcnt lgkmcnt(0)
	v_add_u32_e32 v0, v28, v0
	ds_write_b32 v37, v0 offset:64
.LBB832_219:
	s_or_b64 exec, exec, s[0:1]
	s_waitcnt vmcnt(10)
	v_xor_b32_e32 v19, 0x80000000, v19
	v_lshrrev_b32_e32 v0, s64, v19
	v_and_b32_e32 v35, s13, v0
	v_mul_lo_u32 v0, v35, s2
	v_lshl_add_u32 v41, v27, 2, v0
	v_and_b32_e32 v0, 1, v35
	v_lshl_add_u64 v[8:9], v[0:1], 0, -1
	v_cmp_ne_u32_e32 vcc, 0, v0
	; wave barrier
	s_nop 1
	v_xor_b32_e32 v8, vcc_lo, v8
	v_xor_b32_e32 v0, vcc_hi, v9
	v_and_b32_e32 v38, exec_lo, v8
	v_lshlrev_b32_e32 v9, 30, v35
	v_mov_b32_e32 v8, v1
	v_cmp_gt_i64_e32 vcc, 0, v[8:9]
	v_not_b32_e32 v8, v9
	v_ashrrev_i32_e32 v8, 31, v8
	v_and_b32_e32 v0, exec_hi, v0
	v_xor_b32_e32 v9, vcc_hi, v8
	v_xor_b32_e32 v8, vcc_lo, v8
	v_and_b32_e32 v0, v0, v9
	v_and_b32_e32 v38, v38, v8
	v_lshlrev_b32_e32 v9, 29, v35
	v_mov_b32_e32 v8, v1
	v_cmp_gt_i64_e32 vcc, 0, v[8:9]
	v_not_b32_e32 v8, v9
	v_ashrrev_i32_e32 v8, 31, v8
	v_xor_b32_e32 v9, vcc_hi, v8
	v_xor_b32_e32 v8, vcc_lo, v8
	v_and_b32_e32 v0, v0, v9
	v_and_b32_e32 v38, v38, v8
	v_lshlrev_b32_e32 v9, 28, v35
	v_mov_b32_e32 v8, v1
	v_cmp_gt_i64_e32 vcc, 0, v[8:9]
	v_not_b32_e32 v8, v9
	v_ashrrev_i32_e32 v8, 31, v8
	;; [unrolled: 9-line block ×5, first 2 shown]
	v_xor_b32_e32 v9, vcc_hi, v8
	v_xor_b32_e32 v8, vcc_lo, v8
	v_and_b32_e32 v0, v0, v9
	v_lshlrev_b32_e32 v9, 24, v35
	v_and_b32_e32 v38, v38, v8
	v_mov_b32_e32 v8, v1
	v_not_b32_e32 v1, v9
	v_cmp_gt_i64_e32 vcc, 0, v[8:9]
	v_ashrrev_i32_e32 v1, 31, v1
	ds_read_b32 v33, v41 offset:64
	v_xor_b32_e32 v8, vcc_hi, v1
	v_xor_b32_e32 v9, vcc_lo, v1
	v_and_b32_e32 v1, v0, v8
	v_and_b32_e32 v0, v38, v9
	v_mbcnt_lo_u32_b32 v8, v0, 0
	v_mbcnt_hi_u32_b32 v35, v1, v8
	v_cmp_eq_u32_e32 vcc, 0, v35
	v_cmp_ne_u64_e64 s[0:1], 0, v[0:1]
	s_and_b64 s[2:3], s[0:1], vcc
	; wave barrier
	s_and_saveexec_b64 s[0:1], s[2:3]
	s_cbranch_execz .LBB832_221
; %bb.220:
	v_bcnt_u32_b32 v0, v0, 0
	v_bcnt_u32_b32 v0, v1, v0
	s_waitcnt lgkmcnt(0)
	v_add_u32_e32 v0, v33, v0
	ds_write_b32 v41, v0 offset:64
.LBB832_221:
	s_or_b64 exec, exec, s[0:1]
	s_waitcnt vmcnt(9)
	v_xor_b32_e32 v23, 0x80000000, v23
	v_lshrrev_b32_e32 v0, s64, v23
	v_and_b32_e32 v42, s13, v0
	s_movk_i32 s2, 0x44
	v_mul_lo_u32 v0, v42, s2
	v_lshl_add_u32 v46, v27, 2, v0
	v_and_b32_e32 v0, 1, v42
	v_mov_b32_e32 v1, 0
	v_lshl_add_u64 v[8:9], v[0:1], 0, -1
	v_cmp_ne_u32_e32 vcc, 0, v0
	; wave barrier
	s_nop 1
	v_xor_b32_e32 v8, vcc_lo, v8
	v_xor_b32_e32 v0, vcc_hi, v9
	v_and_b32_e32 v43, exec_lo, v8
	v_lshlrev_b32_e32 v9, 30, v42
	v_mov_b32_e32 v8, v1
	v_cmp_gt_i64_e32 vcc, 0, v[8:9]
	v_not_b32_e32 v8, v9
	v_ashrrev_i32_e32 v8, 31, v8
	v_and_b32_e32 v0, exec_hi, v0
	v_xor_b32_e32 v9, vcc_hi, v8
	v_xor_b32_e32 v8, vcc_lo, v8
	v_and_b32_e32 v0, v0, v9
	v_and_b32_e32 v43, v43, v8
	v_lshlrev_b32_e32 v9, 29, v42
	v_mov_b32_e32 v8, v1
	v_cmp_gt_i64_e32 vcc, 0, v[8:9]
	v_not_b32_e32 v8, v9
	v_ashrrev_i32_e32 v8, 31, v8
	v_xor_b32_e32 v9, vcc_hi, v8
	v_xor_b32_e32 v8, vcc_lo, v8
	v_and_b32_e32 v0, v0, v9
	v_and_b32_e32 v43, v43, v8
	v_lshlrev_b32_e32 v9, 28, v42
	v_mov_b32_e32 v8, v1
	v_cmp_gt_i64_e32 vcc, 0, v[8:9]
	v_not_b32_e32 v8, v9
	v_ashrrev_i32_e32 v8, 31, v8
	;; [unrolled: 9-line block ×6, first 2 shown]
	v_xor_b32_e32 v9, vcc_hi, v8
	v_xor_b32_e32 v8, vcc_lo, v8
	ds_read_b32 v38, v46 offset:64
	v_and_b32_e32 v8, v43, v8
	v_and_b32_e32 v9, v0, v9
	v_mbcnt_lo_u32_b32 v0, v8, 0
	v_mbcnt_hi_u32_b32 v42, v9, v0
	v_cmp_eq_u32_e32 vcc, 0, v42
	v_cmp_ne_u64_e64 s[0:1], 0, v[8:9]
	s_and_b64 s[4:5], s[0:1], vcc
	; wave barrier
	s_and_saveexec_b64 s[0:1], s[4:5]
	s_cbranch_execz .LBB832_223
; %bb.222:
	v_bcnt_u32_b32 v0, v8, 0
	v_bcnt_u32_b32 v0, v9, v0
	s_waitcnt lgkmcnt(0)
	v_add_u32_e32 v0, v38, v0
	ds_write_b32 v46, v0 offset:64
.LBB832_223:
	s_or_b64 exec, exec, s[0:1]
	s_waitcnt vmcnt(8)
	v_xor_b32_e32 v29, 0x80000000, v29
	v_lshrrev_b32_e32 v0, s64, v29
	v_and_b32_e32 v47, s13, v0
	v_mul_lo_u32 v0, v47, s2
	v_lshl_add_u32 v49, v27, 2, v0
	v_and_b32_e32 v0, 1, v47
	v_lshl_add_u64 v[8:9], v[0:1], 0, -1
	v_cmp_ne_u32_e32 vcc, 0, v0
	; wave barrier
	s_nop 1
	v_xor_b32_e32 v8, vcc_lo, v8
	v_xor_b32_e32 v0, vcc_hi, v9
	v_and_b32_e32 v48, exec_lo, v8
	v_lshlrev_b32_e32 v9, 30, v47
	v_mov_b32_e32 v8, v1
	v_cmp_gt_i64_e32 vcc, 0, v[8:9]
	v_not_b32_e32 v8, v9
	v_ashrrev_i32_e32 v8, 31, v8
	v_and_b32_e32 v0, exec_hi, v0
	v_xor_b32_e32 v9, vcc_hi, v8
	v_xor_b32_e32 v8, vcc_lo, v8
	v_and_b32_e32 v0, v0, v9
	v_and_b32_e32 v48, v48, v8
	v_lshlrev_b32_e32 v9, 29, v47
	v_mov_b32_e32 v8, v1
	v_cmp_gt_i64_e32 vcc, 0, v[8:9]
	v_not_b32_e32 v8, v9
	v_ashrrev_i32_e32 v8, 31, v8
	v_xor_b32_e32 v9, vcc_hi, v8
	v_xor_b32_e32 v8, vcc_lo, v8
	v_and_b32_e32 v0, v0, v9
	v_and_b32_e32 v48, v48, v8
	v_lshlrev_b32_e32 v9, 28, v47
	v_mov_b32_e32 v8, v1
	v_cmp_gt_i64_e32 vcc, 0, v[8:9]
	v_not_b32_e32 v8, v9
	v_ashrrev_i32_e32 v8, 31, v8
	;; [unrolled: 9-line block ×5, first 2 shown]
	v_xor_b32_e32 v9, vcc_hi, v8
	v_xor_b32_e32 v8, vcc_lo, v8
	v_and_b32_e32 v0, v0, v9
	v_lshlrev_b32_e32 v9, 24, v47
	v_and_b32_e32 v48, v48, v8
	v_mov_b32_e32 v8, v1
	v_not_b32_e32 v1, v9
	v_cmp_gt_i64_e32 vcc, 0, v[8:9]
	v_ashrrev_i32_e32 v1, 31, v1
	ds_read_b32 v43, v49 offset:64
	v_xor_b32_e32 v8, vcc_hi, v1
	v_xor_b32_e32 v9, vcc_lo, v1
	v_and_b32_e32 v1, v0, v8
	v_and_b32_e32 v0, v48, v9
	v_mbcnt_lo_u32_b32 v8, v0, 0
	v_mbcnt_hi_u32_b32 v47, v1, v8
	v_cmp_eq_u32_e32 vcc, 0, v47
	v_cmp_ne_u64_e64 s[0:1], 0, v[0:1]
	s_and_b64 s[2:3], s[0:1], vcc
	; wave barrier
	s_and_saveexec_b64 s[0:1], s[2:3]
	s_cbranch_execz .LBB832_225
; %bb.224:
	v_bcnt_u32_b32 v0, v0, 0
	v_bcnt_u32_b32 v0, v1, v0
	s_waitcnt lgkmcnt(0)
	v_add_u32_e32 v0, v43, v0
	ds_write_b32 v49, v0 offset:64
.LBB832_225:
	s_or_b64 exec, exec, s[0:1]
	s_waitcnt vmcnt(7)
	v_xor_b32_e32 v34, 0x80000000, v34
	v_lshrrev_b32_e32 v0, s64, v34
	v_and_b32_e32 v50, s13, v0
	s_movk_i32 s2, 0x44
	v_mul_lo_u32 v0, v50, s2
	v_lshl_add_u32 v52, v27, 2, v0
	v_and_b32_e32 v0, 1, v50
	v_mov_b32_e32 v1, 0
	v_lshl_add_u64 v[8:9], v[0:1], 0, -1
	v_cmp_ne_u32_e32 vcc, 0, v0
	; wave barrier
	s_nop 1
	v_xor_b32_e32 v8, vcc_lo, v8
	v_xor_b32_e32 v0, vcc_hi, v9
	v_and_b32_e32 v51, exec_lo, v8
	v_lshlrev_b32_e32 v9, 30, v50
	v_mov_b32_e32 v8, v1
	v_cmp_gt_i64_e32 vcc, 0, v[8:9]
	v_not_b32_e32 v8, v9
	v_ashrrev_i32_e32 v8, 31, v8
	v_and_b32_e32 v0, exec_hi, v0
	v_xor_b32_e32 v9, vcc_hi, v8
	v_xor_b32_e32 v8, vcc_lo, v8
	v_and_b32_e32 v0, v0, v9
	v_and_b32_e32 v51, v51, v8
	v_lshlrev_b32_e32 v9, 29, v50
	v_mov_b32_e32 v8, v1
	v_cmp_gt_i64_e32 vcc, 0, v[8:9]
	v_not_b32_e32 v8, v9
	v_ashrrev_i32_e32 v8, 31, v8
	v_xor_b32_e32 v9, vcc_hi, v8
	v_xor_b32_e32 v8, vcc_lo, v8
	v_and_b32_e32 v0, v0, v9
	v_and_b32_e32 v51, v51, v8
	v_lshlrev_b32_e32 v9, 28, v50
	v_mov_b32_e32 v8, v1
	v_cmp_gt_i64_e32 vcc, 0, v[8:9]
	v_not_b32_e32 v8, v9
	v_ashrrev_i32_e32 v8, 31, v8
	;; [unrolled: 9-line block ×6, first 2 shown]
	v_xor_b32_e32 v9, vcc_hi, v8
	v_xor_b32_e32 v8, vcc_lo, v8
	ds_read_b32 v48, v52 offset:64
	v_and_b32_e32 v8, v51, v8
	v_and_b32_e32 v9, v0, v9
	v_mbcnt_lo_u32_b32 v0, v8, 0
	v_mbcnt_hi_u32_b32 v50, v9, v0
	v_cmp_eq_u32_e32 vcc, 0, v50
	v_cmp_ne_u64_e64 s[0:1], 0, v[8:9]
	s_and_b64 s[4:5], s[0:1], vcc
	; wave barrier
	s_and_saveexec_b64 s[0:1], s[4:5]
	s_cbranch_execz .LBB832_227
; %bb.226:
	v_bcnt_u32_b32 v0, v8, 0
	v_bcnt_u32_b32 v0, v9, v0
	s_waitcnt lgkmcnt(0)
	v_add_u32_e32 v0, v48, v0
	ds_write_b32 v52, v0 offset:64
.LBB832_227:
	s_or_b64 exec, exec, s[0:1]
	s_waitcnt vmcnt(6)
	v_xor_b32_e32 v39, 0x80000000, v39
	v_lshrrev_b32_e32 v0, s64, v39
	v_and_b32_e32 v53, s13, v0
	v_mul_lo_u32 v0, v53, s2
	v_lshl_add_u32 v55, v27, 2, v0
	v_and_b32_e32 v0, 1, v53
	v_lshl_add_u64 v[8:9], v[0:1], 0, -1
	v_cmp_ne_u32_e32 vcc, 0, v0
	; wave barrier
	s_nop 1
	v_xor_b32_e32 v8, vcc_lo, v8
	v_xor_b32_e32 v0, vcc_hi, v9
	v_and_b32_e32 v54, exec_lo, v8
	v_lshlrev_b32_e32 v9, 30, v53
	v_mov_b32_e32 v8, v1
	v_cmp_gt_i64_e32 vcc, 0, v[8:9]
	v_not_b32_e32 v8, v9
	v_ashrrev_i32_e32 v8, 31, v8
	v_and_b32_e32 v0, exec_hi, v0
	v_xor_b32_e32 v9, vcc_hi, v8
	v_xor_b32_e32 v8, vcc_lo, v8
	v_and_b32_e32 v0, v0, v9
	v_and_b32_e32 v54, v54, v8
	v_lshlrev_b32_e32 v9, 29, v53
	v_mov_b32_e32 v8, v1
	v_cmp_gt_i64_e32 vcc, 0, v[8:9]
	v_not_b32_e32 v8, v9
	v_ashrrev_i32_e32 v8, 31, v8
	v_xor_b32_e32 v9, vcc_hi, v8
	v_xor_b32_e32 v8, vcc_lo, v8
	v_and_b32_e32 v0, v0, v9
	v_and_b32_e32 v54, v54, v8
	v_lshlrev_b32_e32 v9, 28, v53
	v_mov_b32_e32 v8, v1
	v_cmp_gt_i64_e32 vcc, 0, v[8:9]
	v_not_b32_e32 v8, v9
	v_ashrrev_i32_e32 v8, 31, v8
	;; [unrolled: 9-line block ×5, first 2 shown]
	v_xor_b32_e32 v9, vcc_hi, v8
	v_xor_b32_e32 v8, vcc_lo, v8
	v_and_b32_e32 v0, v0, v9
	v_lshlrev_b32_e32 v9, 24, v53
	v_and_b32_e32 v54, v54, v8
	v_mov_b32_e32 v8, v1
	v_not_b32_e32 v1, v9
	v_cmp_gt_i64_e32 vcc, 0, v[8:9]
	v_ashrrev_i32_e32 v1, 31, v1
	ds_read_b32 v51, v55 offset:64
	v_xor_b32_e32 v8, vcc_hi, v1
	v_xor_b32_e32 v9, vcc_lo, v1
	v_and_b32_e32 v1, v0, v8
	v_and_b32_e32 v0, v54, v9
	v_mbcnt_lo_u32_b32 v8, v0, 0
	v_mbcnt_hi_u32_b32 v53, v1, v8
	v_cmp_eq_u32_e32 vcc, 0, v53
	v_cmp_ne_u64_e64 s[0:1], 0, v[0:1]
	s_and_b64 s[2:3], s[0:1], vcc
	; wave barrier
	s_and_saveexec_b64 s[0:1], s[2:3]
	s_cbranch_execz .LBB832_229
; %bb.228:
	v_bcnt_u32_b32 v0, v0, 0
	v_bcnt_u32_b32 v0, v1, v0
	s_waitcnt lgkmcnt(0)
	v_add_u32_e32 v0, v51, v0
	ds_write_b32 v55, v0 offset:64
.LBB832_229:
	s_or_b64 exec, exec, s[0:1]
	s_waitcnt vmcnt(5)
	v_xor_b32_e32 v44, 0x80000000, v44
	v_lshrrev_b32_e32 v0, s64, v44
	v_and_b32_e32 v56, s13, v0
	s_movk_i32 s2, 0x44
	v_mul_lo_u32 v0, v56, s2
	v_lshl_add_u32 v58, v27, 2, v0
	v_and_b32_e32 v0, 1, v56
	v_mov_b32_e32 v1, 0
	v_lshl_add_u64 v[8:9], v[0:1], 0, -1
	v_cmp_ne_u32_e32 vcc, 0, v0
	; wave barrier
	s_nop 1
	v_xor_b32_e32 v8, vcc_lo, v8
	v_xor_b32_e32 v0, vcc_hi, v9
	v_and_b32_e32 v57, exec_lo, v8
	v_lshlrev_b32_e32 v9, 30, v56
	v_mov_b32_e32 v8, v1
	v_cmp_gt_i64_e32 vcc, 0, v[8:9]
	v_not_b32_e32 v8, v9
	v_ashrrev_i32_e32 v8, 31, v8
	v_and_b32_e32 v0, exec_hi, v0
	v_xor_b32_e32 v9, vcc_hi, v8
	v_xor_b32_e32 v8, vcc_lo, v8
	v_and_b32_e32 v0, v0, v9
	v_and_b32_e32 v57, v57, v8
	v_lshlrev_b32_e32 v9, 29, v56
	v_mov_b32_e32 v8, v1
	v_cmp_gt_i64_e32 vcc, 0, v[8:9]
	v_not_b32_e32 v8, v9
	v_ashrrev_i32_e32 v8, 31, v8
	v_xor_b32_e32 v9, vcc_hi, v8
	v_xor_b32_e32 v8, vcc_lo, v8
	v_and_b32_e32 v0, v0, v9
	v_and_b32_e32 v57, v57, v8
	v_lshlrev_b32_e32 v9, 28, v56
	v_mov_b32_e32 v8, v1
	v_cmp_gt_i64_e32 vcc, 0, v[8:9]
	v_not_b32_e32 v8, v9
	v_ashrrev_i32_e32 v8, 31, v8
	;; [unrolled: 9-line block ×6, first 2 shown]
	v_xor_b32_e32 v9, vcc_hi, v8
	v_xor_b32_e32 v8, vcc_lo, v8
	ds_read_b32 v54, v58 offset:64
	v_and_b32_e32 v8, v57, v8
	v_and_b32_e32 v9, v0, v9
	v_mbcnt_lo_u32_b32 v0, v8, 0
	v_mbcnt_hi_u32_b32 v56, v9, v0
	v_cmp_eq_u32_e32 vcc, 0, v56
	v_cmp_ne_u64_e64 s[0:1], 0, v[8:9]
	s_and_b64 s[4:5], s[0:1], vcc
	; wave barrier
	s_and_saveexec_b64 s[0:1], s[4:5]
	s_cbranch_execz .LBB832_231
; %bb.230:
	v_bcnt_u32_b32 v0, v8, 0
	v_bcnt_u32_b32 v0, v9, v0
	s_waitcnt lgkmcnt(0)
	v_add_u32_e32 v0, v54, v0
	ds_write_b32 v58, v0 offset:64
.LBB832_231:
	s_or_b64 exec, exec, s[0:1]
	s_waitcnt vmcnt(4)
	v_xor_b32_e32 v45, 0x80000000, v45
	v_lshrrev_b32_e32 v0, s64, v45
	v_and_b32_e32 v59, s13, v0
	v_mul_lo_u32 v0, v59, s2
	v_lshl_add_u32 v62, v27, 2, v0
	v_and_b32_e32 v0, 1, v59
	v_lshl_add_u64 v[8:9], v[0:1], 0, -1
	v_cmp_ne_u32_e32 vcc, 0, v0
	; wave barrier
	s_nop 1
	v_xor_b32_e32 v8, vcc_lo, v8
	v_xor_b32_e32 v0, vcc_hi, v9
	v_and_b32_e32 v60, exec_lo, v8
	v_lshlrev_b32_e32 v9, 30, v59
	v_mov_b32_e32 v8, v1
	v_cmp_gt_i64_e32 vcc, 0, v[8:9]
	v_not_b32_e32 v8, v9
	v_ashrrev_i32_e32 v8, 31, v8
	v_and_b32_e32 v0, exec_hi, v0
	v_xor_b32_e32 v9, vcc_hi, v8
	v_xor_b32_e32 v8, vcc_lo, v8
	v_and_b32_e32 v0, v0, v9
	v_and_b32_e32 v60, v60, v8
	v_lshlrev_b32_e32 v9, 29, v59
	v_mov_b32_e32 v8, v1
	v_cmp_gt_i64_e32 vcc, 0, v[8:9]
	v_not_b32_e32 v8, v9
	v_ashrrev_i32_e32 v8, 31, v8
	v_xor_b32_e32 v9, vcc_hi, v8
	v_xor_b32_e32 v8, vcc_lo, v8
	v_and_b32_e32 v0, v0, v9
	v_and_b32_e32 v60, v60, v8
	v_lshlrev_b32_e32 v9, 28, v59
	v_mov_b32_e32 v8, v1
	v_cmp_gt_i64_e32 vcc, 0, v[8:9]
	v_not_b32_e32 v8, v9
	v_ashrrev_i32_e32 v8, 31, v8
	;; [unrolled: 9-line block ×5, first 2 shown]
	v_xor_b32_e32 v9, vcc_hi, v8
	v_xor_b32_e32 v8, vcc_lo, v8
	v_and_b32_e32 v0, v0, v9
	v_lshlrev_b32_e32 v9, 24, v59
	v_and_b32_e32 v60, v60, v8
	v_mov_b32_e32 v8, v1
	v_not_b32_e32 v1, v9
	v_cmp_gt_i64_e32 vcc, 0, v[8:9]
	v_ashrrev_i32_e32 v1, 31, v1
	ds_read_b32 v57, v62 offset:64
	v_xor_b32_e32 v8, vcc_hi, v1
	v_xor_b32_e32 v9, vcc_lo, v1
	v_and_b32_e32 v1, v0, v8
	v_and_b32_e32 v0, v60, v9
	v_mbcnt_lo_u32_b32 v8, v0, 0
	v_mbcnt_hi_u32_b32 v59, v1, v8
	v_cmp_eq_u32_e32 vcc, 0, v59
	v_cmp_ne_u64_e64 s[0:1], 0, v[0:1]
	s_and_b64 s[2:3], s[0:1], vcc
	; wave barrier
	s_and_saveexec_b64 s[0:1], s[2:3]
	s_cbranch_execz .LBB832_233
; %bb.232:
	v_bcnt_u32_b32 v0, v0, 0
	v_bcnt_u32_b32 v0, v1, v0
	s_waitcnt lgkmcnt(0)
	v_add_u32_e32 v0, v57, v0
	ds_write_b32 v62, v0 offset:64
.LBB832_233:
	s_or_b64 exec, exec, s[0:1]
	s_waitcnt vmcnt(3)
	v_xor_b32_e32 v40, 0x80000000, v40
	v_lshrrev_b32_e32 v0, s64, v40
	v_and_b32_e32 v61, s13, v0
	s_movk_i32 s2, 0x44
	v_mul_lo_u32 v0, v61, s2
	v_lshl_add_u32 v65, v27, 2, v0
	v_and_b32_e32 v0, 1, v61
	v_mov_b32_e32 v1, 0
	v_lshl_add_u64 v[8:9], v[0:1], 0, -1
	v_cmp_ne_u32_e32 vcc, 0, v0
	; wave barrier
	s_nop 1
	v_xor_b32_e32 v8, vcc_lo, v8
	v_xor_b32_e32 v0, vcc_hi, v9
	v_and_b32_e32 v63, exec_lo, v8
	v_lshlrev_b32_e32 v9, 30, v61
	v_mov_b32_e32 v8, v1
	v_cmp_gt_i64_e32 vcc, 0, v[8:9]
	v_not_b32_e32 v8, v9
	v_ashrrev_i32_e32 v8, 31, v8
	v_and_b32_e32 v0, exec_hi, v0
	v_xor_b32_e32 v9, vcc_hi, v8
	v_xor_b32_e32 v8, vcc_lo, v8
	v_and_b32_e32 v0, v0, v9
	v_and_b32_e32 v63, v63, v8
	v_lshlrev_b32_e32 v9, 29, v61
	v_mov_b32_e32 v8, v1
	v_cmp_gt_i64_e32 vcc, 0, v[8:9]
	v_not_b32_e32 v8, v9
	v_ashrrev_i32_e32 v8, 31, v8
	v_xor_b32_e32 v9, vcc_hi, v8
	v_xor_b32_e32 v8, vcc_lo, v8
	v_and_b32_e32 v0, v0, v9
	v_and_b32_e32 v63, v63, v8
	v_lshlrev_b32_e32 v9, 28, v61
	v_mov_b32_e32 v8, v1
	v_cmp_gt_i64_e32 vcc, 0, v[8:9]
	v_not_b32_e32 v8, v9
	v_ashrrev_i32_e32 v8, 31, v8
	;; [unrolled: 9-line block ×6, first 2 shown]
	v_xor_b32_e32 v9, vcc_hi, v8
	v_xor_b32_e32 v8, vcc_lo, v8
	ds_read_b32 v60, v65 offset:64
	v_and_b32_e32 v8, v63, v8
	v_and_b32_e32 v9, v0, v9
	v_mbcnt_lo_u32_b32 v0, v8, 0
	v_mbcnt_hi_u32_b32 v63, v9, v0
	v_cmp_eq_u32_e32 vcc, 0, v63
	v_cmp_ne_u64_e64 s[0:1], 0, v[8:9]
	s_and_b64 s[4:5], s[0:1], vcc
	; wave barrier
	s_and_saveexec_b64 s[0:1], s[4:5]
	s_cbranch_execz .LBB832_235
; %bb.234:
	v_bcnt_u32_b32 v0, v8, 0
	v_bcnt_u32_b32 v0, v9, v0
	s_waitcnt lgkmcnt(0)
	v_add_u32_e32 v0, v60, v0
	ds_write_b32 v65, v0 offset:64
.LBB832_235:
	s_or_b64 exec, exec, s[0:1]
	s_waitcnt vmcnt(2)
	v_xor_b32_e32 v36, 0x80000000, v36
	v_lshrrev_b32_e32 v0, s64, v36
	v_and_b32_e32 v61, s13, v0
	v_mul_lo_u32 v0, v61, s2
	v_lshl_add_u32 v68, v27, 2, v0
	v_and_b32_e32 v0, 1, v61
	v_lshl_add_u64 v[8:9], v[0:1], 0, -1
	v_cmp_ne_u32_e32 vcc, 0, v0
	; wave barrier
	s_nop 1
	v_xor_b32_e32 v8, vcc_lo, v8
	v_xor_b32_e32 v0, vcc_hi, v9
	v_and_b32_e32 v66, exec_lo, v8
	v_lshlrev_b32_e32 v9, 30, v61
	v_mov_b32_e32 v8, v1
	v_cmp_gt_i64_e32 vcc, 0, v[8:9]
	v_not_b32_e32 v8, v9
	v_ashrrev_i32_e32 v8, 31, v8
	v_and_b32_e32 v0, exec_hi, v0
	v_xor_b32_e32 v9, vcc_hi, v8
	v_xor_b32_e32 v8, vcc_lo, v8
	v_and_b32_e32 v0, v0, v9
	v_and_b32_e32 v66, v66, v8
	v_lshlrev_b32_e32 v9, 29, v61
	v_mov_b32_e32 v8, v1
	v_cmp_gt_i64_e32 vcc, 0, v[8:9]
	v_not_b32_e32 v8, v9
	v_ashrrev_i32_e32 v8, 31, v8
	v_xor_b32_e32 v9, vcc_hi, v8
	v_xor_b32_e32 v8, vcc_lo, v8
	v_and_b32_e32 v0, v0, v9
	v_and_b32_e32 v66, v66, v8
	v_lshlrev_b32_e32 v9, 28, v61
	v_mov_b32_e32 v8, v1
	v_cmp_gt_i64_e32 vcc, 0, v[8:9]
	v_not_b32_e32 v8, v9
	v_ashrrev_i32_e32 v8, 31, v8
	;; [unrolled: 9-line block ×5, first 2 shown]
	v_xor_b32_e32 v9, vcc_hi, v8
	v_xor_b32_e32 v8, vcc_lo, v8
	v_and_b32_e32 v0, v0, v9
	v_lshlrev_b32_e32 v9, 24, v61
	v_and_b32_e32 v66, v66, v8
	v_mov_b32_e32 v8, v1
	v_not_b32_e32 v1, v9
	v_cmp_gt_i64_e32 vcc, 0, v[8:9]
	v_ashrrev_i32_e32 v1, 31, v1
	ds_read_b32 v64, v68 offset:64
	v_xor_b32_e32 v8, vcc_hi, v1
	v_xor_b32_e32 v9, vcc_lo, v1
	v_and_b32_e32 v1, v0, v8
	v_and_b32_e32 v0, v66, v9
	v_mbcnt_lo_u32_b32 v8, v0, 0
	v_mbcnt_hi_u32_b32 v66, v1, v8
	v_cmp_eq_u32_e32 vcc, 0, v66
	v_cmp_ne_u64_e64 s[0:1], 0, v[0:1]
	s_and_b64 s[2:3], s[0:1], vcc
	; wave barrier
	s_and_saveexec_b64 s[0:1], s[2:3]
	s_cbranch_execz .LBB832_237
; %bb.236:
	v_bcnt_u32_b32 v0, v0, 0
	v_bcnt_u32_b32 v0, v1, v0
	s_waitcnt lgkmcnt(0)
	v_add_u32_e32 v0, v64, v0
	ds_write_b32 v68, v0 offset:64
.LBB832_237:
	s_or_b64 exec, exec, s[0:1]
	s_waitcnt vmcnt(1)
	v_xor_b32_e32 v31, 0x80000000, v31
	v_lshrrev_b32_e32 v0, s64, v31
	v_and_b32_e32 v61, s13, v0
	s_movk_i32 s2, 0x44
	v_mul_lo_u32 v0, v61, s2
	v_lshl_add_u32 v70, v27, 2, v0
	v_and_b32_e32 v0, 1, v61
	v_mov_b32_e32 v1, 0
	v_lshl_add_u64 v[8:9], v[0:1], 0, -1
	v_cmp_ne_u32_e32 vcc, 0, v0
	; wave barrier
	s_nop 1
	v_xor_b32_e32 v8, vcc_lo, v8
	v_xor_b32_e32 v0, vcc_hi, v9
	v_and_b32_e32 v69, exec_lo, v8
	v_lshlrev_b32_e32 v9, 30, v61
	v_mov_b32_e32 v8, v1
	v_cmp_gt_i64_e32 vcc, 0, v[8:9]
	v_not_b32_e32 v8, v9
	v_ashrrev_i32_e32 v8, 31, v8
	v_and_b32_e32 v0, exec_hi, v0
	v_xor_b32_e32 v9, vcc_hi, v8
	v_xor_b32_e32 v8, vcc_lo, v8
	v_and_b32_e32 v0, v0, v9
	v_and_b32_e32 v69, v69, v8
	v_lshlrev_b32_e32 v9, 29, v61
	v_mov_b32_e32 v8, v1
	v_cmp_gt_i64_e32 vcc, 0, v[8:9]
	v_not_b32_e32 v8, v9
	v_ashrrev_i32_e32 v8, 31, v8
	v_xor_b32_e32 v9, vcc_hi, v8
	v_xor_b32_e32 v8, vcc_lo, v8
	v_and_b32_e32 v0, v0, v9
	v_and_b32_e32 v69, v69, v8
	v_lshlrev_b32_e32 v9, 28, v61
	v_mov_b32_e32 v8, v1
	v_cmp_gt_i64_e32 vcc, 0, v[8:9]
	v_not_b32_e32 v8, v9
	v_ashrrev_i32_e32 v8, 31, v8
	;; [unrolled: 9-line block ×6, first 2 shown]
	v_xor_b32_e32 v9, vcc_hi, v8
	v_xor_b32_e32 v8, vcc_lo, v8
	ds_read_b32 v67, v70 offset:64
	v_and_b32_e32 v8, v69, v8
	v_and_b32_e32 v9, v0, v9
	v_mbcnt_lo_u32_b32 v0, v8, 0
	v_mbcnt_hi_u32_b32 v69, v9, v0
	v_cmp_eq_u32_e32 vcc, 0, v69
	v_cmp_ne_u64_e64 s[0:1], 0, v[8:9]
	s_and_b64 s[4:5], s[0:1], vcc
	; wave barrier
	s_and_saveexec_b64 s[0:1], s[4:5]
	s_cbranch_execz .LBB832_239
; %bb.238:
	v_bcnt_u32_b32 v0, v8, 0
	v_bcnt_u32_b32 v0, v9, v0
	s_waitcnt lgkmcnt(0)
	v_add_u32_e32 v0, v67, v0
	ds_write_b32 v70, v0 offset:64
.LBB832_239:
	s_or_b64 exec, exec, s[0:1]
	s_waitcnt vmcnt(0)
	v_xor_b32_e32 v61, 0x80000000, v25
	v_lshrrev_b32_e32 v0, s64, v61
	v_and_b32_e32 v25, s13, v0
	v_mul_lo_u32 v0, v25, s2
	v_lshl_add_u32 v72, v27, 2, v0
	v_and_b32_e32 v0, 1, v25
	v_lshl_add_u64 v[8:9], v[0:1], 0, -1
	v_cmp_ne_u32_e32 vcc, 0, v0
	; wave barrier
	s_nop 1
	v_xor_b32_e32 v8, vcc_lo, v8
	v_xor_b32_e32 v0, vcc_hi, v9
	v_and_b32_e32 v71, exec_lo, v8
	v_lshlrev_b32_e32 v9, 30, v25
	v_mov_b32_e32 v8, v1
	v_cmp_gt_i64_e32 vcc, 0, v[8:9]
	v_not_b32_e32 v8, v9
	v_ashrrev_i32_e32 v8, 31, v8
	v_and_b32_e32 v0, exec_hi, v0
	v_xor_b32_e32 v9, vcc_hi, v8
	v_xor_b32_e32 v8, vcc_lo, v8
	v_and_b32_e32 v0, v0, v9
	v_and_b32_e32 v71, v71, v8
	v_lshlrev_b32_e32 v9, 29, v25
	v_mov_b32_e32 v8, v1
	v_cmp_gt_i64_e32 vcc, 0, v[8:9]
	v_not_b32_e32 v8, v9
	v_ashrrev_i32_e32 v8, 31, v8
	v_xor_b32_e32 v9, vcc_hi, v8
	v_xor_b32_e32 v8, vcc_lo, v8
	v_and_b32_e32 v0, v0, v9
	v_and_b32_e32 v71, v71, v8
	v_lshlrev_b32_e32 v9, 28, v25
	v_mov_b32_e32 v8, v1
	v_cmp_gt_i64_e32 vcc, 0, v[8:9]
	v_not_b32_e32 v8, v9
	v_ashrrev_i32_e32 v8, 31, v8
	;; [unrolled: 9-line block ×5, first 2 shown]
	v_xor_b32_e32 v9, vcc_hi, v8
	v_xor_b32_e32 v8, vcc_lo, v8
	v_and_b32_e32 v0, v0, v9
	v_lshlrev_b32_e32 v9, 24, v25
	v_and_b32_e32 v71, v71, v8
	v_mov_b32_e32 v8, v1
	v_not_b32_e32 v1, v9
	v_cmp_gt_i64_e32 vcc, 0, v[8:9]
	v_ashrrev_i32_e32 v1, 31, v1
	ds_read_b32 v27, v72 offset:64
	v_xor_b32_e32 v8, vcc_hi, v1
	v_xor_b32_e32 v9, vcc_lo, v1
	v_and_b32_e32 v1, v0, v8
	v_and_b32_e32 v0, v71, v9
	v_mbcnt_lo_u32_b32 v8, v0, 0
	v_mbcnt_hi_u32_b32 v71, v1, v8
	v_cmp_eq_u32_e32 vcc, 0, v71
	v_cmp_ne_u64_e64 s[0:1], 0, v[0:1]
	s_and_b64 s[2:3], s[0:1], vcc
	; wave barrier
	s_and_saveexec_b64 s[0:1], s[2:3]
	s_cbranch_execz .LBB832_241
; %bb.240:
	v_bcnt_u32_b32 v0, v0, 0
	v_bcnt_u32_b32 v0, v1, v0
	s_waitcnt lgkmcnt(0)
	v_add_u32_e32 v0, v27, v0
	ds_write_b32 v72, v0 offset:64
.LBB832_241:
	s_or_b64 exec, exec, s[0:1]
	; wave barrier
	s_waitcnt lgkmcnt(0)
	s_barrier
	ds_read2_b32 v[8:9], v11 offset0:16 offset1:17
	ds_read2_b32 v[0:1], v11 offset0:18 offset1:19
	ds_read_b32 v25, v11 offset:80
	v_cmp_lt_u32_e64 s[2:3], 31, v10
	s_waitcnt lgkmcnt(1)
	v_add3_u32 v73, v9, v8, v0
	s_waitcnt lgkmcnt(0)
	v_add3_u32 v25, v73, v1, v25
	v_and_b32_e32 v73, 15, v10
	v_cmp_eq_u32_e32 vcc, 0, v73
	v_mov_b32_dpp v74, v25 row_shr:1 row_mask:0xf bank_mask:0xf
	v_cmp_lt_u32_e64 s[0:1], 1, v73
	v_cndmask_b32_e64 v74, v74, 0, vcc
	v_add_u32_e32 v25, v74, v25
	v_cmp_lt_u32_e64 s[4:5], 3, v73
	v_cmp_lt_u32_e64 s[6:7], 7, v73
	v_mov_b32_dpp v74, v25 row_shr:2 row_mask:0xf bank_mask:0xf
	v_cndmask_b32_e64 v74, 0, v74, s[0:1]
	v_add_u32_e32 v25, v25, v74
	s_nop 1
	v_mov_b32_dpp v74, v25 row_shr:4 row_mask:0xf bank_mask:0xf
	v_cndmask_b32_e64 v74, 0, v74, s[4:5]
	v_add_u32_e32 v25, v25, v74
	s_nop 1
	v_mov_b32_dpp v74, v25 row_shr:8 row_mask:0xf bank_mask:0xf
	v_cndmask_b32_e64 v73, 0, v74, s[6:7]
	v_add_u32_e32 v25, v25, v73
	v_bfe_i32 v74, v10, 4, 1
	s_nop 0
	v_mov_b32_dpp v73, v25 row_bcast:15 row_mask:0xf bank_mask:0xf
	v_and_b32_e32 v73, v74, v73
	v_add_u32_e32 v25, v25, v73
	v_lshrrev_b32_e32 v74, 6, v2
	s_nop 0
	v_mov_b32_dpp v73, v25 row_bcast:31 row_mask:0xf bank_mask:0xf
	v_cndmask_b32_e64 v73, 0, v73, s[2:3]
	v_add_u32_e32 v73, v25, v73
	v_and_b32_e32 v25, 63, v2
	v_cmp_eq_u32_e64 s[2:3], 63, v25
	s_and_saveexec_b64 s[10:11], s[2:3]
; %bb.242:
	v_lshlrev_b32_e32 v25, 2, v74
	ds_write_b32 v25, v73
; %bb.243:
	s_or_b64 exec, exec, s[10:11]
	v_cmp_gt_u32_e64 s[2:3], 16, v2
	v_lshlrev_b32_e32 v25, 2, v2
	s_waitcnt lgkmcnt(0)
	s_barrier
	s_and_saveexec_b64 s[10:11], s[2:3]
	s_cbranch_execz .LBB832_245
; %bb.244:
	ds_read_b32 v75, v25
	s_waitcnt lgkmcnt(0)
	s_nop 0
	v_mov_b32_dpp v76, v75 row_shr:1 row_mask:0xf bank_mask:0xf
	v_cndmask_b32_e64 v76, v76, 0, vcc
	v_add_u32_e32 v75, v76, v75
	s_nop 1
	v_mov_b32_dpp v76, v75 row_shr:2 row_mask:0xf bank_mask:0xf
	v_cndmask_b32_e64 v76, 0, v76, s[0:1]
	v_add_u32_e32 v75, v75, v76
	s_nop 1
	v_mov_b32_dpp v76, v75 row_shr:4 row_mask:0xf bank_mask:0xf
	v_cndmask_b32_e64 v76, 0, v76, s[4:5]
	;; [unrolled: 4-line block ×3, first 2 shown]
	v_add_u32_e32 v75, v75, v76
	ds_write_b32 v25, v75
.LBB832_245:
	s_or_b64 exec, exec, s[10:11]
	v_cmp_lt_u32_e32 vcc, 63, v2
	v_mov_b32_e32 v75, 0
	s_waitcnt lgkmcnt(0)
	s_barrier
	s_and_saveexec_b64 s[0:1], vcc
; %bb.246:
	v_lshl_add_u32 v74, v74, 2, -4
	ds_read_b32 v75, v74
; %bb.247:
	s_or_b64 exec, exec, s[0:1]
	v_subrev_co_u32_e32 v74, vcc, 1, v10
	v_and_b32_e32 v76, 64, v10
	v_cmp_lt_i32_e64 s[0:1], v74, v76
	s_waitcnt lgkmcnt(0)
	v_add_u32_e32 v73, v75, v73
	s_movk_i32 s2, 0x100
	v_cndmask_b32_e64 v10, v74, v10, s[0:1]
	v_lshlrev_b32_e32 v10, 2, v10
	ds_bpermute_b32 v10, v10, v73
	s_movk_i32 s0, 0xff
	s_waitcnt lgkmcnt(0)
	v_cndmask_b32_e32 v10, v10, v75, vcc
	v_cndmask_b32_e64 v10, v10, 0, s[44:45]
	v_add_u32_e32 v8, v10, v8
	v_add_u32_e32 v9, v8, v9
	;; [unrolled: 1-line block ×4, first 2 shown]
	ds_write2_b32 v11, v10, v8 offset0:16 offset1:17
	ds_write2_b32 v11, v9, v0 offset0:18 offset1:19
	ds_write_b32 v11, v1 offset:80
	s_waitcnt lgkmcnt(0)
	s_barrier
	ds_read_b32 v81, v18 offset:64
	ds_read_b32 v73, v21 offset:64
	;; [unrolled: 1-line block ×16, first 2 shown]
	v_cmp_lt_u32_e32 vcc, s0, v2
	v_cmp_gt_u32_e64 s[0:1], s2, v2
                                        ; implicit-def: $vgpr18
                                        ; implicit-def: $vgpr21
	s_and_saveexec_b64 s[4:5], s[0:1]
	s_cbranch_execz .LBB832_251
; %bb.248:
	v_mul_u32_u24_e32 v0, 0x44, v2
	ds_read_b32 v18, v0 offset:64
	v_add_u32_e32 v1, 1, v2
	v_cmp_ne_u32_e64 s[2:3], s2, v1
	v_mov_b32_e32 v0, 0x4000
	s_and_saveexec_b64 s[6:7], s[2:3]
; %bb.249:
	v_mul_u32_u24_e32 v0, 0x44, v1
	ds_read_b32 v0, v0 offset:64
; %bb.250:
	s_or_b64 exec, exec, s[6:7]
	s_waitcnt lgkmcnt(0)
	v_sub_u32_e32 v21, v0, v18
.LBB832_251:
	s_or_b64 exec, exec, s[4:5]
	v_mov_b32_e32 v1, 0
	s_waitcnt lgkmcnt(0)
	s_barrier
	s_and_saveexec_b64 s[2:3], s[0:1]
	s_cbranch_execz .LBB832_261
; %bb.252:
	v_lshl_add_u32 v0, s33, 8, v2
	v_lshl_add_u64 v[8:9], v[0:1], 2, s[68:69]
	v_or_b32_e32 v0, 2.0, v21
	s_mov_b64 s[4:5], 0
	s_brev_b32 s14, -4
	s_mov_b32 s15, s33
	v_mov_b32_e32 v49, 0
	global_store_dword v[8:9], v0, off sc1
                                        ; implicit-def: $sgpr0_sgpr1
	s_branch .LBB832_255
.LBB832_253:                            ;   in Loop: Header=BB832_255 Depth=1
	s_or_b64 exec, exec, s[10:11]
.LBB832_254:                            ;   in Loop: Header=BB832_255 Depth=1
	s_or_b64 exec, exec, s[6:7]
	v_and_b32_e32 v10, 0x3fffffff, v0
	v_add_u32_e32 v49, v10, v49
	v_cmp_gt_i32_e64 s[0:1], -2.0, v0
	s_and_b64 s[6:7], exec, s[0:1]
	s_or_b64 s[4:5], s[6:7], s[4:5]
	s_andn2_b64 exec, exec, s[4:5]
	s_cbranch_execz .LBB832_260
.LBB832_255:                            ; =>This Loop Header: Depth=1
                                        ;     Child Loop BB832_258 Depth 2
	s_or_b64 s[0:1], s[0:1], exec
	s_cmp_eq_u32 s15, 0
	s_cbranch_scc1 .LBB832_259
; %bb.256:                              ;   in Loop: Header=BB832_255 Depth=1
	s_add_i32 s15, s15, -1
	v_lshl_or_b32 v0, s15, 8, v2
	v_lshl_add_u64 v[10:11], v[0:1], 2, s[68:69]
	global_load_dword v0, v[10:11], off sc1
	s_waitcnt vmcnt(0)
	v_cmp_gt_u32_e64 s[0:1], 2.0, v0
	s_and_saveexec_b64 s[6:7], s[0:1]
	s_cbranch_execz .LBB832_254
; %bb.257:                              ;   in Loop: Header=BB832_255 Depth=1
	s_mov_b64 s[10:11], 0
.LBB832_258:                            ;   Parent Loop BB832_255 Depth=1
                                        ; =>  This Inner Loop Header: Depth=2
	global_load_dword v0, v[10:11], off sc1
	s_waitcnt vmcnt(0)
	v_cmp_lt_u32_e64 s[0:1], s14, v0
	s_or_b64 s[10:11], s[0:1], s[10:11]
	s_andn2_b64 exec, exec, s[10:11]
	s_cbranch_execnz .LBB832_258
	s_branch .LBB832_253
.LBB832_259:                            ;   in Loop: Header=BB832_255 Depth=1
                                        ; implicit-def: $sgpr15
	s_and_b64 s[6:7], exec, s[0:1]
	s_or_b64 s[4:5], s[6:7], s[4:5]
	s_andn2_b64 exec, exec, s[4:5]
	s_cbranch_execnz .LBB832_255
.LBB832_260:
	s_or_b64 exec, exec, s[4:5]
	v_add_u32_e32 v0, v49, v21
	v_or_b32_e32 v0, 0x80000000, v0
	global_store_dword v[8:9], v0, off sc1
	global_load_dword v0, v25, s[60:61]
	v_sub_u32_e32 v1, v49, v18
	s_waitcnt vmcnt(0)
	v_add_u32_e32 v0, v1, v0
	ds_write_b32 v25, v0
.LBB832_261:
	s_or_b64 exec, exec, s[2:3]
	v_add_u32_e32 v8, v81, v14
	v_add3_u32 v0, v16, v13, v73
	v_add3_u32 v1, v20, v17, v74
	;; [unrolled: 1-line block ×15, first 2 shown]
	v_mov_b32_e32 v85, 0x400
	s_mov_b32 s4, s64
	s_mov_b32 s5, s13
	s_movk_i32 s6, 0x400
	v_lshl_add_u32 v9, v9, 2, v85
	v_add3_u32 v10, v71, v41, v27
	v_lshl_add_u32 v11, v11, 2, v85
	v_add3_u32 v14, v69, v26, v67
	;; [unrolled: 2-line block ×15, first 2 shown]
	v_lshl_add_u32 v16, v8, 2, v85
	s_mov_b32 s7, 0
	s_mov_b32 s10, 0
	s_movk_i32 s11, 0x1000
	v_mov_b32_e32 v1, 0
	s_movk_i32 s14, 0x800
	s_movk_i32 s15, 0xc00
	v_mov_b32_e32 v55, v2
	s_mov_b32 s16, 0
	s_branch .LBB832_263
.LBB832_262:                            ;   in Loop: Header=BB832_263 Depth=1
	s_or_b64 exec, exec, s[2:3]
	s_waitcnt lgkmcnt(0)
	s_barrier
	ds_read2st64_b32 v[56:57], v25 offset0:4 offset1:20
	ds_read2st64_b32 v[62:63], v25 offset0:36 offset1:52
	s_addk_i32 s16, 0xc000
	s_addk_i32 s10, 0xf000
	s_waitcnt lgkmcnt(1)
	v_xor_b32_e32 v60, 0x80000000, v56
	v_lshrrev_b32_e32 v56, s64, v56
	v_lshrrev_b32_e32 v0, s4, v57
	v_and_b32_e32 v56, s13, v56
	v_xor_b32_e32 v66, 0x80000000, v57
	v_and_b32_e32 v57, s5, v0
	v_lshlrev_b32_e32 v0, 2, v56
	ds_read_b32 v0, v0
	s_waitcnt lgkmcnt(1)
	v_lshrrev_b32_e32 v58, s4, v63
	v_lshrrev_b32_e32 v65, s64, v62
	v_and_b32_e32 v59, s5, v58
	v_lshlrev_b32_e32 v64, 2, v57
	v_and_b32_e32 v58, s13, v65
	v_lshlrev_b32_e32 v67, 2, v59
	v_lshlrev_b32_e32 v65, 2, v58
	ds_read_b32 v68, v64
	ds_read_b32 v69, v65
	;; [unrolled: 1-line block ×3, first 2 shown]
	s_waitcnt lgkmcnt(3)
	v_add_u32_e32 v0, v55, v0
	v_lshl_add_u64 v[64:65], v[0:1], 2, s[54:55]
	s_waitcnt lgkmcnt(2)
	v_add3_u32 v0, v55, v68, s6
	global_store_dword v[64:65], v60, off
	v_lshl_add_u64 v[64:65], v[0:1], 2, s[54:55]
	s_waitcnt lgkmcnt(1)
	v_add3_u32 v0, v55, v69, s14
	global_store_dword v[64:65], v66, off
	v_xor_b32_e32 v60, 0x80000000, v62
	v_xor_b32_e32 v64, 0x80000000, v63
	v_lshl_add_u64 v[62:63], v[0:1], 2, s[54:55]
	s_waitcnt lgkmcnt(0)
	v_add3_u32 v0, v55, v67, s15
	global_store_dword v[62:63], v60, off
	v_lshl_add_u64 v[62:63], v[0:1], 2, s[54:55]
	global_store_dword v[62:63], v64, off
	scratch_store_dwordx4 off, v[56:59], s7
	s_add_i32 s7, s7, 16
	s_cmp_eq_u32 s16, 0xffff0000
	v_add_u32_e32 v55, 0x1000, v55
	s_barrier
	s_cbranch_scc1 .LBB832_295
.LBB832_263:                            ; =>This Inner Loop Header: Depth=1
	v_add_u32_e32 v0, s10, v8
	v_cmp_gt_u32_e64 s[0:1], s11, v0
	s_and_saveexec_b64 s[2:3], s[0:1]
; %bb.264:                              ;   in Loop: Header=BB832_263 Depth=1
	v_add_u32_e32 v0, s16, v16
	ds_write_b32 v0, v3
; %bb.265:                              ;   in Loop: Header=BB832_263 Depth=1
	s_or_b64 exec, exec, s[2:3]
	v_add_u32_e32 v0, s10, v13
	v_cmp_gt_u32_e64 s[0:1], s11, v0
	s_and_saveexec_b64 s[2:3], s[0:1]
; %bb.266:                              ;   in Loop: Header=BB832_263 Depth=1
	v_add_u32_e32 v0, s16, v20
	ds_write_b32 v0, v5
; %bb.267:                              ;   in Loop: Header=BB832_263 Depth=1
	s_or_b64 exec, exec, s[2:3]
	;; [unrolled: 8-line block ×15, first 2 shown]
	v_add_u32_e32 v0, s10, v10
	v_cmp_gt_u32_e64 s[0:1], s11, v0
	s_and_saveexec_b64 s[2:3], s[0:1]
	s_cbranch_execz .LBB832_262
; %bb.294:                              ;   in Loop: Header=BB832_263 Depth=1
	v_add_u32_e32 v0, s16, v9
	ds_write_b32 v0, v61
	s_branch .LBB832_262
.LBB832_295:
	s_add_u32 s0, s56, s8
	s_addc_u32 s1, s57, s9
	v_mov_b32_e32 v5, 0
	v_lshl_add_u64 v[0:1], s[0:1], 0, v[4:5]
	v_mov_b32_e32 v7, v5
	v_lshl_add_u64 v[44:45], v[0:1], 0, v[6:7]
	global_load_dword v0, v[44:45], off
	global_load_dword v1, v[44:45], off offset:256
	global_load_dword v3, v[44:45], off offset:512
	;; [unrolled: 1-line block ×14, first 2 shown]
	s_nop 0
	global_load_dword v44, v[44:45], off offset:3840
	s_mov_b32 s4, 0
	s_mov_b32 s5, 0
	s_movk_i32 s6, 0x1000
	s_movk_i32 s7, 0x400
	;; [unrolled: 1-line block ×4, first 2 shown]
	s_mov_b32 s10, 0
	s_branch .LBB832_297
.LBB832_296:                            ;   in Loop: Header=BB832_297 Depth=1
	s_or_b64 exec, exec, s[2:3]
	s_waitcnt lgkmcnt(0)
	s_barrier
	scratch_load_dwordx4 v[56:59], off, s4
	ds_read2st64_b32 v[60:61], v25 offset0:4 offset1:20
	ds_read2st64_b32 v[62:63], v25 offset0:36 offset1:52
	s_addk_i32 s10, 0xc000
	s_addk_i32 s5, 0xf000
	s_add_i32 s4, s4, 16
	s_cmp_eq_u32 s10, 0xffff0000
	s_waitcnt vmcnt(0)
	v_lshlrev_b32_e32 v4, 2, v56
	ds_read_b32 v4, v4
	v_lshlrev_b32_e32 v45, 2, v57
	v_lshlrev_b32_e32 v55, 2, v58
	;; [unrolled: 1-line block ×3, first 2 shown]
	ds_read_b32 v45, v45
	ds_read_b32 v55, v55
	;; [unrolled: 1-line block ×3, first 2 shown]
	s_waitcnt lgkmcnt(3)
	v_add_u32_e32 v4, v2, v4
	v_lshl_add_u64 v[56:57], v[4:5], 2, s[58:59]
	s_waitcnt lgkmcnt(2)
	v_add3_u32 v4, v2, v45, s7
	global_store_dword v[56:57], v60, off
	v_lshl_add_u64 v[56:57], v[4:5], 2, s[58:59]
	s_waitcnt lgkmcnt(1)
	v_add3_u32 v4, v2, v55, s8
	global_store_dword v[56:57], v61, off
	;; [unrolled: 4-line block ×3, first 2 shown]
	v_lshl_add_u64 v[56:57], v[4:5], 2, s[58:59]
	v_add_u32_e32 v2, 0x1000, v2
	global_store_dword v[56:57], v63, off
	s_barrier
	s_cbranch_scc1 .LBB832_329
.LBB832_297:                            ; =>This Inner Loop Header: Depth=1
	v_add_u32_e32 v4, s5, v8
	v_cmp_gt_u32_e64 s[0:1], s6, v4
	s_and_saveexec_b64 s[2:3], s[0:1]
	s_cbranch_execz .LBB832_299
; %bb.298:                              ;   in Loop: Header=BB832_297 Depth=1
	v_add_u32_e32 v4, s10, v16
	s_waitcnt vmcnt(15)
	ds_write_b32 v4, v0
.LBB832_299:                            ;   in Loop: Header=BB832_297 Depth=1
	s_or_b64 exec, exec, s[2:3]
	v_add_u32_e32 v4, s5, v13
	v_cmp_gt_u32_e64 s[0:1], s6, v4
	s_and_saveexec_b64 s[2:3], s[0:1]
	s_cbranch_execz .LBB832_301
; %bb.300:                              ;   in Loop: Header=BB832_297 Depth=1
	v_add_u32_e32 v4, s10, v20
	s_waitcnt vmcnt(14)
	ds_write_b32 v4, v1
.LBB832_301:                            ;   in Loop: Header=BB832_297 Depth=1
	s_or_b64 exec, exec, s[2:3]
	;; [unrolled: 10-line block ×15, first 2 shown]
	v_add_u32_e32 v4, s5, v10
	v_cmp_gt_u32_e64 s[0:1], s6, v4
	s_and_saveexec_b64 s[2:3], s[0:1]
	s_cbranch_execz .LBB832_296
; %bb.328:                              ;   in Loop: Header=BB832_297 Depth=1
	v_add_u32_e32 v4, s10, v9
	s_waitcnt vmcnt(0)
	ds_write_b32 v4, v44
	s_branch .LBB832_296
.LBB832_329:
	s_add_i32 s12, s12, -1
	s_cmp_eq_u32 s33, s12
	s_cselect_b64 s[0:1], -1, 0
	s_xor_b64 s[2:3], vcc, -1
	s_and_b64 s[0:1], s[2:3], s[0:1]
	s_and_saveexec_b64 s[2:3], s[0:1]
	s_cbranch_execz .LBB832_331
; %bb.330:
	ds_read_b32 v0, v25
	s_waitcnt lgkmcnt(0)
	v_add3_u32 v0, v18, v21, v0
	global_store_dword v25, v0, s[62:63]
.LBB832_331:
	s_endpgm
	.section	.rodata,"a",@progbits
	.p2align	6, 0x0
	.amdhsa_kernel _ZN7rocprim17ROCPRIM_400000_NS6detail17trampoline_kernelINS0_14default_configENS1_35radix_sort_onesweep_config_selectorIiiEEZZNS1_29radix_sort_onesweep_iterationIS3_Lb0EN6thrust23THRUST_200600_302600_NS6detail15normal_iteratorINS8_10device_ptrIiEEEESD_SD_SD_jNS0_19identity_decomposerENS1_16block_id_wrapperIjLb1EEEEE10hipError_tT1_PNSt15iterator_traitsISI_E10value_typeET2_T3_PNSJ_ISO_E10value_typeET4_T5_PST_SU_PNS1_23onesweep_lookback_stateEbbT6_jjT7_P12ihipStream_tbENKUlT_T0_SI_SN_E_clISD_PiSD_S15_EEDaS11_S12_SI_SN_EUlS11_E_NS1_11comp_targetILNS1_3genE6ELNS1_11target_archE950ELNS1_3gpuE13ELNS1_3repE0EEENS1_47radix_sort_onesweep_sort_config_static_selectorELNS0_4arch9wavefront6targetE1EEEvSI_
		.amdhsa_group_segment_fixed_size 20552
		.amdhsa_private_segment_fixed_size 80
		.amdhsa_kernarg_size 344
		.amdhsa_user_sgpr_count 2
		.amdhsa_user_sgpr_dispatch_ptr 0
		.amdhsa_user_sgpr_queue_ptr 0
		.amdhsa_user_sgpr_kernarg_segment_ptr 1
		.amdhsa_user_sgpr_dispatch_id 0
		.amdhsa_user_sgpr_kernarg_preload_length 0
		.amdhsa_user_sgpr_kernarg_preload_offset 0
		.amdhsa_user_sgpr_private_segment_size 0
		.amdhsa_uses_dynamic_stack 0
		.amdhsa_enable_private_segment 1
		.amdhsa_system_sgpr_workgroup_id_x 1
		.amdhsa_system_sgpr_workgroup_id_y 0
		.amdhsa_system_sgpr_workgroup_id_z 0
		.amdhsa_system_sgpr_workgroup_info 0
		.amdhsa_system_vgpr_workitem_id 2
		.amdhsa_next_free_vgpr 89
		.amdhsa_next_free_sgpr 73
		.amdhsa_accum_offset 92
		.amdhsa_reserve_vcc 1
		.amdhsa_float_round_mode_32 0
		.amdhsa_float_round_mode_16_64 0
		.amdhsa_float_denorm_mode_32 3
		.amdhsa_float_denorm_mode_16_64 3
		.amdhsa_dx10_clamp 1
		.amdhsa_ieee_mode 1
		.amdhsa_fp16_overflow 0
		.amdhsa_tg_split 0
		.amdhsa_exception_fp_ieee_invalid_op 0
		.amdhsa_exception_fp_denorm_src 0
		.amdhsa_exception_fp_ieee_div_zero 0
		.amdhsa_exception_fp_ieee_overflow 0
		.amdhsa_exception_fp_ieee_underflow 0
		.amdhsa_exception_fp_ieee_inexact 0
		.amdhsa_exception_int_div_zero 0
	.end_amdhsa_kernel
	.section	.text._ZN7rocprim17ROCPRIM_400000_NS6detail17trampoline_kernelINS0_14default_configENS1_35radix_sort_onesweep_config_selectorIiiEEZZNS1_29radix_sort_onesweep_iterationIS3_Lb0EN6thrust23THRUST_200600_302600_NS6detail15normal_iteratorINS8_10device_ptrIiEEEESD_SD_SD_jNS0_19identity_decomposerENS1_16block_id_wrapperIjLb1EEEEE10hipError_tT1_PNSt15iterator_traitsISI_E10value_typeET2_T3_PNSJ_ISO_E10value_typeET4_T5_PST_SU_PNS1_23onesweep_lookback_stateEbbT6_jjT7_P12ihipStream_tbENKUlT_T0_SI_SN_E_clISD_PiSD_S15_EEDaS11_S12_SI_SN_EUlS11_E_NS1_11comp_targetILNS1_3genE6ELNS1_11target_archE950ELNS1_3gpuE13ELNS1_3repE0EEENS1_47radix_sort_onesweep_sort_config_static_selectorELNS0_4arch9wavefront6targetE1EEEvSI_,"axG",@progbits,_ZN7rocprim17ROCPRIM_400000_NS6detail17trampoline_kernelINS0_14default_configENS1_35radix_sort_onesweep_config_selectorIiiEEZZNS1_29radix_sort_onesweep_iterationIS3_Lb0EN6thrust23THRUST_200600_302600_NS6detail15normal_iteratorINS8_10device_ptrIiEEEESD_SD_SD_jNS0_19identity_decomposerENS1_16block_id_wrapperIjLb1EEEEE10hipError_tT1_PNSt15iterator_traitsISI_E10value_typeET2_T3_PNSJ_ISO_E10value_typeET4_T5_PST_SU_PNS1_23onesweep_lookback_stateEbbT6_jjT7_P12ihipStream_tbENKUlT_T0_SI_SN_E_clISD_PiSD_S15_EEDaS11_S12_SI_SN_EUlS11_E_NS1_11comp_targetILNS1_3genE6ELNS1_11target_archE950ELNS1_3gpuE13ELNS1_3repE0EEENS1_47radix_sort_onesweep_sort_config_static_selectorELNS0_4arch9wavefront6targetE1EEEvSI_,comdat
.Lfunc_end832:
	.size	_ZN7rocprim17ROCPRIM_400000_NS6detail17trampoline_kernelINS0_14default_configENS1_35radix_sort_onesweep_config_selectorIiiEEZZNS1_29radix_sort_onesweep_iterationIS3_Lb0EN6thrust23THRUST_200600_302600_NS6detail15normal_iteratorINS8_10device_ptrIiEEEESD_SD_SD_jNS0_19identity_decomposerENS1_16block_id_wrapperIjLb1EEEEE10hipError_tT1_PNSt15iterator_traitsISI_E10value_typeET2_T3_PNSJ_ISO_E10value_typeET4_T5_PST_SU_PNS1_23onesweep_lookback_stateEbbT6_jjT7_P12ihipStream_tbENKUlT_T0_SI_SN_E_clISD_PiSD_S15_EEDaS11_S12_SI_SN_EUlS11_E_NS1_11comp_targetILNS1_3genE6ELNS1_11target_archE950ELNS1_3gpuE13ELNS1_3repE0EEENS1_47radix_sort_onesweep_sort_config_static_selectorELNS0_4arch9wavefront6targetE1EEEvSI_, .Lfunc_end832-_ZN7rocprim17ROCPRIM_400000_NS6detail17trampoline_kernelINS0_14default_configENS1_35radix_sort_onesweep_config_selectorIiiEEZZNS1_29radix_sort_onesweep_iterationIS3_Lb0EN6thrust23THRUST_200600_302600_NS6detail15normal_iteratorINS8_10device_ptrIiEEEESD_SD_SD_jNS0_19identity_decomposerENS1_16block_id_wrapperIjLb1EEEEE10hipError_tT1_PNSt15iterator_traitsISI_E10value_typeET2_T3_PNSJ_ISO_E10value_typeET4_T5_PST_SU_PNS1_23onesweep_lookback_stateEbbT6_jjT7_P12ihipStream_tbENKUlT_T0_SI_SN_E_clISD_PiSD_S15_EEDaS11_S12_SI_SN_EUlS11_E_NS1_11comp_targetILNS1_3genE6ELNS1_11target_archE950ELNS1_3gpuE13ELNS1_3repE0EEENS1_47radix_sort_onesweep_sort_config_static_selectorELNS0_4arch9wavefront6targetE1EEEvSI_
                                        ; -- End function
	.set _ZN7rocprim17ROCPRIM_400000_NS6detail17trampoline_kernelINS0_14default_configENS1_35radix_sort_onesweep_config_selectorIiiEEZZNS1_29radix_sort_onesweep_iterationIS3_Lb0EN6thrust23THRUST_200600_302600_NS6detail15normal_iteratorINS8_10device_ptrIiEEEESD_SD_SD_jNS0_19identity_decomposerENS1_16block_id_wrapperIjLb1EEEEE10hipError_tT1_PNSt15iterator_traitsISI_E10value_typeET2_T3_PNSJ_ISO_E10value_typeET4_T5_PST_SU_PNS1_23onesweep_lookback_stateEbbT6_jjT7_P12ihipStream_tbENKUlT_T0_SI_SN_E_clISD_PiSD_S15_EEDaS11_S12_SI_SN_EUlS11_E_NS1_11comp_targetILNS1_3genE6ELNS1_11target_archE950ELNS1_3gpuE13ELNS1_3repE0EEENS1_47radix_sort_onesweep_sort_config_static_selectorELNS0_4arch9wavefront6targetE1EEEvSI_.num_vgpr, 89
	.set _ZN7rocprim17ROCPRIM_400000_NS6detail17trampoline_kernelINS0_14default_configENS1_35radix_sort_onesweep_config_selectorIiiEEZZNS1_29radix_sort_onesweep_iterationIS3_Lb0EN6thrust23THRUST_200600_302600_NS6detail15normal_iteratorINS8_10device_ptrIiEEEESD_SD_SD_jNS0_19identity_decomposerENS1_16block_id_wrapperIjLb1EEEEE10hipError_tT1_PNSt15iterator_traitsISI_E10value_typeET2_T3_PNSJ_ISO_E10value_typeET4_T5_PST_SU_PNS1_23onesweep_lookback_stateEbbT6_jjT7_P12ihipStream_tbENKUlT_T0_SI_SN_E_clISD_PiSD_S15_EEDaS11_S12_SI_SN_EUlS11_E_NS1_11comp_targetILNS1_3genE6ELNS1_11target_archE950ELNS1_3gpuE13ELNS1_3repE0EEENS1_47radix_sort_onesweep_sort_config_static_selectorELNS0_4arch9wavefront6targetE1EEEvSI_.num_agpr, 0
	.set _ZN7rocprim17ROCPRIM_400000_NS6detail17trampoline_kernelINS0_14default_configENS1_35radix_sort_onesweep_config_selectorIiiEEZZNS1_29radix_sort_onesweep_iterationIS3_Lb0EN6thrust23THRUST_200600_302600_NS6detail15normal_iteratorINS8_10device_ptrIiEEEESD_SD_SD_jNS0_19identity_decomposerENS1_16block_id_wrapperIjLb1EEEEE10hipError_tT1_PNSt15iterator_traitsISI_E10value_typeET2_T3_PNSJ_ISO_E10value_typeET4_T5_PST_SU_PNS1_23onesweep_lookback_stateEbbT6_jjT7_P12ihipStream_tbENKUlT_T0_SI_SN_E_clISD_PiSD_S15_EEDaS11_S12_SI_SN_EUlS11_E_NS1_11comp_targetILNS1_3genE6ELNS1_11target_archE950ELNS1_3gpuE13ELNS1_3repE0EEENS1_47radix_sort_onesweep_sort_config_static_selectorELNS0_4arch9wavefront6targetE1EEEvSI_.numbered_sgpr, 73
	.set _ZN7rocprim17ROCPRIM_400000_NS6detail17trampoline_kernelINS0_14default_configENS1_35radix_sort_onesweep_config_selectorIiiEEZZNS1_29radix_sort_onesweep_iterationIS3_Lb0EN6thrust23THRUST_200600_302600_NS6detail15normal_iteratorINS8_10device_ptrIiEEEESD_SD_SD_jNS0_19identity_decomposerENS1_16block_id_wrapperIjLb1EEEEE10hipError_tT1_PNSt15iterator_traitsISI_E10value_typeET2_T3_PNSJ_ISO_E10value_typeET4_T5_PST_SU_PNS1_23onesweep_lookback_stateEbbT6_jjT7_P12ihipStream_tbENKUlT_T0_SI_SN_E_clISD_PiSD_S15_EEDaS11_S12_SI_SN_EUlS11_E_NS1_11comp_targetILNS1_3genE6ELNS1_11target_archE950ELNS1_3gpuE13ELNS1_3repE0EEENS1_47radix_sort_onesweep_sort_config_static_selectorELNS0_4arch9wavefront6targetE1EEEvSI_.num_named_barrier, 0
	.set _ZN7rocprim17ROCPRIM_400000_NS6detail17trampoline_kernelINS0_14default_configENS1_35radix_sort_onesweep_config_selectorIiiEEZZNS1_29radix_sort_onesweep_iterationIS3_Lb0EN6thrust23THRUST_200600_302600_NS6detail15normal_iteratorINS8_10device_ptrIiEEEESD_SD_SD_jNS0_19identity_decomposerENS1_16block_id_wrapperIjLb1EEEEE10hipError_tT1_PNSt15iterator_traitsISI_E10value_typeET2_T3_PNSJ_ISO_E10value_typeET4_T5_PST_SU_PNS1_23onesweep_lookback_stateEbbT6_jjT7_P12ihipStream_tbENKUlT_T0_SI_SN_E_clISD_PiSD_S15_EEDaS11_S12_SI_SN_EUlS11_E_NS1_11comp_targetILNS1_3genE6ELNS1_11target_archE950ELNS1_3gpuE13ELNS1_3repE0EEENS1_47radix_sort_onesweep_sort_config_static_selectorELNS0_4arch9wavefront6targetE1EEEvSI_.private_seg_size, 80
	.set _ZN7rocprim17ROCPRIM_400000_NS6detail17trampoline_kernelINS0_14default_configENS1_35radix_sort_onesweep_config_selectorIiiEEZZNS1_29radix_sort_onesweep_iterationIS3_Lb0EN6thrust23THRUST_200600_302600_NS6detail15normal_iteratorINS8_10device_ptrIiEEEESD_SD_SD_jNS0_19identity_decomposerENS1_16block_id_wrapperIjLb1EEEEE10hipError_tT1_PNSt15iterator_traitsISI_E10value_typeET2_T3_PNSJ_ISO_E10value_typeET4_T5_PST_SU_PNS1_23onesweep_lookback_stateEbbT6_jjT7_P12ihipStream_tbENKUlT_T0_SI_SN_E_clISD_PiSD_S15_EEDaS11_S12_SI_SN_EUlS11_E_NS1_11comp_targetILNS1_3genE6ELNS1_11target_archE950ELNS1_3gpuE13ELNS1_3repE0EEENS1_47radix_sort_onesweep_sort_config_static_selectorELNS0_4arch9wavefront6targetE1EEEvSI_.uses_vcc, 1
	.set _ZN7rocprim17ROCPRIM_400000_NS6detail17trampoline_kernelINS0_14default_configENS1_35radix_sort_onesweep_config_selectorIiiEEZZNS1_29radix_sort_onesweep_iterationIS3_Lb0EN6thrust23THRUST_200600_302600_NS6detail15normal_iteratorINS8_10device_ptrIiEEEESD_SD_SD_jNS0_19identity_decomposerENS1_16block_id_wrapperIjLb1EEEEE10hipError_tT1_PNSt15iterator_traitsISI_E10value_typeET2_T3_PNSJ_ISO_E10value_typeET4_T5_PST_SU_PNS1_23onesweep_lookback_stateEbbT6_jjT7_P12ihipStream_tbENKUlT_T0_SI_SN_E_clISD_PiSD_S15_EEDaS11_S12_SI_SN_EUlS11_E_NS1_11comp_targetILNS1_3genE6ELNS1_11target_archE950ELNS1_3gpuE13ELNS1_3repE0EEENS1_47radix_sort_onesweep_sort_config_static_selectorELNS0_4arch9wavefront6targetE1EEEvSI_.uses_flat_scratch, 0
	.set _ZN7rocprim17ROCPRIM_400000_NS6detail17trampoline_kernelINS0_14default_configENS1_35radix_sort_onesweep_config_selectorIiiEEZZNS1_29radix_sort_onesweep_iterationIS3_Lb0EN6thrust23THRUST_200600_302600_NS6detail15normal_iteratorINS8_10device_ptrIiEEEESD_SD_SD_jNS0_19identity_decomposerENS1_16block_id_wrapperIjLb1EEEEE10hipError_tT1_PNSt15iterator_traitsISI_E10value_typeET2_T3_PNSJ_ISO_E10value_typeET4_T5_PST_SU_PNS1_23onesweep_lookback_stateEbbT6_jjT7_P12ihipStream_tbENKUlT_T0_SI_SN_E_clISD_PiSD_S15_EEDaS11_S12_SI_SN_EUlS11_E_NS1_11comp_targetILNS1_3genE6ELNS1_11target_archE950ELNS1_3gpuE13ELNS1_3repE0EEENS1_47radix_sort_onesweep_sort_config_static_selectorELNS0_4arch9wavefront6targetE1EEEvSI_.has_dyn_sized_stack, 0
	.set _ZN7rocprim17ROCPRIM_400000_NS6detail17trampoline_kernelINS0_14default_configENS1_35radix_sort_onesweep_config_selectorIiiEEZZNS1_29radix_sort_onesweep_iterationIS3_Lb0EN6thrust23THRUST_200600_302600_NS6detail15normal_iteratorINS8_10device_ptrIiEEEESD_SD_SD_jNS0_19identity_decomposerENS1_16block_id_wrapperIjLb1EEEEE10hipError_tT1_PNSt15iterator_traitsISI_E10value_typeET2_T3_PNSJ_ISO_E10value_typeET4_T5_PST_SU_PNS1_23onesweep_lookback_stateEbbT6_jjT7_P12ihipStream_tbENKUlT_T0_SI_SN_E_clISD_PiSD_S15_EEDaS11_S12_SI_SN_EUlS11_E_NS1_11comp_targetILNS1_3genE6ELNS1_11target_archE950ELNS1_3gpuE13ELNS1_3repE0EEENS1_47radix_sort_onesweep_sort_config_static_selectorELNS0_4arch9wavefront6targetE1EEEvSI_.has_recursion, 0
	.set _ZN7rocprim17ROCPRIM_400000_NS6detail17trampoline_kernelINS0_14default_configENS1_35radix_sort_onesweep_config_selectorIiiEEZZNS1_29radix_sort_onesweep_iterationIS3_Lb0EN6thrust23THRUST_200600_302600_NS6detail15normal_iteratorINS8_10device_ptrIiEEEESD_SD_SD_jNS0_19identity_decomposerENS1_16block_id_wrapperIjLb1EEEEE10hipError_tT1_PNSt15iterator_traitsISI_E10value_typeET2_T3_PNSJ_ISO_E10value_typeET4_T5_PST_SU_PNS1_23onesweep_lookback_stateEbbT6_jjT7_P12ihipStream_tbENKUlT_T0_SI_SN_E_clISD_PiSD_S15_EEDaS11_S12_SI_SN_EUlS11_E_NS1_11comp_targetILNS1_3genE6ELNS1_11target_archE950ELNS1_3gpuE13ELNS1_3repE0EEENS1_47radix_sort_onesweep_sort_config_static_selectorELNS0_4arch9wavefront6targetE1EEEvSI_.has_indirect_call, 0
	.section	.AMDGPU.csdata,"",@progbits
; Kernel info:
; codeLenInByte = 22700
; TotalNumSgprs: 79
; NumVgprs: 89
; NumAgprs: 0
; TotalNumVgprs: 89
; ScratchSize: 80
; MemoryBound: 0
; FloatMode: 240
; IeeeMode: 1
; LDSByteSize: 20552 bytes/workgroup (compile time only)
; SGPRBlocks: 9
; VGPRBlocks: 11
; NumSGPRsForWavesPerEU: 79
; NumVGPRsForWavesPerEU: 89
; AccumOffset: 92
; Occupancy: 5
; WaveLimiterHint : 1
; COMPUTE_PGM_RSRC2:SCRATCH_EN: 1
; COMPUTE_PGM_RSRC2:USER_SGPR: 2
; COMPUTE_PGM_RSRC2:TRAP_HANDLER: 0
; COMPUTE_PGM_RSRC2:TGID_X_EN: 1
; COMPUTE_PGM_RSRC2:TGID_Y_EN: 0
; COMPUTE_PGM_RSRC2:TGID_Z_EN: 0
; COMPUTE_PGM_RSRC2:TIDIG_COMP_CNT: 2
; COMPUTE_PGM_RSRC3_GFX90A:ACCUM_OFFSET: 22
; COMPUTE_PGM_RSRC3_GFX90A:TG_SPLIT: 0
	.section	.text._ZN7rocprim17ROCPRIM_400000_NS6detail17trampoline_kernelINS0_14default_configENS1_35radix_sort_onesweep_config_selectorIiiEEZZNS1_29radix_sort_onesweep_iterationIS3_Lb0EN6thrust23THRUST_200600_302600_NS6detail15normal_iteratorINS8_10device_ptrIiEEEESD_SD_SD_jNS0_19identity_decomposerENS1_16block_id_wrapperIjLb1EEEEE10hipError_tT1_PNSt15iterator_traitsISI_E10value_typeET2_T3_PNSJ_ISO_E10value_typeET4_T5_PST_SU_PNS1_23onesweep_lookback_stateEbbT6_jjT7_P12ihipStream_tbENKUlT_T0_SI_SN_E_clISD_PiSD_S15_EEDaS11_S12_SI_SN_EUlS11_E_NS1_11comp_targetILNS1_3genE5ELNS1_11target_archE942ELNS1_3gpuE9ELNS1_3repE0EEENS1_47radix_sort_onesweep_sort_config_static_selectorELNS0_4arch9wavefront6targetE1EEEvSI_,"axG",@progbits,_ZN7rocprim17ROCPRIM_400000_NS6detail17trampoline_kernelINS0_14default_configENS1_35radix_sort_onesweep_config_selectorIiiEEZZNS1_29radix_sort_onesweep_iterationIS3_Lb0EN6thrust23THRUST_200600_302600_NS6detail15normal_iteratorINS8_10device_ptrIiEEEESD_SD_SD_jNS0_19identity_decomposerENS1_16block_id_wrapperIjLb1EEEEE10hipError_tT1_PNSt15iterator_traitsISI_E10value_typeET2_T3_PNSJ_ISO_E10value_typeET4_T5_PST_SU_PNS1_23onesweep_lookback_stateEbbT6_jjT7_P12ihipStream_tbENKUlT_T0_SI_SN_E_clISD_PiSD_S15_EEDaS11_S12_SI_SN_EUlS11_E_NS1_11comp_targetILNS1_3genE5ELNS1_11target_archE942ELNS1_3gpuE9ELNS1_3repE0EEENS1_47radix_sort_onesweep_sort_config_static_selectorELNS0_4arch9wavefront6targetE1EEEvSI_,comdat
	.protected	_ZN7rocprim17ROCPRIM_400000_NS6detail17trampoline_kernelINS0_14default_configENS1_35radix_sort_onesweep_config_selectorIiiEEZZNS1_29radix_sort_onesweep_iterationIS3_Lb0EN6thrust23THRUST_200600_302600_NS6detail15normal_iteratorINS8_10device_ptrIiEEEESD_SD_SD_jNS0_19identity_decomposerENS1_16block_id_wrapperIjLb1EEEEE10hipError_tT1_PNSt15iterator_traitsISI_E10value_typeET2_T3_PNSJ_ISO_E10value_typeET4_T5_PST_SU_PNS1_23onesweep_lookback_stateEbbT6_jjT7_P12ihipStream_tbENKUlT_T0_SI_SN_E_clISD_PiSD_S15_EEDaS11_S12_SI_SN_EUlS11_E_NS1_11comp_targetILNS1_3genE5ELNS1_11target_archE942ELNS1_3gpuE9ELNS1_3repE0EEENS1_47radix_sort_onesweep_sort_config_static_selectorELNS0_4arch9wavefront6targetE1EEEvSI_ ; -- Begin function _ZN7rocprim17ROCPRIM_400000_NS6detail17trampoline_kernelINS0_14default_configENS1_35radix_sort_onesweep_config_selectorIiiEEZZNS1_29radix_sort_onesweep_iterationIS3_Lb0EN6thrust23THRUST_200600_302600_NS6detail15normal_iteratorINS8_10device_ptrIiEEEESD_SD_SD_jNS0_19identity_decomposerENS1_16block_id_wrapperIjLb1EEEEE10hipError_tT1_PNSt15iterator_traitsISI_E10value_typeET2_T3_PNSJ_ISO_E10value_typeET4_T5_PST_SU_PNS1_23onesweep_lookback_stateEbbT6_jjT7_P12ihipStream_tbENKUlT_T0_SI_SN_E_clISD_PiSD_S15_EEDaS11_S12_SI_SN_EUlS11_E_NS1_11comp_targetILNS1_3genE5ELNS1_11target_archE942ELNS1_3gpuE9ELNS1_3repE0EEENS1_47radix_sort_onesweep_sort_config_static_selectorELNS0_4arch9wavefront6targetE1EEEvSI_
	.globl	_ZN7rocprim17ROCPRIM_400000_NS6detail17trampoline_kernelINS0_14default_configENS1_35radix_sort_onesweep_config_selectorIiiEEZZNS1_29radix_sort_onesweep_iterationIS3_Lb0EN6thrust23THRUST_200600_302600_NS6detail15normal_iteratorINS8_10device_ptrIiEEEESD_SD_SD_jNS0_19identity_decomposerENS1_16block_id_wrapperIjLb1EEEEE10hipError_tT1_PNSt15iterator_traitsISI_E10value_typeET2_T3_PNSJ_ISO_E10value_typeET4_T5_PST_SU_PNS1_23onesweep_lookback_stateEbbT6_jjT7_P12ihipStream_tbENKUlT_T0_SI_SN_E_clISD_PiSD_S15_EEDaS11_S12_SI_SN_EUlS11_E_NS1_11comp_targetILNS1_3genE5ELNS1_11target_archE942ELNS1_3gpuE9ELNS1_3repE0EEENS1_47radix_sort_onesweep_sort_config_static_selectorELNS0_4arch9wavefront6targetE1EEEvSI_
	.p2align	8
	.type	_ZN7rocprim17ROCPRIM_400000_NS6detail17trampoline_kernelINS0_14default_configENS1_35radix_sort_onesweep_config_selectorIiiEEZZNS1_29radix_sort_onesweep_iterationIS3_Lb0EN6thrust23THRUST_200600_302600_NS6detail15normal_iteratorINS8_10device_ptrIiEEEESD_SD_SD_jNS0_19identity_decomposerENS1_16block_id_wrapperIjLb1EEEEE10hipError_tT1_PNSt15iterator_traitsISI_E10value_typeET2_T3_PNSJ_ISO_E10value_typeET4_T5_PST_SU_PNS1_23onesweep_lookback_stateEbbT6_jjT7_P12ihipStream_tbENKUlT_T0_SI_SN_E_clISD_PiSD_S15_EEDaS11_S12_SI_SN_EUlS11_E_NS1_11comp_targetILNS1_3genE5ELNS1_11target_archE942ELNS1_3gpuE9ELNS1_3repE0EEENS1_47radix_sort_onesweep_sort_config_static_selectorELNS0_4arch9wavefront6targetE1EEEvSI_,@function
_ZN7rocprim17ROCPRIM_400000_NS6detail17trampoline_kernelINS0_14default_configENS1_35radix_sort_onesweep_config_selectorIiiEEZZNS1_29radix_sort_onesweep_iterationIS3_Lb0EN6thrust23THRUST_200600_302600_NS6detail15normal_iteratorINS8_10device_ptrIiEEEESD_SD_SD_jNS0_19identity_decomposerENS1_16block_id_wrapperIjLb1EEEEE10hipError_tT1_PNSt15iterator_traitsISI_E10value_typeET2_T3_PNSJ_ISO_E10value_typeET4_T5_PST_SU_PNS1_23onesweep_lookback_stateEbbT6_jjT7_P12ihipStream_tbENKUlT_T0_SI_SN_E_clISD_PiSD_S15_EEDaS11_S12_SI_SN_EUlS11_E_NS1_11comp_targetILNS1_3genE5ELNS1_11target_archE942ELNS1_3gpuE9ELNS1_3repE0EEENS1_47radix_sort_onesweep_sort_config_static_selectorELNS0_4arch9wavefront6targetE1EEEvSI_: ; @_ZN7rocprim17ROCPRIM_400000_NS6detail17trampoline_kernelINS0_14default_configENS1_35radix_sort_onesweep_config_selectorIiiEEZZNS1_29radix_sort_onesweep_iterationIS3_Lb0EN6thrust23THRUST_200600_302600_NS6detail15normal_iteratorINS8_10device_ptrIiEEEESD_SD_SD_jNS0_19identity_decomposerENS1_16block_id_wrapperIjLb1EEEEE10hipError_tT1_PNSt15iterator_traitsISI_E10value_typeET2_T3_PNSJ_ISO_E10value_typeET4_T5_PST_SU_PNS1_23onesweep_lookback_stateEbbT6_jjT7_P12ihipStream_tbENKUlT_T0_SI_SN_E_clISD_PiSD_S15_EEDaS11_S12_SI_SN_EUlS11_E_NS1_11comp_targetILNS1_3genE5ELNS1_11target_archE942ELNS1_3gpuE9ELNS1_3repE0EEENS1_47radix_sort_onesweep_sort_config_static_selectorELNS0_4arch9wavefront6targetE1EEEvSI_
; %bb.0:
	.section	.rodata,"a",@progbits
	.p2align	6, 0x0
	.amdhsa_kernel _ZN7rocprim17ROCPRIM_400000_NS6detail17trampoline_kernelINS0_14default_configENS1_35radix_sort_onesweep_config_selectorIiiEEZZNS1_29radix_sort_onesweep_iterationIS3_Lb0EN6thrust23THRUST_200600_302600_NS6detail15normal_iteratorINS8_10device_ptrIiEEEESD_SD_SD_jNS0_19identity_decomposerENS1_16block_id_wrapperIjLb1EEEEE10hipError_tT1_PNSt15iterator_traitsISI_E10value_typeET2_T3_PNSJ_ISO_E10value_typeET4_T5_PST_SU_PNS1_23onesweep_lookback_stateEbbT6_jjT7_P12ihipStream_tbENKUlT_T0_SI_SN_E_clISD_PiSD_S15_EEDaS11_S12_SI_SN_EUlS11_E_NS1_11comp_targetILNS1_3genE5ELNS1_11target_archE942ELNS1_3gpuE9ELNS1_3repE0EEENS1_47radix_sort_onesweep_sort_config_static_selectorELNS0_4arch9wavefront6targetE1EEEvSI_
		.amdhsa_group_segment_fixed_size 0
		.amdhsa_private_segment_fixed_size 0
		.amdhsa_kernarg_size 88
		.amdhsa_user_sgpr_count 2
		.amdhsa_user_sgpr_dispatch_ptr 0
		.amdhsa_user_sgpr_queue_ptr 0
		.amdhsa_user_sgpr_kernarg_segment_ptr 1
		.amdhsa_user_sgpr_dispatch_id 0
		.amdhsa_user_sgpr_kernarg_preload_length 0
		.amdhsa_user_sgpr_kernarg_preload_offset 0
		.amdhsa_user_sgpr_private_segment_size 0
		.amdhsa_uses_dynamic_stack 0
		.amdhsa_enable_private_segment 0
		.amdhsa_system_sgpr_workgroup_id_x 1
		.amdhsa_system_sgpr_workgroup_id_y 0
		.amdhsa_system_sgpr_workgroup_id_z 0
		.amdhsa_system_sgpr_workgroup_info 0
		.amdhsa_system_vgpr_workitem_id 0
		.amdhsa_next_free_vgpr 1
		.amdhsa_next_free_sgpr 0
		.amdhsa_accum_offset 4
		.amdhsa_reserve_vcc 0
		.amdhsa_float_round_mode_32 0
		.amdhsa_float_round_mode_16_64 0
		.amdhsa_float_denorm_mode_32 3
		.amdhsa_float_denorm_mode_16_64 3
		.amdhsa_dx10_clamp 1
		.amdhsa_ieee_mode 1
		.amdhsa_fp16_overflow 0
		.amdhsa_tg_split 0
		.amdhsa_exception_fp_ieee_invalid_op 0
		.amdhsa_exception_fp_denorm_src 0
		.amdhsa_exception_fp_ieee_div_zero 0
		.amdhsa_exception_fp_ieee_overflow 0
		.amdhsa_exception_fp_ieee_underflow 0
		.amdhsa_exception_fp_ieee_inexact 0
		.amdhsa_exception_int_div_zero 0
	.end_amdhsa_kernel
	.section	.text._ZN7rocprim17ROCPRIM_400000_NS6detail17trampoline_kernelINS0_14default_configENS1_35radix_sort_onesweep_config_selectorIiiEEZZNS1_29radix_sort_onesweep_iterationIS3_Lb0EN6thrust23THRUST_200600_302600_NS6detail15normal_iteratorINS8_10device_ptrIiEEEESD_SD_SD_jNS0_19identity_decomposerENS1_16block_id_wrapperIjLb1EEEEE10hipError_tT1_PNSt15iterator_traitsISI_E10value_typeET2_T3_PNSJ_ISO_E10value_typeET4_T5_PST_SU_PNS1_23onesweep_lookback_stateEbbT6_jjT7_P12ihipStream_tbENKUlT_T0_SI_SN_E_clISD_PiSD_S15_EEDaS11_S12_SI_SN_EUlS11_E_NS1_11comp_targetILNS1_3genE5ELNS1_11target_archE942ELNS1_3gpuE9ELNS1_3repE0EEENS1_47radix_sort_onesweep_sort_config_static_selectorELNS0_4arch9wavefront6targetE1EEEvSI_,"axG",@progbits,_ZN7rocprim17ROCPRIM_400000_NS6detail17trampoline_kernelINS0_14default_configENS1_35radix_sort_onesweep_config_selectorIiiEEZZNS1_29radix_sort_onesweep_iterationIS3_Lb0EN6thrust23THRUST_200600_302600_NS6detail15normal_iteratorINS8_10device_ptrIiEEEESD_SD_SD_jNS0_19identity_decomposerENS1_16block_id_wrapperIjLb1EEEEE10hipError_tT1_PNSt15iterator_traitsISI_E10value_typeET2_T3_PNSJ_ISO_E10value_typeET4_T5_PST_SU_PNS1_23onesweep_lookback_stateEbbT6_jjT7_P12ihipStream_tbENKUlT_T0_SI_SN_E_clISD_PiSD_S15_EEDaS11_S12_SI_SN_EUlS11_E_NS1_11comp_targetILNS1_3genE5ELNS1_11target_archE942ELNS1_3gpuE9ELNS1_3repE0EEENS1_47radix_sort_onesweep_sort_config_static_selectorELNS0_4arch9wavefront6targetE1EEEvSI_,comdat
.Lfunc_end833:
	.size	_ZN7rocprim17ROCPRIM_400000_NS6detail17trampoline_kernelINS0_14default_configENS1_35radix_sort_onesweep_config_selectorIiiEEZZNS1_29radix_sort_onesweep_iterationIS3_Lb0EN6thrust23THRUST_200600_302600_NS6detail15normal_iteratorINS8_10device_ptrIiEEEESD_SD_SD_jNS0_19identity_decomposerENS1_16block_id_wrapperIjLb1EEEEE10hipError_tT1_PNSt15iterator_traitsISI_E10value_typeET2_T3_PNSJ_ISO_E10value_typeET4_T5_PST_SU_PNS1_23onesweep_lookback_stateEbbT6_jjT7_P12ihipStream_tbENKUlT_T0_SI_SN_E_clISD_PiSD_S15_EEDaS11_S12_SI_SN_EUlS11_E_NS1_11comp_targetILNS1_3genE5ELNS1_11target_archE942ELNS1_3gpuE9ELNS1_3repE0EEENS1_47radix_sort_onesweep_sort_config_static_selectorELNS0_4arch9wavefront6targetE1EEEvSI_, .Lfunc_end833-_ZN7rocprim17ROCPRIM_400000_NS6detail17trampoline_kernelINS0_14default_configENS1_35radix_sort_onesweep_config_selectorIiiEEZZNS1_29radix_sort_onesweep_iterationIS3_Lb0EN6thrust23THRUST_200600_302600_NS6detail15normal_iteratorINS8_10device_ptrIiEEEESD_SD_SD_jNS0_19identity_decomposerENS1_16block_id_wrapperIjLb1EEEEE10hipError_tT1_PNSt15iterator_traitsISI_E10value_typeET2_T3_PNSJ_ISO_E10value_typeET4_T5_PST_SU_PNS1_23onesweep_lookback_stateEbbT6_jjT7_P12ihipStream_tbENKUlT_T0_SI_SN_E_clISD_PiSD_S15_EEDaS11_S12_SI_SN_EUlS11_E_NS1_11comp_targetILNS1_3genE5ELNS1_11target_archE942ELNS1_3gpuE9ELNS1_3repE0EEENS1_47radix_sort_onesweep_sort_config_static_selectorELNS0_4arch9wavefront6targetE1EEEvSI_
                                        ; -- End function
	.set _ZN7rocprim17ROCPRIM_400000_NS6detail17trampoline_kernelINS0_14default_configENS1_35radix_sort_onesweep_config_selectorIiiEEZZNS1_29radix_sort_onesweep_iterationIS3_Lb0EN6thrust23THRUST_200600_302600_NS6detail15normal_iteratorINS8_10device_ptrIiEEEESD_SD_SD_jNS0_19identity_decomposerENS1_16block_id_wrapperIjLb1EEEEE10hipError_tT1_PNSt15iterator_traitsISI_E10value_typeET2_T3_PNSJ_ISO_E10value_typeET4_T5_PST_SU_PNS1_23onesweep_lookback_stateEbbT6_jjT7_P12ihipStream_tbENKUlT_T0_SI_SN_E_clISD_PiSD_S15_EEDaS11_S12_SI_SN_EUlS11_E_NS1_11comp_targetILNS1_3genE5ELNS1_11target_archE942ELNS1_3gpuE9ELNS1_3repE0EEENS1_47radix_sort_onesweep_sort_config_static_selectorELNS0_4arch9wavefront6targetE1EEEvSI_.num_vgpr, 0
	.set _ZN7rocprim17ROCPRIM_400000_NS6detail17trampoline_kernelINS0_14default_configENS1_35radix_sort_onesweep_config_selectorIiiEEZZNS1_29radix_sort_onesweep_iterationIS3_Lb0EN6thrust23THRUST_200600_302600_NS6detail15normal_iteratorINS8_10device_ptrIiEEEESD_SD_SD_jNS0_19identity_decomposerENS1_16block_id_wrapperIjLb1EEEEE10hipError_tT1_PNSt15iterator_traitsISI_E10value_typeET2_T3_PNSJ_ISO_E10value_typeET4_T5_PST_SU_PNS1_23onesweep_lookback_stateEbbT6_jjT7_P12ihipStream_tbENKUlT_T0_SI_SN_E_clISD_PiSD_S15_EEDaS11_S12_SI_SN_EUlS11_E_NS1_11comp_targetILNS1_3genE5ELNS1_11target_archE942ELNS1_3gpuE9ELNS1_3repE0EEENS1_47radix_sort_onesweep_sort_config_static_selectorELNS0_4arch9wavefront6targetE1EEEvSI_.num_agpr, 0
	.set _ZN7rocprim17ROCPRIM_400000_NS6detail17trampoline_kernelINS0_14default_configENS1_35radix_sort_onesweep_config_selectorIiiEEZZNS1_29radix_sort_onesweep_iterationIS3_Lb0EN6thrust23THRUST_200600_302600_NS6detail15normal_iteratorINS8_10device_ptrIiEEEESD_SD_SD_jNS0_19identity_decomposerENS1_16block_id_wrapperIjLb1EEEEE10hipError_tT1_PNSt15iterator_traitsISI_E10value_typeET2_T3_PNSJ_ISO_E10value_typeET4_T5_PST_SU_PNS1_23onesweep_lookback_stateEbbT6_jjT7_P12ihipStream_tbENKUlT_T0_SI_SN_E_clISD_PiSD_S15_EEDaS11_S12_SI_SN_EUlS11_E_NS1_11comp_targetILNS1_3genE5ELNS1_11target_archE942ELNS1_3gpuE9ELNS1_3repE0EEENS1_47radix_sort_onesweep_sort_config_static_selectorELNS0_4arch9wavefront6targetE1EEEvSI_.numbered_sgpr, 0
	.set _ZN7rocprim17ROCPRIM_400000_NS6detail17trampoline_kernelINS0_14default_configENS1_35radix_sort_onesweep_config_selectorIiiEEZZNS1_29radix_sort_onesweep_iterationIS3_Lb0EN6thrust23THRUST_200600_302600_NS6detail15normal_iteratorINS8_10device_ptrIiEEEESD_SD_SD_jNS0_19identity_decomposerENS1_16block_id_wrapperIjLb1EEEEE10hipError_tT1_PNSt15iterator_traitsISI_E10value_typeET2_T3_PNSJ_ISO_E10value_typeET4_T5_PST_SU_PNS1_23onesweep_lookback_stateEbbT6_jjT7_P12ihipStream_tbENKUlT_T0_SI_SN_E_clISD_PiSD_S15_EEDaS11_S12_SI_SN_EUlS11_E_NS1_11comp_targetILNS1_3genE5ELNS1_11target_archE942ELNS1_3gpuE9ELNS1_3repE0EEENS1_47radix_sort_onesweep_sort_config_static_selectorELNS0_4arch9wavefront6targetE1EEEvSI_.num_named_barrier, 0
	.set _ZN7rocprim17ROCPRIM_400000_NS6detail17trampoline_kernelINS0_14default_configENS1_35radix_sort_onesweep_config_selectorIiiEEZZNS1_29radix_sort_onesweep_iterationIS3_Lb0EN6thrust23THRUST_200600_302600_NS6detail15normal_iteratorINS8_10device_ptrIiEEEESD_SD_SD_jNS0_19identity_decomposerENS1_16block_id_wrapperIjLb1EEEEE10hipError_tT1_PNSt15iterator_traitsISI_E10value_typeET2_T3_PNSJ_ISO_E10value_typeET4_T5_PST_SU_PNS1_23onesweep_lookback_stateEbbT6_jjT7_P12ihipStream_tbENKUlT_T0_SI_SN_E_clISD_PiSD_S15_EEDaS11_S12_SI_SN_EUlS11_E_NS1_11comp_targetILNS1_3genE5ELNS1_11target_archE942ELNS1_3gpuE9ELNS1_3repE0EEENS1_47radix_sort_onesweep_sort_config_static_selectorELNS0_4arch9wavefront6targetE1EEEvSI_.private_seg_size, 0
	.set _ZN7rocprim17ROCPRIM_400000_NS6detail17trampoline_kernelINS0_14default_configENS1_35radix_sort_onesweep_config_selectorIiiEEZZNS1_29radix_sort_onesweep_iterationIS3_Lb0EN6thrust23THRUST_200600_302600_NS6detail15normal_iteratorINS8_10device_ptrIiEEEESD_SD_SD_jNS0_19identity_decomposerENS1_16block_id_wrapperIjLb1EEEEE10hipError_tT1_PNSt15iterator_traitsISI_E10value_typeET2_T3_PNSJ_ISO_E10value_typeET4_T5_PST_SU_PNS1_23onesweep_lookback_stateEbbT6_jjT7_P12ihipStream_tbENKUlT_T0_SI_SN_E_clISD_PiSD_S15_EEDaS11_S12_SI_SN_EUlS11_E_NS1_11comp_targetILNS1_3genE5ELNS1_11target_archE942ELNS1_3gpuE9ELNS1_3repE0EEENS1_47radix_sort_onesweep_sort_config_static_selectorELNS0_4arch9wavefront6targetE1EEEvSI_.uses_vcc, 0
	.set _ZN7rocprim17ROCPRIM_400000_NS6detail17trampoline_kernelINS0_14default_configENS1_35radix_sort_onesweep_config_selectorIiiEEZZNS1_29radix_sort_onesweep_iterationIS3_Lb0EN6thrust23THRUST_200600_302600_NS6detail15normal_iteratorINS8_10device_ptrIiEEEESD_SD_SD_jNS0_19identity_decomposerENS1_16block_id_wrapperIjLb1EEEEE10hipError_tT1_PNSt15iterator_traitsISI_E10value_typeET2_T3_PNSJ_ISO_E10value_typeET4_T5_PST_SU_PNS1_23onesweep_lookback_stateEbbT6_jjT7_P12ihipStream_tbENKUlT_T0_SI_SN_E_clISD_PiSD_S15_EEDaS11_S12_SI_SN_EUlS11_E_NS1_11comp_targetILNS1_3genE5ELNS1_11target_archE942ELNS1_3gpuE9ELNS1_3repE0EEENS1_47radix_sort_onesweep_sort_config_static_selectorELNS0_4arch9wavefront6targetE1EEEvSI_.uses_flat_scratch, 0
	.set _ZN7rocprim17ROCPRIM_400000_NS6detail17trampoline_kernelINS0_14default_configENS1_35radix_sort_onesweep_config_selectorIiiEEZZNS1_29radix_sort_onesweep_iterationIS3_Lb0EN6thrust23THRUST_200600_302600_NS6detail15normal_iteratorINS8_10device_ptrIiEEEESD_SD_SD_jNS0_19identity_decomposerENS1_16block_id_wrapperIjLb1EEEEE10hipError_tT1_PNSt15iterator_traitsISI_E10value_typeET2_T3_PNSJ_ISO_E10value_typeET4_T5_PST_SU_PNS1_23onesweep_lookback_stateEbbT6_jjT7_P12ihipStream_tbENKUlT_T0_SI_SN_E_clISD_PiSD_S15_EEDaS11_S12_SI_SN_EUlS11_E_NS1_11comp_targetILNS1_3genE5ELNS1_11target_archE942ELNS1_3gpuE9ELNS1_3repE0EEENS1_47radix_sort_onesweep_sort_config_static_selectorELNS0_4arch9wavefront6targetE1EEEvSI_.has_dyn_sized_stack, 0
	.set _ZN7rocprim17ROCPRIM_400000_NS6detail17trampoline_kernelINS0_14default_configENS1_35radix_sort_onesweep_config_selectorIiiEEZZNS1_29radix_sort_onesweep_iterationIS3_Lb0EN6thrust23THRUST_200600_302600_NS6detail15normal_iteratorINS8_10device_ptrIiEEEESD_SD_SD_jNS0_19identity_decomposerENS1_16block_id_wrapperIjLb1EEEEE10hipError_tT1_PNSt15iterator_traitsISI_E10value_typeET2_T3_PNSJ_ISO_E10value_typeET4_T5_PST_SU_PNS1_23onesweep_lookback_stateEbbT6_jjT7_P12ihipStream_tbENKUlT_T0_SI_SN_E_clISD_PiSD_S15_EEDaS11_S12_SI_SN_EUlS11_E_NS1_11comp_targetILNS1_3genE5ELNS1_11target_archE942ELNS1_3gpuE9ELNS1_3repE0EEENS1_47radix_sort_onesweep_sort_config_static_selectorELNS0_4arch9wavefront6targetE1EEEvSI_.has_recursion, 0
	.set _ZN7rocprim17ROCPRIM_400000_NS6detail17trampoline_kernelINS0_14default_configENS1_35radix_sort_onesweep_config_selectorIiiEEZZNS1_29radix_sort_onesweep_iterationIS3_Lb0EN6thrust23THRUST_200600_302600_NS6detail15normal_iteratorINS8_10device_ptrIiEEEESD_SD_SD_jNS0_19identity_decomposerENS1_16block_id_wrapperIjLb1EEEEE10hipError_tT1_PNSt15iterator_traitsISI_E10value_typeET2_T3_PNSJ_ISO_E10value_typeET4_T5_PST_SU_PNS1_23onesweep_lookback_stateEbbT6_jjT7_P12ihipStream_tbENKUlT_T0_SI_SN_E_clISD_PiSD_S15_EEDaS11_S12_SI_SN_EUlS11_E_NS1_11comp_targetILNS1_3genE5ELNS1_11target_archE942ELNS1_3gpuE9ELNS1_3repE0EEENS1_47radix_sort_onesweep_sort_config_static_selectorELNS0_4arch9wavefront6targetE1EEEvSI_.has_indirect_call, 0
	.section	.AMDGPU.csdata,"",@progbits
; Kernel info:
; codeLenInByte = 0
; TotalNumSgprs: 6
; NumVgprs: 0
; NumAgprs: 0
; TotalNumVgprs: 0
; ScratchSize: 0
; MemoryBound: 0
; FloatMode: 240
; IeeeMode: 1
; LDSByteSize: 0 bytes/workgroup (compile time only)
; SGPRBlocks: 0
; VGPRBlocks: 0
; NumSGPRsForWavesPerEU: 6
; NumVGPRsForWavesPerEU: 1
; AccumOffset: 4
; Occupancy: 8
; WaveLimiterHint : 0
; COMPUTE_PGM_RSRC2:SCRATCH_EN: 0
; COMPUTE_PGM_RSRC2:USER_SGPR: 2
; COMPUTE_PGM_RSRC2:TRAP_HANDLER: 0
; COMPUTE_PGM_RSRC2:TGID_X_EN: 1
; COMPUTE_PGM_RSRC2:TGID_Y_EN: 0
; COMPUTE_PGM_RSRC2:TGID_Z_EN: 0
; COMPUTE_PGM_RSRC2:TIDIG_COMP_CNT: 0
; COMPUTE_PGM_RSRC3_GFX90A:ACCUM_OFFSET: 0
; COMPUTE_PGM_RSRC3_GFX90A:TG_SPLIT: 0
	.section	.text._ZN7rocprim17ROCPRIM_400000_NS6detail17trampoline_kernelINS0_14default_configENS1_35radix_sort_onesweep_config_selectorIiiEEZZNS1_29radix_sort_onesweep_iterationIS3_Lb0EN6thrust23THRUST_200600_302600_NS6detail15normal_iteratorINS8_10device_ptrIiEEEESD_SD_SD_jNS0_19identity_decomposerENS1_16block_id_wrapperIjLb1EEEEE10hipError_tT1_PNSt15iterator_traitsISI_E10value_typeET2_T3_PNSJ_ISO_E10value_typeET4_T5_PST_SU_PNS1_23onesweep_lookback_stateEbbT6_jjT7_P12ihipStream_tbENKUlT_T0_SI_SN_E_clISD_PiSD_S15_EEDaS11_S12_SI_SN_EUlS11_E_NS1_11comp_targetILNS1_3genE2ELNS1_11target_archE906ELNS1_3gpuE6ELNS1_3repE0EEENS1_47radix_sort_onesweep_sort_config_static_selectorELNS0_4arch9wavefront6targetE1EEEvSI_,"axG",@progbits,_ZN7rocprim17ROCPRIM_400000_NS6detail17trampoline_kernelINS0_14default_configENS1_35radix_sort_onesweep_config_selectorIiiEEZZNS1_29radix_sort_onesweep_iterationIS3_Lb0EN6thrust23THRUST_200600_302600_NS6detail15normal_iteratorINS8_10device_ptrIiEEEESD_SD_SD_jNS0_19identity_decomposerENS1_16block_id_wrapperIjLb1EEEEE10hipError_tT1_PNSt15iterator_traitsISI_E10value_typeET2_T3_PNSJ_ISO_E10value_typeET4_T5_PST_SU_PNS1_23onesweep_lookback_stateEbbT6_jjT7_P12ihipStream_tbENKUlT_T0_SI_SN_E_clISD_PiSD_S15_EEDaS11_S12_SI_SN_EUlS11_E_NS1_11comp_targetILNS1_3genE2ELNS1_11target_archE906ELNS1_3gpuE6ELNS1_3repE0EEENS1_47radix_sort_onesweep_sort_config_static_selectorELNS0_4arch9wavefront6targetE1EEEvSI_,comdat
	.protected	_ZN7rocprim17ROCPRIM_400000_NS6detail17trampoline_kernelINS0_14default_configENS1_35radix_sort_onesweep_config_selectorIiiEEZZNS1_29radix_sort_onesweep_iterationIS3_Lb0EN6thrust23THRUST_200600_302600_NS6detail15normal_iteratorINS8_10device_ptrIiEEEESD_SD_SD_jNS0_19identity_decomposerENS1_16block_id_wrapperIjLb1EEEEE10hipError_tT1_PNSt15iterator_traitsISI_E10value_typeET2_T3_PNSJ_ISO_E10value_typeET4_T5_PST_SU_PNS1_23onesweep_lookback_stateEbbT6_jjT7_P12ihipStream_tbENKUlT_T0_SI_SN_E_clISD_PiSD_S15_EEDaS11_S12_SI_SN_EUlS11_E_NS1_11comp_targetILNS1_3genE2ELNS1_11target_archE906ELNS1_3gpuE6ELNS1_3repE0EEENS1_47radix_sort_onesweep_sort_config_static_selectorELNS0_4arch9wavefront6targetE1EEEvSI_ ; -- Begin function _ZN7rocprim17ROCPRIM_400000_NS6detail17trampoline_kernelINS0_14default_configENS1_35radix_sort_onesweep_config_selectorIiiEEZZNS1_29radix_sort_onesweep_iterationIS3_Lb0EN6thrust23THRUST_200600_302600_NS6detail15normal_iteratorINS8_10device_ptrIiEEEESD_SD_SD_jNS0_19identity_decomposerENS1_16block_id_wrapperIjLb1EEEEE10hipError_tT1_PNSt15iterator_traitsISI_E10value_typeET2_T3_PNSJ_ISO_E10value_typeET4_T5_PST_SU_PNS1_23onesweep_lookback_stateEbbT6_jjT7_P12ihipStream_tbENKUlT_T0_SI_SN_E_clISD_PiSD_S15_EEDaS11_S12_SI_SN_EUlS11_E_NS1_11comp_targetILNS1_3genE2ELNS1_11target_archE906ELNS1_3gpuE6ELNS1_3repE0EEENS1_47radix_sort_onesweep_sort_config_static_selectorELNS0_4arch9wavefront6targetE1EEEvSI_
	.globl	_ZN7rocprim17ROCPRIM_400000_NS6detail17trampoline_kernelINS0_14default_configENS1_35radix_sort_onesweep_config_selectorIiiEEZZNS1_29radix_sort_onesweep_iterationIS3_Lb0EN6thrust23THRUST_200600_302600_NS6detail15normal_iteratorINS8_10device_ptrIiEEEESD_SD_SD_jNS0_19identity_decomposerENS1_16block_id_wrapperIjLb1EEEEE10hipError_tT1_PNSt15iterator_traitsISI_E10value_typeET2_T3_PNSJ_ISO_E10value_typeET4_T5_PST_SU_PNS1_23onesweep_lookback_stateEbbT6_jjT7_P12ihipStream_tbENKUlT_T0_SI_SN_E_clISD_PiSD_S15_EEDaS11_S12_SI_SN_EUlS11_E_NS1_11comp_targetILNS1_3genE2ELNS1_11target_archE906ELNS1_3gpuE6ELNS1_3repE0EEENS1_47radix_sort_onesweep_sort_config_static_selectorELNS0_4arch9wavefront6targetE1EEEvSI_
	.p2align	8
	.type	_ZN7rocprim17ROCPRIM_400000_NS6detail17trampoline_kernelINS0_14default_configENS1_35radix_sort_onesweep_config_selectorIiiEEZZNS1_29radix_sort_onesweep_iterationIS3_Lb0EN6thrust23THRUST_200600_302600_NS6detail15normal_iteratorINS8_10device_ptrIiEEEESD_SD_SD_jNS0_19identity_decomposerENS1_16block_id_wrapperIjLb1EEEEE10hipError_tT1_PNSt15iterator_traitsISI_E10value_typeET2_T3_PNSJ_ISO_E10value_typeET4_T5_PST_SU_PNS1_23onesweep_lookback_stateEbbT6_jjT7_P12ihipStream_tbENKUlT_T0_SI_SN_E_clISD_PiSD_S15_EEDaS11_S12_SI_SN_EUlS11_E_NS1_11comp_targetILNS1_3genE2ELNS1_11target_archE906ELNS1_3gpuE6ELNS1_3repE0EEENS1_47radix_sort_onesweep_sort_config_static_selectorELNS0_4arch9wavefront6targetE1EEEvSI_,@function
_ZN7rocprim17ROCPRIM_400000_NS6detail17trampoline_kernelINS0_14default_configENS1_35radix_sort_onesweep_config_selectorIiiEEZZNS1_29radix_sort_onesweep_iterationIS3_Lb0EN6thrust23THRUST_200600_302600_NS6detail15normal_iteratorINS8_10device_ptrIiEEEESD_SD_SD_jNS0_19identity_decomposerENS1_16block_id_wrapperIjLb1EEEEE10hipError_tT1_PNSt15iterator_traitsISI_E10value_typeET2_T3_PNSJ_ISO_E10value_typeET4_T5_PST_SU_PNS1_23onesweep_lookback_stateEbbT6_jjT7_P12ihipStream_tbENKUlT_T0_SI_SN_E_clISD_PiSD_S15_EEDaS11_S12_SI_SN_EUlS11_E_NS1_11comp_targetILNS1_3genE2ELNS1_11target_archE906ELNS1_3gpuE6ELNS1_3repE0EEENS1_47radix_sort_onesweep_sort_config_static_selectorELNS0_4arch9wavefront6targetE1EEEvSI_: ; @_ZN7rocprim17ROCPRIM_400000_NS6detail17trampoline_kernelINS0_14default_configENS1_35radix_sort_onesweep_config_selectorIiiEEZZNS1_29radix_sort_onesweep_iterationIS3_Lb0EN6thrust23THRUST_200600_302600_NS6detail15normal_iteratorINS8_10device_ptrIiEEEESD_SD_SD_jNS0_19identity_decomposerENS1_16block_id_wrapperIjLb1EEEEE10hipError_tT1_PNSt15iterator_traitsISI_E10value_typeET2_T3_PNSJ_ISO_E10value_typeET4_T5_PST_SU_PNS1_23onesweep_lookback_stateEbbT6_jjT7_P12ihipStream_tbENKUlT_T0_SI_SN_E_clISD_PiSD_S15_EEDaS11_S12_SI_SN_EUlS11_E_NS1_11comp_targetILNS1_3genE2ELNS1_11target_archE906ELNS1_3gpuE6ELNS1_3repE0EEENS1_47radix_sort_onesweep_sort_config_static_selectorELNS0_4arch9wavefront6targetE1EEEvSI_
; %bb.0:
	.section	.rodata,"a",@progbits
	.p2align	6, 0x0
	.amdhsa_kernel _ZN7rocprim17ROCPRIM_400000_NS6detail17trampoline_kernelINS0_14default_configENS1_35radix_sort_onesweep_config_selectorIiiEEZZNS1_29radix_sort_onesweep_iterationIS3_Lb0EN6thrust23THRUST_200600_302600_NS6detail15normal_iteratorINS8_10device_ptrIiEEEESD_SD_SD_jNS0_19identity_decomposerENS1_16block_id_wrapperIjLb1EEEEE10hipError_tT1_PNSt15iterator_traitsISI_E10value_typeET2_T3_PNSJ_ISO_E10value_typeET4_T5_PST_SU_PNS1_23onesweep_lookback_stateEbbT6_jjT7_P12ihipStream_tbENKUlT_T0_SI_SN_E_clISD_PiSD_S15_EEDaS11_S12_SI_SN_EUlS11_E_NS1_11comp_targetILNS1_3genE2ELNS1_11target_archE906ELNS1_3gpuE6ELNS1_3repE0EEENS1_47radix_sort_onesweep_sort_config_static_selectorELNS0_4arch9wavefront6targetE1EEEvSI_
		.amdhsa_group_segment_fixed_size 0
		.amdhsa_private_segment_fixed_size 0
		.amdhsa_kernarg_size 88
		.amdhsa_user_sgpr_count 2
		.amdhsa_user_sgpr_dispatch_ptr 0
		.amdhsa_user_sgpr_queue_ptr 0
		.amdhsa_user_sgpr_kernarg_segment_ptr 1
		.amdhsa_user_sgpr_dispatch_id 0
		.amdhsa_user_sgpr_kernarg_preload_length 0
		.amdhsa_user_sgpr_kernarg_preload_offset 0
		.amdhsa_user_sgpr_private_segment_size 0
		.amdhsa_uses_dynamic_stack 0
		.amdhsa_enable_private_segment 0
		.amdhsa_system_sgpr_workgroup_id_x 1
		.amdhsa_system_sgpr_workgroup_id_y 0
		.amdhsa_system_sgpr_workgroup_id_z 0
		.amdhsa_system_sgpr_workgroup_info 0
		.amdhsa_system_vgpr_workitem_id 0
		.amdhsa_next_free_vgpr 1
		.amdhsa_next_free_sgpr 0
		.amdhsa_accum_offset 4
		.amdhsa_reserve_vcc 0
		.amdhsa_float_round_mode_32 0
		.amdhsa_float_round_mode_16_64 0
		.amdhsa_float_denorm_mode_32 3
		.amdhsa_float_denorm_mode_16_64 3
		.amdhsa_dx10_clamp 1
		.amdhsa_ieee_mode 1
		.amdhsa_fp16_overflow 0
		.amdhsa_tg_split 0
		.amdhsa_exception_fp_ieee_invalid_op 0
		.amdhsa_exception_fp_denorm_src 0
		.amdhsa_exception_fp_ieee_div_zero 0
		.amdhsa_exception_fp_ieee_overflow 0
		.amdhsa_exception_fp_ieee_underflow 0
		.amdhsa_exception_fp_ieee_inexact 0
		.amdhsa_exception_int_div_zero 0
	.end_amdhsa_kernel
	.section	.text._ZN7rocprim17ROCPRIM_400000_NS6detail17trampoline_kernelINS0_14default_configENS1_35radix_sort_onesweep_config_selectorIiiEEZZNS1_29radix_sort_onesweep_iterationIS3_Lb0EN6thrust23THRUST_200600_302600_NS6detail15normal_iteratorINS8_10device_ptrIiEEEESD_SD_SD_jNS0_19identity_decomposerENS1_16block_id_wrapperIjLb1EEEEE10hipError_tT1_PNSt15iterator_traitsISI_E10value_typeET2_T3_PNSJ_ISO_E10value_typeET4_T5_PST_SU_PNS1_23onesweep_lookback_stateEbbT6_jjT7_P12ihipStream_tbENKUlT_T0_SI_SN_E_clISD_PiSD_S15_EEDaS11_S12_SI_SN_EUlS11_E_NS1_11comp_targetILNS1_3genE2ELNS1_11target_archE906ELNS1_3gpuE6ELNS1_3repE0EEENS1_47radix_sort_onesweep_sort_config_static_selectorELNS0_4arch9wavefront6targetE1EEEvSI_,"axG",@progbits,_ZN7rocprim17ROCPRIM_400000_NS6detail17trampoline_kernelINS0_14default_configENS1_35radix_sort_onesweep_config_selectorIiiEEZZNS1_29radix_sort_onesweep_iterationIS3_Lb0EN6thrust23THRUST_200600_302600_NS6detail15normal_iteratorINS8_10device_ptrIiEEEESD_SD_SD_jNS0_19identity_decomposerENS1_16block_id_wrapperIjLb1EEEEE10hipError_tT1_PNSt15iterator_traitsISI_E10value_typeET2_T3_PNSJ_ISO_E10value_typeET4_T5_PST_SU_PNS1_23onesweep_lookback_stateEbbT6_jjT7_P12ihipStream_tbENKUlT_T0_SI_SN_E_clISD_PiSD_S15_EEDaS11_S12_SI_SN_EUlS11_E_NS1_11comp_targetILNS1_3genE2ELNS1_11target_archE906ELNS1_3gpuE6ELNS1_3repE0EEENS1_47radix_sort_onesweep_sort_config_static_selectorELNS0_4arch9wavefront6targetE1EEEvSI_,comdat
.Lfunc_end834:
	.size	_ZN7rocprim17ROCPRIM_400000_NS6detail17trampoline_kernelINS0_14default_configENS1_35radix_sort_onesweep_config_selectorIiiEEZZNS1_29radix_sort_onesweep_iterationIS3_Lb0EN6thrust23THRUST_200600_302600_NS6detail15normal_iteratorINS8_10device_ptrIiEEEESD_SD_SD_jNS0_19identity_decomposerENS1_16block_id_wrapperIjLb1EEEEE10hipError_tT1_PNSt15iterator_traitsISI_E10value_typeET2_T3_PNSJ_ISO_E10value_typeET4_T5_PST_SU_PNS1_23onesweep_lookback_stateEbbT6_jjT7_P12ihipStream_tbENKUlT_T0_SI_SN_E_clISD_PiSD_S15_EEDaS11_S12_SI_SN_EUlS11_E_NS1_11comp_targetILNS1_3genE2ELNS1_11target_archE906ELNS1_3gpuE6ELNS1_3repE0EEENS1_47radix_sort_onesweep_sort_config_static_selectorELNS0_4arch9wavefront6targetE1EEEvSI_, .Lfunc_end834-_ZN7rocprim17ROCPRIM_400000_NS6detail17trampoline_kernelINS0_14default_configENS1_35radix_sort_onesweep_config_selectorIiiEEZZNS1_29radix_sort_onesweep_iterationIS3_Lb0EN6thrust23THRUST_200600_302600_NS6detail15normal_iteratorINS8_10device_ptrIiEEEESD_SD_SD_jNS0_19identity_decomposerENS1_16block_id_wrapperIjLb1EEEEE10hipError_tT1_PNSt15iterator_traitsISI_E10value_typeET2_T3_PNSJ_ISO_E10value_typeET4_T5_PST_SU_PNS1_23onesweep_lookback_stateEbbT6_jjT7_P12ihipStream_tbENKUlT_T0_SI_SN_E_clISD_PiSD_S15_EEDaS11_S12_SI_SN_EUlS11_E_NS1_11comp_targetILNS1_3genE2ELNS1_11target_archE906ELNS1_3gpuE6ELNS1_3repE0EEENS1_47radix_sort_onesweep_sort_config_static_selectorELNS0_4arch9wavefront6targetE1EEEvSI_
                                        ; -- End function
	.set _ZN7rocprim17ROCPRIM_400000_NS6detail17trampoline_kernelINS0_14default_configENS1_35radix_sort_onesweep_config_selectorIiiEEZZNS1_29radix_sort_onesweep_iterationIS3_Lb0EN6thrust23THRUST_200600_302600_NS6detail15normal_iteratorINS8_10device_ptrIiEEEESD_SD_SD_jNS0_19identity_decomposerENS1_16block_id_wrapperIjLb1EEEEE10hipError_tT1_PNSt15iterator_traitsISI_E10value_typeET2_T3_PNSJ_ISO_E10value_typeET4_T5_PST_SU_PNS1_23onesweep_lookback_stateEbbT6_jjT7_P12ihipStream_tbENKUlT_T0_SI_SN_E_clISD_PiSD_S15_EEDaS11_S12_SI_SN_EUlS11_E_NS1_11comp_targetILNS1_3genE2ELNS1_11target_archE906ELNS1_3gpuE6ELNS1_3repE0EEENS1_47radix_sort_onesweep_sort_config_static_selectorELNS0_4arch9wavefront6targetE1EEEvSI_.num_vgpr, 0
	.set _ZN7rocprim17ROCPRIM_400000_NS6detail17trampoline_kernelINS0_14default_configENS1_35radix_sort_onesweep_config_selectorIiiEEZZNS1_29radix_sort_onesweep_iterationIS3_Lb0EN6thrust23THRUST_200600_302600_NS6detail15normal_iteratorINS8_10device_ptrIiEEEESD_SD_SD_jNS0_19identity_decomposerENS1_16block_id_wrapperIjLb1EEEEE10hipError_tT1_PNSt15iterator_traitsISI_E10value_typeET2_T3_PNSJ_ISO_E10value_typeET4_T5_PST_SU_PNS1_23onesweep_lookback_stateEbbT6_jjT7_P12ihipStream_tbENKUlT_T0_SI_SN_E_clISD_PiSD_S15_EEDaS11_S12_SI_SN_EUlS11_E_NS1_11comp_targetILNS1_3genE2ELNS1_11target_archE906ELNS1_3gpuE6ELNS1_3repE0EEENS1_47radix_sort_onesweep_sort_config_static_selectorELNS0_4arch9wavefront6targetE1EEEvSI_.num_agpr, 0
	.set _ZN7rocprim17ROCPRIM_400000_NS6detail17trampoline_kernelINS0_14default_configENS1_35radix_sort_onesweep_config_selectorIiiEEZZNS1_29radix_sort_onesweep_iterationIS3_Lb0EN6thrust23THRUST_200600_302600_NS6detail15normal_iteratorINS8_10device_ptrIiEEEESD_SD_SD_jNS0_19identity_decomposerENS1_16block_id_wrapperIjLb1EEEEE10hipError_tT1_PNSt15iterator_traitsISI_E10value_typeET2_T3_PNSJ_ISO_E10value_typeET4_T5_PST_SU_PNS1_23onesweep_lookback_stateEbbT6_jjT7_P12ihipStream_tbENKUlT_T0_SI_SN_E_clISD_PiSD_S15_EEDaS11_S12_SI_SN_EUlS11_E_NS1_11comp_targetILNS1_3genE2ELNS1_11target_archE906ELNS1_3gpuE6ELNS1_3repE0EEENS1_47radix_sort_onesweep_sort_config_static_selectorELNS0_4arch9wavefront6targetE1EEEvSI_.numbered_sgpr, 0
	.set _ZN7rocprim17ROCPRIM_400000_NS6detail17trampoline_kernelINS0_14default_configENS1_35radix_sort_onesweep_config_selectorIiiEEZZNS1_29radix_sort_onesweep_iterationIS3_Lb0EN6thrust23THRUST_200600_302600_NS6detail15normal_iteratorINS8_10device_ptrIiEEEESD_SD_SD_jNS0_19identity_decomposerENS1_16block_id_wrapperIjLb1EEEEE10hipError_tT1_PNSt15iterator_traitsISI_E10value_typeET2_T3_PNSJ_ISO_E10value_typeET4_T5_PST_SU_PNS1_23onesweep_lookback_stateEbbT6_jjT7_P12ihipStream_tbENKUlT_T0_SI_SN_E_clISD_PiSD_S15_EEDaS11_S12_SI_SN_EUlS11_E_NS1_11comp_targetILNS1_3genE2ELNS1_11target_archE906ELNS1_3gpuE6ELNS1_3repE0EEENS1_47radix_sort_onesweep_sort_config_static_selectorELNS0_4arch9wavefront6targetE1EEEvSI_.num_named_barrier, 0
	.set _ZN7rocprim17ROCPRIM_400000_NS6detail17trampoline_kernelINS0_14default_configENS1_35radix_sort_onesweep_config_selectorIiiEEZZNS1_29radix_sort_onesweep_iterationIS3_Lb0EN6thrust23THRUST_200600_302600_NS6detail15normal_iteratorINS8_10device_ptrIiEEEESD_SD_SD_jNS0_19identity_decomposerENS1_16block_id_wrapperIjLb1EEEEE10hipError_tT1_PNSt15iterator_traitsISI_E10value_typeET2_T3_PNSJ_ISO_E10value_typeET4_T5_PST_SU_PNS1_23onesweep_lookback_stateEbbT6_jjT7_P12ihipStream_tbENKUlT_T0_SI_SN_E_clISD_PiSD_S15_EEDaS11_S12_SI_SN_EUlS11_E_NS1_11comp_targetILNS1_3genE2ELNS1_11target_archE906ELNS1_3gpuE6ELNS1_3repE0EEENS1_47radix_sort_onesweep_sort_config_static_selectorELNS0_4arch9wavefront6targetE1EEEvSI_.private_seg_size, 0
	.set _ZN7rocprim17ROCPRIM_400000_NS6detail17trampoline_kernelINS0_14default_configENS1_35radix_sort_onesweep_config_selectorIiiEEZZNS1_29radix_sort_onesweep_iterationIS3_Lb0EN6thrust23THRUST_200600_302600_NS6detail15normal_iteratorINS8_10device_ptrIiEEEESD_SD_SD_jNS0_19identity_decomposerENS1_16block_id_wrapperIjLb1EEEEE10hipError_tT1_PNSt15iterator_traitsISI_E10value_typeET2_T3_PNSJ_ISO_E10value_typeET4_T5_PST_SU_PNS1_23onesweep_lookback_stateEbbT6_jjT7_P12ihipStream_tbENKUlT_T0_SI_SN_E_clISD_PiSD_S15_EEDaS11_S12_SI_SN_EUlS11_E_NS1_11comp_targetILNS1_3genE2ELNS1_11target_archE906ELNS1_3gpuE6ELNS1_3repE0EEENS1_47radix_sort_onesweep_sort_config_static_selectorELNS0_4arch9wavefront6targetE1EEEvSI_.uses_vcc, 0
	.set _ZN7rocprim17ROCPRIM_400000_NS6detail17trampoline_kernelINS0_14default_configENS1_35radix_sort_onesweep_config_selectorIiiEEZZNS1_29radix_sort_onesweep_iterationIS3_Lb0EN6thrust23THRUST_200600_302600_NS6detail15normal_iteratorINS8_10device_ptrIiEEEESD_SD_SD_jNS0_19identity_decomposerENS1_16block_id_wrapperIjLb1EEEEE10hipError_tT1_PNSt15iterator_traitsISI_E10value_typeET2_T3_PNSJ_ISO_E10value_typeET4_T5_PST_SU_PNS1_23onesweep_lookback_stateEbbT6_jjT7_P12ihipStream_tbENKUlT_T0_SI_SN_E_clISD_PiSD_S15_EEDaS11_S12_SI_SN_EUlS11_E_NS1_11comp_targetILNS1_3genE2ELNS1_11target_archE906ELNS1_3gpuE6ELNS1_3repE0EEENS1_47radix_sort_onesweep_sort_config_static_selectorELNS0_4arch9wavefront6targetE1EEEvSI_.uses_flat_scratch, 0
	.set _ZN7rocprim17ROCPRIM_400000_NS6detail17trampoline_kernelINS0_14default_configENS1_35radix_sort_onesweep_config_selectorIiiEEZZNS1_29radix_sort_onesweep_iterationIS3_Lb0EN6thrust23THRUST_200600_302600_NS6detail15normal_iteratorINS8_10device_ptrIiEEEESD_SD_SD_jNS0_19identity_decomposerENS1_16block_id_wrapperIjLb1EEEEE10hipError_tT1_PNSt15iterator_traitsISI_E10value_typeET2_T3_PNSJ_ISO_E10value_typeET4_T5_PST_SU_PNS1_23onesweep_lookback_stateEbbT6_jjT7_P12ihipStream_tbENKUlT_T0_SI_SN_E_clISD_PiSD_S15_EEDaS11_S12_SI_SN_EUlS11_E_NS1_11comp_targetILNS1_3genE2ELNS1_11target_archE906ELNS1_3gpuE6ELNS1_3repE0EEENS1_47radix_sort_onesweep_sort_config_static_selectorELNS0_4arch9wavefront6targetE1EEEvSI_.has_dyn_sized_stack, 0
	.set _ZN7rocprim17ROCPRIM_400000_NS6detail17trampoline_kernelINS0_14default_configENS1_35radix_sort_onesweep_config_selectorIiiEEZZNS1_29radix_sort_onesweep_iterationIS3_Lb0EN6thrust23THRUST_200600_302600_NS6detail15normal_iteratorINS8_10device_ptrIiEEEESD_SD_SD_jNS0_19identity_decomposerENS1_16block_id_wrapperIjLb1EEEEE10hipError_tT1_PNSt15iterator_traitsISI_E10value_typeET2_T3_PNSJ_ISO_E10value_typeET4_T5_PST_SU_PNS1_23onesweep_lookback_stateEbbT6_jjT7_P12ihipStream_tbENKUlT_T0_SI_SN_E_clISD_PiSD_S15_EEDaS11_S12_SI_SN_EUlS11_E_NS1_11comp_targetILNS1_3genE2ELNS1_11target_archE906ELNS1_3gpuE6ELNS1_3repE0EEENS1_47radix_sort_onesweep_sort_config_static_selectorELNS0_4arch9wavefront6targetE1EEEvSI_.has_recursion, 0
	.set _ZN7rocprim17ROCPRIM_400000_NS6detail17trampoline_kernelINS0_14default_configENS1_35radix_sort_onesweep_config_selectorIiiEEZZNS1_29radix_sort_onesweep_iterationIS3_Lb0EN6thrust23THRUST_200600_302600_NS6detail15normal_iteratorINS8_10device_ptrIiEEEESD_SD_SD_jNS0_19identity_decomposerENS1_16block_id_wrapperIjLb1EEEEE10hipError_tT1_PNSt15iterator_traitsISI_E10value_typeET2_T3_PNSJ_ISO_E10value_typeET4_T5_PST_SU_PNS1_23onesweep_lookback_stateEbbT6_jjT7_P12ihipStream_tbENKUlT_T0_SI_SN_E_clISD_PiSD_S15_EEDaS11_S12_SI_SN_EUlS11_E_NS1_11comp_targetILNS1_3genE2ELNS1_11target_archE906ELNS1_3gpuE6ELNS1_3repE0EEENS1_47radix_sort_onesweep_sort_config_static_selectorELNS0_4arch9wavefront6targetE1EEEvSI_.has_indirect_call, 0
	.section	.AMDGPU.csdata,"",@progbits
; Kernel info:
; codeLenInByte = 0
; TotalNumSgprs: 6
; NumVgprs: 0
; NumAgprs: 0
; TotalNumVgprs: 0
; ScratchSize: 0
; MemoryBound: 0
; FloatMode: 240
; IeeeMode: 1
; LDSByteSize: 0 bytes/workgroup (compile time only)
; SGPRBlocks: 0
; VGPRBlocks: 0
; NumSGPRsForWavesPerEU: 6
; NumVGPRsForWavesPerEU: 1
; AccumOffset: 4
; Occupancy: 8
; WaveLimiterHint : 0
; COMPUTE_PGM_RSRC2:SCRATCH_EN: 0
; COMPUTE_PGM_RSRC2:USER_SGPR: 2
; COMPUTE_PGM_RSRC2:TRAP_HANDLER: 0
; COMPUTE_PGM_RSRC2:TGID_X_EN: 1
; COMPUTE_PGM_RSRC2:TGID_Y_EN: 0
; COMPUTE_PGM_RSRC2:TGID_Z_EN: 0
; COMPUTE_PGM_RSRC2:TIDIG_COMP_CNT: 0
; COMPUTE_PGM_RSRC3_GFX90A:ACCUM_OFFSET: 0
; COMPUTE_PGM_RSRC3_GFX90A:TG_SPLIT: 0
	.section	.text._ZN7rocprim17ROCPRIM_400000_NS6detail17trampoline_kernelINS0_14default_configENS1_35radix_sort_onesweep_config_selectorIiiEEZZNS1_29radix_sort_onesweep_iterationIS3_Lb0EN6thrust23THRUST_200600_302600_NS6detail15normal_iteratorINS8_10device_ptrIiEEEESD_SD_SD_jNS0_19identity_decomposerENS1_16block_id_wrapperIjLb1EEEEE10hipError_tT1_PNSt15iterator_traitsISI_E10value_typeET2_T3_PNSJ_ISO_E10value_typeET4_T5_PST_SU_PNS1_23onesweep_lookback_stateEbbT6_jjT7_P12ihipStream_tbENKUlT_T0_SI_SN_E_clISD_PiSD_S15_EEDaS11_S12_SI_SN_EUlS11_E_NS1_11comp_targetILNS1_3genE4ELNS1_11target_archE910ELNS1_3gpuE8ELNS1_3repE0EEENS1_47radix_sort_onesweep_sort_config_static_selectorELNS0_4arch9wavefront6targetE1EEEvSI_,"axG",@progbits,_ZN7rocprim17ROCPRIM_400000_NS6detail17trampoline_kernelINS0_14default_configENS1_35radix_sort_onesweep_config_selectorIiiEEZZNS1_29radix_sort_onesweep_iterationIS3_Lb0EN6thrust23THRUST_200600_302600_NS6detail15normal_iteratorINS8_10device_ptrIiEEEESD_SD_SD_jNS0_19identity_decomposerENS1_16block_id_wrapperIjLb1EEEEE10hipError_tT1_PNSt15iterator_traitsISI_E10value_typeET2_T3_PNSJ_ISO_E10value_typeET4_T5_PST_SU_PNS1_23onesweep_lookback_stateEbbT6_jjT7_P12ihipStream_tbENKUlT_T0_SI_SN_E_clISD_PiSD_S15_EEDaS11_S12_SI_SN_EUlS11_E_NS1_11comp_targetILNS1_3genE4ELNS1_11target_archE910ELNS1_3gpuE8ELNS1_3repE0EEENS1_47radix_sort_onesweep_sort_config_static_selectorELNS0_4arch9wavefront6targetE1EEEvSI_,comdat
	.protected	_ZN7rocprim17ROCPRIM_400000_NS6detail17trampoline_kernelINS0_14default_configENS1_35radix_sort_onesweep_config_selectorIiiEEZZNS1_29radix_sort_onesweep_iterationIS3_Lb0EN6thrust23THRUST_200600_302600_NS6detail15normal_iteratorINS8_10device_ptrIiEEEESD_SD_SD_jNS0_19identity_decomposerENS1_16block_id_wrapperIjLb1EEEEE10hipError_tT1_PNSt15iterator_traitsISI_E10value_typeET2_T3_PNSJ_ISO_E10value_typeET4_T5_PST_SU_PNS1_23onesweep_lookback_stateEbbT6_jjT7_P12ihipStream_tbENKUlT_T0_SI_SN_E_clISD_PiSD_S15_EEDaS11_S12_SI_SN_EUlS11_E_NS1_11comp_targetILNS1_3genE4ELNS1_11target_archE910ELNS1_3gpuE8ELNS1_3repE0EEENS1_47radix_sort_onesweep_sort_config_static_selectorELNS0_4arch9wavefront6targetE1EEEvSI_ ; -- Begin function _ZN7rocprim17ROCPRIM_400000_NS6detail17trampoline_kernelINS0_14default_configENS1_35radix_sort_onesweep_config_selectorIiiEEZZNS1_29radix_sort_onesweep_iterationIS3_Lb0EN6thrust23THRUST_200600_302600_NS6detail15normal_iteratorINS8_10device_ptrIiEEEESD_SD_SD_jNS0_19identity_decomposerENS1_16block_id_wrapperIjLb1EEEEE10hipError_tT1_PNSt15iterator_traitsISI_E10value_typeET2_T3_PNSJ_ISO_E10value_typeET4_T5_PST_SU_PNS1_23onesweep_lookback_stateEbbT6_jjT7_P12ihipStream_tbENKUlT_T0_SI_SN_E_clISD_PiSD_S15_EEDaS11_S12_SI_SN_EUlS11_E_NS1_11comp_targetILNS1_3genE4ELNS1_11target_archE910ELNS1_3gpuE8ELNS1_3repE0EEENS1_47radix_sort_onesweep_sort_config_static_selectorELNS0_4arch9wavefront6targetE1EEEvSI_
	.globl	_ZN7rocprim17ROCPRIM_400000_NS6detail17trampoline_kernelINS0_14default_configENS1_35radix_sort_onesweep_config_selectorIiiEEZZNS1_29radix_sort_onesweep_iterationIS3_Lb0EN6thrust23THRUST_200600_302600_NS6detail15normal_iteratorINS8_10device_ptrIiEEEESD_SD_SD_jNS0_19identity_decomposerENS1_16block_id_wrapperIjLb1EEEEE10hipError_tT1_PNSt15iterator_traitsISI_E10value_typeET2_T3_PNSJ_ISO_E10value_typeET4_T5_PST_SU_PNS1_23onesweep_lookback_stateEbbT6_jjT7_P12ihipStream_tbENKUlT_T0_SI_SN_E_clISD_PiSD_S15_EEDaS11_S12_SI_SN_EUlS11_E_NS1_11comp_targetILNS1_3genE4ELNS1_11target_archE910ELNS1_3gpuE8ELNS1_3repE0EEENS1_47radix_sort_onesweep_sort_config_static_selectorELNS0_4arch9wavefront6targetE1EEEvSI_
	.p2align	8
	.type	_ZN7rocprim17ROCPRIM_400000_NS6detail17trampoline_kernelINS0_14default_configENS1_35radix_sort_onesweep_config_selectorIiiEEZZNS1_29radix_sort_onesweep_iterationIS3_Lb0EN6thrust23THRUST_200600_302600_NS6detail15normal_iteratorINS8_10device_ptrIiEEEESD_SD_SD_jNS0_19identity_decomposerENS1_16block_id_wrapperIjLb1EEEEE10hipError_tT1_PNSt15iterator_traitsISI_E10value_typeET2_T3_PNSJ_ISO_E10value_typeET4_T5_PST_SU_PNS1_23onesweep_lookback_stateEbbT6_jjT7_P12ihipStream_tbENKUlT_T0_SI_SN_E_clISD_PiSD_S15_EEDaS11_S12_SI_SN_EUlS11_E_NS1_11comp_targetILNS1_3genE4ELNS1_11target_archE910ELNS1_3gpuE8ELNS1_3repE0EEENS1_47radix_sort_onesweep_sort_config_static_selectorELNS0_4arch9wavefront6targetE1EEEvSI_,@function
_ZN7rocprim17ROCPRIM_400000_NS6detail17trampoline_kernelINS0_14default_configENS1_35radix_sort_onesweep_config_selectorIiiEEZZNS1_29radix_sort_onesweep_iterationIS3_Lb0EN6thrust23THRUST_200600_302600_NS6detail15normal_iteratorINS8_10device_ptrIiEEEESD_SD_SD_jNS0_19identity_decomposerENS1_16block_id_wrapperIjLb1EEEEE10hipError_tT1_PNSt15iterator_traitsISI_E10value_typeET2_T3_PNSJ_ISO_E10value_typeET4_T5_PST_SU_PNS1_23onesweep_lookback_stateEbbT6_jjT7_P12ihipStream_tbENKUlT_T0_SI_SN_E_clISD_PiSD_S15_EEDaS11_S12_SI_SN_EUlS11_E_NS1_11comp_targetILNS1_3genE4ELNS1_11target_archE910ELNS1_3gpuE8ELNS1_3repE0EEENS1_47radix_sort_onesweep_sort_config_static_selectorELNS0_4arch9wavefront6targetE1EEEvSI_: ; @_ZN7rocprim17ROCPRIM_400000_NS6detail17trampoline_kernelINS0_14default_configENS1_35radix_sort_onesweep_config_selectorIiiEEZZNS1_29radix_sort_onesweep_iterationIS3_Lb0EN6thrust23THRUST_200600_302600_NS6detail15normal_iteratorINS8_10device_ptrIiEEEESD_SD_SD_jNS0_19identity_decomposerENS1_16block_id_wrapperIjLb1EEEEE10hipError_tT1_PNSt15iterator_traitsISI_E10value_typeET2_T3_PNSJ_ISO_E10value_typeET4_T5_PST_SU_PNS1_23onesweep_lookback_stateEbbT6_jjT7_P12ihipStream_tbENKUlT_T0_SI_SN_E_clISD_PiSD_S15_EEDaS11_S12_SI_SN_EUlS11_E_NS1_11comp_targetILNS1_3genE4ELNS1_11target_archE910ELNS1_3gpuE8ELNS1_3repE0EEENS1_47radix_sort_onesweep_sort_config_static_selectorELNS0_4arch9wavefront6targetE1EEEvSI_
; %bb.0:
	.section	.rodata,"a",@progbits
	.p2align	6, 0x0
	.amdhsa_kernel _ZN7rocprim17ROCPRIM_400000_NS6detail17trampoline_kernelINS0_14default_configENS1_35radix_sort_onesweep_config_selectorIiiEEZZNS1_29radix_sort_onesweep_iterationIS3_Lb0EN6thrust23THRUST_200600_302600_NS6detail15normal_iteratorINS8_10device_ptrIiEEEESD_SD_SD_jNS0_19identity_decomposerENS1_16block_id_wrapperIjLb1EEEEE10hipError_tT1_PNSt15iterator_traitsISI_E10value_typeET2_T3_PNSJ_ISO_E10value_typeET4_T5_PST_SU_PNS1_23onesweep_lookback_stateEbbT6_jjT7_P12ihipStream_tbENKUlT_T0_SI_SN_E_clISD_PiSD_S15_EEDaS11_S12_SI_SN_EUlS11_E_NS1_11comp_targetILNS1_3genE4ELNS1_11target_archE910ELNS1_3gpuE8ELNS1_3repE0EEENS1_47radix_sort_onesweep_sort_config_static_selectorELNS0_4arch9wavefront6targetE1EEEvSI_
		.amdhsa_group_segment_fixed_size 0
		.amdhsa_private_segment_fixed_size 0
		.amdhsa_kernarg_size 88
		.amdhsa_user_sgpr_count 2
		.amdhsa_user_sgpr_dispatch_ptr 0
		.amdhsa_user_sgpr_queue_ptr 0
		.amdhsa_user_sgpr_kernarg_segment_ptr 1
		.amdhsa_user_sgpr_dispatch_id 0
		.amdhsa_user_sgpr_kernarg_preload_length 0
		.amdhsa_user_sgpr_kernarg_preload_offset 0
		.amdhsa_user_sgpr_private_segment_size 0
		.amdhsa_uses_dynamic_stack 0
		.amdhsa_enable_private_segment 0
		.amdhsa_system_sgpr_workgroup_id_x 1
		.amdhsa_system_sgpr_workgroup_id_y 0
		.amdhsa_system_sgpr_workgroup_id_z 0
		.amdhsa_system_sgpr_workgroup_info 0
		.amdhsa_system_vgpr_workitem_id 0
		.amdhsa_next_free_vgpr 1
		.amdhsa_next_free_sgpr 0
		.amdhsa_accum_offset 4
		.amdhsa_reserve_vcc 0
		.amdhsa_float_round_mode_32 0
		.amdhsa_float_round_mode_16_64 0
		.amdhsa_float_denorm_mode_32 3
		.amdhsa_float_denorm_mode_16_64 3
		.amdhsa_dx10_clamp 1
		.amdhsa_ieee_mode 1
		.amdhsa_fp16_overflow 0
		.amdhsa_tg_split 0
		.amdhsa_exception_fp_ieee_invalid_op 0
		.amdhsa_exception_fp_denorm_src 0
		.amdhsa_exception_fp_ieee_div_zero 0
		.amdhsa_exception_fp_ieee_overflow 0
		.amdhsa_exception_fp_ieee_underflow 0
		.amdhsa_exception_fp_ieee_inexact 0
		.amdhsa_exception_int_div_zero 0
	.end_amdhsa_kernel
	.section	.text._ZN7rocprim17ROCPRIM_400000_NS6detail17trampoline_kernelINS0_14default_configENS1_35radix_sort_onesweep_config_selectorIiiEEZZNS1_29radix_sort_onesweep_iterationIS3_Lb0EN6thrust23THRUST_200600_302600_NS6detail15normal_iteratorINS8_10device_ptrIiEEEESD_SD_SD_jNS0_19identity_decomposerENS1_16block_id_wrapperIjLb1EEEEE10hipError_tT1_PNSt15iterator_traitsISI_E10value_typeET2_T3_PNSJ_ISO_E10value_typeET4_T5_PST_SU_PNS1_23onesweep_lookback_stateEbbT6_jjT7_P12ihipStream_tbENKUlT_T0_SI_SN_E_clISD_PiSD_S15_EEDaS11_S12_SI_SN_EUlS11_E_NS1_11comp_targetILNS1_3genE4ELNS1_11target_archE910ELNS1_3gpuE8ELNS1_3repE0EEENS1_47radix_sort_onesweep_sort_config_static_selectorELNS0_4arch9wavefront6targetE1EEEvSI_,"axG",@progbits,_ZN7rocprim17ROCPRIM_400000_NS6detail17trampoline_kernelINS0_14default_configENS1_35radix_sort_onesweep_config_selectorIiiEEZZNS1_29radix_sort_onesweep_iterationIS3_Lb0EN6thrust23THRUST_200600_302600_NS6detail15normal_iteratorINS8_10device_ptrIiEEEESD_SD_SD_jNS0_19identity_decomposerENS1_16block_id_wrapperIjLb1EEEEE10hipError_tT1_PNSt15iterator_traitsISI_E10value_typeET2_T3_PNSJ_ISO_E10value_typeET4_T5_PST_SU_PNS1_23onesweep_lookback_stateEbbT6_jjT7_P12ihipStream_tbENKUlT_T0_SI_SN_E_clISD_PiSD_S15_EEDaS11_S12_SI_SN_EUlS11_E_NS1_11comp_targetILNS1_3genE4ELNS1_11target_archE910ELNS1_3gpuE8ELNS1_3repE0EEENS1_47radix_sort_onesweep_sort_config_static_selectorELNS0_4arch9wavefront6targetE1EEEvSI_,comdat
.Lfunc_end835:
	.size	_ZN7rocprim17ROCPRIM_400000_NS6detail17trampoline_kernelINS0_14default_configENS1_35radix_sort_onesweep_config_selectorIiiEEZZNS1_29radix_sort_onesweep_iterationIS3_Lb0EN6thrust23THRUST_200600_302600_NS6detail15normal_iteratorINS8_10device_ptrIiEEEESD_SD_SD_jNS0_19identity_decomposerENS1_16block_id_wrapperIjLb1EEEEE10hipError_tT1_PNSt15iterator_traitsISI_E10value_typeET2_T3_PNSJ_ISO_E10value_typeET4_T5_PST_SU_PNS1_23onesweep_lookback_stateEbbT6_jjT7_P12ihipStream_tbENKUlT_T0_SI_SN_E_clISD_PiSD_S15_EEDaS11_S12_SI_SN_EUlS11_E_NS1_11comp_targetILNS1_3genE4ELNS1_11target_archE910ELNS1_3gpuE8ELNS1_3repE0EEENS1_47radix_sort_onesweep_sort_config_static_selectorELNS0_4arch9wavefront6targetE1EEEvSI_, .Lfunc_end835-_ZN7rocprim17ROCPRIM_400000_NS6detail17trampoline_kernelINS0_14default_configENS1_35radix_sort_onesweep_config_selectorIiiEEZZNS1_29radix_sort_onesweep_iterationIS3_Lb0EN6thrust23THRUST_200600_302600_NS6detail15normal_iteratorINS8_10device_ptrIiEEEESD_SD_SD_jNS0_19identity_decomposerENS1_16block_id_wrapperIjLb1EEEEE10hipError_tT1_PNSt15iterator_traitsISI_E10value_typeET2_T3_PNSJ_ISO_E10value_typeET4_T5_PST_SU_PNS1_23onesweep_lookback_stateEbbT6_jjT7_P12ihipStream_tbENKUlT_T0_SI_SN_E_clISD_PiSD_S15_EEDaS11_S12_SI_SN_EUlS11_E_NS1_11comp_targetILNS1_3genE4ELNS1_11target_archE910ELNS1_3gpuE8ELNS1_3repE0EEENS1_47radix_sort_onesweep_sort_config_static_selectorELNS0_4arch9wavefront6targetE1EEEvSI_
                                        ; -- End function
	.set _ZN7rocprim17ROCPRIM_400000_NS6detail17trampoline_kernelINS0_14default_configENS1_35radix_sort_onesweep_config_selectorIiiEEZZNS1_29radix_sort_onesweep_iterationIS3_Lb0EN6thrust23THRUST_200600_302600_NS6detail15normal_iteratorINS8_10device_ptrIiEEEESD_SD_SD_jNS0_19identity_decomposerENS1_16block_id_wrapperIjLb1EEEEE10hipError_tT1_PNSt15iterator_traitsISI_E10value_typeET2_T3_PNSJ_ISO_E10value_typeET4_T5_PST_SU_PNS1_23onesweep_lookback_stateEbbT6_jjT7_P12ihipStream_tbENKUlT_T0_SI_SN_E_clISD_PiSD_S15_EEDaS11_S12_SI_SN_EUlS11_E_NS1_11comp_targetILNS1_3genE4ELNS1_11target_archE910ELNS1_3gpuE8ELNS1_3repE0EEENS1_47radix_sort_onesweep_sort_config_static_selectorELNS0_4arch9wavefront6targetE1EEEvSI_.num_vgpr, 0
	.set _ZN7rocprim17ROCPRIM_400000_NS6detail17trampoline_kernelINS0_14default_configENS1_35radix_sort_onesweep_config_selectorIiiEEZZNS1_29radix_sort_onesweep_iterationIS3_Lb0EN6thrust23THRUST_200600_302600_NS6detail15normal_iteratorINS8_10device_ptrIiEEEESD_SD_SD_jNS0_19identity_decomposerENS1_16block_id_wrapperIjLb1EEEEE10hipError_tT1_PNSt15iterator_traitsISI_E10value_typeET2_T3_PNSJ_ISO_E10value_typeET4_T5_PST_SU_PNS1_23onesweep_lookback_stateEbbT6_jjT7_P12ihipStream_tbENKUlT_T0_SI_SN_E_clISD_PiSD_S15_EEDaS11_S12_SI_SN_EUlS11_E_NS1_11comp_targetILNS1_3genE4ELNS1_11target_archE910ELNS1_3gpuE8ELNS1_3repE0EEENS1_47radix_sort_onesweep_sort_config_static_selectorELNS0_4arch9wavefront6targetE1EEEvSI_.num_agpr, 0
	.set _ZN7rocprim17ROCPRIM_400000_NS6detail17trampoline_kernelINS0_14default_configENS1_35radix_sort_onesweep_config_selectorIiiEEZZNS1_29radix_sort_onesweep_iterationIS3_Lb0EN6thrust23THRUST_200600_302600_NS6detail15normal_iteratorINS8_10device_ptrIiEEEESD_SD_SD_jNS0_19identity_decomposerENS1_16block_id_wrapperIjLb1EEEEE10hipError_tT1_PNSt15iterator_traitsISI_E10value_typeET2_T3_PNSJ_ISO_E10value_typeET4_T5_PST_SU_PNS1_23onesweep_lookback_stateEbbT6_jjT7_P12ihipStream_tbENKUlT_T0_SI_SN_E_clISD_PiSD_S15_EEDaS11_S12_SI_SN_EUlS11_E_NS1_11comp_targetILNS1_3genE4ELNS1_11target_archE910ELNS1_3gpuE8ELNS1_3repE0EEENS1_47radix_sort_onesweep_sort_config_static_selectorELNS0_4arch9wavefront6targetE1EEEvSI_.numbered_sgpr, 0
	.set _ZN7rocprim17ROCPRIM_400000_NS6detail17trampoline_kernelINS0_14default_configENS1_35radix_sort_onesweep_config_selectorIiiEEZZNS1_29radix_sort_onesweep_iterationIS3_Lb0EN6thrust23THRUST_200600_302600_NS6detail15normal_iteratorINS8_10device_ptrIiEEEESD_SD_SD_jNS0_19identity_decomposerENS1_16block_id_wrapperIjLb1EEEEE10hipError_tT1_PNSt15iterator_traitsISI_E10value_typeET2_T3_PNSJ_ISO_E10value_typeET4_T5_PST_SU_PNS1_23onesweep_lookback_stateEbbT6_jjT7_P12ihipStream_tbENKUlT_T0_SI_SN_E_clISD_PiSD_S15_EEDaS11_S12_SI_SN_EUlS11_E_NS1_11comp_targetILNS1_3genE4ELNS1_11target_archE910ELNS1_3gpuE8ELNS1_3repE0EEENS1_47radix_sort_onesweep_sort_config_static_selectorELNS0_4arch9wavefront6targetE1EEEvSI_.num_named_barrier, 0
	.set _ZN7rocprim17ROCPRIM_400000_NS6detail17trampoline_kernelINS0_14default_configENS1_35radix_sort_onesweep_config_selectorIiiEEZZNS1_29radix_sort_onesweep_iterationIS3_Lb0EN6thrust23THRUST_200600_302600_NS6detail15normal_iteratorINS8_10device_ptrIiEEEESD_SD_SD_jNS0_19identity_decomposerENS1_16block_id_wrapperIjLb1EEEEE10hipError_tT1_PNSt15iterator_traitsISI_E10value_typeET2_T3_PNSJ_ISO_E10value_typeET4_T5_PST_SU_PNS1_23onesweep_lookback_stateEbbT6_jjT7_P12ihipStream_tbENKUlT_T0_SI_SN_E_clISD_PiSD_S15_EEDaS11_S12_SI_SN_EUlS11_E_NS1_11comp_targetILNS1_3genE4ELNS1_11target_archE910ELNS1_3gpuE8ELNS1_3repE0EEENS1_47radix_sort_onesweep_sort_config_static_selectorELNS0_4arch9wavefront6targetE1EEEvSI_.private_seg_size, 0
	.set _ZN7rocprim17ROCPRIM_400000_NS6detail17trampoline_kernelINS0_14default_configENS1_35radix_sort_onesweep_config_selectorIiiEEZZNS1_29radix_sort_onesweep_iterationIS3_Lb0EN6thrust23THRUST_200600_302600_NS6detail15normal_iteratorINS8_10device_ptrIiEEEESD_SD_SD_jNS0_19identity_decomposerENS1_16block_id_wrapperIjLb1EEEEE10hipError_tT1_PNSt15iterator_traitsISI_E10value_typeET2_T3_PNSJ_ISO_E10value_typeET4_T5_PST_SU_PNS1_23onesweep_lookback_stateEbbT6_jjT7_P12ihipStream_tbENKUlT_T0_SI_SN_E_clISD_PiSD_S15_EEDaS11_S12_SI_SN_EUlS11_E_NS1_11comp_targetILNS1_3genE4ELNS1_11target_archE910ELNS1_3gpuE8ELNS1_3repE0EEENS1_47radix_sort_onesweep_sort_config_static_selectorELNS0_4arch9wavefront6targetE1EEEvSI_.uses_vcc, 0
	.set _ZN7rocprim17ROCPRIM_400000_NS6detail17trampoline_kernelINS0_14default_configENS1_35radix_sort_onesweep_config_selectorIiiEEZZNS1_29radix_sort_onesweep_iterationIS3_Lb0EN6thrust23THRUST_200600_302600_NS6detail15normal_iteratorINS8_10device_ptrIiEEEESD_SD_SD_jNS0_19identity_decomposerENS1_16block_id_wrapperIjLb1EEEEE10hipError_tT1_PNSt15iterator_traitsISI_E10value_typeET2_T3_PNSJ_ISO_E10value_typeET4_T5_PST_SU_PNS1_23onesweep_lookback_stateEbbT6_jjT7_P12ihipStream_tbENKUlT_T0_SI_SN_E_clISD_PiSD_S15_EEDaS11_S12_SI_SN_EUlS11_E_NS1_11comp_targetILNS1_3genE4ELNS1_11target_archE910ELNS1_3gpuE8ELNS1_3repE0EEENS1_47radix_sort_onesweep_sort_config_static_selectorELNS0_4arch9wavefront6targetE1EEEvSI_.uses_flat_scratch, 0
	.set _ZN7rocprim17ROCPRIM_400000_NS6detail17trampoline_kernelINS0_14default_configENS1_35radix_sort_onesweep_config_selectorIiiEEZZNS1_29radix_sort_onesweep_iterationIS3_Lb0EN6thrust23THRUST_200600_302600_NS6detail15normal_iteratorINS8_10device_ptrIiEEEESD_SD_SD_jNS0_19identity_decomposerENS1_16block_id_wrapperIjLb1EEEEE10hipError_tT1_PNSt15iterator_traitsISI_E10value_typeET2_T3_PNSJ_ISO_E10value_typeET4_T5_PST_SU_PNS1_23onesweep_lookback_stateEbbT6_jjT7_P12ihipStream_tbENKUlT_T0_SI_SN_E_clISD_PiSD_S15_EEDaS11_S12_SI_SN_EUlS11_E_NS1_11comp_targetILNS1_3genE4ELNS1_11target_archE910ELNS1_3gpuE8ELNS1_3repE0EEENS1_47radix_sort_onesweep_sort_config_static_selectorELNS0_4arch9wavefront6targetE1EEEvSI_.has_dyn_sized_stack, 0
	.set _ZN7rocprim17ROCPRIM_400000_NS6detail17trampoline_kernelINS0_14default_configENS1_35radix_sort_onesweep_config_selectorIiiEEZZNS1_29radix_sort_onesweep_iterationIS3_Lb0EN6thrust23THRUST_200600_302600_NS6detail15normal_iteratorINS8_10device_ptrIiEEEESD_SD_SD_jNS0_19identity_decomposerENS1_16block_id_wrapperIjLb1EEEEE10hipError_tT1_PNSt15iterator_traitsISI_E10value_typeET2_T3_PNSJ_ISO_E10value_typeET4_T5_PST_SU_PNS1_23onesweep_lookback_stateEbbT6_jjT7_P12ihipStream_tbENKUlT_T0_SI_SN_E_clISD_PiSD_S15_EEDaS11_S12_SI_SN_EUlS11_E_NS1_11comp_targetILNS1_3genE4ELNS1_11target_archE910ELNS1_3gpuE8ELNS1_3repE0EEENS1_47radix_sort_onesweep_sort_config_static_selectorELNS0_4arch9wavefront6targetE1EEEvSI_.has_recursion, 0
	.set _ZN7rocprim17ROCPRIM_400000_NS6detail17trampoline_kernelINS0_14default_configENS1_35radix_sort_onesweep_config_selectorIiiEEZZNS1_29radix_sort_onesweep_iterationIS3_Lb0EN6thrust23THRUST_200600_302600_NS6detail15normal_iteratorINS8_10device_ptrIiEEEESD_SD_SD_jNS0_19identity_decomposerENS1_16block_id_wrapperIjLb1EEEEE10hipError_tT1_PNSt15iterator_traitsISI_E10value_typeET2_T3_PNSJ_ISO_E10value_typeET4_T5_PST_SU_PNS1_23onesweep_lookback_stateEbbT6_jjT7_P12ihipStream_tbENKUlT_T0_SI_SN_E_clISD_PiSD_S15_EEDaS11_S12_SI_SN_EUlS11_E_NS1_11comp_targetILNS1_3genE4ELNS1_11target_archE910ELNS1_3gpuE8ELNS1_3repE0EEENS1_47radix_sort_onesweep_sort_config_static_selectorELNS0_4arch9wavefront6targetE1EEEvSI_.has_indirect_call, 0
	.section	.AMDGPU.csdata,"",@progbits
; Kernel info:
; codeLenInByte = 0
; TotalNumSgprs: 6
; NumVgprs: 0
; NumAgprs: 0
; TotalNumVgprs: 0
; ScratchSize: 0
; MemoryBound: 0
; FloatMode: 240
; IeeeMode: 1
; LDSByteSize: 0 bytes/workgroup (compile time only)
; SGPRBlocks: 0
; VGPRBlocks: 0
; NumSGPRsForWavesPerEU: 6
; NumVGPRsForWavesPerEU: 1
; AccumOffset: 4
; Occupancy: 8
; WaveLimiterHint : 0
; COMPUTE_PGM_RSRC2:SCRATCH_EN: 0
; COMPUTE_PGM_RSRC2:USER_SGPR: 2
; COMPUTE_PGM_RSRC2:TRAP_HANDLER: 0
; COMPUTE_PGM_RSRC2:TGID_X_EN: 1
; COMPUTE_PGM_RSRC2:TGID_Y_EN: 0
; COMPUTE_PGM_RSRC2:TGID_Z_EN: 0
; COMPUTE_PGM_RSRC2:TIDIG_COMP_CNT: 0
; COMPUTE_PGM_RSRC3_GFX90A:ACCUM_OFFSET: 0
; COMPUTE_PGM_RSRC3_GFX90A:TG_SPLIT: 0
	.section	.text._ZN7rocprim17ROCPRIM_400000_NS6detail17trampoline_kernelINS0_14default_configENS1_35radix_sort_onesweep_config_selectorIiiEEZZNS1_29radix_sort_onesweep_iterationIS3_Lb0EN6thrust23THRUST_200600_302600_NS6detail15normal_iteratorINS8_10device_ptrIiEEEESD_SD_SD_jNS0_19identity_decomposerENS1_16block_id_wrapperIjLb1EEEEE10hipError_tT1_PNSt15iterator_traitsISI_E10value_typeET2_T3_PNSJ_ISO_E10value_typeET4_T5_PST_SU_PNS1_23onesweep_lookback_stateEbbT6_jjT7_P12ihipStream_tbENKUlT_T0_SI_SN_E_clISD_PiSD_S15_EEDaS11_S12_SI_SN_EUlS11_E_NS1_11comp_targetILNS1_3genE3ELNS1_11target_archE908ELNS1_3gpuE7ELNS1_3repE0EEENS1_47radix_sort_onesweep_sort_config_static_selectorELNS0_4arch9wavefront6targetE1EEEvSI_,"axG",@progbits,_ZN7rocprim17ROCPRIM_400000_NS6detail17trampoline_kernelINS0_14default_configENS1_35radix_sort_onesweep_config_selectorIiiEEZZNS1_29radix_sort_onesweep_iterationIS3_Lb0EN6thrust23THRUST_200600_302600_NS6detail15normal_iteratorINS8_10device_ptrIiEEEESD_SD_SD_jNS0_19identity_decomposerENS1_16block_id_wrapperIjLb1EEEEE10hipError_tT1_PNSt15iterator_traitsISI_E10value_typeET2_T3_PNSJ_ISO_E10value_typeET4_T5_PST_SU_PNS1_23onesweep_lookback_stateEbbT6_jjT7_P12ihipStream_tbENKUlT_T0_SI_SN_E_clISD_PiSD_S15_EEDaS11_S12_SI_SN_EUlS11_E_NS1_11comp_targetILNS1_3genE3ELNS1_11target_archE908ELNS1_3gpuE7ELNS1_3repE0EEENS1_47radix_sort_onesweep_sort_config_static_selectorELNS0_4arch9wavefront6targetE1EEEvSI_,comdat
	.protected	_ZN7rocprim17ROCPRIM_400000_NS6detail17trampoline_kernelINS0_14default_configENS1_35radix_sort_onesweep_config_selectorIiiEEZZNS1_29radix_sort_onesweep_iterationIS3_Lb0EN6thrust23THRUST_200600_302600_NS6detail15normal_iteratorINS8_10device_ptrIiEEEESD_SD_SD_jNS0_19identity_decomposerENS1_16block_id_wrapperIjLb1EEEEE10hipError_tT1_PNSt15iterator_traitsISI_E10value_typeET2_T3_PNSJ_ISO_E10value_typeET4_T5_PST_SU_PNS1_23onesweep_lookback_stateEbbT6_jjT7_P12ihipStream_tbENKUlT_T0_SI_SN_E_clISD_PiSD_S15_EEDaS11_S12_SI_SN_EUlS11_E_NS1_11comp_targetILNS1_3genE3ELNS1_11target_archE908ELNS1_3gpuE7ELNS1_3repE0EEENS1_47radix_sort_onesweep_sort_config_static_selectorELNS0_4arch9wavefront6targetE1EEEvSI_ ; -- Begin function _ZN7rocprim17ROCPRIM_400000_NS6detail17trampoline_kernelINS0_14default_configENS1_35radix_sort_onesweep_config_selectorIiiEEZZNS1_29radix_sort_onesweep_iterationIS3_Lb0EN6thrust23THRUST_200600_302600_NS6detail15normal_iteratorINS8_10device_ptrIiEEEESD_SD_SD_jNS0_19identity_decomposerENS1_16block_id_wrapperIjLb1EEEEE10hipError_tT1_PNSt15iterator_traitsISI_E10value_typeET2_T3_PNSJ_ISO_E10value_typeET4_T5_PST_SU_PNS1_23onesweep_lookback_stateEbbT6_jjT7_P12ihipStream_tbENKUlT_T0_SI_SN_E_clISD_PiSD_S15_EEDaS11_S12_SI_SN_EUlS11_E_NS1_11comp_targetILNS1_3genE3ELNS1_11target_archE908ELNS1_3gpuE7ELNS1_3repE0EEENS1_47radix_sort_onesweep_sort_config_static_selectorELNS0_4arch9wavefront6targetE1EEEvSI_
	.globl	_ZN7rocprim17ROCPRIM_400000_NS6detail17trampoline_kernelINS0_14default_configENS1_35radix_sort_onesweep_config_selectorIiiEEZZNS1_29radix_sort_onesweep_iterationIS3_Lb0EN6thrust23THRUST_200600_302600_NS6detail15normal_iteratorINS8_10device_ptrIiEEEESD_SD_SD_jNS0_19identity_decomposerENS1_16block_id_wrapperIjLb1EEEEE10hipError_tT1_PNSt15iterator_traitsISI_E10value_typeET2_T3_PNSJ_ISO_E10value_typeET4_T5_PST_SU_PNS1_23onesweep_lookback_stateEbbT6_jjT7_P12ihipStream_tbENKUlT_T0_SI_SN_E_clISD_PiSD_S15_EEDaS11_S12_SI_SN_EUlS11_E_NS1_11comp_targetILNS1_3genE3ELNS1_11target_archE908ELNS1_3gpuE7ELNS1_3repE0EEENS1_47radix_sort_onesweep_sort_config_static_selectorELNS0_4arch9wavefront6targetE1EEEvSI_
	.p2align	8
	.type	_ZN7rocprim17ROCPRIM_400000_NS6detail17trampoline_kernelINS0_14default_configENS1_35radix_sort_onesweep_config_selectorIiiEEZZNS1_29radix_sort_onesweep_iterationIS3_Lb0EN6thrust23THRUST_200600_302600_NS6detail15normal_iteratorINS8_10device_ptrIiEEEESD_SD_SD_jNS0_19identity_decomposerENS1_16block_id_wrapperIjLb1EEEEE10hipError_tT1_PNSt15iterator_traitsISI_E10value_typeET2_T3_PNSJ_ISO_E10value_typeET4_T5_PST_SU_PNS1_23onesweep_lookback_stateEbbT6_jjT7_P12ihipStream_tbENKUlT_T0_SI_SN_E_clISD_PiSD_S15_EEDaS11_S12_SI_SN_EUlS11_E_NS1_11comp_targetILNS1_3genE3ELNS1_11target_archE908ELNS1_3gpuE7ELNS1_3repE0EEENS1_47radix_sort_onesweep_sort_config_static_selectorELNS0_4arch9wavefront6targetE1EEEvSI_,@function
_ZN7rocprim17ROCPRIM_400000_NS6detail17trampoline_kernelINS0_14default_configENS1_35radix_sort_onesweep_config_selectorIiiEEZZNS1_29radix_sort_onesweep_iterationIS3_Lb0EN6thrust23THRUST_200600_302600_NS6detail15normal_iteratorINS8_10device_ptrIiEEEESD_SD_SD_jNS0_19identity_decomposerENS1_16block_id_wrapperIjLb1EEEEE10hipError_tT1_PNSt15iterator_traitsISI_E10value_typeET2_T3_PNSJ_ISO_E10value_typeET4_T5_PST_SU_PNS1_23onesweep_lookback_stateEbbT6_jjT7_P12ihipStream_tbENKUlT_T0_SI_SN_E_clISD_PiSD_S15_EEDaS11_S12_SI_SN_EUlS11_E_NS1_11comp_targetILNS1_3genE3ELNS1_11target_archE908ELNS1_3gpuE7ELNS1_3repE0EEENS1_47radix_sort_onesweep_sort_config_static_selectorELNS0_4arch9wavefront6targetE1EEEvSI_: ; @_ZN7rocprim17ROCPRIM_400000_NS6detail17trampoline_kernelINS0_14default_configENS1_35radix_sort_onesweep_config_selectorIiiEEZZNS1_29radix_sort_onesweep_iterationIS3_Lb0EN6thrust23THRUST_200600_302600_NS6detail15normal_iteratorINS8_10device_ptrIiEEEESD_SD_SD_jNS0_19identity_decomposerENS1_16block_id_wrapperIjLb1EEEEE10hipError_tT1_PNSt15iterator_traitsISI_E10value_typeET2_T3_PNSJ_ISO_E10value_typeET4_T5_PST_SU_PNS1_23onesweep_lookback_stateEbbT6_jjT7_P12ihipStream_tbENKUlT_T0_SI_SN_E_clISD_PiSD_S15_EEDaS11_S12_SI_SN_EUlS11_E_NS1_11comp_targetILNS1_3genE3ELNS1_11target_archE908ELNS1_3gpuE7ELNS1_3repE0EEENS1_47radix_sort_onesweep_sort_config_static_selectorELNS0_4arch9wavefront6targetE1EEEvSI_
; %bb.0:
	.section	.rodata,"a",@progbits
	.p2align	6, 0x0
	.amdhsa_kernel _ZN7rocprim17ROCPRIM_400000_NS6detail17trampoline_kernelINS0_14default_configENS1_35radix_sort_onesweep_config_selectorIiiEEZZNS1_29radix_sort_onesweep_iterationIS3_Lb0EN6thrust23THRUST_200600_302600_NS6detail15normal_iteratorINS8_10device_ptrIiEEEESD_SD_SD_jNS0_19identity_decomposerENS1_16block_id_wrapperIjLb1EEEEE10hipError_tT1_PNSt15iterator_traitsISI_E10value_typeET2_T3_PNSJ_ISO_E10value_typeET4_T5_PST_SU_PNS1_23onesweep_lookback_stateEbbT6_jjT7_P12ihipStream_tbENKUlT_T0_SI_SN_E_clISD_PiSD_S15_EEDaS11_S12_SI_SN_EUlS11_E_NS1_11comp_targetILNS1_3genE3ELNS1_11target_archE908ELNS1_3gpuE7ELNS1_3repE0EEENS1_47radix_sort_onesweep_sort_config_static_selectorELNS0_4arch9wavefront6targetE1EEEvSI_
		.amdhsa_group_segment_fixed_size 0
		.amdhsa_private_segment_fixed_size 0
		.amdhsa_kernarg_size 88
		.amdhsa_user_sgpr_count 2
		.amdhsa_user_sgpr_dispatch_ptr 0
		.amdhsa_user_sgpr_queue_ptr 0
		.amdhsa_user_sgpr_kernarg_segment_ptr 1
		.amdhsa_user_sgpr_dispatch_id 0
		.amdhsa_user_sgpr_kernarg_preload_length 0
		.amdhsa_user_sgpr_kernarg_preload_offset 0
		.amdhsa_user_sgpr_private_segment_size 0
		.amdhsa_uses_dynamic_stack 0
		.amdhsa_enable_private_segment 0
		.amdhsa_system_sgpr_workgroup_id_x 1
		.amdhsa_system_sgpr_workgroup_id_y 0
		.amdhsa_system_sgpr_workgroup_id_z 0
		.amdhsa_system_sgpr_workgroup_info 0
		.amdhsa_system_vgpr_workitem_id 0
		.amdhsa_next_free_vgpr 1
		.amdhsa_next_free_sgpr 0
		.amdhsa_accum_offset 4
		.amdhsa_reserve_vcc 0
		.amdhsa_float_round_mode_32 0
		.amdhsa_float_round_mode_16_64 0
		.amdhsa_float_denorm_mode_32 3
		.amdhsa_float_denorm_mode_16_64 3
		.amdhsa_dx10_clamp 1
		.amdhsa_ieee_mode 1
		.amdhsa_fp16_overflow 0
		.amdhsa_tg_split 0
		.amdhsa_exception_fp_ieee_invalid_op 0
		.amdhsa_exception_fp_denorm_src 0
		.amdhsa_exception_fp_ieee_div_zero 0
		.amdhsa_exception_fp_ieee_overflow 0
		.amdhsa_exception_fp_ieee_underflow 0
		.amdhsa_exception_fp_ieee_inexact 0
		.amdhsa_exception_int_div_zero 0
	.end_amdhsa_kernel
	.section	.text._ZN7rocprim17ROCPRIM_400000_NS6detail17trampoline_kernelINS0_14default_configENS1_35radix_sort_onesweep_config_selectorIiiEEZZNS1_29radix_sort_onesweep_iterationIS3_Lb0EN6thrust23THRUST_200600_302600_NS6detail15normal_iteratorINS8_10device_ptrIiEEEESD_SD_SD_jNS0_19identity_decomposerENS1_16block_id_wrapperIjLb1EEEEE10hipError_tT1_PNSt15iterator_traitsISI_E10value_typeET2_T3_PNSJ_ISO_E10value_typeET4_T5_PST_SU_PNS1_23onesweep_lookback_stateEbbT6_jjT7_P12ihipStream_tbENKUlT_T0_SI_SN_E_clISD_PiSD_S15_EEDaS11_S12_SI_SN_EUlS11_E_NS1_11comp_targetILNS1_3genE3ELNS1_11target_archE908ELNS1_3gpuE7ELNS1_3repE0EEENS1_47radix_sort_onesweep_sort_config_static_selectorELNS0_4arch9wavefront6targetE1EEEvSI_,"axG",@progbits,_ZN7rocprim17ROCPRIM_400000_NS6detail17trampoline_kernelINS0_14default_configENS1_35radix_sort_onesweep_config_selectorIiiEEZZNS1_29radix_sort_onesweep_iterationIS3_Lb0EN6thrust23THRUST_200600_302600_NS6detail15normal_iteratorINS8_10device_ptrIiEEEESD_SD_SD_jNS0_19identity_decomposerENS1_16block_id_wrapperIjLb1EEEEE10hipError_tT1_PNSt15iterator_traitsISI_E10value_typeET2_T3_PNSJ_ISO_E10value_typeET4_T5_PST_SU_PNS1_23onesweep_lookback_stateEbbT6_jjT7_P12ihipStream_tbENKUlT_T0_SI_SN_E_clISD_PiSD_S15_EEDaS11_S12_SI_SN_EUlS11_E_NS1_11comp_targetILNS1_3genE3ELNS1_11target_archE908ELNS1_3gpuE7ELNS1_3repE0EEENS1_47radix_sort_onesweep_sort_config_static_selectorELNS0_4arch9wavefront6targetE1EEEvSI_,comdat
.Lfunc_end836:
	.size	_ZN7rocprim17ROCPRIM_400000_NS6detail17trampoline_kernelINS0_14default_configENS1_35radix_sort_onesweep_config_selectorIiiEEZZNS1_29radix_sort_onesweep_iterationIS3_Lb0EN6thrust23THRUST_200600_302600_NS6detail15normal_iteratorINS8_10device_ptrIiEEEESD_SD_SD_jNS0_19identity_decomposerENS1_16block_id_wrapperIjLb1EEEEE10hipError_tT1_PNSt15iterator_traitsISI_E10value_typeET2_T3_PNSJ_ISO_E10value_typeET4_T5_PST_SU_PNS1_23onesweep_lookback_stateEbbT6_jjT7_P12ihipStream_tbENKUlT_T0_SI_SN_E_clISD_PiSD_S15_EEDaS11_S12_SI_SN_EUlS11_E_NS1_11comp_targetILNS1_3genE3ELNS1_11target_archE908ELNS1_3gpuE7ELNS1_3repE0EEENS1_47radix_sort_onesweep_sort_config_static_selectorELNS0_4arch9wavefront6targetE1EEEvSI_, .Lfunc_end836-_ZN7rocprim17ROCPRIM_400000_NS6detail17trampoline_kernelINS0_14default_configENS1_35radix_sort_onesweep_config_selectorIiiEEZZNS1_29radix_sort_onesweep_iterationIS3_Lb0EN6thrust23THRUST_200600_302600_NS6detail15normal_iteratorINS8_10device_ptrIiEEEESD_SD_SD_jNS0_19identity_decomposerENS1_16block_id_wrapperIjLb1EEEEE10hipError_tT1_PNSt15iterator_traitsISI_E10value_typeET2_T3_PNSJ_ISO_E10value_typeET4_T5_PST_SU_PNS1_23onesweep_lookback_stateEbbT6_jjT7_P12ihipStream_tbENKUlT_T0_SI_SN_E_clISD_PiSD_S15_EEDaS11_S12_SI_SN_EUlS11_E_NS1_11comp_targetILNS1_3genE3ELNS1_11target_archE908ELNS1_3gpuE7ELNS1_3repE0EEENS1_47radix_sort_onesweep_sort_config_static_selectorELNS0_4arch9wavefront6targetE1EEEvSI_
                                        ; -- End function
	.set _ZN7rocprim17ROCPRIM_400000_NS6detail17trampoline_kernelINS0_14default_configENS1_35radix_sort_onesweep_config_selectorIiiEEZZNS1_29radix_sort_onesweep_iterationIS3_Lb0EN6thrust23THRUST_200600_302600_NS6detail15normal_iteratorINS8_10device_ptrIiEEEESD_SD_SD_jNS0_19identity_decomposerENS1_16block_id_wrapperIjLb1EEEEE10hipError_tT1_PNSt15iterator_traitsISI_E10value_typeET2_T3_PNSJ_ISO_E10value_typeET4_T5_PST_SU_PNS1_23onesweep_lookback_stateEbbT6_jjT7_P12ihipStream_tbENKUlT_T0_SI_SN_E_clISD_PiSD_S15_EEDaS11_S12_SI_SN_EUlS11_E_NS1_11comp_targetILNS1_3genE3ELNS1_11target_archE908ELNS1_3gpuE7ELNS1_3repE0EEENS1_47radix_sort_onesweep_sort_config_static_selectorELNS0_4arch9wavefront6targetE1EEEvSI_.num_vgpr, 0
	.set _ZN7rocprim17ROCPRIM_400000_NS6detail17trampoline_kernelINS0_14default_configENS1_35radix_sort_onesweep_config_selectorIiiEEZZNS1_29radix_sort_onesweep_iterationIS3_Lb0EN6thrust23THRUST_200600_302600_NS6detail15normal_iteratorINS8_10device_ptrIiEEEESD_SD_SD_jNS0_19identity_decomposerENS1_16block_id_wrapperIjLb1EEEEE10hipError_tT1_PNSt15iterator_traitsISI_E10value_typeET2_T3_PNSJ_ISO_E10value_typeET4_T5_PST_SU_PNS1_23onesweep_lookback_stateEbbT6_jjT7_P12ihipStream_tbENKUlT_T0_SI_SN_E_clISD_PiSD_S15_EEDaS11_S12_SI_SN_EUlS11_E_NS1_11comp_targetILNS1_3genE3ELNS1_11target_archE908ELNS1_3gpuE7ELNS1_3repE0EEENS1_47radix_sort_onesweep_sort_config_static_selectorELNS0_4arch9wavefront6targetE1EEEvSI_.num_agpr, 0
	.set _ZN7rocprim17ROCPRIM_400000_NS6detail17trampoline_kernelINS0_14default_configENS1_35radix_sort_onesweep_config_selectorIiiEEZZNS1_29radix_sort_onesweep_iterationIS3_Lb0EN6thrust23THRUST_200600_302600_NS6detail15normal_iteratorINS8_10device_ptrIiEEEESD_SD_SD_jNS0_19identity_decomposerENS1_16block_id_wrapperIjLb1EEEEE10hipError_tT1_PNSt15iterator_traitsISI_E10value_typeET2_T3_PNSJ_ISO_E10value_typeET4_T5_PST_SU_PNS1_23onesweep_lookback_stateEbbT6_jjT7_P12ihipStream_tbENKUlT_T0_SI_SN_E_clISD_PiSD_S15_EEDaS11_S12_SI_SN_EUlS11_E_NS1_11comp_targetILNS1_3genE3ELNS1_11target_archE908ELNS1_3gpuE7ELNS1_3repE0EEENS1_47radix_sort_onesweep_sort_config_static_selectorELNS0_4arch9wavefront6targetE1EEEvSI_.numbered_sgpr, 0
	.set _ZN7rocprim17ROCPRIM_400000_NS6detail17trampoline_kernelINS0_14default_configENS1_35radix_sort_onesweep_config_selectorIiiEEZZNS1_29radix_sort_onesweep_iterationIS3_Lb0EN6thrust23THRUST_200600_302600_NS6detail15normal_iteratorINS8_10device_ptrIiEEEESD_SD_SD_jNS0_19identity_decomposerENS1_16block_id_wrapperIjLb1EEEEE10hipError_tT1_PNSt15iterator_traitsISI_E10value_typeET2_T3_PNSJ_ISO_E10value_typeET4_T5_PST_SU_PNS1_23onesweep_lookback_stateEbbT6_jjT7_P12ihipStream_tbENKUlT_T0_SI_SN_E_clISD_PiSD_S15_EEDaS11_S12_SI_SN_EUlS11_E_NS1_11comp_targetILNS1_3genE3ELNS1_11target_archE908ELNS1_3gpuE7ELNS1_3repE0EEENS1_47radix_sort_onesweep_sort_config_static_selectorELNS0_4arch9wavefront6targetE1EEEvSI_.num_named_barrier, 0
	.set _ZN7rocprim17ROCPRIM_400000_NS6detail17trampoline_kernelINS0_14default_configENS1_35radix_sort_onesweep_config_selectorIiiEEZZNS1_29radix_sort_onesweep_iterationIS3_Lb0EN6thrust23THRUST_200600_302600_NS6detail15normal_iteratorINS8_10device_ptrIiEEEESD_SD_SD_jNS0_19identity_decomposerENS1_16block_id_wrapperIjLb1EEEEE10hipError_tT1_PNSt15iterator_traitsISI_E10value_typeET2_T3_PNSJ_ISO_E10value_typeET4_T5_PST_SU_PNS1_23onesweep_lookback_stateEbbT6_jjT7_P12ihipStream_tbENKUlT_T0_SI_SN_E_clISD_PiSD_S15_EEDaS11_S12_SI_SN_EUlS11_E_NS1_11comp_targetILNS1_3genE3ELNS1_11target_archE908ELNS1_3gpuE7ELNS1_3repE0EEENS1_47radix_sort_onesweep_sort_config_static_selectorELNS0_4arch9wavefront6targetE1EEEvSI_.private_seg_size, 0
	.set _ZN7rocprim17ROCPRIM_400000_NS6detail17trampoline_kernelINS0_14default_configENS1_35radix_sort_onesweep_config_selectorIiiEEZZNS1_29radix_sort_onesweep_iterationIS3_Lb0EN6thrust23THRUST_200600_302600_NS6detail15normal_iteratorINS8_10device_ptrIiEEEESD_SD_SD_jNS0_19identity_decomposerENS1_16block_id_wrapperIjLb1EEEEE10hipError_tT1_PNSt15iterator_traitsISI_E10value_typeET2_T3_PNSJ_ISO_E10value_typeET4_T5_PST_SU_PNS1_23onesweep_lookback_stateEbbT6_jjT7_P12ihipStream_tbENKUlT_T0_SI_SN_E_clISD_PiSD_S15_EEDaS11_S12_SI_SN_EUlS11_E_NS1_11comp_targetILNS1_3genE3ELNS1_11target_archE908ELNS1_3gpuE7ELNS1_3repE0EEENS1_47radix_sort_onesweep_sort_config_static_selectorELNS0_4arch9wavefront6targetE1EEEvSI_.uses_vcc, 0
	.set _ZN7rocprim17ROCPRIM_400000_NS6detail17trampoline_kernelINS0_14default_configENS1_35radix_sort_onesweep_config_selectorIiiEEZZNS1_29radix_sort_onesweep_iterationIS3_Lb0EN6thrust23THRUST_200600_302600_NS6detail15normal_iteratorINS8_10device_ptrIiEEEESD_SD_SD_jNS0_19identity_decomposerENS1_16block_id_wrapperIjLb1EEEEE10hipError_tT1_PNSt15iterator_traitsISI_E10value_typeET2_T3_PNSJ_ISO_E10value_typeET4_T5_PST_SU_PNS1_23onesweep_lookback_stateEbbT6_jjT7_P12ihipStream_tbENKUlT_T0_SI_SN_E_clISD_PiSD_S15_EEDaS11_S12_SI_SN_EUlS11_E_NS1_11comp_targetILNS1_3genE3ELNS1_11target_archE908ELNS1_3gpuE7ELNS1_3repE0EEENS1_47radix_sort_onesweep_sort_config_static_selectorELNS0_4arch9wavefront6targetE1EEEvSI_.uses_flat_scratch, 0
	.set _ZN7rocprim17ROCPRIM_400000_NS6detail17trampoline_kernelINS0_14default_configENS1_35radix_sort_onesweep_config_selectorIiiEEZZNS1_29radix_sort_onesweep_iterationIS3_Lb0EN6thrust23THRUST_200600_302600_NS6detail15normal_iteratorINS8_10device_ptrIiEEEESD_SD_SD_jNS0_19identity_decomposerENS1_16block_id_wrapperIjLb1EEEEE10hipError_tT1_PNSt15iterator_traitsISI_E10value_typeET2_T3_PNSJ_ISO_E10value_typeET4_T5_PST_SU_PNS1_23onesweep_lookback_stateEbbT6_jjT7_P12ihipStream_tbENKUlT_T0_SI_SN_E_clISD_PiSD_S15_EEDaS11_S12_SI_SN_EUlS11_E_NS1_11comp_targetILNS1_3genE3ELNS1_11target_archE908ELNS1_3gpuE7ELNS1_3repE0EEENS1_47radix_sort_onesweep_sort_config_static_selectorELNS0_4arch9wavefront6targetE1EEEvSI_.has_dyn_sized_stack, 0
	.set _ZN7rocprim17ROCPRIM_400000_NS6detail17trampoline_kernelINS0_14default_configENS1_35radix_sort_onesweep_config_selectorIiiEEZZNS1_29radix_sort_onesweep_iterationIS3_Lb0EN6thrust23THRUST_200600_302600_NS6detail15normal_iteratorINS8_10device_ptrIiEEEESD_SD_SD_jNS0_19identity_decomposerENS1_16block_id_wrapperIjLb1EEEEE10hipError_tT1_PNSt15iterator_traitsISI_E10value_typeET2_T3_PNSJ_ISO_E10value_typeET4_T5_PST_SU_PNS1_23onesweep_lookback_stateEbbT6_jjT7_P12ihipStream_tbENKUlT_T0_SI_SN_E_clISD_PiSD_S15_EEDaS11_S12_SI_SN_EUlS11_E_NS1_11comp_targetILNS1_3genE3ELNS1_11target_archE908ELNS1_3gpuE7ELNS1_3repE0EEENS1_47radix_sort_onesweep_sort_config_static_selectorELNS0_4arch9wavefront6targetE1EEEvSI_.has_recursion, 0
	.set _ZN7rocprim17ROCPRIM_400000_NS6detail17trampoline_kernelINS0_14default_configENS1_35radix_sort_onesweep_config_selectorIiiEEZZNS1_29radix_sort_onesweep_iterationIS3_Lb0EN6thrust23THRUST_200600_302600_NS6detail15normal_iteratorINS8_10device_ptrIiEEEESD_SD_SD_jNS0_19identity_decomposerENS1_16block_id_wrapperIjLb1EEEEE10hipError_tT1_PNSt15iterator_traitsISI_E10value_typeET2_T3_PNSJ_ISO_E10value_typeET4_T5_PST_SU_PNS1_23onesweep_lookback_stateEbbT6_jjT7_P12ihipStream_tbENKUlT_T0_SI_SN_E_clISD_PiSD_S15_EEDaS11_S12_SI_SN_EUlS11_E_NS1_11comp_targetILNS1_3genE3ELNS1_11target_archE908ELNS1_3gpuE7ELNS1_3repE0EEENS1_47radix_sort_onesweep_sort_config_static_selectorELNS0_4arch9wavefront6targetE1EEEvSI_.has_indirect_call, 0
	.section	.AMDGPU.csdata,"",@progbits
; Kernel info:
; codeLenInByte = 0
; TotalNumSgprs: 6
; NumVgprs: 0
; NumAgprs: 0
; TotalNumVgprs: 0
; ScratchSize: 0
; MemoryBound: 0
; FloatMode: 240
; IeeeMode: 1
; LDSByteSize: 0 bytes/workgroup (compile time only)
; SGPRBlocks: 0
; VGPRBlocks: 0
; NumSGPRsForWavesPerEU: 6
; NumVGPRsForWavesPerEU: 1
; AccumOffset: 4
; Occupancy: 8
; WaveLimiterHint : 0
; COMPUTE_PGM_RSRC2:SCRATCH_EN: 0
; COMPUTE_PGM_RSRC2:USER_SGPR: 2
; COMPUTE_PGM_RSRC2:TRAP_HANDLER: 0
; COMPUTE_PGM_RSRC2:TGID_X_EN: 1
; COMPUTE_PGM_RSRC2:TGID_Y_EN: 0
; COMPUTE_PGM_RSRC2:TGID_Z_EN: 0
; COMPUTE_PGM_RSRC2:TIDIG_COMP_CNT: 0
; COMPUTE_PGM_RSRC3_GFX90A:ACCUM_OFFSET: 0
; COMPUTE_PGM_RSRC3_GFX90A:TG_SPLIT: 0
	.section	.text._ZN7rocprim17ROCPRIM_400000_NS6detail17trampoline_kernelINS0_14default_configENS1_35radix_sort_onesweep_config_selectorIiiEEZZNS1_29radix_sort_onesweep_iterationIS3_Lb0EN6thrust23THRUST_200600_302600_NS6detail15normal_iteratorINS8_10device_ptrIiEEEESD_SD_SD_jNS0_19identity_decomposerENS1_16block_id_wrapperIjLb1EEEEE10hipError_tT1_PNSt15iterator_traitsISI_E10value_typeET2_T3_PNSJ_ISO_E10value_typeET4_T5_PST_SU_PNS1_23onesweep_lookback_stateEbbT6_jjT7_P12ihipStream_tbENKUlT_T0_SI_SN_E_clISD_PiSD_S15_EEDaS11_S12_SI_SN_EUlS11_E_NS1_11comp_targetILNS1_3genE10ELNS1_11target_archE1201ELNS1_3gpuE5ELNS1_3repE0EEENS1_47radix_sort_onesweep_sort_config_static_selectorELNS0_4arch9wavefront6targetE1EEEvSI_,"axG",@progbits,_ZN7rocprim17ROCPRIM_400000_NS6detail17trampoline_kernelINS0_14default_configENS1_35radix_sort_onesweep_config_selectorIiiEEZZNS1_29radix_sort_onesweep_iterationIS3_Lb0EN6thrust23THRUST_200600_302600_NS6detail15normal_iteratorINS8_10device_ptrIiEEEESD_SD_SD_jNS0_19identity_decomposerENS1_16block_id_wrapperIjLb1EEEEE10hipError_tT1_PNSt15iterator_traitsISI_E10value_typeET2_T3_PNSJ_ISO_E10value_typeET4_T5_PST_SU_PNS1_23onesweep_lookback_stateEbbT6_jjT7_P12ihipStream_tbENKUlT_T0_SI_SN_E_clISD_PiSD_S15_EEDaS11_S12_SI_SN_EUlS11_E_NS1_11comp_targetILNS1_3genE10ELNS1_11target_archE1201ELNS1_3gpuE5ELNS1_3repE0EEENS1_47radix_sort_onesweep_sort_config_static_selectorELNS0_4arch9wavefront6targetE1EEEvSI_,comdat
	.protected	_ZN7rocprim17ROCPRIM_400000_NS6detail17trampoline_kernelINS0_14default_configENS1_35radix_sort_onesweep_config_selectorIiiEEZZNS1_29radix_sort_onesweep_iterationIS3_Lb0EN6thrust23THRUST_200600_302600_NS6detail15normal_iteratorINS8_10device_ptrIiEEEESD_SD_SD_jNS0_19identity_decomposerENS1_16block_id_wrapperIjLb1EEEEE10hipError_tT1_PNSt15iterator_traitsISI_E10value_typeET2_T3_PNSJ_ISO_E10value_typeET4_T5_PST_SU_PNS1_23onesweep_lookback_stateEbbT6_jjT7_P12ihipStream_tbENKUlT_T0_SI_SN_E_clISD_PiSD_S15_EEDaS11_S12_SI_SN_EUlS11_E_NS1_11comp_targetILNS1_3genE10ELNS1_11target_archE1201ELNS1_3gpuE5ELNS1_3repE0EEENS1_47radix_sort_onesweep_sort_config_static_selectorELNS0_4arch9wavefront6targetE1EEEvSI_ ; -- Begin function _ZN7rocprim17ROCPRIM_400000_NS6detail17trampoline_kernelINS0_14default_configENS1_35radix_sort_onesweep_config_selectorIiiEEZZNS1_29radix_sort_onesweep_iterationIS3_Lb0EN6thrust23THRUST_200600_302600_NS6detail15normal_iteratorINS8_10device_ptrIiEEEESD_SD_SD_jNS0_19identity_decomposerENS1_16block_id_wrapperIjLb1EEEEE10hipError_tT1_PNSt15iterator_traitsISI_E10value_typeET2_T3_PNSJ_ISO_E10value_typeET4_T5_PST_SU_PNS1_23onesweep_lookback_stateEbbT6_jjT7_P12ihipStream_tbENKUlT_T0_SI_SN_E_clISD_PiSD_S15_EEDaS11_S12_SI_SN_EUlS11_E_NS1_11comp_targetILNS1_3genE10ELNS1_11target_archE1201ELNS1_3gpuE5ELNS1_3repE0EEENS1_47radix_sort_onesweep_sort_config_static_selectorELNS0_4arch9wavefront6targetE1EEEvSI_
	.globl	_ZN7rocprim17ROCPRIM_400000_NS6detail17trampoline_kernelINS0_14default_configENS1_35radix_sort_onesweep_config_selectorIiiEEZZNS1_29radix_sort_onesweep_iterationIS3_Lb0EN6thrust23THRUST_200600_302600_NS6detail15normal_iteratorINS8_10device_ptrIiEEEESD_SD_SD_jNS0_19identity_decomposerENS1_16block_id_wrapperIjLb1EEEEE10hipError_tT1_PNSt15iterator_traitsISI_E10value_typeET2_T3_PNSJ_ISO_E10value_typeET4_T5_PST_SU_PNS1_23onesweep_lookback_stateEbbT6_jjT7_P12ihipStream_tbENKUlT_T0_SI_SN_E_clISD_PiSD_S15_EEDaS11_S12_SI_SN_EUlS11_E_NS1_11comp_targetILNS1_3genE10ELNS1_11target_archE1201ELNS1_3gpuE5ELNS1_3repE0EEENS1_47radix_sort_onesweep_sort_config_static_selectorELNS0_4arch9wavefront6targetE1EEEvSI_
	.p2align	8
	.type	_ZN7rocprim17ROCPRIM_400000_NS6detail17trampoline_kernelINS0_14default_configENS1_35radix_sort_onesweep_config_selectorIiiEEZZNS1_29radix_sort_onesweep_iterationIS3_Lb0EN6thrust23THRUST_200600_302600_NS6detail15normal_iteratorINS8_10device_ptrIiEEEESD_SD_SD_jNS0_19identity_decomposerENS1_16block_id_wrapperIjLb1EEEEE10hipError_tT1_PNSt15iterator_traitsISI_E10value_typeET2_T3_PNSJ_ISO_E10value_typeET4_T5_PST_SU_PNS1_23onesweep_lookback_stateEbbT6_jjT7_P12ihipStream_tbENKUlT_T0_SI_SN_E_clISD_PiSD_S15_EEDaS11_S12_SI_SN_EUlS11_E_NS1_11comp_targetILNS1_3genE10ELNS1_11target_archE1201ELNS1_3gpuE5ELNS1_3repE0EEENS1_47radix_sort_onesweep_sort_config_static_selectorELNS0_4arch9wavefront6targetE1EEEvSI_,@function
_ZN7rocprim17ROCPRIM_400000_NS6detail17trampoline_kernelINS0_14default_configENS1_35radix_sort_onesweep_config_selectorIiiEEZZNS1_29radix_sort_onesweep_iterationIS3_Lb0EN6thrust23THRUST_200600_302600_NS6detail15normal_iteratorINS8_10device_ptrIiEEEESD_SD_SD_jNS0_19identity_decomposerENS1_16block_id_wrapperIjLb1EEEEE10hipError_tT1_PNSt15iterator_traitsISI_E10value_typeET2_T3_PNSJ_ISO_E10value_typeET4_T5_PST_SU_PNS1_23onesweep_lookback_stateEbbT6_jjT7_P12ihipStream_tbENKUlT_T0_SI_SN_E_clISD_PiSD_S15_EEDaS11_S12_SI_SN_EUlS11_E_NS1_11comp_targetILNS1_3genE10ELNS1_11target_archE1201ELNS1_3gpuE5ELNS1_3repE0EEENS1_47radix_sort_onesweep_sort_config_static_selectorELNS0_4arch9wavefront6targetE1EEEvSI_: ; @_ZN7rocprim17ROCPRIM_400000_NS6detail17trampoline_kernelINS0_14default_configENS1_35radix_sort_onesweep_config_selectorIiiEEZZNS1_29radix_sort_onesweep_iterationIS3_Lb0EN6thrust23THRUST_200600_302600_NS6detail15normal_iteratorINS8_10device_ptrIiEEEESD_SD_SD_jNS0_19identity_decomposerENS1_16block_id_wrapperIjLb1EEEEE10hipError_tT1_PNSt15iterator_traitsISI_E10value_typeET2_T3_PNSJ_ISO_E10value_typeET4_T5_PST_SU_PNS1_23onesweep_lookback_stateEbbT6_jjT7_P12ihipStream_tbENKUlT_T0_SI_SN_E_clISD_PiSD_S15_EEDaS11_S12_SI_SN_EUlS11_E_NS1_11comp_targetILNS1_3genE10ELNS1_11target_archE1201ELNS1_3gpuE5ELNS1_3repE0EEENS1_47radix_sort_onesweep_sort_config_static_selectorELNS0_4arch9wavefront6targetE1EEEvSI_
; %bb.0:
	.section	.rodata,"a",@progbits
	.p2align	6, 0x0
	.amdhsa_kernel _ZN7rocprim17ROCPRIM_400000_NS6detail17trampoline_kernelINS0_14default_configENS1_35radix_sort_onesweep_config_selectorIiiEEZZNS1_29radix_sort_onesweep_iterationIS3_Lb0EN6thrust23THRUST_200600_302600_NS6detail15normal_iteratorINS8_10device_ptrIiEEEESD_SD_SD_jNS0_19identity_decomposerENS1_16block_id_wrapperIjLb1EEEEE10hipError_tT1_PNSt15iterator_traitsISI_E10value_typeET2_T3_PNSJ_ISO_E10value_typeET4_T5_PST_SU_PNS1_23onesweep_lookback_stateEbbT6_jjT7_P12ihipStream_tbENKUlT_T0_SI_SN_E_clISD_PiSD_S15_EEDaS11_S12_SI_SN_EUlS11_E_NS1_11comp_targetILNS1_3genE10ELNS1_11target_archE1201ELNS1_3gpuE5ELNS1_3repE0EEENS1_47radix_sort_onesweep_sort_config_static_selectorELNS0_4arch9wavefront6targetE1EEEvSI_
		.amdhsa_group_segment_fixed_size 0
		.amdhsa_private_segment_fixed_size 0
		.amdhsa_kernarg_size 88
		.amdhsa_user_sgpr_count 2
		.amdhsa_user_sgpr_dispatch_ptr 0
		.amdhsa_user_sgpr_queue_ptr 0
		.amdhsa_user_sgpr_kernarg_segment_ptr 1
		.amdhsa_user_sgpr_dispatch_id 0
		.amdhsa_user_sgpr_kernarg_preload_length 0
		.amdhsa_user_sgpr_kernarg_preload_offset 0
		.amdhsa_user_sgpr_private_segment_size 0
		.amdhsa_uses_dynamic_stack 0
		.amdhsa_enable_private_segment 0
		.amdhsa_system_sgpr_workgroup_id_x 1
		.amdhsa_system_sgpr_workgroup_id_y 0
		.amdhsa_system_sgpr_workgroup_id_z 0
		.amdhsa_system_sgpr_workgroup_info 0
		.amdhsa_system_vgpr_workitem_id 0
		.amdhsa_next_free_vgpr 1
		.amdhsa_next_free_sgpr 0
		.amdhsa_accum_offset 4
		.amdhsa_reserve_vcc 0
		.amdhsa_float_round_mode_32 0
		.amdhsa_float_round_mode_16_64 0
		.amdhsa_float_denorm_mode_32 3
		.amdhsa_float_denorm_mode_16_64 3
		.amdhsa_dx10_clamp 1
		.amdhsa_ieee_mode 1
		.amdhsa_fp16_overflow 0
		.amdhsa_tg_split 0
		.amdhsa_exception_fp_ieee_invalid_op 0
		.amdhsa_exception_fp_denorm_src 0
		.amdhsa_exception_fp_ieee_div_zero 0
		.amdhsa_exception_fp_ieee_overflow 0
		.amdhsa_exception_fp_ieee_underflow 0
		.amdhsa_exception_fp_ieee_inexact 0
		.amdhsa_exception_int_div_zero 0
	.end_amdhsa_kernel
	.section	.text._ZN7rocprim17ROCPRIM_400000_NS6detail17trampoline_kernelINS0_14default_configENS1_35radix_sort_onesweep_config_selectorIiiEEZZNS1_29radix_sort_onesweep_iterationIS3_Lb0EN6thrust23THRUST_200600_302600_NS6detail15normal_iteratorINS8_10device_ptrIiEEEESD_SD_SD_jNS0_19identity_decomposerENS1_16block_id_wrapperIjLb1EEEEE10hipError_tT1_PNSt15iterator_traitsISI_E10value_typeET2_T3_PNSJ_ISO_E10value_typeET4_T5_PST_SU_PNS1_23onesweep_lookback_stateEbbT6_jjT7_P12ihipStream_tbENKUlT_T0_SI_SN_E_clISD_PiSD_S15_EEDaS11_S12_SI_SN_EUlS11_E_NS1_11comp_targetILNS1_3genE10ELNS1_11target_archE1201ELNS1_3gpuE5ELNS1_3repE0EEENS1_47radix_sort_onesweep_sort_config_static_selectorELNS0_4arch9wavefront6targetE1EEEvSI_,"axG",@progbits,_ZN7rocprim17ROCPRIM_400000_NS6detail17trampoline_kernelINS0_14default_configENS1_35radix_sort_onesweep_config_selectorIiiEEZZNS1_29radix_sort_onesweep_iterationIS3_Lb0EN6thrust23THRUST_200600_302600_NS6detail15normal_iteratorINS8_10device_ptrIiEEEESD_SD_SD_jNS0_19identity_decomposerENS1_16block_id_wrapperIjLb1EEEEE10hipError_tT1_PNSt15iterator_traitsISI_E10value_typeET2_T3_PNSJ_ISO_E10value_typeET4_T5_PST_SU_PNS1_23onesweep_lookback_stateEbbT6_jjT7_P12ihipStream_tbENKUlT_T0_SI_SN_E_clISD_PiSD_S15_EEDaS11_S12_SI_SN_EUlS11_E_NS1_11comp_targetILNS1_3genE10ELNS1_11target_archE1201ELNS1_3gpuE5ELNS1_3repE0EEENS1_47radix_sort_onesweep_sort_config_static_selectorELNS0_4arch9wavefront6targetE1EEEvSI_,comdat
.Lfunc_end837:
	.size	_ZN7rocprim17ROCPRIM_400000_NS6detail17trampoline_kernelINS0_14default_configENS1_35radix_sort_onesweep_config_selectorIiiEEZZNS1_29radix_sort_onesweep_iterationIS3_Lb0EN6thrust23THRUST_200600_302600_NS6detail15normal_iteratorINS8_10device_ptrIiEEEESD_SD_SD_jNS0_19identity_decomposerENS1_16block_id_wrapperIjLb1EEEEE10hipError_tT1_PNSt15iterator_traitsISI_E10value_typeET2_T3_PNSJ_ISO_E10value_typeET4_T5_PST_SU_PNS1_23onesweep_lookback_stateEbbT6_jjT7_P12ihipStream_tbENKUlT_T0_SI_SN_E_clISD_PiSD_S15_EEDaS11_S12_SI_SN_EUlS11_E_NS1_11comp_targetILNS1_3genE10ELNS1_11target_archE1201ELNS1_3gpuE5ELNS1_3repE0EEENS1_47radix_sort_onesweep_sort_config_static_selectorELNS0_4arch9wavefront6targetE1EEEvSI_, .Lfunc_end837-_ZN7rocprim17ROCPRIM_400000_NS6detail17trampoline_kernelINS0_14default_configENS1_35radix_sort_onesweep_config_selectorIiiEEZZNS1_29radix_sort_onesweep_iterationIS3_Lb0EN6thrust23THRUST_200600_302600_NS6detail15normal_iteratorINS8_10device_ptrIiEEEESD_SD_SD_jNS0_19identity_decomposerENS1_16block_id_wrapperIjLb1EEEEE10hipError_tT1_PNSt15iterator_traitsISI_E10value_typeET2_T3_PNSJ_ISO_E10value_typeET4_T5_PST_SU_PNS1_23onesweep_lookback_stateEbbT6_jjT7_P12ihipStream_tbENKUlT_T0_SI_SN_E_clISD_PiSD_S15_EEDaS11_S12_SI_SN_EUlS11_E_NS1_11comp_targetILNS1_3genE10ELNS1_11target_archE1201ELNS1_3gpuE5ELNS1_3repE0EEENS1_47radix_sort_onesweep_sort_config_static_selectorELNS0_4arch9wavefront6targetE1EEEvSI_
                                        ; -- End function
	.set _ZN7rocprim17ROCPRIM_400000_NS6detail17trampoline_kernelINS0_14default_configENS1_35radix_sort_onesweep_config_selectorIiiEEZZNS1_29radix_sort_onesweep_iterationIS3_Lb0EN6thrust23THRUST_200600_302600_NS6detail15normal_iteratorINS8_10device_ptrIiEEEESD_SD_SD_jNS0_19identity_decomposerENS1_16block_id_wrapperIjLb1EEEEE10hipError_tT1_PNSt15iterator_traitsISI_E10value_typeET2_T3_PNSJ_ISO_E10value_typeET4_T5_PST_SU_PNS1_23onesweep_lookback_stateEbbT6_jjT7_P12ihipStream_tbENKUlT_T0_SI_SN_E_clISD_PiSD_S15_EEDaS11_S12_SI_SN_EUlS11_E_NS1_11comp_targetILNS1_3genE10ELNS1_11target_archE1201ELNS1_3gpuE5ELNS1_3repE0EEENS1_47radix_sort_onesweep_sort_config_static_selectorELNS0_4arch9wavefront6targetE1EEEvSI_.num_vgpr, 0
	.set _ZN7rocprim17ROCPRIM_400000_NS6detail17trampoline_kernelINS0_14default_configENS1_35radix_sort_onesweep_config_selectorIiiEEZZNS1_29radix_sort_onesweep_iterationIS3_Lb0EN6thrust23THRUST_200600_302600_NS6detail15normal_iteratorINS8_10device_ptrIiEEEESD_SD_SD_jNS0_19identity_decomposerENS1_16block_id_wrapperIjLb1EEEEE10hipError_tT1_PNSt15iterator_traitsISI_E10value_typeET2_T3_PNSJ_ISO_E10value_typeET4_T5_PST_SU_PNS1_23onesweep_lookback_stateEbbT6_jjT7_P12ihipStream_tbENKUlT_T0_SI_SN_E_clISD_PiSD_S15_EEDaS11_S12_SI_SN_EUlS11_E_NS1_11comp_targetILNS1_3genE10ELNS1_11target_archE1201ELNS1_3gpuE5ELNS1_3repE0EEENS1_47radix_sort_onesweep_sort_config_static_selectorELNS0_4arch9wavefront6targetE1EEEvSI_.num_agpr, 0
	.set _ZN7rocprim17ROCPRIM_400000_NS6detail17trampoline_kernelINS0_14default_configENS1_35radix_sort_onesweep_config_selectorIiiEEZZNS1_29radix_sort_onesweep_iterationIS3_Lb0EN6thrust23THRUST_200600_302600_NS6detail15normal_iteratorINS8_10device_ptrIiEEEESD_SD_SD_jNS0_19identity_decomposerENS1_16block_id_wrapperIjLb1EEEEE10hipError_tT1_PNSt15iterator_traitsISI_E10value_typeET2_T3_PNSJ_ISO_E10value_typeET4_T5_PST_SU_PNS1_23onesweep_lookback_stateEbbT6_jjT7_P12ihipStream_tbENKUlT_T0_SI_SN_E_clISD_PiSD_S15_EEDaS11_S12_SI_SN_EUlS11_E_NS1_11comp_targetILNS1_3genE10ELNS1_11target_archE1201ELNS1_3gpuE5ELNS1_3repE0EEENS1_47radix_sort_onesweep_sort_config_static_selectorELNS0_4arch9wavefront6targetE1EEEvSI_.numbered_sgpr, 0
	.set _ZN7rocprim17ROCPRIM_400000_NS6detail17trampoline_kernelINS0_14default_configENS1_35radix_sort_onesweep_config_selectorIiiEEZZNS1_29radix_sort_onesweep_iterationIS3_Lb0EN6thrust23THRUST_200600_302600_NS6detail15normal_iteratorINS8_10device_ptrIiEEEESD_SD_SD_jNS0_19identity_decomposerENS1_16block_id_wrapperIjLb1EEEEE10hipError_tT1_PNSt15iterator_traitsISI_E10value_typeET2_T3_PNSJ_ISO_E10value_typeET4_T5_PST_SU_PNS1_23onesweep_lookback_stateEbbT6_jjT7_P12ihipStream_tbENKUlT_T0_SI_SN_E_clISD_PiSD_S15_EEDaS11_S12_SI_SN_EUlS11_E_NS1_11comp_targetILNS1_3genE10ELNS1_11target_archE1201ELNS1_3gpuE5ELNS1_3repE0EEENS1_47radix_sort_onesweep_sort_config_static_selectorELNS0_4arch9wavefront6targetE1EEEvSI_.num_named_barrier, 0
	.set _ZN7rocprim17ROCPRIM_400000_NS6detail17trampoline_kernelINS0_14default_configENS1_35radix_sort_onesweep_config_selectorIiiEEZZNS1_29radix_sort_onesweep_iterationIS3_Lb0EN6thrust23THRUST_200600_302600_NS6detail15normal_iteratorINS8_10device_ptrIiEEEESD_SD_SD_jNS0_19identity_decomposerENS1_16block_id_wrapperIjLb1EEEEE10hipError_tT1_PNSt15iterator_traitsISI_E10value_typeET2_T3_PNSJ_ISO_E10value_typeET4_T5_PST_SU_PNS1_23onesweep_lookback_stateEbbT6_jjT7_P12ihipStream_tbENKUlT_T0_SI_SN_E_clISD_PiSD_S15_EEDaS11_S12_SI_SN_EUlS11_E_NS1_11comp_targetILNS1_3genE10ELNS1_11target_archE1201ELNS1_3gpuE5ELNS1_3repE0EEENS1_47radix_sort_onesweep_sort_config_static_selectorELNS0_4arch9wavefront6targetE1EEEvSI_.private_seg_size, 0
	.set _ZN7rocprim17ROCPRIM_400000_NS6detail17trampoline_kernelINS0_14default_configENS1_35radix_sort_onesweep_config_selectorIiiEEZZNS1_29radix_sort_onesweep_iterationIS3_Lb0EN6thrust23THRUST_200600_302600_NS6detail15normal_iteratorINS8_10device_ptrIiEEEESD_SD_SD_jNS0_19identity_decomposerENS1_16block_id_wrapperIjLb1EEEEE10hipError_tT1_PNSt15iterator_traitsISI_E10value_typeET2_T3_PNSJ_ISO_E10value_typeET4_T5_PST_SU_PNS1_23onesweep_lookback_stateEbbT6_jjT7_P12ihipStream_tbENKUlT_T0_SI_SN_E_clISD_PiSD_S15_EEDaS11_S12_SI_SN_EUlS11_E_NS1_11comp_targetILNS1_3genE10ELNS1_11target_archE1201ELNS1_3gpuE5ELNS1_3repE0EEENS1_47radix_sort_onesweep_sort_config_static_selectorELNS0_4arch9wavefront6targetE1EEEvSI_.uses_vcc, 0
	.set _ZN7rocprim17ROCPRIM_400000_NS6detail17trampoline_kernelINS0_14default_configENS1_35radix_sort_onesweep_config_selectorIiiEEZZNS1_29radix_sort_onesweep_iterationIS3_Lb0EN6thrust23THRUST_200600_302600_NS6detail15normal_iteratorINS8_10device_ptrIiEEEESD_SD_SD_jNS0_19identity_decomposerENS1_16block_id_wrapperIjLb1EEEEE10hipError_tT1_PNSt15iterator_traitsISI_E10value_typeET2_T3_PNSJ_ISO_E10value_typeET4_T5_PST_SU_PNS1_23onesweep_lookback_stateEbbT6_jjT7_P12ihipStream_tbENKUlT_T0_SI_SN_E_clISD_PiSD_S15_EEDaS11_S12_SI_SN_EUlS11_E_NS1_11comp_targetILNS1_3genE10ELNS1_11target_archE1201ELNS1_3gpuE5ELNS1_3repE0EEENS1_47radix_sort_onesweep_sort_config_static_selectorELNS0_4arch9wavefront6targetE1EEEvSI_.uses_flat_scratch, 0
	.set _ZN7rocprim17ROCPRIM_400000_NS6detail17trampoline_kernelINS0_14default_configENS1_35radix_sort_onesweep_config_selectorIiiEEZZNS1_29radix_sort_onesweep_iterationIS3_Lb0EN6thrust23THRUST_200600_302600_NS6detail15normal_iteratorINS8_10device_ptrIiEEEESD_SD_SD_jNS0_19identity_decomposerENS1_16block_id_wrapperIjLb1EEEEE10hipError_tT1_PNSt15iterator_traitsISI_E10value_typeET2_T3_PNSJ_ISO_E10value_typeET4_T5_PST_SU_PNS1_23onesweep_lookback_stateEbbT6_jjT7_P12ihipStream_tbENKUlT_T0_SI_SN_E_clISD_PiSD_S15_EEDaS11_S12_SI_SN_EUlS11_E_NS1_11comp_targetILNS1_3genE10ELNS1_11target_archE1201ELNS1_3gpuE5ELNS1_3repE0EEENS1_47radix_sort_onesweep_sort_config_static_selectorELNS0_4arch9wavefront6targetE1EEEvSI_.has_dyn_sized_stack, 0
	.set _ZN7rocprim17ROCPRIM_400000_NS6detail17trampoline_kernelINS0_14default_configENS1_35radix_sort_onesweep_config_selectorIiiEEZZNS1_29radix_sort_onesweep_iterationIS3_Lb0EN6thrust23THRUST_200600_302600_NS6detail15normal_iteratorINS8_10device_ptrIiEEEESD_SD_SD_jNS0_19identity_decomposerENS1_16block_id_wrapperIjLb1EEEEE10hipError_tT1_PNSt15iterator_traitsISI_E10value_typeET2_T3_PNSJ_ISO_E10value_typeET4_T5_PST_SU_PNS1_23onesweep_lookback_stateEbbT6_jjT7_P12ihipStream_tbENKUlT_T0_SI_SN_E_clISD_PiSD_S15_EEDaS11_S12_SI_SN_EUlS11_E_NS1_11comp_targetILNS1_3genE10ELNS1_11target_archE1201ELNS1_3gpuE5ELNS1_3repE0EEENS1_47radix_sort_onesweep_sort_config_static_selectorELNS0_4arch9wavefront6targetE1EEEvSI_.has_recursion, 0
	.set _ZN7rocprim17ROCPRIM_400000_NS6detail17trampoline_kernelINS0_14default_configENS1_35radix_sort_onesweep_config_selectorIiiEEZZNS1_29radix_sort_onesweep_iterationIS3_Lb0EN6thrust23THRUST_200600_302600_NS6detail15normal_iteratorINS8_10device_ptrIiEEEESD_SD_SD_jNS0_19identity_decomposerENS1_16block_id_wrapperIjLb1EEEEE10hipError_tT1_PNSt15iterator_traitsISI_E10value_typeET2_T3_PNSJ_ISO_E10value_typeET4_T5_PST_SU_PNS1_23onesweep_lookback_stateEbbT6_jjT7_P12ihipStream_tbENKUlT_T0_SI_SN_E_clISD_PiSD_S15_EEDaS11_S12_SI_SN_EUlS11_E_NS1_11comp_targetILNS1_3genE10ELNS1_11target_archE1201ELNS1_3gpuE5ELNS1_3repE0EEENS1_47radix_sort_onesweep_sort_config_static_selectorELNS0_4arch9wavefront6targetE1EEEvSI_.has_indirect_call, 0
	.section	.AMDGPU.csdata,"",@progbits
; Kernel info:
; codeLenInByte = 0
; TotalNumSgprs: 6
; NumVgprs: 0
; NumAgprs: 0
; TotalNumVgprs: 0
; ScratchSize: 0
; MemoryBound: 0
; FloatMode: 240
; IeeeMode: 1
; LDSByteSize: 0 bytes/workgroup (compile time only)
; SGPRBlocks: 0
; VGPRBlocks: 0
; NumSGPRsForWavesPerEU: 6
; NumVGPRsForWavesPerEU: 1
; AccumOffset: 4
; Occupancy: 8
; WaveLimiterHint : 0
; COMPUTE_PGM_RSRC2:SCRATCH_EN: 0
; COMPUTE_PGM_RSRC2:USER_SGPR: 2
; COMPUTE_PGM_RSRC2:TRAP_HANDLER: 0
; COMPUTE_PGM_RSRC2:TGID_X_EN: 1
; COMPUTE_PGM_RSRC2:TGID_Y_EN: 0
; COMPUTE_PGM_RSRC2:TGID_Z_EN: 0
; COMPUTE_PGM_RSRC2:TIDIG_COMP_CNT: 0
; COMPUTE_PGM_RSRC3_GFX90A:ACCUM_OFFSET: 0
; COMPUTE_PGM_RSRC3_GFX90A:TG_SPLIT: 0
	.section	.text._ZN7rocprim17ROCPRIM_400000_NS6detail17trampoline_kernelINS0_14default_configENS1_35radix_sort_onesweep_config_selectorIiiEEZZNS1_29radix_sort_onesweep_iterationIS3_Lb0EN6thrust23THRUST_200600_302600_NS6detail15normal_iteratorINS8_10device_ptrIiEEEESD_SD_SD_jNS0_19identity_decomposerENS1_16block_id_wrapperIjLb1EEEEE10hipError_tT1_PNSt15iterator_traitsISI_E10value_typeET2_T3_PNSJ_ISO_E10value_typeET4_T5_PST_SU_PNS1_23onesweep_lookback_stateEbbT6_jjT7_P12ihipStream_tbENKUlT_T0_SI_SN_E_clISD_PiSD_S15_EEDaS11_S12_SI_SN_EUlS11_E_NS1_11comp_targetILNS1_3genE9ELNS1_11target_archE1100ELNS1_3gpuE3ELNS1_3repE0EEENS1_47radix_sort_onesweep_sort_config_static_selectorELNS0_4arch9wavefront6targetE1EEEvSI_,"axG",@progbits,_ZN7rocprim17ROCPRIM_400000_NS6detail17trampoline_kernelINS0_14default_configENS1_35radix_sort_onesweep_config_selectorIiiEEZZNS1_29radix_sort_onesweep_iterationIS3_Lb0EN6thrust23THRUST_200600_302600_NS6detail15normal_iteratorINS8_10device_ptrIiEEEESD_SD_SD_jNS0_19identity_decomposerENS1_16block_id_wrapperIjLb1EEEEE10hipError_tT1_PNSt15iterator_traitsISI_E10value_typeET2_T3_PNSJ_ISO_E10value_typeET4_T5_PST_SU_PNS1_23onesweep_lookback_stateEbbT6_jjT7_P12ihipStream_tbENKUlT_T0_SI_SN_E_clISD_PiSD_S15_EEDaS11_S12_SI_SN_EUlS11_E_NS1_11comp_targetILNS1_3genE9ELNS1_11target_archE1100ELNS1_3gpuE3ELNS1_3repE0EEENS1_47radix_sort_onesweep_sort_config_static_selectorELNS0_4arch9wavefront6targetE1EEEvSI_,comdat
	.protected	_ZN7rocprim17ROCPRIM_400000_NS6detail17trampoline_kernelINS0_14default_configENS1_35radix_sort_onesweep_config_selectorIiiEEZZNS1_29radix_sort_onesweep_iterationIS3_Lb0EN6thrust23THRUST_200600_302600_NS6detail15normal_iteratorINS8_10device_ptrIiEEEESD_SD_SD_jNS0_19identity_decomposerENS1_16block_id_wrapperIjLb1EEEEE10hipError_tT1_PNSt15iterator_traitsISI_E10value_typeET2_T3_PNSJ_ISO_E10value_typeET4_T5_PST_SU_PNS1_23onesweep_lookback_stateEbbT6_jjT7_P12ihipStream_tbENKUlT_T0_SI_SN_E_clISD_PiSD_S15_EEDaS11_S12_SI_SN_EUlS11_E_NS1_11comp_targetILNS1_3genE9ELNS1_11target_archE1100ELNS1_3gpuE3ELNS1_3repE0EEENS1_47radix_sort_onesweep_sort_config_static_selectorELNS0_4arch9wavefront6targetE1EEEvSI_ ; -- Begin function _ZN7rocprim17ROCPRIM_400000_NS6detail17trampoline_kernelINS0_14default_configENS1_35radix_sort_onesweep_config_selectorIiiEEZZNS1_29radix_sort_onesweep_iterationIS3_Lb0EN6thrust23THRUST_200600_302600_NS6detail15normal_iteratorINS8_10device_ptrIiEEEESD_SD_SD_jNS0_19identity_decomposerENS1_16block_id_wrapperIjLb1EEEEE10hipError_tT1_PNSt15iterator_traitsISI_E10value_typeET2_T3_PNSJ_ISO_E10value_typeET4_T5_PST_SU_PNS1_23onesweep_lookback_stateEbbT6_jjT7_P12ihipStream_tbENKUlT_T0_SI_SN_E_clISD_PiSD_S15_EEDaS11_S12_SI_SN_EUlS11_E_NS1_11comp_targetILNS1_3genE9ELNS1_11target_archE1100ELNS1_3gpuE3ELNS1_3repE0EEENS1_47radix_sort_onesweep_sort_config_static_selectorELNS0_4arch9wavefront6targetE1EEEvSI_
	.globl	_ZN7rocprim17ROCPRIM_400000_NS6detail17trampoline_kernelINS0_14default_configENS1_35radix_sort_onesweep_config_selectorIiiEEZZNS1_29radix_sort_onesweep_iterationIS3_Lb0EN6thrust23THRUST_200600_302600_NS6detail15normal_iteratorINS8_10device_ptrIiEEEESD_SD_SD_jNS0_19identity_decomposerENS1_16block_id_wrapperIjLb1EEEEE10hipError_tT1_PNSt15iterator_traitsISI_E10value_typeET2_T3_PNSJ_ISO_E10value_typeET4_T5_PST_SU_PNS1_23onesweep_lookback_stateEbbT6_jjT7_P12ihipStream_tbENKUlT_T0_SI_SN_E_clISD_PiSD_S15_EEDaS11_S12_SI_SN_EUlS11_E_NS1_11comp_targetILNS1_3genE9ELNS1_11target_archE1100ELNS1_3gpuE3ELNS1_3repE0EEENS1_47radix_sort_onesweep_sort_config_static_selectorELNS0_4arch9wavefront6targetE1EEEvSI_
	.p2align	8
	.type	_ZN7rocprim17ROCPRIM_400000_NS6detail17trampoline_kernelINS0_14default_configENS1_35radix_sort_onesweep_config_selectorIiiEEZZNS1_29radix_sort_onesweep_iterationIS3_Lb0EN6thrust23THRUST_200600_302600_NS6detail15normal_iteratorINS8_10device_ptrIiEEEESD_SD_SD_jNS0_19identity_decomposerENS1_16block_id_wrapperIjLb1EEEEE10hipError_tT1_PNSt15iterator_traitsISI_E10value_typeET2_T3_PNSJ_ISO_E10value_typeET4_T5_PST_SU_PNS1_23onesweep_lookback_stateEbbT6_jjT7_P12ihipStream_tbENKUlT_T0_SI_SN_E_clISD_PiSD_S15_EEDaS11_S12_SI_SN_EUlS11_E_NS1_11comp_targetILNS1_3genE9ELNS1_11target_archE1100ELNS1_3gpuE3ELNS1_3repE0EEENS1_47radix_sort_onesweep_sort_config_static_selectorELNS0_4arch9wavefront6targetE1EEEvSI_,@function
_ZN7rocprim17ROCPRIM_400000_NS6detail17trampoline_kernelINS0_14default_configENS1_35radix_sort_onesweep_config_selectorIiiEEZZNS1_29radix_sort_onesweep_iterationIS3_Lb0EN6thrust23THRUST_200600_302600_NS6detail15normal_iteratorINS8_10device_ptrIiEEEESD_SD_SD_jNS0_19identity_decomposerENS1_16block_id_wrapperIjLb1EEEEE10hipError_tT1_PNSt15iterator_traitsISI_E10value_typeET2_T3_PNSJ_ISO_E10value_typeET4_T5_PST_SU_PNS1_23onesweep_lookback_stateEbbT6_jjT7_P12ihipStream_tbENKUlT_T0_SI_SN_E_clISD_PiSD_S15_EEDaS11_S12_SI_SN_EUlS11_E_NS1_11comp_targetILNS1_3genE9ELNS1_11target_archE1100ELNS1_3gpuE3ELNS1_3repE0EEENS1_47radix_sort_onesweep_sort_config_static_selectorELNS0_4arch9wavefront6targetE1EEEvSI_: ; @_ZN7rocprim17ROCPRIM_400000_NS6detail17trampoline_kernelINS0_14default_configENS1_35radix_sort_onesweep_config_selectorIiiEEZZNS1_29radix_sort_onesweep_iterationIS3_Lb0EN6thrust23THRUST_200600_302600_NS6detail15normal_iteratorINS8_10device_ptrIiEEEESD_SD_SD_jNS0_19identity_decomposerENS1_16block_id_wrapperIjLb1EEEEE10hipError_tT1_PNSt15iterator_traitsISI_E10value_typeET2_T3_PNSJ_ISO_E10value_typeET4_T5_PST_SU_PNS1_23onesweep_lookback_stateEbbT6_jjT7_P12ihipStream_tbENKUlT_T0_SI_SN_E_clISD_PiSD_S15_EEDaS11_S12_SI_SN_EUlS11_E_NS1_11comp_targetILNS1_3genE9ELNS1_11target_archE1100ELNS1_3gpuE3ELNS1_3repE0EEENS1_47radix_sort_onesweep_sort_config_static_selectorELNS0_4arch9wavefront6targetE1EEEvSI_
; %bb.0:
	.section	.rodata,"a",@progbits
	.p2align	6, 0x0
	.amdhsa_kernel _ZN7rocprim17ROCPRIM_400000_NS6detail17trampoline_kernelINS0_14default_configENS1_35radix_sort_onesweep_config_selectorIiiEEZZNS1_29radix_sort_onesweep_iterationIS3_Lb0EN6thrust23THRUST_200600_302600_NS6detail15normal_iteratorINS8_10device_ptrIiEEEESD_SD_SD_jNS0_19identity_decomposerENS1_16block_id_wrapperIjLb1EEEEE10hipError_tT1_PNSt15iterator_traitsISI_E10value_typeET2_T3_PNSJ_ISO_E10value_typeET4_T5_PST_SU_PNS1_23onesweep_lookback_stateEbbT6_jjT7_P12ihipStream_tbENKUlT_T0_SI_SN_E_clISD_PiSD_S15_EEDaS11_S12_SI_SN_EUlS11_E_NS1_11comp_targetILNS1_3genE9ELNS1_11target_archE1100ELNS1_3gpuE3ELNS1_3repE0EEENS1_47radix_sort_onesweep_sort_config_static_selectorELNS0_4arch9wavefront6targetE1EEEvSI_
		.amdhsa_group_segment_fixed_size 0
		.amdhsa_private_segment_fixed_size 0
		.amdhsa_kernarg_size 88
		.amdhsa_user_sgpr_count 2
		.amdhsa_user_sgpr_dispatch_ptr 0
		.amdhsa_user_sgpr_queue_ptr 0
		.amdhsa_user_sgpr_kernarg_segment_ptr 1
		.amdhsa_user_sgpr_dispatch_id 0
		.amdhsa_user_sgpr_kernarg_preload_length 0
		.amdhsa_user_sgpr_kernarg_preload_offset 0
		.amdhsa_user_sgpr_private_segment_size 0
		.amdhsa_uses_dynamic_stack 0
		.amdhsa_enable_private_segment 0
		.amdhsa_system_sgpr_workgroup_id_x 1
		.amdhsa_system_sgpr_workgroup_id_y 0
		.amdhsa_system_sgpr_workgroup_id_z 0
		.amdhsa_system_sgpr_workgroup_info 0
		.amdhsa_system_vgpr_workitem_id 0
		.amdhsa_next_free_vgpr 1
		.amdhsa_next_free_sgpr 0
		.amdhsa_accum_offset 4
		.amdhsa_reserve_vcc 0
		.amdhsa_float_round_mode_32 0
		.amdhsa_float_round_mode_16_64 0
		.amdhsa_float_denorm_mode_32 3
		.amdhsa_float_denorm_mode_16_64 3
		.amdhsa_dx10_clamp 1
		.amdhsa_ieee_mode 1
		.amdhsa_fp16_overflow 0
		.amdhsa_tg_split 0
		.amdhsa_exception_fp_ieee_invalid_op 0
		.amdhsa_exception_fp_denorm_src 0
		.amdhsa_exception_fp_ieee_div_zero 0
		.amdhsa_exception_fp_ieee_overflow 0
		.amdhsa_exception_fp_ieee_underflow 0
		.amdhsa_exception_fp_ieee_inexact 0
		.amdhsa_exception_int_div_zero 0
	.end_amdhsa_kernel
	.section	.text._ZN7rocprim17ROCPRIM_400000_NS6detail17trampoline_kernelINS0_14default_configENS1_35radix_sort_onesweep_config_selectorIiiEEZZNS1_29radix_sort_onesweep_iterationIS3_Lb0EN6thrust23THRUST_200600_302600_NS6detail15normal_iteratorINS8_10device_ptrIiEEEESD_SD_SD_jNS0_19identity_decomposerENS1_16block_id_wrapperIjLb1EEEEE10hipError_tT1_PNSt15iterator_traitsISI_E10value_typeET2_T3_PNSJ_ISO_E10value_typeET4_T5_PST_SU_PNS1_23onesweep_lookback_stateEbbT6_jjT7_P12ihipStream_tbENKUlT_T0_SI_SN_E_clISD_PiSD_S15_EEDaS11_S12_SI_SN_EUlS11_E_NS1_11comp_targetILNS1_3genE9ELNS1_11target_archE1100ELNS1_3gpuE3ELNS1_3repE0EEENS1_47radix_sort_onesweep_sort_config_static_selectorELNS0_4arch9wavefront6targetE1EEEvSI_,"axG",@progbits,_ZN7rocprim17ROCPRIM_400000_NS6detail17trampoline_kernelINS0_14default_configENS1_35radix_sort_onesweep_config_selectorIiiEEZZNS1_29radix_sort_onesweep_iterationIS3_Lb0EN6thrust23THRUST_200600_302600_NS6detail15normal_iteratorINS8_10device_ptrIiEEEESD_SD_SD_jNS0_19identity_decomposerENS1_16block_id_wrapperIjLb1EEEEE10hipError_tT1_PNSt15iterator_traitsISI_E10value_typeET2_T3_PNSJ_ISO_E10value_typeET4_T5_PST_SU_PNS1_23onesweep_lookback_stateEbbT6_jjT7_P12ihipStream_tbENKUlT_T0_SI_SN_E_clISD_PiSD_S15_EEDaS11_S12_SI_SN_EUlS11_E_NS1_11comp_targetILNS1_3genE9ELNS1_11target_archE1100ELNS1_3gpuE3ELNS1_3repE0EEENS1_47radix_sort_onesweep_sort_config_static_selectorELNS0_4arch9wavefront6targetE1EEEvSI_,comdat
.Lfunc_end838:
	.size	_ZN7rocprim17ROCPRIM_400000_NS6detail17trampoline_kernelINS0_14default_configENS1_35radix_sort_onesweep_config_selectorIiiEEZZNS1_29radix_sort_onesweep_iterationIS3_Lb0EN6thrust23THRUST_200600_302600_NS6detail15normal_iteratorINS8_10device_ptrIiEEEESD_SD_SD_jNS0_19identity_decomposerENS1_16block_id_wrapperIjLb1EEEEE10hipError_tT1_PNSt15iterator_traitsISI_E10value_typeET2_T3_PNSJ_ISO_E10value_typeET4_T5_PST_SU_PNS1_23onesweep_lookback_stateEbbT6_jjT7_P12ihipStream_tbENKUlT_T0_SI_SN_E_clISD_PiSD_S15_EEDaS11_S12_SI_SN_EUlS11_E_NS1_11comp_targetILNS1_3genE9ELNS1_11target_archE1100ELNS1_3gpuE3ELNS1_3repE0EEENS1_47radix_sort_onesweep_sort_config_static_selectorELNS0_4arch9wavefront6targetE1EEEvSI_, .Lfunc_end838-_ZN7rocprim17ROCPRIM_400000_NS6detail17trampoline_kernelINS0_14default_configENS1_35radix_sort_onesweep_config_selectorIiiEEZZNS1_29radix_sort_onesweep_iterationIS3_Lb0EN6thrust23THRUST_200600_302600_NS6detail15normal_iteratorINS8_10device_ptrIiEEEESD_SD_SD_jNS0_19identity_decomposerENS1_16block_id_wrapperIjLb1EEEEE10hipError_tT1_PNSt15iterator_traitsISI_E10value_typeET2_T3_PNSJ_ISO_E10value_typeET4_T5_PST_SU_PNS1_23onesweep_lookback_stateEbbT6_jjT7_P12ihipStream_tbENKUlT_T0_SI_SN_E_clISD_PiSD_S15_EEDaS11_S12_SI_SN_EUlS11_E_NS1_11comp_targetILNS1_3genE9ELNS1_11target_archE1100ELNS1_3gpuE3ELNS1_3repE0EEENS1_47radix_sort_onesweep_sort_config_static_selectorELNS0_4arch9wavefront6targetE1EEEvSI_
                                        ; -- End function
	.set _ZN7rocprim17ROCPRIM_400000_NS6detail17trampoline_kernelINS0_14default_configENS1_35radix_sort_onesweep_config_selectorIiiEEZZNS1_29radix_sort_onesweep_iterationIS3_Lb0EN6thrust23THRUST_200600_302600_NS6detail15normal_iteratorINS8_10device_ptrIiEEEESD_SD_SD_jNS0_19identity_decomposerENS1_16block_id_wrapperIjLb1EEEEE10hipError_tT1_PNSt15iterator_traitsISI_E10value_typeET2_T3_PNSJ_ISO_E10value_typeET4_T5_PST_SU_PNS1_23onesweep_lookback_stateEbbT6_jjT7_P12ihipStream_tbENKUlT_T0_SI_SN_E_clISD_PiSD_S15_EEDaS11_S12_SI_SN_EUlS11_E_NS1_11comp_targetILNS1_3genE9ELNS1_11target_archE1100ELNS1_3gpuE3ELNS1_3repE0EEENS1_47radix_sort_onesweep_sort_config_static_selectorELNS0_4arch9wavefront6targetE1EEEvSI_.num_vgpr, 0
	.set _ZN7rocprim17ROCPRIM_400000_NS6detail17trampoline_kernelINS0_14default_configENS1_35radix_sort_onesweep_config_selectorIiiEEZZNS1_29radix_sort_onesweep_iterationIS3_Lb0EN6thrust23THRUST_200600_302600_NS6detail15normal_iteratorINS8_10device_ptrIiEEEESD_SD_SD_jNS0_19identity_decomposerENS1_16block_id_wrapperIjLb1EEEEE10hipError_tT1_PNSt15iterator_traitsISI_E10value_typeET2_T3_PNSJ_ISO_E10value_typeET4_T5_PST_SU_PNS1_23onesweep_lookback_stateEbbT6_jjT7_P12ihipStream_tbENKUlT_T0_SI_SN_E_clISD_PiSD_S15_EEDaS11_S12_SI_SN_EUlS11_E_NS1_11comp_targetILNS1_3genE9ELNS1_11target_archE1100ELNS1_3gpuE3ELNS1_3repE0EEENS1_47radix_sort_onesweep_sort_config_static_selectorELNS0_4arch9wavefront6targetE1EEEvSI_.num_agpr, 0
	.set _ZN7rocprim17ROCPRIM_400000_NS6detail17trampoline_kernelINS0_14default_configENS1_35radix_sort_onesweep_config_selectorIiiEEZZNS1_29radix_sort_onesweep_iterationIS3_Lb0EN6thrust23THRUST_200600_302600_NS6detail15normal_iteratorINS8_10device_ptrIiEEEESD_SD_SD_jNS0_19identity_decomposerENS1_16block_id_wrapperIjLb1EEEEE10hipError_tT1_PNSt15iterator_traitsISI_E10value_typeET2_T3_PNSJ_ISO_E10value_typeET4_T5_PST_SU_PNS1_23onesweep_lookback_stateEbbT6_jjT7_P12ihipStream_tbENKUlT_T0_SI_SN_E_clISD_PiSD_S15_EEDaS11_S12_SI_SN_EUlS11_E_NS1_11comp_targetILNS1_3genE9ELNS1_11target_archE1100ELNS1_3gpuE3ELNS1_3repE0EEENS1_47radix_sort_onesweep_sort_config_static_selectorELNS0_4arch9wavefront6targetE1EEEvSI_.numbered_sgpr, 0
	.set _ZN7rocprim17ROCPRIM_400000_NS6detail17trampoline_kernelINS0_14default_configENS1_35radix_sort_onesweep_config_selectorIiiEEZZNS1_29radix_sort_onesweep_iterationIS3_Lb0EN6thrust23THRUST_200600_302600_NS6detail15normal_iteratorINS8_10device_ptrIiEEEESD_SD_SD_jNS0_19identity_decomposerENS1_16block_id_wrapperIjLb1EEEEE10hipError_tT1_PNSt15iterator_traitsISI_E10value_typeET2_T3_PNSJ_ISO_E10value_typeET4_T5_PST_SU_PNS1_23onesweep_lookback_stateEbbT6_jjT7_P12ihipStream_tbENKUlT_T0_SI_SN_E_clISD_PiSD_S15_EEDaS11_S12_SI_SN_EUlS11_E_NS1_11comp_targetILNS1_3genE9ELNS1_11target_archE1100ELNS1_3gpuE3ELNS1_3repE0EEENS1_47radix_sort_onesweep_sort_config_static_selectorELNS0_4arch9wavefront6targetE1EEEvSI_.num_named_barrier, 0
	.set _ZN7rocprim17ROCPRIM_400000_NS6detail17trampoline_kernelINS0_14default_configENS1_35radix_sort_onesweep_config_selectorIiiEEZZNS1_29radix_sort_onesweep_iterationIS3_Lb0EN6thrust23THRUST_200600_302600_NS6detail15normal_iteratorINS8_10device_ptrIiEEEESD_SD_SD_jNS0_19identity_decomposerENS1_16block_id_wrapperIjLb1EEEEE10hipError_tT1_PNSt15iterator_traitsISI_E10value_typeET2_T3_PNSJ_ISO_E10value_typeET4_T5_PST_SU_PNS1_23onesweep_lookback_stateEbbT6_jjT7_P12ihipStream_tbENKUlT_T0_SI_SN_E_clISD_PiSD_S15_EEDaS11_S12_SI_SN_EUlS11_E_NS1_11comp_targetILNS1_3genE9ELNS1_11target_archE1100ELNS1_3gpuE3ELNS1_3repE0EEENS1_47radix_sort_onesweep_sort_config_static_selectorELNS0_4arch9wavefront6targetE1EEEvSI_.private_seg_size, 0
	.set _ZN7rocprim17ROCPRIM_400000_NS6detail17trampoline_kernelINS0_14default_configENS1_35radix_sort_onesweep_config_selectorIiiEEZZNS1_29radix_sort_onesweep_iterationIS3_Lb0EN6thrust23THRUST_200600_302600_NS6detail15normal_iteratorINS8_10device_ptrIiEEEESD_SD_SD_jNS0_19identity_decomposerENS1_16block_id_wrapperIjLb1EEEEE10hipError_tT1_PNSt15iterator_traitsISI_E10value_typeET2_T3_PNSJ_ISO_E10value_typeET4_T5_PST_SU_PNS1_23onesweep_lookback_stateEbbT6_jjT7_P12ihipStream_tbENKUlT_T0_SI_SN_E_clISD_PiSD_S15_EEDaS11_S12_SI_SN_EUlS11_E_NS1_11comp_targetILNS1_3genE9ELNS1_11target_archE1100ELNS1_3gpuE3ELNS1_3repE0EEENS1_47radix_sort_onesweep_sort_config_static_selectorELNS0_4arch9wavefront6targetE1EEEvSI_.uses_vcc, 0
	.set _ZN7rocprim17ROCPRIM_400000_NS6detail17trampoline_kernelINS0_14default_configENS1_35radix_sort_onesweep_config_selectorIiiEEZZNS1_29radix_sort_onesweep_iterationIS3_Lb0EN6thrust23THRUST_200600_302600_NS6detail15normal_iteratorINS8_10device_ptrIiEEEESD_SD_SD_jNS0_19identity_decomposerENS1_16block_id_wrapperIjLb1EEEEE10hipError_tT1_PNSt15iterator_traitsISI_E10value_typeET2_T3_PNSJ_ISO_E10value_typeET4_T5_PST_SU_PNS1_23onesweep_lookback_stateEbbT6_jjT7_P12ihipStream_tbENKUlT_T0_SI_SN_E_clISD_PiSD_S15_EEDaS11_S12_SI_SN_EUlS11_E_NS1_11comp_targetILNS1_3genE9ELNS1_11target_archE1100ELNS1_3gpuE3ELNS1_3repE0EEENS1_47radix_sort_onesweep_sort_config_static_selectorELNS0_4arch9wavefront6targetE1EEEvSI_.uses_flat_scratch, 0
	.set _ZN7rocprim17ROCPRIM_400000_NS6detail17trampoline_kernelINS0_14default_configENS1_35radix_sort_onesweep_config_selectorIiiEEZZNS1_29radix_sort_onesweep_iterationIS3_Lb0EN6thrust23THRUST_200600_302600_NS6detail15normal_iteratorINS8_10device_ptrIiEEEESD_SD_SD_jNS0_19identity_decomposerENS1_16block_id_wrapperIjLb1EEEEE10hipError_tT1_PNSt15iterator_traitsISI_E10value_typeET2_T3_PNSJ_ISO_E10value_typeET4_T5_PST_SU_PNS1_23onesweep_lookback_stateEbbT6_jjT7_P12ihipStream_tbENKUlT_T0_SI_SN_E_clISD_PiSD_S15_EEDaS11_S12_SI_SN_EUlS11_E_NS1_11comp_targetILNS1_3genE9ELNS1_11target_archE1100ELNS1_3gpuE3ELNS1_3repE0EEENS1_47radix_sort_onesweep_sort_config_static_selectorELNS0_4arch9wavefront6targetE1EEEvSI_.has_dyn_sized_stack, 0
	.set _ZN7rocprim17ROCPRIM_400000_NS6detail17trampoline_kernelINS0_14default_configENS1_35radix_sort_onesweep_config_selectorIiiEEZZNS1_29radix_sort_onesweep_iterationIS3_Lb0EN6thrust23THRUST_200600_302600_NS6detail15normal_iteratorINS8_10device_ptrIiEEEESD_SD_SD_jNS0_19identity_decomposerENS1_16block_id_wrapperIjLb1EEEEE10hipError_tT1_PNSt15iterator_traitsISI_E10value_typeET2_T3_PNSJ_ISO_E10value_typeET4_T5_PST_SU_PNS1_23onesweep_lookback_stateEbbT6_jjT7_P12ihipStream_tbENKUlT_T0_SI_SN_E_clISD_PiSD_S15_EEDaS11_S12_SI_SN_EUlS11_E_NS1_11comp_targetILNS1_3genE9ELNS1_11target_archE1100ELNS1_3gpuE3ELNS1_3repE0EEENS1_47radix_sort_onesweep_sort_config_static_selectorELNS0_4arch9wavefront6targetE1EEEvSI_.has_recursion, 0
	.set _ZN7rocprim17ROCPRIM_400000_NS6detail17trampoline_kernelINS0_14default_configENS1_35radix_sort_onesweep_config_selectorIiiEEZZNS1_29radix_sort_onesweep_iterationIS3_Lb0EN6thrust23THRUST_200600_302600_NS6detail15normal_iteratorINS8_10device_ptrIiEEEESD_SD_SD_jNS0_19identity_decomposerENS1_16block_id_wrapperIjLb1EEEEE10hipError_tT1_PNSt15iterator_traitsISI_E10value_typeET2_T3_PNSJ_ISO_E10value_typeET4_T5_PST_SU_PNS1_23onesweep_lookback_stateEbbT6_jjT7_P12ihipStream_tbENKUlT_T0_SI_SN_E_clISD_PiSD_S15_EEDaS11_S12_SI_SN_EUlS11_E_NS1_11comp_targetILNS1_3genE9ELNS1_11target_archE1100ELNS1_3gpuE3ELNS1_3repE0EEENS1_47radix_sort_onesweep_sort_config_static_selectorELNS0_4arch9wavefront6targetE1EEEvSI_.has_indirect_call, 0
	.section	.AMDGPU.csdata,"",@progbits
; Kernel info:
; codeLenInByte = 0
; TotalNumSgprs: 6
; NumVgprs: 0
; NumAgprs: 0
; TotalNumVgprs: 0
; ScratchSize: 0
; MemoryBound: 0
; FloatMode: 240
; IeeeMode: 1
; LDSByteSize: 0 bytes/workgroup (compile time only)
; SGPRBlocks: 0
; VGPRBlocks: 0
; NumSGPRsForWavesPerEU: 6
; NumVGPRsForWavesPerEU: 1
; AccumOffset: 4
; Occupancy: 8
; WaveLimiterHint : 0
; COMPUTE_PGM_RSRC2:SCRATCH_EN: 0
; COMPUTE_PGM_RSRC2:USER_SGPR: 2
; COMPUTE_PGM_RSRC2:TRAP_HANDLER: 0
; COMPUTE_PGM_RSRC2:TGID_X_EN: 1
; COMPUTE_PGM_RSRC2:TGID_Y_EN: 0
; COMPUTE_PGM_RSRC2:TGID_Z_EN: 0
; COMPUTE_PGM_RSRC2:TIDIG_COMP_CNT: 0
; COMPUTE_PGM_RSRC3_GFX90A:ACCUM_OFFSET: 0
; COMPUTE_PGM_RSRC3_GFX90A:TG_SPLIT: 0
	.section	.text._ZN7rocprim17ROCPRIM_400000_NS6detail17trampoline_kernelINS0_14default_configENS1_35radix_sort_onesweep_config_selectorIiiEEZZNS1_29radix_sort_onesweep_iterationIS3_Lb0EN6thrust23THRUST_200600_302600_NS6detail15normal_iteratorINS8_10device_ptrIiEEEESD_SD_SD_jNS0_19identity_decomposerENS1_16block_id_wrapperIjLb1EEEEE10hipError_tT1_PNSt15iterator_traitsISI_E10value_typeET2_T3_PNSJ_ISO_E10value_typeET4_T5_PST_SU_PNS1_23onesweep_lookback_stateEbbT6_jjT7_P12ihipStream_tbENKUlT_T0_SI_SN_E_clISD_PiSD_S15_EEDaS11_S12_SI_SN_EUlS11_E_NS1_11comp_targetILNS1_3genE8ELNS1_11target_archE1030ELNS1_3gpuE2ELNS1_3repE0EEENS1_47radix_sort_onesweep_sort_config_static_selectorELNS0_4arch9wavefront6targetE1EEEvSI_,"axG",@progbits,_ZN7rocprim17ROCPRIM_400000_NS6detail17trampoline_kernelINS0_14default_configENS1_35radix_sort_onesweep_config_selectorIiiEEZZNS1_29radix_sort_onesweep_iterationIS3_Lb0EN6thrust23THRUST_200600_302600_NS6detail15normal_iteratorINS8_10device_ptrIiEEEESD_SD_SD_jNS0_19identity_decomposerENS1_16block_id_wrapperIjLb1EEEEE10hipError_tT1_PNSt15iterator_traitsISI_E10value_typeET2_T3_PNSJ_ISO_E10value_typeET4_T5_PST_SU_PNS1_23onesweep_lookback_stateEbbT6_jjT7_P12ihipStream_tbENKUlT_T0_SI_SN_E_clISD_PiSD_S15_EEDaS11_S12_SI_SN_EUlS11_E_NS1_11comp_targetILNS1_3genE8ELNS1_11target_archE1030ELNS1_3gpuE2ELNS1_3repE0EEENS1_47radix_sort_onesweep_sort_config_static_selectorELNS0_4arch9wavefront6targetE1EEEvSI_,comdat
	.protected	_ZN7rocprim17ROCPRIM_400000_NS6detail17trampoline_kernelINS0_14default_configENS1_35radix_sort_onesweep_config_selectorIiiEEZZNS1_29radix_sort_onesweep_iterationIS3_Lb0EN6thrust23THRUST_200600_302600_NS6detail15normal_iteratorINS8_10device_ptrIiEEEESD_SD_SD_jNS0_19identity_decomposerENS1_16block_id_wrapperIjLb1EEEEE10hipError_tT1_PNSt15iterator_traitsISI_E10value_typeET2_T3_PNSJ_ISO_E10value_typeET4_T5_PST_SU_PNS1_23onesweep_lookback_stateEbbT6_jjT7_P12ihipStream_tbENKUlT_T0_SI_SN_E_clISD_PiSD_S15_EEDaS11_S12_SI_SN_EUlS11_E_NS1_11comp_targetILNS1_3genE8ELNS1_11target_archE1030ELNS1_3gpuE2ELNS1_3repE0EEENS1_47radix_sort_onesweep_sort_config_static_selectorELNS0_4arch9wavefront6targetE1EEEvSI_ ; -- Begin function _ZN7rocprim17ROCPRIM_400000_NS6detail17trampoline_kernelINS0_14default_configENS1_35radix_sort_onesweep_config_selectorIiiEEZZNS1_29radix_sort_onesweep_iterationIS3_Lb0EN6thrust23THRUST_200600_302600_NS6detail15normal_iteratorINS8_10device_ptrIiEEEESD_SD_SD_jNS0_19identity_decomposerENS1_16block_id_wrapperIjLb1EEEEE10hipError_tT1_PNSt15iterator_traitsISI_E10value_typeET2_T3_PNSJ_ISO_E10value_typeET4_T5_PST_SU_PNS1_23onesweep_lookback_stateEbbT6_jjT7_P12ihipStream_tbENKUlT_T0_SI_SN_E_clISD_PiSD_S15_EEDaS11_S12_SI_SN_EUlS11_E_NS1_11comp_targetILNS1_3genE8ELNS1_11target_archE1030ELNS1_3gpuE2ELNS1_3repE0EEENS1_47radix_sort_onesweep_sort_config_static_selectorELNS0_4arch9wavefront6targetE1EEEvSI_
	.globl	_ZN7rocprim17ROCPRIM_400000_NS6detail17trampoline_kernelINS0_14default_configENS1_35radix_sort_onesweep_config_selectorIiiEEZZNS1_29radix_sort_onesweep_iterationIS3_Lb0EN6thrust23THRUST_200600_302600_NS6detail15normal_iteratorINS8_10device_ptrIiEEEESD_SD_SD_jNS0_19identity_decomposerENS1_16block_id_wrapperIjLb1EEEEE10hipError_tT1_PNSt15iterator_traitsISI_E10value_typeET2_T3_PNSJ_ISO_E10value_typeET4_T5_PST_SU_PNS1_23onesweep_lookback_stateEbbT6_jjT7_P12ihipStream_tbENKUlT_T0_SI_SN_E_clISD_PiSD_S15_EEDaS11_S12_SI_SN_EUlS11_E_NS1_11comp_targetILNS1_3genE8ELNS1_11target_archE1030ELNS1_3gpuE2ELNS1_3repE0EEENS1_47radix_sort_onesweep_sort_config_static_selectorELNS0_4arch9wavefront6targetE1EEEvSI_
	.p2align	8
	.type	_ZN7rocprim17ROCPRIM_400000_NS6detail17trampoline_kernelINS0_14default_configENS1_35radix_sort_onesweep_config_selectorIiiEEZZNS1_29radix_sort_onesweep_iterationIS3_Lb0EN6thrust23THRUST_200600_302600_NS6detail15normal_iteratorINS8_10device_ptrIiEEEESD_SD_SD_jNS0_19identity_decomposerENS1_16block_id_wrapperIjLb1EEEEE10hipError_tT1_PNSt15iterator_traitsISI_E10value_typeET2_T3_PNSJ_ISO_E10value_typeET4_T5_PST_SU_PNS1_23onesweep_lookback_stateEbbT6_jjT7_P12ihipStream_tbENKUlT_T0_SI_SN_E_clISD_PiSD_S15_EEDaS11_S12_SI_SN_EUlS11_E_NS1_11comp_targetILNS1_3genE8ELNS1_11target_archE1030ELNS1_3gpuE2ELNS1_3repE0EEENS1_47radix_sort_onesweep_sort_config_static_selectorELNS0_4arch9wavefront6targetE1EEEvSI_,@function
_ZN7rocprim17ROCPRIM_400000_NS6detail17trampoline_kernelINS0_14default_configENS1_35radix_sort_onesweep_config_selectorIiiEEZZNS1_29radix_sort_onesweep_iterationIS3_Lb0EN6thrust23THRUST_200600_302600_NS6detail15normal_iteratorINS8_10device_ptrIiEEEESD_SD_SD_jNS0_19identity_decomposerENS1_16block_id_wrapperIjLb1EEEEE10hipError_tT1_PNSt15iterator_traitsISI_E10value_typeET2_T3_PNSJ_ISO_E10value_typeET4_T5_PST_SU_PNS1_23onesweep_lookback_stateEbbT6_jjT7_P12ihipStream_tbENKUlT_T0_SI_SN_E_clISD_PiSD_S15_EEDaS11_S12_SI_SN_EUlS11_E_NS1_11comp_targetILNS1_3genE8ELNS1_11target_archE1030ELNS1_3gpuE2ELNS1_3repE0EEENS1_47radix_sort_onesweep_sort_config_static_selectorELNS0_4arch9wavefront6targetE1EEEvSI_: ; @_ZN7rocprim17ROCPRIM_400000_NS6detail17trampoline_kernelINS0_14default_configENS1_35radix_sort_onesweep_config_selectorIiiEEZZNS1_29radix_sort_onesweep_iterationIS3_Lb0EN6thrust23THRUST_200600_302600_NS6detail15normal_iteratorINS8_10device_ptrIiEEEESD_SD_SD_jNS0_19identity_decomposerENS1_16block_id_wrapperIjLb1EEEEE10hipError_tT1_PNSt15iterator_traitsISI_E10value_typeET2_T3_PNSJ_ISO_E10value_typeET4_T5_PST_SU_PNS1_23onesweep_lookback_stateEbbT6_jjT7_P12ihipStream_tbENKUlT_T0_SI_SN_E_clISD_PiSD_S15_EEDaS11_S12_SI_SN_EUlS11_E_NS1_11comp_targetILNS1_3genE8ELNS1_11target_archE1030ELNS1_3gpuE2ELNS1_3repE0EEENS1_47radix_sort_onesweep_sort_config_static_selectorELNS0_4arch9wavefront6targetE1EEEvSI_
; %bb.0:
	.section	.rodata,"a",@progbits
	.p2align	6, 0x0
	.amdhsa_kernel _ZN7rocprim17ROCPRIM_400000_NS6detail17trampoline_kernelINS0_14default_configENS1_35radix_sort_onesweep_config_selectorIiiEEZZNS1_29radix_sort_onesweep_iterationIS3_Lb0EN6thrust23THRUST_200600_302600_NS6detail15normal_iteratorINS8_10device_ptrIiEEEESD_SD_SD_jNS0_19identity_decomposerENS1_16block_id_wrapperIjLb1EEEEE10hipError_tT1_PNSt15iterator_traitsISI_E10value_typeET2_T3_PNSJ_ISO_E10value_typeET4_T5_PST_SU_PNS1_23onesweep_lookback_stateEbbT6_jjT7_P12ihipStream_tbENKUlT_T0_SI_SN_E_clISD_PiSD_S15_EEDaS11_S12_SI_SN_EUlS11_E_NS1_11comp_targetILNS1_3genE8ELNS1_11target_archE1030ELNS1_3gpuE2ELNS1_3repE0EEENS1_47radix_sort_onesweep_sort_config_static_selectorELNS0_4arch9wavefront6targetE1EEEvSI_
		.amdhsa_group_segment_fixed_size 0
		.amdhsa_private_segment_fixed_size 0
		.amdhsa_kernarg_size 88
		.amdhsa_user_sgpr_count 2
		.amdhsa_user_sgpr_dispatch_ptr 0
		.amdhsa_user_sgpr_queue_ptr 0
		.amdhsa_user_sgpr_kernarg_segment_ptr 1
		.amdhsa_user_sgpr_dispatch_id 0
		.amdhsa_user_sgpr_kernarg_preload_length 0
		.amdhsa_user_sgpr_kernarg_preload_offset 0
		.amdhsa_user_sgpr_private_segment_size 0
		.amdhsa_uses_dynamic_stack 0
		.amdhsa_enable_private_segment 0
		.amdhsa_system_sgpr_workgroup_id_x 1
		.amdhsa_system_sgpr_workgroup_id_y 0
		.amdhsa_system_sgpr_workgroup_id_z 0
		.amdhsa_system_sgpr_workgroup_info 0
		.amdhsa_system_vgpr_workitem_id 0
		.amdhsa_next_free_vgpr 1
		.amdhsa_next_free_sgpr 0
		.amdhsa_accum_offset 4
		.amdhsa_reserve_vcc 0
		.amdhsa_float_round_mode_32 0
		.amdhsa_float_round_mode_16_64 0
		.amdhsa_float_denorm_mode_32 3
		.amdhsa_float_denorm_mode_16_64 3
		.amdhsa_dx10_clamp 1
		.amdhsa_ieee_mode 1
		.amdhsa_fp16_overflow 0
		.amdhsa_tg_split 0
		.amdhsa_exception_fp_ieee_invalid_op 0
		.amdhsa_exception_fp_denorm_src 0
		.amdhsa_exception_fp_ieee_div_zero 0
		.amdhsa_exception_fp_ieee_overflow 0
		.amdhsa_exception_fp_ieee_underflow 0
		.amdhsa_exception_fp_ieee_inexact 0
		.amdhsa_exception_int_div_zero 0
	.end_amdhsa_kernel
	.section	.text._ZN7rocprim17ROCPRIM_400000_NS6detail17trampoline_kernelINS0_14default_configENS1_35radix_sort_onesweep_config_selectorIiiEEZZNS1_29radix_sort_onesweep_iterationIS3_Lb0EN6thrust23THRUST_200600_302600_NS6detail15normal_iteratorINS8_10device_ptrIiEEEESD_SD_SD_jNS0_19identity_decomposerENS1_16block_id_wrapperIjLb1EEEEE10hipError_tT1_PNSt15iterator_traitsISI_E10value_typeET2_T3_PNSJ_ISO_E10value_typeET4_T5_PST_SU_PNS1_23onesweep_lookback_stateEbbT6_jjT7_P12ihipStream_tbENKUlT_T0_SI_SN_E_clISD_PiSD_S15_EEDaS11_S12_SI_SN_EUlS11_E_NS1_11comp_targetILNS1_3genE8ELNS1_11target_archE1030ELNS1_3gpuE2ELNS1_3repE0EEENS1_47radix_sort_onesweep_sort_config_static_selectorELNS0_4arch9wavefront6targetE1EEEvSI_,"axG",@progbits,_ZN7rocprim17ROCPRIM_400000_NS6detail17trampoline_kernelINS0_14default_configENS1_35radix_sort_onesweep_config_selectorIiiEEZZNS1_29radix_sort_onesweep_iterationIS3_Lb0EN6thrust23THRUST_200600_302600_NS6detail15normal_iteratorINS8_10device_ptrIiEEEESD_SD_SD_jNS0_19identity_decomposerENS1_16block_id_wrapperIjLb1EEEEE10hipError_tT1_PNSt15iterator_traitsISI_E10value_typeET2_T3_PNSJ_ISO_E10value_typeET4_T5_PST_SU_PNS1_23onesweep_lookback_stateEbbT6_jjT7_P12ihipStream_tbENKUlT_T0_SI_SN_E_clISD_PiSD_S15_EEDaS11_S12_SI_SN_EUlS11_E_NS1_11comp_targetILNS1_3genE8ELNS1_11target_archE1030ELNS1_3gpuE2ELNS1_3repE0EEENS1_47radix_sort_onesweep_sort_config_static_selectorELNS0_4arch9wavefront6targetE1EEEvSI_,comdat
.Lfunc_end839:
	.size	_ZN7rocprim17ROCPRIM_400000_NS6detail17trampoline_kernelINS0_14default_configENS1_35radix_sort_onesweep_config_selectorIiiEEZZNS1_29radix_sort_onesweep_iterationIS3_Lb0EN6thrust23THRUST_200600_302600_NS6detail15normal_iteratorINS8_10device_ptrIiEEEESD_SD_SD_jNS0_19identity_decomposerENS1_16block_id_wrapperIjLb1EEEEE10hipError_tT1_PNSt15iterator_traitsISI_E10value_typeET2_T3_PNSJ_ISO_E10value_typeET4_T5_PST_SU_PNS1_23onesweep_lookback_stateEbbT6_jjT7_P12ihipStream_tbENKUlT_T0_SI_SN_E_clISD_PiSD_S15_EEDaS11_S12_SI_SN_EUlS11_E_NS1_11comp_targetILNS1_3genE8ELNS1_11target_archE1030ELNS1_3gpuE2ELNS1_3repE0EEENS1_47radix_sort_onesweep_sort_config_static_selectorELNS0_4arch9wavefront6targetE1EEEvSI_, .Lfunc_end839-_ZN7rocprim17ROCPRIM_400000_NS6detail17trampoline_kernelINS0_14default_configENS1_35radix_sort_onesweep_config_selectorIiiEEZZNS1_29radix_sort_onesweep_iterationIS3_Lb0EN6thrust23THRUST_200600_302600_NS6detail15normal_iteratorINS8_10device_ptrIiEEEESD_SD_SD_jNS0_19identity_decomposerENS1_16block_id_wrapperIjLb1EEEEE10hipError_tT1_PNSt15iterator_traitsISI_E10value_typeET2_T3_PNSJ_ISO_E10value_typeET4_T5_PST_SU_PNS1_23onesweep_lookback_stateEbbT6_jjT7_P12ihipStream_tbENKUlT_T0_SI_SN_E_clISD_PiSD_S15_EEDaS11_S12_SI_SN_EUlS11_E_NS1_11comp_targetILNS1_3genE8ELNS1_11target_archE1030ELNS1_3gpuE2ELNS1_3repE0EEENS1_47radix_sort_onesweep_sort_config_static_selectorELNS0_4arch9wavefront6targetE1EEEvSI_
                                        ; -- End function
	.set _ZN7rocprim17ROCPRIM_400000_NS6detail17trampoline_kernelINS0_14default_configENS1_35radix_sort_onesweep_config_selectorIiiEEZZNS1_29radix_sort_onesweep_iterationIS3_Lb0EN6thrust23THRUST_200600_302600_NS6detail15normal_iteratorINS8_10device_ptrIiEEEESD_SD_SD_jNS0_19identity_decomposerENS1_16block_id_wrapperIjLb1EEEEE10hipError_tT1_PNSt15iterator_traitsISI_E10value_typeET2_T3_PNSJ_ISO_E10value_typeET4_T5_PST_SU_PNS1_23onesweep_lookback_stateEbbT6_jjT7_P12ihipStream_tbENKUlT_T0_SI_SN_E_clISD_PiSD_S15_EEDaS11_S12_SI_SN_EUlS11_E_NS1_11comp_targetILNS1_3genE8ELNS1_11target_archE1030ELNS1_3gpuE2ELNS1_3repE0EEENS1_47radix_sort_onesweep_sort_config_static_selectorELNS0_4arch9wavefront6targetE1EEEvSI_.num_vgpr, 0
	.set _ZN7rocprim17ROCPRIM_400000_NS6detail17trampoline_kernelINS0_14default_configENS1_35radix_sort_onesweep_config_selectorIiiEEZZNS1_29radix_sort_onesweep_iterationIS3_Lb0EN6thrust23THRUST_200600_302600_NS6detail15normal_iteratorINS8_10device_ptrIiEEEESD_SD_SD_jNS0_19identity_decomposerENS1_16block_id_wrapperIjLb1EEEEE10hipError_tT1_PNSt15iterator_traitsISI_E10value_typeET2_T3_PNSJ_ISO_E10value_typeET4_T5_PST_SU_PNS1_23onesweep_lookback_stateEbbT6_jjT7_P12ihipStream_tbENKUlT_T0_SI_SN_E_clISD_PiSD_S15_EEDaS11_S12_SI_SN_EUlS11_E_NS1_11comp_targetILNS1_3genE8ELNS1_11target_archE1030ELNS1_3gpuE2ELNS1_3repE0EEENS1_47radix_sort_onesweep_sort_config_static_selectorELNS0_4arch9wavefront6targetE1EEEvSI_.num_agpr, 0
	.set _ZN7rocprim17ROCPRIM_400000_NS6detail17trampoline_kernelINS0_14default_configENS1_35radix_sort_onesweep_config_selectorIiiEEZZNS1_29radix_sort_onesweep_iterationIS3_Lb0EN6thrust23THRUST_200600_302600_NS6detail15normal_iteratorINS8_10device_ptrIiEEEESD_SD_SD_jNS0_19identity_decomposerENS1_16block_id_wrapperIjLb1EEEEE10hipError_tT1_PNSt15iterator_traitsISI_E10value_typeET2_T3_PNSJ_ISO_E10value_typeET4_T5_PST_SU_PNS1_23onesweep_lookback_stateEbbT6_jjT7_P12ihipStream_tbENKUlT_T0_SI_SN_E_clISD_PiSD_S15_EEDaS11_S12_SI_SN_EUlS11_E_NS1_11comp_targetILNS1_3genE8ELNS1_11target_archE1030ELNS1_3gpuE2ELNS1_3repE0EEENS1_47radix_sort_onesweep_sort_config_static_selectorELNS0_4arch9wavefront6targetE1EEEvSI_.numbered_sgpr, 0
	.set _ZN7rocprim17ROCPRIM_400000_NS6detail17trampoline_kernelINS0_14default_configENS1_35radix_sort_onesweep_config_selectorIiiEEZZNS1_29radix_sort_onesweep_iterationIS3_Lb0EN6thrust23THRUST_200600_302600_NS6detail15normal_iteratorINS8_10device_ptrIiEEEESD_SD_SD_jNS0_19identity_decomposerENS1_16block_id_wrapperIjLb1EEEEE10hipError_tT1_PNSt15iterator_traitsISI_E10value_typeET2_T3_PNSJ_ISO_E10value_typeET4_T5_PST_SU_PNS1_23onesweep_lookback_stateEbbT6_jjT7_P12ihipStream_tbENKUlT_T0_SI_SN_E_clISD_PiSD_S15_EEDaS11_S12_SI_SN_EUlS11_E_NS1_11comp_targetILNS1_3genE8ELNS1_11target_archE1030ELNS1_3gpuE2ELNS1_3repE0EEENS1_47radix_sort_onesweep_sort_config_static_selectorELNS0_4arch9wavefront6targetE1EEEvSI_.num_named_barrier, 0
	.set _ZN7rocprim17ROCPRIM_400000_NS6detail17trampoline_kernelINS0_14default_configENS1_35radix_sort_onesweep_config_selectorIiiEEZZNS1_29radix_sort_onesweep_iterationIS3_Lb0EN6thrust23THRUST_200600_302600_NS6detail15normal_iteratorINS8_10device_ptrIiEEEESD_SD_SD_jNS0_19identity_decomposerENS1_16block_id_wrapperIjLb1EEEEE10hipError_tT1_PNSt15iterator_traitsISI_E10value_typeET2_T3_PNSJ_ISO_E10value_typeET4_T5_PST_SU_PNS1_23onesweep_lookback_stateEbbT6_jjT7_P12ihipStream_tbENKUlT_T0_SI_SN_E_clISD_PiSD_S15_EEDaS11_S12_SI_SN_EUlS11_E_NS1_11comp_targetILNS1_3genE8ELNS1_11target_archE1030ELNS1_3gpuE2ELNS1_3repE0EEENS1_47radix_sort_onesweep_sort_config_static_selectorELNS0_4arch9wavefront6targetE1EEEvSI_.private_seg_size, 0
	.set _ZN7rocprim17ROCPRIM_400000_NS6detail17trampoline_kernelINS0_14default_configENS1_35radix_sort_onesweep_config_selectorIiiEEZZNS1_29radix_sort_onesweep_iterationIS3_Lb0EN6thrust23THRUST_200600_302600_NS6detail15normal_iteratorINS8_10device_ptrIiEEEESD_SD_SD_jNS0_19identity_decomposerENS1_16block_id_wrapperIjLb1EEEEE10hipError_tT1_PNSt15iterator_traitsISI_E10value_typeET2_T3_PNSJ_ISO_E10value_typeET4_T5_PST_SU_PNS1_23onesweep_lookback_stateEbbT6_jjT7_P12ihipStream_tbENKUlT_T0_SI_SN_E_clISD_PiSD_S15_EEDaS11_S12_SI_SN_EUlS11_E_NS1_11comp_targetILNS1_3genE8ELNS1_11target_archE1030ELNS1_3gpuE2ELNS1_3repE0EEENS1_47radix_sort_onesweep_sort_config_static_selectorELNS0_4arch9wavefront6targetE1EEEvSI_.uses_vcc, 0
	.set _ZN7rocprim17ROCPRIM_400000_NS6detail17trampoline_kernelINS0_14default_configENS1_35radix_sort_onesweep_config_selectorIiiEEZZNS1_29radix_sort_onesweep_iterationIS3_Lb0EN6thrust23THRUST_200600_302600_NS6detail15normal_iteratorINS8_10device_ptrIiEEEESD_SD_SD_jNS0_19identity_decomposerENS1_16block_id_wrapperIjLb1EEEEE10hipError_tT1_PNSt15iterator_traitsISI_E10value_typeET2_T3_PNSJ_ISO_E10value_typeET4_T5_PST_SU_PNS1_23onesweep_lookback_stateEbbT6_jjT7_P12ihipStream_tbENKUlT_T0_SI_SN_E_clISD_PiSD_S15_EEDaS11_S12_SI_SN_EUlS11_E_NS1_11comp_targetILNS1_3genE8ELNS1_11target_archE1030ELNS1_3gpuE2ELNS1_3repE0EEENS1_47radix_sort_onesweep_sort_config_static_selectorELNS0_4arch9wavefront6targetE1EEEvSI_.uses_flat_scratch, 0
	.set _ZN7rocprim17ROCPRIM_400000_NS6detail17trampoline_kernelINS0_14default_configENS1_35radix_sort_onesweep_config_selectorIiiEEZZNS1_29radix_sort_onesweep_iterationIS3_Lb0EN6thrust23THRUST_200600_302600_NS6detail15normal_iteratorINS8_10device_ptrIiEEEESD_SD_SD_jNS0_19identity_decomposerENS1_16block_id_wrapperIjLb1EEEEE10hipError_tT1_PNSt15iterator_traitsISI_E10value_typeET2_T3_PNSJ_ISO_E10value_typeET4_T5_PST_SU_PNS1_23onesweep_lookback_stateEbbT6_jjT7_P12ihipStream_tbENKUlT_T0_SI_SN_E_clISD_PiSD_S15_EEDaS11_S12_SI_SN_EUlS11_E_NS1_11comp_targetILNS1_3genE8ELNS1_11target_archE1030ELNS1_3gpuE2ELNS1_3repE0EEENS1_47radix_sort_onesweep_sort_config_static_selectorELNS0_4arch9wavefront6targetE1EEEvSI_.has_dyn_sized_stack, 0
	.set _ZN7rocprim17ROCPRIM_400000_NS6detail17trampoline_kernelINS0_14default_configENS1_35radix_sort_onesweep_config_selectorIiiEEZZNS1_29radix_sort_onesweep_iterationIS3_Lb0EN6thrust23THRUST_200600_302600_NS6detail15normal_iteratorINS8_10device_ptrIiEEEESD_SD_SD_jNS0_19identity_decomposerENS1_16block_id_wrapperIjLb1EEEEE10hipError_tT1_PNSt15iterator_traitsISI_E10value_typeET2_T3_PNSJ_ISO_E10value_typeET4_T5_PST_SU_PNS1_23onesweep_lookback_stateEbbT6_jjT7_P12ihipStream_tbENKUlT_T0_SI_SN_E_clISD_PiSD_S15_EEDaS11_S12_SI_SN_EUlS11_E_NS1_11comp_targetILNS1_3genE8ELNS1_11target_archE1030ELNS1_3gpuE2ELNS1_3repE0EEENS1_47radix_sort_onesweep_sort_config_static_selectorELNS0_4arch9wavefront6targetE1EEEvSI_.has_recursion, 0
	.set _ZN7rocprim17ROCPRIM_400000_NS6detail17trampoline_kernelINS0_14default_configENS1_35radix_sort_onesweep_config_selectorIiiEEZZNS1_29radix_sort_onesweep_iterationIS3_Lb0EN6thrust23THRUST_200600_302600_NS6detail15normal_iteratorINS8_10device_ptrIiEEEESD_SD_SD_jNS0_19identity_decomposerENS1_16block_id_wrapperIjLb1EEEEE10hipError_tT1_PNSt15iterator_traitsISI_E10value_typeET2_T3_PNSJ_ISO_E10value_typeET4_T5_PST_SU_PNS1_23onesweep_lookback_stateEbbT6_jjT7_P12ihipStream_tbENKUlT_T0_SI_SN_E_clISD_PiSD_S15_EEDaS11_S12_SI_SN_EUlS11_E_NS1_11comp_targetILNS1_3genE8ELNS1_11target_archE1030ELNS1_3gpuE2ELNS1_3repE0EEENS1_47radix_sort_onesweep_sort_config_static_selectorELNS0_4arch9wavefront6targetE1EEEvSI_.has_indirect_call, 0
	.section	.AMDGPU.csdata,"",@progbits
; Kernel info:
; codeLenInByte = 0
; TotalNumSgprs: 6
; NumVgprs: 0
; NumAgprs: 0
; TotalNumVgprs: 0
; ScratchSize: 0
; MemoryBound: 0
; FloatMode: 240
; IeeeMode: 1
; LDSByteSize: 0 bytes/workgroup (compile time only)
; SGPRBlocks: 0
; VGPRBlocks: 0
; NumSGPRsForWavesPerEU: 6
; NumVGPRsForWavesPerEU: 1
; AccumOffset: 4
; Occupancy: 8
; WaveLimiterHint : 0
; COMPUTE_PGM_RSRC2:SCRATCH_EN: 0
; COMPUTE_PGM_RSRC2:USER_SGPR: 2
; COMPUTE_PGM_RSRC2:TRAP_HANDLER: 0
; COMPUTE_PGM_RSRC2:TGID_X_EN: 1
; COMPUTE_PGM_RSRC2:TGID_Y_EN: 0
; COMPUTE_PGM_RSRC2:TGID_Z_EN: 0
; COMPUTE_PGM_RSRC2:TIDIG_COMP_CNT: 0
; COMPUTE_PGM_RSRC3_GFX90A:ACCUM_OFFSET: 0
; COMPUTE_PGM_RSRC3_GFX90A:TG_SPLIT: 0
	.section	.text._ZN7rocprim17ROCPRIM_400000_NS6detail17trampoline_kernelINS0_14default_configENS1_35radix_sort_onesweep_config_selectorIiiEEZZNS1_29radix_sort_onesweep_iterationIS3_Lb0EN6thrust23THRUST_200600_302600_NS6detail15normal_iteratorINS8_10device_ptrIiEEEESD_SD_SD_jNS0_19identity_decomposerENS1_16block_id_wrapperIjLb1EEEEE10hipError_tT1_PNSt15iterator_traitsISI_E10value_typeET2_T3_PNSJ_ISO_E10value_typeET4_T5_PST_SU_PNS1_23onesweep_lookback_stateEbbT6_jjT7_P12ihipStream_tbENKUlT_T0_SI_SN_E_clIPiSD_S15_SD_EEDaS11_S12_SI_SN_EUlS11_E_NS1_11comp_targetILNS1_3genE0ELNS1_11target_archE4294967295ELNS1_3gpuE0ELNS1_3repE0EEENS1_47radix_sort_onesweep_sort_config_static_selectorELNS0_4arch9wavefront6targetE1EEEvSI_,"axG",@progbits,_ZN7rocprim17ROCPRIM_400000_NS6detail17trampoline_kernelINS0_14default_configENS1_35radix_sort_onesweep_config_selectorIiiEEZZNS1_29radix_sort_onesweep_iterationIS3_Lb0EN6thrust23THRUST_200600_302600_NS6detail15normal_iteratorINS8_10device_ptrIiEEEESD_SD_SD_jNS0_19identity_decomposerENS1_16block_id_wrapperIjLb1EEEEE10hipError_tT1_PNSt15iterator_traitsISI_E10value_typeET2_T3_PNSJ_ISO_E10value_typeET4_T5_PST_SU_PNS1_23onesweep_lookback_stateEbbT6_jjT7_P12ihipStream_tbENKUlT_T0_SI_SN_E_clIPiSD_S15_SD_EEDaS11_S12_SI_SN_EUlS11_E_NS1_11comp_targetILNS1_3genE0ELNS1_11target_archE4294967295ELNS1_3gpuE0ELNS1_3repE0EEENS1_47radix_sort_onesweep_sort_config_static_selectorELNS0_4arch9wavefront6targetE1EEEvSI_,comdat
	.protected	_ZN7rocprim17ROCPRIM_400000_NS6detail17trampoline_kernelINS0_14default_configENS1_35radix_sort_onesweep_config_selectorIiiEEZZNS1_29radix_sort_onesweep_iterationIS3_Lb0EN6thrust23THRUST_200600_302600_NS6detail15normal_iteratorINS8_10device_ptrIiEEEESD_SD_SD_jNS0_19identity_decomposerENS1_16block_id_wrapperIjLb1EEEEE10hipError_tT1_PNSt15iterator_traitsISI_E10value_typeET2_T3_PNSJ_ISO_E10value_typeET4_T5_PST_SU_PNS1_23onesweep_lookback_stateEbbT6_jjT7_P12ihipStream_tbENKUlT_T0_SI_SN_E_clIPiSD_S15_SD_EEDaS11_S12_SI_SN_EUlS11_E_NS1_11comp_targetILNS1_3genE0ELNS1_11target_archE4294967295ELNS1_3gpuE0ELNS1_3repE0EEENS1_47radix_sort_onesweep_sort_config_static_selectorELNS0_4arch9wavefront6targetE1EEEvSI_ ; -- Begin function _ZN7rocprim17ROCPRIM_400000_NS6detail17trampoline_kernelINS0_14default_configENS1_35radix_sort_onesweep_config_selectorIiiEEZZNS1_29radix_sort_onesweep_iterationIS3_Lb0EN6thrust23THRUST_200600_302600_NS6detail15normal_iteratorINS8_10device_ptrIiEEEESD_SD_SD_jNS0_19identity_decomposerENS1_16block_id_wrapperIjLb1EEEEE10hipError_tT1_PNSt15iterator_traitsISI_E10value_typeET2_T3_PNSJ_ISO_E10value_typeET4_T5_PST_SU_PNS1_23onesweep_lookback_stateEbbT6_jjT7_P12ihipStream_tbENKUlT_T0_SI_SN_E_clIPiSD_S15_SD_EEDaS11_S12_SI_SN_EUlS11_E_NS1_11comp_targetILNS1_3genE0ELNS1_11target_archE4294967295ELNS1_3gpuE0ELNS1_3repE0EEENS1_47radix_sort_onesweep_sort_config_static_selectorELNS0_4arch9wavefront6targetE1EEEvSI_
	.globl	_ZN7rocprim17ROCPRIM_400000_NS6detail17trampoline_kernelINS0_14default_configENS1_35radix_sort_onesweep_config_selectorIiiEEZZNS1_29radix_sort_onesweep_iterationIS3_Lb0EN6thrust23THRUST_200600_302600_NS6detail15normal_iteratorINS8_10device_ptrIiEEEESD_SD_SD_jNS0_19identity_decomposerENS1_16block_id_wrapperIjLb1EEEEE10hipError_tT1_PNSt15iterator_traitsISI_E10value_typeET2_T3_PNSJ_ISO_E10value_typeET4_T5_PST_SU_PNS1_23onesweep_lookback_stateEbbT6_jjT7_P12ihipStream_tbENKUlT_T0_SI_SN_E_clIPiSD_S15_SD_EEDaS11_S12_SI_SN_EUlS11_E_NS1_11comp_targetILNS1_3genE0ELNS1_11target_archE4294967295ELNS1_3gpuE0ELNS1_3repE0EEENS1_47radix_sort_onesweep_sort_config_static_selectorELNS0_4arch9wavefront6targetE1EEEvSI_
	.p2align	8
	.type	_ZN7rocprim17ROCPRIM_400000_NS6detail17trampoline_kernelINS0_14default_configENS1_35radix_sort_onesweep_config_selectorIiiEEZZNS1_29radix_sort_onesweep_iterationIS3_Lb0EN6thrust23THRUST_200600_302600_NS6detail15normal_iteratorINS8_10device_ptrIiEEEESD_SD_SD_jNS0_19identity_decomposerENS1_16block_id_wrapperIjLb1EEEEE10hipError_tT1_PNSt15iterator_traitsISI_E10value_typeET2_T3_PNSJ_ISO_E10value_typeET4_T5_PST_SU_PNS1_23onesweep_lookback_stateEbbT6_jjT7_P12ihipStream_tbENKUlT_T0_SI_SN_E_clIPiSD_S15_SD_EEDaS11_S12_SI_SN_EUlS11_E_NS1_11comp_targetILNS1_3genE0ELNS1_11target_archE4294967295ELNS1_3gpuE0ELNS1_3repE0EEENS1_47radix_sort_onesweep_sort_config_static_selectorELNS0_4arch9wavefront6targetE1EEEvSI_,@function
_ZN7rocprim17ROCPRIM_400000_NS6detail17trampoline_kernelINS0_14default_configENS1_35radix_sort_onesweep_config_selectorIiiEEZZNS1_29radix_sort_onesweep_iterationIS3_Lb0EN6thrust23THRUST_200600_302600_NS6detail15normal_iteratorINS8_10device_ptrIiEEEESD_SD_SD_jNS0_19identity_decomposerENS1_16block_id_wrapperIjLb1EEEEE10hipError_tT1_PNSt15iterator_traitsISI_E10value_typeET2_T3_PNSJ_ISO_E10value_typeET4_T5_PST_SU_PNS1_23onesweep_lookback_stateEbbT6_jjT7_P12ihipStream_tbENKUlT_T0_SI_SN_E_clIPiSD_S15_SD_EEDaS11_S12_SI_SN_EUlS11_E_NS1_11comp_targetILNS1_3genE0ELNS1_11target_archE4294967295ELNS1_3gpuE0ELNS1_3repE0EEENS1_47radix_sort_onesweep_sort_config_static_selectorELNS0_4arch9wavefront6targetE1EEEvSI_: ; @_ZN7rocprim17ROCPRIM_400000_NS6detail17trampoline_kernelINS0_14default_configENS1_35radix_sort_onesweep_config_selectorIiiEEZZNS1_29radix_sort_onesweep_iterationIS3_Lb0EN6thrust23THRUST_200600_302600_NS6detail15normal_iteratorINS8_10device_ptrIiEEEESD_SD_SD_jNS0_19identity_decomposerENS1_16block_id_wrapperIjLb1EEEEE10hipError_tT1_PNSt15iterator_traitsISI_E10value_typeET2_T3_PNSJ_ISO_E10value_typeET4_T5_PST_SU_PNS1_23onesweep_lookback_stateEbbT6_jjT7_P12ihipStream_tbENKUlT_T0_SI_SN_E_clIPiSD_S15_SD_EEDaS11_S12_SI_SN_EUlS11_E_NS1_11comp_targetILNS1_3genE0ELNS1_11target_archE4294967295ELNS1_3gpuE0ELNS1_3repE0EEENS1_47radix_sort_onesweep_sort_config_static_selectorELNS0_4arch9wavefront6targetE1EEEvSI_
; %bb.0:
	.section	.rodata,"a",@progbits
	.p2align	6, 0x0
	.amdhsa_kernel _ZN7rocprim17ROCPRIM_400000_NS6detail17trampoline_kernelINS0_14default_configENS1_35radix_sort_onesweep_config_selectorIiiEEZZNS1_29radix_sort_onesweep_iterationIS3_Lb0EN6thrust23THRUST_200600_302600_NS6detail15normal_iteratorINS8_10device_ptrIiEEEESD_SD_SD_jNS0_19identity_decomposerENS1_16block_id_wrapperIjLb1EEEEE10hipError_tT1_PNSt15iterator_traitsISI_E10value_typeET2_T3_PNSJ_ISO_E10value_typeET4_T5_PST_SU_PNS1_23onesweep_lookback_stateEbbT6_jjT7_P12ihipStream_tbENKUlT_T0_SI_SN_E_clIPiSD_S15_SD_EEDaS11_S12_SI_SN_EUlS11_E_NS1_11comp_targetILNS1_3genE0ELNS1_11target_archE4294967295ELNS1_3gpuE0ELNS1_3repE0EEENS1_47radix_sort_onesweep_sort_config_static_selectorELNS0_4arch9wavefront6targetE1EEEvSI_
		.amdhsa_group_segment_fixed_size 0
		.amdhsa_private_segment_fixed_size 0
		.amdhsa_kernarg_size 88
		.amdhsa_user_sgpr_count 2
		.amdhsa_user_sgpr_dispatch_ptr 0
		.amdhsa_user_sgpr_queue_ptr 0
		.amdhsa_user_sgpr_kernarg_segment_ptr 1
		.amdhsa_user_sgpr_dispatch_id 0
		.amdhsa_user_sgpr_kernarg_preload_length 0
		.amdhsa_user_sgpr_kernarg_preload_offset 0
		.amdhsa_user_sgpr_private_segment_size 0
		.amdhsa_uses_dynamic_stack 0
		.amdhsa_enable_private_segment 0
		.amdhsa_system_sgpr_workgroup_id_x 1
		.amdhsa_system_sgpr_workgroup_id_y 0
		.amdhsa_system_sgpr_workgroup_id_z 0
		.amdhsa_system_sgpr_workgroup_info 0
		.amdhsa_system_vgpr_workitem_id 0
		.amdhsa_next_free_vgpr 1
		.amdhsa_next_free_sgpr 0
		.amdhsa_accum_offset 4
		.amdhsa_reserve_vcc 0
		.amdhsa_float_round_mode_32 0
		.amdhsa_float_round_mode_16_64 0
		.amdhsa_float_denorm_mode_32 3
		.amdhsa_float_denorm_mode_16_64 3
		.amdhsa_dx10_clamp 1
		.amdhsa_ieee_mode 1
		.amdhsa_fp16_overflow 0
		.amdhsa_tg_split 0
		.amdhsa_exception_fp_ieee_invalid_op 0
		.amdhsa_exception_fp_denorm_src 0
		.amdhsa_exception_fp_ieee_div_zero 0
		.amdhsa_exception_fp_ieee_overflow 0
		.amdhsa_exception_fp_ieee_underflow 0
		.amdhsa_exception_fp_ieee_inexact 0
		.amdhsa_exception_int_div_zero 0
	.end_amdhsa_kernel
	.section	.text._ZN7rocprim17ROCPRIM_400000_NS6detail17trampoline_kernelINS0_14default_configENS1_35radix_sort_onesweep_config_selectorIiiEEZZNS1_29radix_sort_onesweep_iterationIS3_Lb0EN6thrust23THRUST_200600_302600_NS6detail15normal_iteratorINS8_10device_ptrIiEEEESD_SD_SD_jNS0_19identity_decomposerENS1_16block_id_wrapperIjLb1EEEEE10hipError_tT1_PNSt15iterator_traitsISI_E10value_typeET2_T3_PNSJ_ISO_E10value_typeET4_T5_PST_SU_PNS1_23onesweep_lookback_stateEbbT6_jjT7_P12ihipStream_tbENKUlT_T0_SI_SN_E_clIPiSD_S15_SD_EEDaS11_S12_SI_SN_EUlS11_E_NS1_11comp_targetILNS1_3genE0ELNS1_11target_archE4294967295ELNS1_3gpuE0ELNS1_3repE0EEENS1_47radix_sort_onesweep_sort_config_static_selectorELNS0_4arch9wavefront6targetE1EEEvSI_,"axG",@progbits,_ZN7rocprim17ROCPRIM_400000_NS6detail17trampoline_kernelINS0_14default_configENS1_35radix_sort_onesweep_config_selectorIiiEEZZNS1_29radix_sort_onesweep_iterationIS3_Lb0EN6thrust23THRUST_200600_302600_NS6detail15normal_iteratorINS8_10device_ptrIiEEEESD_SD_SD_jNS0_19identity_decomposerENS1_16block_id_wrapperIjLb1EEEEE10hipError_tT1_PNSt15iterator_traitsISI_E10value_typeET2_T3_PNSJ_ISO_E10value_typeET4_T5_PST_SU_PNS1_23onesweep_lookback_stateEbbT6_jjT7_P12ihipStream_tbENKUlT_T0_SI_SN_E_clIPiSD_S15_SD_EEDaS11_S12_SI_SN_EUlS11_E_NS1_11comp_targetILNS1_3genE0ELNS1_11target_archE4294967295ELNS1_3gpuE0ELNS1_3repE0EEENS1_47radix_sort_onesweep_sort_config_static_selectorELNS0_4arch9wavefront6targetE1EEEvSI_,comdat
.Lfunc_end840:
	.size	_ZN7rocprim17ROCPRIM_400000_NS6detail17trampoline_kernelINS0_14default_configENS1_35radix_sort_onesweep_config_selectorIiiEEZZNS1_29radix_sort_onesweep_iterationIS3_Lb0EN6thrust23THRUST_200600_302600_NS6detail15normal_iteratorINS8_10device_ptrIiEEEESD_SD_SD_jNS0_19identity_decomposerENS1_16block_id_wrapperIjLb1EEEEE10hipError_tT1_PNSt15iterator_traitsISI_E10value_typeET2_T3_PNSJ_ISO_E10value_typeET4_T5_PST_SU_PNS1_23onesweep_lookback_stateEbbT6_jjT7_P12ihipStream_tbENKUlT_T0_SI_SN_E_clIPiSD_S15_SD_EEDaS11_S12_SI_SN_EUlS11_E_NS1_11comp_targetILNS1_3genE0ELNS1_11target_archE4294967295ELNS1_3gpuE0ELNS1_3repE0EEENS1_47radix_sort_onesweep_sort_config_static_selectorELNS0_4arch9wavefront6targetE1EEEvSI_, .Lfunc_end840-_ZN7rocprim17ROCPRIM_400000_NS6detail17trampoline_kernelINS0_14default_configENS1_35radix_sort_onesweep_config_selectorIiiEEZZNS1_29radix_sort_onesweep_iterationIS3_Lb0EN6thrust23THRUST_200600_302600_NS6detail15normal_iteratorINS8_10device_ptrIiEEEESD_SD_SD_jNS0_19identity_decomposerENS1_16block_id_wrapperIjLb1EEEEE10hipError_tT1_PNSt15iterator_traitsISI_E10value_typeET2_T3_PNSJ_ISO_E10value_typeET4_T5_PST_SU_PNS1_23onesweep_lookback_stateEbbT6_jjT7_P12ihipStream_tbENKUlT_T0_SI_SN_E_clIPiSD_S15_SD_EEDaS11_S12_SI_SN_EUlS11_E_NS1_11comp_targetILNS1_3genE0ELNS1_11target_archE4294967295ELNS1_3gpuE0ELNS1_3repE0EEENS1_47radix_sort_onesweep_sort_config_static_selectorELNS0_4arch9wavefront6targetE1EEEvSI_
                                        ; -- End function
	.set _ZN7rocprim17ROCPRIM_400000_NS6detail17trampoline_kernelINS0_14default_configENS1_35radix_sort_onesweep_config_selectorIiiEEZZNS1_29radix_sort_onesweep_iterationIS3_Lb0EN6thrust23THRUST_200600_302600_NS6detail15normal_iteratorINS8_10device_ptrIiEEEESD_SD_SD_jNS0_19identity_decomposerENS1_16block_id_wrapperIjLb1EEEEE10hipError_tT1_PNSt15iterator_traitsISI_E10value_typeET2_T3_PNSJ_ISO_E10value_typeET4_T5_PST_SU_PNS1_23onesweep_lookback_stateEbbT6_jjT7_P12ihipStream_tbENKUlT_T0_SI_SN_E_clIPiSD_S15_SD_EEDaS11_S12_SI_SN_EUlS11_E_NS1_11comp_targetILNS1_3genE0ELNS1_11target_archE4294967295ELNS1_3gpuE0ELNS1_3repE0EEENS1_47radix_sort_onesweep_sort_config_static_selectorELNS0_4arch9wavefront6targetE1EEEvSI_.num_vgpr, 0
	.set _ZN7rocprim17ROCPRIM_400000_NS6detail17trampoline_kernelINS0_14default_configENS1_35radix_sort_onesweep_config_selectorIiiEEZZNS1_29radix_sort_onesweep_iterationIS3_Lb0EN6thrust23THRUST_200600_302600_NS6detail15normal_iteratorINS8_10device_ptrIiEEEESD_SD_SD_jNS0_19identity_decomposerENS1_16block_id_wrapperIjLb1EEEEE10hipError_tT1_PNSt15iterator_traitsISI_E10value_typeET2_T3_PNSJ_ISO_E10value_typeET4_T5_PST_SU_PNS1_23onesweep_lookback_stateEbbT6_jjT7_P12ihipStream_tbENKUlT_T0_SI_SN_E_clIPiSD_S15_SD_EEDaS11_S12_SI_SN_EUlS11_E_NS1_11comp_targetILNS1_3genE0ELNS1_11target_archE4294967295ELNS1_3gpuE0ELNS1_3repE0EEENS1_47radix_sort_onesweep_sort_config_static_selectorELNS0_4arch9wavefront6targetE1EEEvSI_.num_agpr, 0
	.set _ZN7rocprim17ROCPRIM_400000_NS6detail17trampoline_kernelINS0_14default_configENS1_35radix_sort_onesweep_config_selectorIiiEEZZNS1_29radix_sort_onesweep_iterationIS3_Lb0EN6thrust23THRUST_200600_302600_NS6detail15normal_iteratorINS8_10device_ptrIiEEEESD_SD_SD_jNS0_19identity_decomposerENS1_16block_id_wrapperIjLb1EEEEE10hipError_tT1_PNSt15iterator_traitsISI_E10value_typeET2_T3_PNSJ_ISO_E10value_typeET4_T5_PST_SU_PNS1_23onesweep_lookback_stateEbbT6_jjT7_P12ihipStream_tbENKUlT_T0_SI_SN_E_clIPiSD_S15_SD_EEDaS11_S12_SI_SN_EUlS11_E_NS1_11comp_targetILNS1_3genE0ELNS1_11target_archE4294967295ELNS1_3gpuE0ELNS1_3repE0EEENS1_47radix_sort_onesweep_sort_config_static_selectorELNS0_4arch9wavefront6targetE1EEEvSI_.numbered_sgpr, 0
	.set _ZN7rocprim17ROCPRIM_400000_NS6detail17trampoline_kernelINS0_14default_configENS1_35radix_sort_onesweep_config_selectorIiiEEZZNS1_29radix_sort_onesweep_iterationIS3_Lb0EN6thrust23THRUST_200600_302600_NS6detail15normal_iteratorINS8_10device_ptrIiEEEESD_SD_SD_jNS0_19identity_decomposerENS1_16block_id_wrapperIjLb1EEEEE10hipError_tT1_PNSt15iterator_traitsISI_E10value_typeET2_T3_PNSJ_ISO_E10value_typeET4_T5_PST_SU_PNS1_23onesweep_lookback_stateEbbT6_jjT7_P12ihipStream_tbENKUlT_T0_SI_SN_E_clIPiSD_S15_SD_EEDaS11_S12_SI_SN_EUlS11_E_NS1_11comp_targetILNS1_3genE0ELNS1_11target_archE4294967295ELNS1_3gpuE0ELNS1_3repE0EEENS1_47radix_sort_onesweep_sort_config_static_selectorELNS0_4arch9wavefront6targetE1EEEvSI_.num_named_barrier, 0
	.set _ZN7rocprim17ROCPRIM_400000_NS6detail17trampoline_kernelINS0_14default_configENS1_35radix_sort_onesweep_config_selectorIiiEEZZNS1_29radix_sort_onesweep_iterationIS3_Lb0EN6thrust23THRUST_200600_302600_NS6detail15normal_iteratorINS8_10device_ptrIiEEEESD_SD_SD_jNS0_19identity_decomposerENS1_16block_id_wrapperIjLb1EEEEE10hipError_tT1_PNSt15iterator_traitsISI_E10value_typeET2_T3_PNSJ_ISO_E10value_typeET4_T5_PST_SU_PNS1_23onesweep_lookback_stateEbbT6_jjT7_P12ihipStream_tbENKUlT_T0_SI_SN_E_clIPiSD_S15_SD_EEDaS11_S12_SI_SN_EUlS11_E_NS1_11comp_targetILNS1_3genE0ELNS1_11target_archE4294967295ELNS1_3gpuE0ELNS1_3repE0EEENS1_47radix_sort_onesweep_sort_config_static_selectorELNS0_4arch9wavefront6targetE1EEEvSI_.private_seg_size, 0
	.set _ZN7rocprim17ROCPRIM_400000_NS6detail17trampoline_kernelINS0_14default_configENS1_35radix_sort_onesweep_config_selectorIiiEEZZNS1_29radix_sort_onesweep_iterationIS3_Lb0EN6thrust23THRUST_200600_302600_NS6detail15normal_iteratorINS8_10device_ptrIiEEEESD_SD_SD_jNS0_19identity_decomposerENS1_16block_id_wrapperIjLb1EEEEE10hipError_tT1_PNSt15iterator_traitsISI_E10value_typeET2_T3_PNSJ_ISO_E10value_typeET4_T5_PST_SU_PNS1_23onesweep_lookback_stateEbbT6_jjT7_P12ihipStream_tbENKUlT_T0_SI_SN_E_clIPiSD_S15_SD_EEDaS11_S12_SI_SN_EUlS11_E_NS1_11comp_targetILNS1_3genE0ELNS1_11target_archE4294967295ELNS1_3gpuE0ELNS1_3repE0EEENS1_47radix_sort_onesweep_sort_config_static_selectorELNS0_4arch9wavefront6targetE1EEEvSI_.uses_vcc, 0
	.set _ZN7rocprim17ROCPRIM_400000_NS6detail17trampoline_kernelINS0_14default_configENS1_35radix_sort_onesweep_config_selectorIiiEEZZNS1_29radix_sort_onesweep_iterationIS3_Lb0EN6thrust23THRUST_200600_302600_NS6detail15normal_iteratorINS8_10device_ptrIiEEEESD_SD_SD_jNS0_19identity_decomposerENS1_16block_id_wrapperIjLb1EEEEE10hipError_tT1_PNSt15iterator_traitsISI_E10value_typeET2_T3_PNSJ_ISO_E10value_typeET4_T5_PST_SU_PNS1_23onesweep_lookback_stateEbbT6_jjT7_P12ihipStream_tbENKUlT_T0_SI_SN_E_clIPiSD_S15_SD_EEDaS11_S12_SI_SN_EUlS11_E_NS1_11comp_targetILNS1_3genE0ELNS1_11target_archE4294967295ELNS1_3gpuE0ELNS1_3repE0EEENS1_47radix_sort_onesweep_sort_config_static_selectorELNS0_4arch9wavefront6targetE1EEEvSI_.uses_flat_scratch, 0
	.set _ZN7rocprim17ROCPRIM_400000_NS6detail17trampoline_kernelINS0_14default_configENS1_35radix_sort_onesweep_config_selectorIiiEEZZNS1_29radix_sort_onesweep_iterationIS3_Lb0EN6thrust23THRUST_200600_302600_NS6detail15normal_iteratorINS8_10device_ptrIiEEEESD_SD_SD_jNS0_19identity_decomposerENS1_16block_id_wrapperIjLb1EEEEE10hipError_tT1_PNSt15iterator_traitsISI_E10value_typeET2_T3_PNSJ_ISO_E10value_typeET4_T5_PST_SU_PNS1_23onesweep_lookback_stateEbbT6_jjT7_P12ihipStream_tbENKUlT_T0_SI_SN_E_clIPiSD_S15_SD_EEDaS11_S12_SI_SN_EUlS11_E_NS1_11comp_targetILNS1_3genE0ELNS1_11target_archE4294967295ELNS1_3gpuE0ELNS1_3repE0EEENS1_47radix_sort_onesweep_sort_config_static_selectorELNS0_4arch9wavefront6targetE1EEEvSI_.has_dyn_sized_stack, 0
	.set _ZN7rocprim17ROCPRIM_400000_NS6detail17trampoline_kernelINS0_14default_configENS1_35radix_sort_onesweep_config_selectorIiiEEZZNS1_29radix_sort_onesweep_iterationIS3_Lb0EN6thrust23THRUST_200600_302600_NS6detail15normal_iteratorINS8_10device_ptrIiEEEESD_SD_SD_jNS0_19identity_decomposerENS1_16block_id_wrapperIjLb1EEEEE10hipError_tT1_PNSt15iterator_traitsISI_E10value_typeET2_T3_PNSJ_ISO_E10value_typeET4_T5_PST_SU_PNS1_23onesweep_lookback_stateEbbT6_jjT7_P12ihipStream_tbENKUlT_T0_SI_SN_E_clIPiSD_S15_SD_EEDaS11_S12_SI_SN_EUlS11_E_NS1_11comp_targetILNS1_3genE0ELNS1_11target_archE4294967295ELNS1_3gpuE0ELNS1_3repE0EEENS1_47radix_sort_onesweep_sort_config_static_selectorELNS0_4arch9wavefront6targetE1EEEvSI_.has_recursion, 0
	.set _ZN7rocprim17ROCPRIM_400000_NS6detail17trampoline_kernelINS0_14default_configENS1_35radix_sort_onesweep_config_selectorIiiEEZZNS1_29radix_sort_onesweep_iterationIS3_Lb0EN6thrust23THRUST_200600_302600_NS6detail15normal_iteratorINS8_10device_ptrIiEEEESD_SD_SD_jNS0_19identity_decomposerENS1_16block_id_wrapperIjLb1EEEEE10hipError_tT1_PNSt15iterator_traitsISI_E10value_typeET2_T3_PNSJ_ISO_E10value_typeET4_T5_PST_SU_PNS1_23onesweep_lookback_stateEbbT6_jjT7_P12ihipStream_tbENKUlT_T0_SI_SN_E_clIPiSD_S15_SD_EEDaS11_S12_SI_SN_EUlS11_E_NS1_11comp_targetILNS1_3genE0ELNS1_11target_archE4294967295ELNS1_3gpuE0ELNS1_3repE0EEENS1_47radix_sort_onesweep_sort_config_static_selectorELNS0_4arch9wavefront6targetE1EEEvSI_.has_indirect_call, 0
	.section	.AMDGPU.csdata,"",@progbits
; Kernel info:
; codeLenInByte = 0
; TotalNumSgprs: 6
; NumVgprs: 0
; NumAgprs: 0
; TotalNumVgprs: 0
; ScratchSize: 0
; MemoryBound: 0
; FloatMode: 240
; IeeeMode: 1
; LDSByteSize: 0 bytes/workgroup (compile time only)
; SGPRBlocks: 0
; VGPRBlocks: 0
; NumSGPRsForWavesPerEU: 6
; NumVGPRsForWavesPerEU: 1
; AccumOffset: 4
; Occupancy: 8
; WaveLimiterHint : 0
; COMPUTE_PGM_RSRC2:SCRATCH_EN: 0
; COMPUTE_PGM_RSRC2:USER_SGPR: 2
; COMPUTE_PGM_RSRC2:TRAP_HANDLER: 0
; COMPUTE_PGM_RSRC2:TGID_X_EN: 1
; COMPUTE_PGM_RSRC2:TGID_Y_EN: 0
; COMPUTE_PGM_RSRC2:TGID_Z_EN: 0
; COMPUTE_PGM_RSRC2:TIDIG_COMP_CNT: 0
; COMPUTE_PGM_RSRC3_GFX90A:ACCUM_OFFSET: 0
; COMPUTE_PGM_RSRC3_GFX90A:TG_SPLIT: 0
	.section	.text._ZN7rocprim17ROCPRIM_400000_NS6detail17trampoline_kernelINS0_14default_configENS1_35radix_sort_onesweep_config_selectorIiiEEZZNS1_29radix_sort_onesweep_iterationIS3_Lb0EN6thrust23THRUST_200600_302600_NS6detail15normal_iteratorINS8_10device_ptrIiEEEESD_SD_SD_jNS0_19identity_decomposerENS1_16block_id_wrapperIjLb1EEEEE10hipError_tT1_PNSt15iterator_traitsISI_E10value_typeET2_T3_PNSJ_ISO_E10value_typeET4_T5_PST_SU_PNS1_23onesweep_lookback_stateEbbT6_jjT7_P12ihipStream_tbENKUlT_T0_SI_SN_E_clIPiSD_S15_SD_EEDaS11_S12_SI_SN_EUlS11_E_NS1_11comp_targetILNS1_3genE6ELNS1_11target_archE950ELNS1_3gpuE13ELNS1_3repE0EEENS1_47radix_sort_onesweep_sort_config_static_selectorELNS0_4arch9wavefront6targetE1EEEvSI_,"axG",@progbits,_ZN7rocprim17ROCPRIM_400000_NS6detail17trampoline_kernelINS0_14default_configENS1_35radix_sort_onesweep_config_selectorIiiEEZZNS1_29radix_sort_onesweep_iterationIS3_Lb0EN6thrust23THRUST_200600_302600_NS6detail15normal_iteratorINS8_10device_ptrIiEEEESD_SD_SD_jNS0_19identity_decomposerENS1_16block_id_wrapperIjLb1EEEEE10hipError_tT1_PNSt15iterator_traitsISI_E10value_typeET2_T3_PNSJ_ISO_E10value_typeET4_T5_PST_SU_PNS1_23onesweep_lookback_stateEbbT6_jjT7_P12ihipStream_tbENKUlT_T0_SI_SN_E_clIPiSD_S15_SD_EEDaS11_S12_SI_SN_EUlS11_E_NS1_11comp_targetILNS1_3genE6ELNS1_11target_archE950ELNS1_3gpuE13ELNS1_3repE0EEENS1_47radix_sort_onesweep_sort_config_static_selectorELNS0_4arch9wavefront6targetE1EEEvSI_,comdat
	.protected	_ZN7rocprim17ROCPRIM_400000_NS6detail17trampoline_kernelINS0_14default_configENS1_35radix_sort_onesweep_config_selectorIiiEEZZNS1_29radix_sort_onesweep_iterationIS3_Lb0EN6thrust23THRUST_200600_302600_NS6detail15normal_iteratorINS8_10device_ptrIiEEEESD_SD_SD_jNS0_19identity_decomposerENS1_16block_id_wrapperIjLb1EEEEE10hipError_tT1_PNSt15iterator_traitsISI_E10value_typeET2_T3_PNSJ_ISO_E10value_typeET4_T5_PST_SU_PNS1_23onesweep_lookback_stateEbbT6_jjT7_P12ihipStream_tbENKUlT_T0_SI_SN_E_clIPiSD_S15_SD_EEDaS11_S12_SI_SN_EUlS11_E_NS1_11comp_targetILNS1_3genE6ELNS1_11target_archE950ELNS1_3gpuE13ELNS1_3repE0EEENS1_47radix_sort_onesweep_sort_config_static_selectorELNS0_4arch9wavefront6targetE1EEEvSI_ ; -- Begin function _ZN7rocprim17ROCPRIM_400000_NS6detail17trampoline_kernelINS0_14default_configENS1_35radix_sort_onesweep_config_selectorIiiEEZZNS1_29radix_sort_onesweep_iterationIS3_Lb0EN6thrust23THRUST_200600_302600_NS6detail15normal_iteratorINS8_10device_ptrIiEEEESD_SD_SD_jNS0_19identity_decomposerENS1_16block_id_wrapperIjLb1EEEEE10hipError_tT1_PNSt15iterator_traitsISI_E10value_typeET2_T3_PNSJ_ISO_E10value_typeET4_T5_PST_SU_PNS1_23onesweep_lookback_stateEbbT6_jjT7_P12ihipStream_tbENKUlT_T0_SI_SN_E_clIPiSD_S15_SD_EEDaS11_S12_SI_SN_EUlS11_E_NS1_11comp_targetILNS1_3genE6ELNS1_11target_archE950ELNS1_3gpuE13ELNS1_3repE0EEENS1_47radix_sort_onesweep_sort_config_static_selectorELNS0_4arch9wavefront6targetE1EEEvSI_
	.globl	_ZN7rocprim17ROCPRIM_400000_NS6detail17trampoline_kernelINS0_14default_configENS1_35radix_sort_onesweep_config_selectorIiiEEZZNS1_29radix_sort_onesweep_iterationIS3_Lb0EN6thrust23THRUST_200600_302600_NS6detail15normal_iteratorINS8_10device_ptrIiEEEESD_SD_SD_jNS0_19identity_decomposerENS1_16block_id_wrapperIjLb1EEEEE10hipError_tT1_PNSt15iterator_traitsISI_E10value_typeET2_T3_PNSJ_ISO_E10value_typeET4_T5_PST_SU_PNS1_23onesweep_lookback_stateEbbT6_jjT7_P12ihipStream_tbENKUlT_T0_SI_SN_E_clIPiSD_S15_SD_EEDaS11_S12_SI_SN_EUlS11_E_NS1_11comp_targetILNS1_3genE6ELNS1_11target_archE950ELNS1_3gpuE13ELNS1_3repE0EEENS1_47radix_sort_onesweep_sort_config_static_selectorELNS0_4arch9wavefront6targetE1EEEvSI_
	.p2align	8
	.type	_ZN7rocprim17ROCPRIM_400000_NS6detail17trampoline_kernelINS0_14default_configENS1_35radix_sort_onesweep_config_selectorIiiEEZZNS1_29radix_sort_onesweep_iterationIS3_Lb0EN6thrust23THRUST_200600_302600_NS6detail15normal_iteratorINS8_10device_ptrIiEEEESD_SD_SD_jNS0_19identity_decomposerENS1_16block_id_wrapperIjLb1EEEEE10hipError_tT1_PNSt15iterator_traitsISI_E10value_typeET2_T3_PNSJ_ISO_E10value_typeET4_T5_PST_SU_PNS1_23onesweep_lookback_stateEbbT6_jjT7_P12ihipStream_tbENKUlT_T0_SI_SN_E_clIPiSD_S15_SD_EEDaS11_S12_SI_SN_EUlS11_E_NS1_11comp_targetILNS1_3genE6ELNS1_11target_archE950ELNS1_3gpuE13ELNS1_3repE0EEENS1_47radix_sort_onesweep_sort_config_static_selectorELNS0_4arch9wavefront6targetE1EEEvSI_,@function
_ZN7rocprim17ROCPRIM_400000_NS6detail17trampoline_kernelINS0_14default_configENS1_35radix_sort_onesweep_config_selectorIiiEEZZNS1_29radix_sort_onesweep_iterationIS3_Lb0EN6thrust23THRUST_200600_302600_NS6detail15normal_iteratorINS8_10device_ptrIiEEEESD_SD_SD_jNS0_19identity_decomposerENS1_16block_id_wrapperIjLb1EEEEE10hipError_tT1_PNSt15iterator_traitsISI_E10value_typeET2_T3_PNSJ_ISO_E10value_typeET4_T5_PST_SU_PNS1_23onesweep_lookback_stateEbbT6_jjT7_P12ihipStream_tbENKUlT_T0_SI_SN_E_clIPiSD_S15_SD_EEDaS11_S12_SI_SN_EUlS11_E_NS1_11comp_targetILNS1_3genE6ELNS1_11target_archE950ELNS1_3gpuE13ELNS1_3repE0EEENS1_47radix_sort_onesweep_sort_config_static_selectorELNS0_4arch9wavefront6targetE1EEEvSI_: ; @_ZN7rocprim17ROCPRIM_400000_NS6detail17trampoline_kernelINS0_14default_configENS1_35radix_sort_onesweep_config_selectorIiiEEZZNS1_29radix_sort_onesweep_iterationIS3_Lb0EN6thrust23THRUST_200600_302600_NS6detail15normal_iteratorINS8_10device_ptrIiEEEESD_SD_SD_jNS0_19identity_decomposerENS1_16block_id_wrapperIjLb1EEEEE10hipError_tT1_PNSt15iterator_traitsISI_E10value_typeET2_T3_PNSJ_ISO_E10value_typeET4_T5_PST_SU_PNS1_23onesweep_lookback_stateEbbT6_jjT7_P12ihipStream_tbENKUlT_T0_SI_SN_E_clIPiSD_S15_SD_EEDaS11_S12_SI_SN_EUlS11_E_NS1_11comp_targetILNS1_3genE6ELNS1_11target_archE950ELNS1_3gpuE13ELNS1_3repE0EEENS1_47radix_sort_onesweep_sort_config_static_selectorELNS0_4arch9wavefront6targetE1EEEvSI_
; %bb.0:
	s_load_dwordx4 s[60:63], s[0:1], 0x28
	s_load_dwordx2 s[68:69], s[0:1], 0x38
	s_load_dwordx4 s[64:67], s[0:1], 0x44
	v_and_b32_e32 v2, 0x3ff, v0
	v_cmp_eq_u32_e64 s[44:45], 0, v2
	s_and_saveexec_b64 s[4:5], s[44:45]
	s_cbranch_execz .LBB841_4
; %bb.1:
	s_mov_b64 s[8:9], exec
	v_mbcnt_lo_u32_b32 v1, s8, 0
	v_mbcnt_hi_u32_b32 v1, s9, v1
	v_cmp_eq_u32_e32 vcc, 0, v1
                                        ; implicit-def: $vgpr3
	s_and_saveexec_b64 s[6:7], vcc
	s_cbranch_execz .LBB841_3
; %bb.2:
	s_load_dwordx2 s[10:11], s[0:1], 0x50
	s_bcnt1_i32_b64 s3, s[8:9]
	v_mov_b32_e32 v3, 0
	v_mov_b32_e32 v4, s3
	s_waitcnt lgkmcnt(0)
	global_atomic_add v3, v3, v4, s[10:11] sc0
.LBB841_3:
	s_or_b64 exec, exec, s[6:7]
	s_waitcnt vmcnt(0)
	v_readfirstlane_b32 s3, v3
	v_mov_b32_e32 v3, 0
	s_nop 0
	v_add_u32_e32 v1, s3, v1
	ds_write_b32 v3, v1 offset:20544
.LBB841_4:
	s_or_b64 exec, exec, s[4:5]
	v_mov_b32_e32 v5, 0
	s_load_dwordx8 s[52:59], s[0:1], 0x0
	s_load_dword s3, s[0:1], 0x20
	s_waitcnt lgkmcnt(0)
	s_barrier
	ds_read_b32 v1, v5 offset:20544
	s_mov_b64 s[4:5], -1
	v_mbcnt_lo_u32_b32 v3, -1, 0
	s_waitcnt lgkmcnt(0)
	s_barrier
	v_cmp_le_u32_e32 vcc, s66, v1
	v_readfirstlane_b32 s33, v1
	v_lshlrev_b32_e32 v1, 4, v2
	s_cbranch_vccz .LBB841_208
; %bb.5:
	s_lshl_b32 s4, s66, 14
	s_sub_i32 s3, s3, s4
	s_lshl_b32 s4, s33, 14
	s_mov_b32 s5, 0
	s_lshl_b64 s[66:67], s[4:5], 2
	v_mbcnt_hi_u32_b32 v12, -1, v3
	s_add_u32 s4, s52, s66
	v_and_b32_e32 v10, 63, v12
	s_addc_u32 s5, s53, s67
	v_and_b32_e32 v11, 0x3c00, v1
	v_lshlrev_b32_e32 v4, 2, v10
	v_lshl_add_u64 v[8:9], s[4:5], 0, v[4:5]
	v_lshlrev_b32_e32 v6, 2, v11
	v_mov_b32_e32 v7, v5
	v_or_b32_e32 v10, v10, v11
	v_mov_b32_e32 v14, -1
	v_lshl_add_u64 v[8:9], v[8:9], 0, v[6:7]
	v_cmp_gt_u32_e32 vcc, s3, v10
	v_mov_b32_e32 v5, -1
	s_and_saveexec_b64 s[4:5], vcc
	s_cbranch_execz .LBB841_7
; %bb.6:
	global_load_dword v5, v[8:9], off
	s_waitcnt vmcnt(0)
	v_xor_b32_e32 v5, 0x80000000, v5
.LBB841_7:
	s_or_b64 exec, exec, s[4:5]
	v_or_b32_e32 v7, 64, v10
	v_cmp_gt_u32_e64 s[4:5], s3, v7
	s_and_saveexec_b64 s[6:7], s[4:5]
	s_cbranch_execz .LBB841_9
; %bb.8:
	global_load_dword v7, v[8:9], off offset:256
	s_waitcnt vmcnt(0)
	v_xor_b32_e32 v14, 0x80000000, v7
.LBB841_9:
	s_or_b64 exec, exec, s[6:7]
	v_or_b32_e32 v7, 0x80, v10
	v_cmp_gt_u32_e64 s[6:7], s3, v7
	v_mov_b32_e32 v7, -1
	v_mov_b32_e32 v15, -1
	s_and_saveexec_b64 s[8:9], s[6:7]
	s_cbranch_execz .LBB841_11
; %bb.10:
	global_load_dword v11, v[8:9], off offset:512
	s_waitcnt vmcnt(0)
	v_xor_b32_e32 v15, 0x80000000, v11
.LBB841_11:
	s_or_b64 exec, exec, s[8:9]
	v_or_b32_e32 v11, 0xc0, v10
	v_cmp_gt_u32_e64 s[8:9], s3, v11
	s_and_saveexec_b64 s[10:11], s[8:9]
	s_cbranch_execz .LBB841_13
; %bb.12:
	global_load_dword v7, v[8:9], off offset:768
	s_waitcnt vmcnt(0)
	v_xor_b32_e32 v7, 0x80000000, v7
.LBB841_13:
	s_or_b64 exec, exec, s[10:11]
	v_or_b32_e32 v11, 0x100, v10
	v_cmp_gt_u32_e64 s[10:11], s3, v11
	v_mov_b32_e32 v16, -1
	v_mov_b32_e32 v17, -1
	s_and_saveexec_b64 s[12:13], s[10:11]
	s_cbranch_execz .LBB841_15
; %bb.14:
	global_load_dword v11, v[8:9], off offset:1024
	s_waitcnt vmcnt(0)
	v_xor_b32_e32 v17, 0x80000000, v11
.LBB841_15:
	;; [unrolled: 22-line block ×7, first 2 shown]
	s_or_b64 exec, exec, s[34:35]
	v_or_b32_e32 v10, 0x3c0, v10
	v_cmp_gt_u32_e64 s[34:35], s3, v10
	s_and_saveexec_b64 s[36:37], s[34:35]
	s_cbranch_execz .LBB841_37
; %bb.36:
	global_load_dword v8, v[8:9], off offset:3840
	s_waitcnt vmcnt(0)
	v_xor_b32_e32 v26, 0x80000000, v8
.LBB841_37:
	s_or_b64 exec, exec, s[36:37]
	s_load_dword s36, s[0:1], 0x64
	s_load_dword s70, s[0:1], 0x58
	s_add_u32 s37, s0, 0x58
	s_addc_u32 s38, s1, 0
	v_mov_b32_e32 v9, 0
	s_waitcnt lgkmcnt(0)
	s_lshr_b32 s39, s36, 16
	s_cmp_lt_u32 s2, s70
	s_cselect_b32 s36, 12, 18
	s_add_u32 s36, s37, s36
	s_addc_u32 s37, s38, 0
	global_load_ushort v40, v9, s[36:37]
	v_lshrrev_b32_e32 v29, s64, v5
	s_lshl_b32 s36, -1, s65
	v_bfe_u32 v8, v0, 10, 10
	v_bfe_u32 v11, v0, 20, 10
	v_bitop3_b32 v38, v29, s36, v29 bitop3:0x30
	s_movk_i32 s72, 0x44
	v_mad_u32_u24 v42, v11, s39, v8
	v_and_b32_e32 v8, 1, v38
	v_lshlrev_b32_e32 v11, 30, v38
	v_mov_b32_e32 v10, v9
	v_mov_b32_e32 v30, v9
	s_not_b32 s71, s36
	v_mul_lo_u32 v43, v38, s72
	v_lshlrev_b32_e32 v29, 29, v38
	v_lshlrev_b32_e32 v31, 28, v38
	v_lshlrev_b32_e32 v33, 27, v38
	v_lshlrev_b32_e32 v35, 26, v38
	v_lshlrev_b32_e32 v37, 25, v38
	v_lshlrev_b32_e32 v41, 24, v38
	v_lshl_add_u64 v[38:39], v[8:9], 0, -1
	v_cmp_ne_u32_e64 s[36:37], 0, v8
	v_not_b32_e32 v8, v11
	v_mov_b32_e32 v28, v9
	v_mov_b32_e32 v32, v9
	v_cmp_gt_i64_e64 s[38:39], 0, v[10:11]
	v_not_b32_e32 v10, v29
	v_cmp_gt_i64_e64 s[42:43], 0, v[30:31]
	v_not_b32_e32 v11, v31
	v_xor_b32_e32 v31, s37, v39
	v_ashrrev_i32_e32 v8, 31, v8
	v_mov_b32_e32 v34, v9
	v_cmp_gt_i64_e64 s[40:41], 0, v[28:29]
	v_cmp_gt_i64_e64 s[46:47], 0, v[32:33]
	v_not_b32_e32 v28, v33
	v_xor_b32_e32 v32, s36, v38
	v_ashrrev_i32_e32 v10, 31, v10
	v_and_b32_e32 v31, exec_hi, v31
	v_xor_b32_e32 v33, s39, v8
	v_cmp_gt_i64_e64 s[48:49], 0, v[34:35]
	v_ashrrev_i32_e32 v11, 31, v11
	v_and_b32_e32 v32, exec_lo, v32
	v_xor_b32_e32 v8, s38, v8
	v_xor_b32_e32 v34, s41, v10
	v_and_b32_e32 v31, v31, v33
	v_mov_b32_e32 v36, v9
	v_not_b32_e32 v29, v35
	v_ashrrev_i32_e32 v28, 31, v28
	v_xor_b32_e32 v10, s40, v10
	v_xor_b32_e32 v35, s43, v11
	v_and_b32_e32 v8, v32, v8
	v_and_b32_e32 v31, v31, v34
	v_cmp_gt_i64_e64 s[50:51], 0, v[36:37]
	v_not_b32_e32 v30, v37
	v_ashrrev_i32_e32 v29, 31, v29
	v_xor_b32_e32 v36, s47, v28
	v_and_b32_e32 v8, v8, v10
	v_and_b32_e32 v10, v31, v35
	v_ashrrev_i32_e32 v30, 31, v30
	v_xor_b32_e32 v11, s42, v11
	v_xor_b32_e32 v37, s49, v29
	v_and_b32_e32 v10, v10, v36
	v_xor_b32_e32 v28, s46, v28
	v_xor_b32_e32 v38, s51, v30
	v_and_b32_e32 v8, v8, v11
	v_and_b32_e32 v10, v10, v37
	;; [unrolled: 1-line block ×4, first 2 shown]
	v_xor_b32_e32 v29, s48, v29
	v_xor_b32_e32 v30, s50, v30
	v_and_b32_e32 v8, v8, v29
	v_and_b32_e32 v8, v8, v30
	v_mul_u32_u24_e32 v13, 20, v2
	ds_write2_b32 v13, v9, v9 offset0:16 offset1:17
	ds_write2_b32 v13, v9, v9 offset0:18 offset1:19
	ds_write_b32 v13, v9 offset:80
	s_waitcnt lgkmcnt(0)
	s_barrier
	s_waitcnt vmcnt(0)
	; wave barrier
	v_mad_u64_u32 v[10:11], s[36:37], v42, v40, v[2:3]
	v_lshrrev_b32_e32 v39, 6, v10
	v_mov_b32_e32 v40, v9
	v_not_b32_e32 v10, v41
	v_cmp_gt_i64_e64 s[36:37], 0, v[40:41]
	v_ashrrev_i32_e32 v10, 31, v10
	v_lshl_add_u32 v32, v39, 2, v43
	v_xor_b32_e32 v11, s37, v10
	v_xor_b32_e32 v10, s36, v10
	v_and_b32_e32 v10, v8, v10
	v_and_b32_e32 v11, v28, v11
	v_mbcnt_lo_u32_b32 v8, v10, 0
	v_mbcnt_hi_u32_b32 v29, v11, v8
	v_cmp_eq_u32_e64 s[36:37], 0, v29
	v_cmp_ne_u64_e64 s[38:39], 0, v[10:11]
	s_and_b64 s[38:39], s[38:39], s[36:37]
	s_and_saveexec_b64 s[36:37], s[38:39]
; %bb.38:
	v_bcnt_u32_b32 v8, v10, 0
	v_bcnt_u32_b32 v8, v11, v8
	ds_write_b32 v32, v8 offset:64
; %bb.39:
	s_or_b64 exec, exec, s[36:37]
	v_lshrrev_b32_e32 v8, s64, v14
	v_and_b32_e32 v30, s71, v8
	v_mul_lo_u32 v8, v30, s72
	v_lshl_add_u32 v34, v39, 2, v8
	v_and_b32_e32 v8, 1, v30
	v_lshl_add_u64 v[10:11], v[8:9], 0, -1
	v_cmp_ne_u32_e64 s[36:37], 0, v8
	; wave barrier
	s_nop 1
	v_xor_b32_e32 v10, s36, v10
	v_xor_b32_e32 v8, s37, v11
	v_and_b32_e32 v31, exec_lo, v10
	v_lshlrev_b32_e32 v11, 30, v30
	v_mov_b32_e32 v10, v9
	v_cmp_gt_i64_e64 s[36:37], 0, v[10:11]
	v_not_b32_e32 v10, v11
	v_ashrrev_i32_e32 v10, 31, v10
	v_and_b32_e32 v8, exec_hi, v8
	v_xor_b32_e32 v11, s37, v10
	v_xor_b32_e32 v10, s36, v10
	v_and_b32_e32 v8, v8, v11
	v_and_b32_e32 v31, v31, v10
	v_lshlrev_b32_e32 v11, 29, v30
	v_mov_b32_e32 v10, v9
	v_cmp_gt_i64_e64 s[36:37], 0, v[10:11]
	v_not_b32_e32 v10, v11
	v_ashrrev_i32_e32 v10, 31, v10
	v_xor_b32_e32 v11, s37, v10
	v_xor_b32_e32 v10, s36, v10
	v_and_b32_e32 v8, v8, v11
	v_and_b32_e32 v31, v31, v10
	v_lshlrev_b32_e32 v11, 28, v30
	v_mov_b32_e32 v10, v9
	v_cmp_gt_i64_e64 s[36:37], 0, v[10:11]
	v_not_b32_e32 v10, v11
	v_ashrrev_i32_e32 v10, 31, v10
	;; [unrolled: 9-line block ×5, first 2 shown]
	v_xor_b32_e32 v11, s37, v10
	v_xor_b32_e32 v10, s36, v10
	v_and_b32_e32 v8, v8, v11
	v_lshlrev_b32_e32 v11, 24, v30
	v_and_b32_e32 v31, v31, v10
	v_mov_b32_e32 v10, v9
	v_not_b32_e32 v9, v11
	v_cmp_gt_i64_e64 s[36:37], 0, v[10:11]
	v_ashrrev_i32_e32 v9, 31, v9
	ds_read_b32 v28, v34 offset:64
	v_xor_b32_e32 v10, s37, v9
	v_xor_b32_e32 v11, s36, v9
	v_and_b32_e32 v9, v8, v10
	v_and_b32_e32 v8, v31, v11
	v_mbcnt_lo_u32_b32 v10, v8, 0
	v_mbcnt_hi_u32_b32 v30, v9, v10
	v_cmp_eq_u32_e64 s[36:37], 0, v30
	v_cmp_ne_u64_e64 s[38:39], 0, v[8:9]
	s_and_b64 s[38:39], s[38:39], s[36:37]
	; wave barrier
	s_and_saveexec_b64 s[36:37], s[38:39]
	s_cbranch_execz .LBB841_41
; %bb.40:
	v_bcnt_u32_b32 v8, v8, 0
	v_bcnt_u32_b32 v8, v9, v8
	s_waitcnt lgkmcnt(0)
	v_add_u32_e32 v8, v28, v8
	ds_write_b32 v34, v8 offset:64
.LBB841_41:
	s_or_b64 exec, exec, s[36:37]
	v_lshrrev_b32_e32 v8, s64, v15
	v_and_b32_e32 v33, s71, v8
	s_movk_i32 s40, 0x44
	v_mul_lo_u32 v8, v33, s40
	v_lshl_add_u32 v37, v39, 2, v8
	v_and_b32_e32 v8, 1, v33
	v_mov_b32_e32 v9, 0
	v_lshl_add_u64 v[10:11], v[8:9], 0, -1
	v_cmp_ne_u32_e64 s[36:37], 0, v8
	; wave barrier
	s_nop 1
	v_xor_b32_e32 v10, s36, v10
	v_xor_b32_e32 v8, s37, v11
	v_and_b32_e32 v35, exec_lo, v10
	v_lshlrev_b32_e32 v11, 30, v33
	v_mov_b32_e32 v10, v9
	v_cmp_gt_i64_e64 s[36:37], 0, v[10:11]
	v_not_b32_e32 v10, v11
	v_ashrrev_i32_e32 v10, 31, v10
	v_and_b32_e32 v8, exec_hi, v8
	v_xor_b32_e32 v11, s37, v10
	v_xor_b32_e32 v10, s36, v10
	v_and_b32_e32 v8, v8, v11
	v_and_b32_e32 v35, v35, v10
	v_lshlrev_b32_e32 v11, 29, v33
	v_mov_b32_e32 v10, v9
	v_cmp_gt_i64_e64 s[36:37], 0, v[10:11]
	v_not_b32_e32 v10, v11
	v_ashrrev_i32_e32 v10, 31, v10
	v_xor_b32_e32 v11, s37, v10
	v_xor_b32_e32 v10, s36, v10
	v_and_b32_e32 v8, v8, v11
	v_and_b32_e32 v35, v35, v10
	v_lshlrev_b32_e32 v11, 28, v33
	v_mov_b32_e32 v10, v9
	v_cmp_gt_i64_e64 s[36:37], 0, v[10:11]
	v_not_b32_e32 v10, v11
	v_ashrrev_i32_e32 v10, 31, v10
	;; [unrolled: 9-line block ×6, first 2 shown]
	v_xor_b32_e32 v11, s37, v10
	v_xor_b32_e32 v10, s36, v10
	ds_read_b32 v31, v37 offset:64
	v_and_b32_e32 v10, v35, v10
	v_and_b32_e32 v11, v8, v11
	v_mbcnt_lo_u32_b32 v8, v10, 0
	v_mbcnt_hi_u32_b32 v33, v11, v8
	v_cmp_eq_u32_e64 s[36:37], 0, v33
	v_cmp_ne_u64_e64 s[38:39], 0, v[10:11]
	s_and_b64 s[38:39], s[38:39], s[36:37]
	; wave barrier
	s_and_saveexec_b64 s[36:37], s[38:39]
	s_cbranch_execz .LBB841_43
; %bb.42:
	v_bcnt_u32_b32 v8, v10, 0
	v_bcnt_u32_b32 v8, v11, v8
	s_waitcnt lgkmcnt(0)
	v_add_u32_e32 v8, v31, v8
	ds_write_b32 v37, v8 offset:64
.LBB841_43:
	s_or_b64 exec, exec, s[36:37]
	v_lshrrev_b32_e32 v8, s64, v7
	v_and_b32_e32 v36, s71, v8
	v_mul_lo_u32 v8, v36, s40
	v_lshl_add_u32 v41, v39, 2, v8
	v_and_b32_e32 v8, 1, v36
	v_lshl_add_u64 v[10:11], v[8:9], 0, -1
	v_cmp_ne_u32_e64 s[36:37], 0, v8
	; wave barrier
	s_nop 1
	v_xor_b32_e32 v10, s36, v10
	v_xor_b32_e32 v8, s37, v11
	v_and_b32_e32 v38, exec_lo, v10
	v_lshlrev_b32_e32 v11, 30, v36
	v_mov_b32_e32 v10, v9
	v_cmp_gt_i64_e64 s[36:37], 0, v[10:11]
	v_not_b32_e32 v10, v11
	v_ashrrev_i32_e32 v10, 31, v10
	v_and_b32_e32 v8, exec_hi, v8
	v_xor_b32_e32 v11, s37, v10
	v_xor_b32_e32 v10, s36, v10
	v_and_b32_e32 v8, v8, v11
	v_and_b32_e32 v38, v38, v10
	v_lshlrev_b32_e32 v11, 29, v36
	v_mov_b32_e32 v10, v9
	v_cmp_gt_i64_e64 s[36:37], 0, v[10:11]
	v_not_b32_e32 v10, v11
	v_ashrrev_i32_e32 v10, 31, v10
	v_xor_b32_e32 v11, s37, v10
	v_xor_b32_e32 v10, s36, v10
	v_and_b32_e32 v8, v8, v11
	v_and_b32_e32 v38, v38, v10
	v_lshlrev_b32_e32 v11, 28, v36
	v_mov_b32_e32 v10, v9
	v_cmp_gt_i64_e64 s[36:37], 0, v[10:11]
	v_not_b32_e32 v10, v11
	v_ashrrev_i32_e32 v10, 31, v10
	v_xor_b32_e32 v11, s37, v10
	v_xor_b32_e32 v10, s36, v10
	v_and_b32_e32 v8, v8, v11
	v_and_b32_e32 v38, v38, v10
	v_lshlrev_b32_e32 v11, 27, v36
	v_mov_b32_e32 v10, v9
	v_cmp_gt_i64_e64 s[36:37], 0, v[10:11]
	v_not_b32_e32 v10, v11
	v_ashrrev_i32_e32 v10, 31, v10
	v_xor_b32_e32 v11, s37, v10
	v_xor_b32_e32 v10, s36, v10
	v_and_b32_e32 v8, v8, v11
	v_and_b32_e32 v38, v38, v10
	v_lshlrev_b32_e32 v11, 26, v36
	v_mov_b32_e32 v10, v9
	v_cmp_gt_i64_e64 s[36:37], 0, v[10:11]
	v_not_b32_e32 v10, v11
	v_ashrrev_i32_e32 v10, 31, v10
	v_xor_b32_e32 v11, s37, v10
	v_xor_b32_e32 v10, s36, v10
	v_and_b32_e32 v8, v8, v11
	v_and_b32_e32 v38, v38, v10
	v_lshlrev_b32_e32 v11, 25, v36
	v_mov_b32_e32 v10, v9
	v_cmp_gt_i64_e64 s[36:37], 0, v[10:11]
	v_not_b32_e32 v10, v11
	v_ashrrev_i32_e32 v10, 31, v10
	v_xor_b32_e32 v11, s37, v10
	v_xor_b32_e32 v10, s36, v10
	v_and_b32_e32 v8, v8, v11
	v_lshlrev_b32_e32 v11, 24, v36
	v_and_b32_e32 v38, v38, v10
	v_mov_b32_e32 v10, v9
	v_not_b32_e32 v9, v11
	v_cmp_gt_i64_e64 s[36:37], 0, v[10:11]
	v_ashrrev_i32_e32 v9, 31, v9
	ds_read_b32 v35, v41 offset:64
	v_xor_b32_e32 v10, s37, v9
	v_xor_b32_e32 v11, s36, v9
	v_and_b32_e32 v9, v8, v10
	v_and_b32_e32 v8, v38, v11
	v_mbcnt_lo_u32_b32 v10, v8, 0
	v_mbcnt_hi_u32_b32 v36, v9, v10
	v_cmp_eq_u32_e64 s[36:37], 0, v36
	v_cmp_ne_u64_e64 s[38:39], 0, v[8:9]
	s_and_b64 s[38:39], s[38:39], s[36:37]
	; wave barrier
	s_and_saveexec_b64 s[36:37], s[38:39]
	s_cbranch_execz .LBB841_45
; %bb.44:
	v_bcnt_u32_b32 v8, v8, 0
	v_bcnt_u32_b32 v8, v9, v8
	s_waitcnt lgkmcnt(0)
	v_add_u32_e32 v8, v35, v8
	ds_write_b32 v41, v8 offset:64
.LBB841_45:
	s_or_b64 exec, exec, s[36:37]
	v_lshrrev_b32_e32 v8, s64, v17
	v_and_b32_e32 v40, s71, v8
	v_mul_lo_u32 v8, v40, s40
	v_lshl_add_u32 v44, v39, 2, v8
	v_and_b32_e32 v8, 1, v40
	v_mov_b32_e32 v9, 0
	v_lshl_add_u64 v[10:11], v[8:9], 0, -1
	v_cmp_ne_u32_e64 s[36:37], 0, v8
	; wave barrier
	s_nop 1
	v_xor_b32_e32 v10, s36, v10
	v_xor_b32_e32 v8, s37, v11
	v_and_b32_e32 v42, exec_lo, v10
	v_lshlrev_b32_e32 v11, 30, v40
	v_mov_b32_e32 v10, v9
	v_cmp_gt_i64_e64 s[36:37], 0, v[10:11]
	v_not_b32_e32 v10, v11
	v_ashrrev_i32_e32 v10, 31, v10
	v_and_b32_e32 v8, exec_hi, v8
	v_xor_b32_e32 v11, s37, v10
	v_xor_b32_e32 v10, s36, v10
	v_and_b32_e32 v8, v8, v11
	v_and_b32_e32 v42, v42, v10
	v_lshlrev_b32_e32 v11, 29, v40
	v_mov_b32_e32 v10, v9
	v_cmp_gt_i64_e64 s[36:37], 0, v[10:11]
	v_not_b32_e32 v10, v11
	v_ashrrev_i32_e32 v10, 31, v10
	v_xor_b32_e32 v11, s37, v10
	v_xor_b32_e32 v10, s36, v10
	v_and_b32_e32 v8, v8, v11
	v_and_b32_e32 v42, v42, v10
	v_lshlrev_b32_e32 v11, 28, v40
	v_mov_b32_e32 v10, v9
	v_cmp_gt_i64_e64 s[36:37], 0, v[10:11]
	v_not_b32_e32 v10, v11
	v_ashrrev_i32_e32 v10, 31, v10
	;; [unrolled: 9-line block ×6, first 2 shown]
	v_xor_b32_e32 v11, s37, v10
	v_xor_b32_e32 v10, s36, v10
	ds_read_b32 v38, v44 offset:64
	v_and_b32_e32 v10, v42, v10
	v_and_b32_e32 v11, v8, v11
	v_mbcnt_lo_u32_b32 v8, v10, 0
	v_mbcnt_hi_u32_b32 v40, v11, v8
	v_cmp_eq_u32_e64 s[36:37], 0, v40
	v_cmp_ne_u64_e64 s[38:39], 0, v[10:11]
	s_and_b64 s[38:39], s[38:39], s[36:37]
	; wave barrier
	s_and_saveexec_b64 s[36:37], s[38:39]
	s_cbranch_execz .LBB841_47
; %bb.46:
	v_bcnt_u32_b32 v8, v10, 0
	v_bcnt_u32_b32 v8, v11, v8
	s_waitcnt lgkmcnt(0)
	v_add_u32_e32 v8, v38, v8
	ds_write_b32 v44, v8 offset:64
.LBB841_47:
	s_or_b64 exec, exec, s[36:37]
	v_lshrrev_b32_e32 v8, s64, v16
	v_and_b32_e32 v43, s71, v8
	v_mul_lo_u32 v8, v43, s40
	v_lshl_add_u32 v46, v39, 2, v8
	v_and_b32_e32 v8, 1, v43
	v_lshl_add_u64 v[10:11], v[8:9], 0, -1
	v_cmp_ne_u32_e64 s[36:37], 0, v8
	; wave barrier
	s_nop 1
	v_xor_b32_e32 v10, s36, v10
	v_xor_b32_e32 v8, s37, v11
	v_and_b32_e32 v45, exec_lo, v10
	v_lshlrev_b32_e32 v11, 30, v43
	v_mov_b32_e32 v10, v9
	v_cmp_gt_i64_e64 s[36:37], 0, v[10:11]
	v_not_b32_e32 v10, v11
	v_ashrrev_i32_e32 v10, 31, v10
	v_and_b32_e32 v8, exec_hi, v8
	v_xor_b32_e32 v11, s37, v10
	v_xor_b32_e32 v10, s36, v10
	v_and_b32_e32 v8, v8, v11
	v_and_b32_e32 v45, v45, v10
	v_lshlrev_b32_e32 v11, 29, v43
	v_mov_b32_e32 v10, v9
	v_cmp_gt_i64_e64 s[36:37], 0, v[10:11]
	v_not_b32_e32 v10, v11
	v_ashrrev_i32_e32 v10, 31, v10
	v_xor_b32_e32 v11, s37, v10
	v_xor_b32_e32 v10, s36, v10
	v_and_b32_e32 v8, v8, v11
	v_and_b32_e32 v45, v45, v10
	v_lshlrev_b32_e32 v11, 28, v43
	v_mov_b32_e32 v10, v9
	v_cmp_gt_i64_e64 s[36:37], 0, v[10:11]
	v_not_b32_e32 v10, v11
	v_ashrrev_i32_e32 v10, 31, v10
	;; [unrolled: 9-line block ×5, first 2 shown]
	v_xor_b32_e32 v11, s37, v10
	v_xor_b32_e32 v10, s36, v10
	v_and_b32_e32 v8, v8, v11
	v_lshlrev_b32_e32 v11, 24, v43
	v_and_b32_e32 v45, v45, v10
	v_mov_b32_e32 v10, v9
	v_not_b32_e32 v9, v11
	v_cmp_gt_i64_e64 s[36:37], 0, v[10:11]
	v_ashrrev_i32_e32 v9, 31, v9
	ds_read_b32 v42, v46 offset:64
	v_xor_b32_e32 v10, s37, v9
	v_xor_b32_e32 v11, s36, v9
	v_and_b32_e32 v9, v8, v10
	v_and_b32_e32 v8, v45, v11
	v_mbcnt_lo_u32_b32 v10, v8, 0
	v_mbcnt_hi_u32_b32 v43, v9, v10
	v_cmp_eq_u32_e64 s[36:37], 0, v43
	v_cmp_ne_u64_e64 s[38:39], 0, v[8:9]
	s_and_b64 s[38:39], s[38:39], s[36:37]
	; wave barrier
	s_and_saveexec_b64 s[36:37], s[38:39]
	s_cbranch_execz .LBB841_49
; %bb.48:
	v_bcnt_u32_b32 v8, v8, 0
	v_bcnt_u32_b32 v8, v9, v8
	s_waitcnt lgkmcnt(0)
	v_add_u32_e32 v8, v42, v8
	ds_write_b32 v46, v8 offset:64
.LBB841_49:
	s_or_b64 exec, exec, s[36:37]
	v_lshrrev_b32_e32 v8, s64, v19
	v_and_b32_e32 v47, s71, v8
	v_mul_lo_u32 v8, v47, s40
	v_lshl_add_u32 v49, v39, 2, v8
	v_and_b32_e32 v8, 1, v47
	v_mov_b32_e32 v9, 0
	v_lshl_add_u64 v[10:11], v[8:9], 0, -1
	v_cmp_ne_u32_e64 s[36:37], 0, v8
	; wave barrier
	s_nop 1
	v_xor_b32_e32 v10, s36, v10
	v_xor_b32_e32 v8, s37, v11
	v_and_b32_e32 v48, exec_lo, v10
	v_lshlrev_b32_e32 v11, 30, v47
	v_mov_b32_e32 v10, v9
	v_cmp_gt_i64_e64 s[36:37], 0, v[10:11]
	v_not_b32_e32 v10, v11
	v_ashrrev_i32_e32 v10, 31, v10
	v_and_b32_e32 v8, exec_hi, v8
	v_xor_b32_e32 v11, s37, v10
	v_xor_b32_e32 v10, s36, v10
	v_and_b32_e32 v8, v8, v11
	v_and_b32_e32 v48, v48, v10
	v_lshlrev_b32_e32 v11, 29, v47
	v_mov_b32_e32 v10, v9
	v_cmp_gt_i64_e64 s[36:37], 0, v[10:11]
	v_not_b32_e32 v10, v11
	v_ashrrev_i32_e32 v10, 31, v10
	v_xor_b32_e32 v11, s37, v10
	v_xor_b32_e32 v10, s36, v10
	v_and_b32_e32 v8, v8, v11
	v_and_b32_e32 v48, v48, v10
	v_lshlrev_b32_e32 v11, 28, v47
	v_mov_b32_e32 v10, v9
	v_cmp_gt_i64_e64 s[36:37], 0, v[10:11]
	v_not_b32_e32 v10, v11
	v_ashrrev_i32_e32 v10, 31, v10
	v_xor_b32_e32 v11, s37, v10
	v_xor_b32_e32 v10, s36, v10
	v_and_b32_e32 v8, v8, v11
	v_and_b32_e32 v48, v48, v10
	v_lshlrev_b32_e32 v11, 27, v47
	v_mov_b32_e32 v10, v9
	v_cmp_gt_i64_e64 s[36:37], 0, v[10:11]
	v_not_b32_e32 v10, v11
	v_ashrrev_i32_e32 v10, 31, v10
	v_xor_b32_e32 v11, s37, v10
	v_xor_b32_e32 v10, s36, v10
	v_and_b32_e32 v8, v8, v11
	v_and_b32_e32 v48, v48, v10
	v_lshlrev_b32_e32 v11, 26, v47
	v_mov_b32_e32 v10, v9
	v_cmp_gt_i64_e64 s[36:37], 0, v[10:11]
	v_not_b32_e32 v10, v11
	v_ashrrev_i32_e32 v10, 31, v10
	v_xor_b32_e32 v11, s37, v10
	v_xor_b32_e32 v10, s36, v10
	v_and_b32_e32 v8, v8, v11
	v_and_b32_e32 v48, v48, v10
	v_lshlrev_b32_e32 v11, 25, v47
	v_mov_b32_e32 v10, v9
	v_cmp_gt_i64_e64 s[36:37], 0, v[10:11]
	v_not_b32_e32 v10, v11
	v_ashrrev_i32_e32 v10, 31, v10
	v_xor_b32_e32 v11, s37, v10
	v_xor_b32_e32 v10, s36, v10
	v_and_b32_e32 v8, v8, v11
	v_and_b32_e32 v48, v48, v10
	v_lshlrev_b32_e32 v11, 24, v47
	v_mov_b32_e32 v10, v9
	v_cmp_gt_i64_e64 s[36:37], 0, v[10:11]
	v_not_b32_e32 v10, v11
	v_ashrrev_i32_e32 v10, 31, v10
	v_xor_b32_e32 v11, s37, v10
	v_xor_b32_e32 v10, s36, v10
	ds_read_b32 v45, v49 offset:64
	v_and_b32_e32 v10, v48, v10
	v_and_b32_e32 v11, v8, v11
	v_mbcnt_lo_u32_b32 v8, v10, 0
	v_mbcnt_hi_u32_b32 v47, v11, v8
	v_cmp_eq_u32_e64 s[36:37], 0, v47
	v_cmp_ne_u64_e64 s[38:39], 0, v[10:11]
	s_and_b64 s[38:39], s[38:39], s[36:37]
	; wave barrier
	s_and_saveexec_b64 s[36:37], s[38:39]
	s_cbranch_execz .LBB841_51
; %bb.50:
	v_bcnt_u32_b32 v8, v10, 0
	v_bcnt_u32_b32 v8, v11, v8
	s_waitcnt lgkmcnt(0)
	v_add_u32_e32 v8, v45, v8
	ds_write_b32 v49, v8 offset:64
.LBB841_51:
	s_or_b64 exec, exec, s[36:37]
	v_lshrrev_b32_e32 v8, s64, v18
	v_and_b32_e32 v50, s71, v8
	v_mul_lo_u32 v8, v50, s40
	v_lshl_add_u32 v52, v39, 2, v8
	v_and_b32_e32 v8, 1, v50
	v_lshl_add_u64 v[10:11], v[8:9], 0, -1
	v_cmp_ne_u32_e64 s[36:37], 0, v8
	; wave barrier
	s_nop 1
	v_xor_b32_e32 v10, s36, v10
	v_xor_b32_e32 v8, s37, v11
	v_and_b32_e32 v51, exec_lo, v10
	v_lshlrev_b32_e32 v11, 30, v50
	v_mov_b32_e32 v10, v9
	v_cmp_gt_i64_e64 s[36:37], 0, v[10:11]
	v_not_b32_e32 v10, v11
	v_ashrrev_i32_e32 v10, 31, v10
	v_and_b32_e32 v8, exec_hi, v8
	v_xor_b32_e32 v11, s37, v10
	v_xor_b32_e32 v10, s36, v10
	v_and_b32_e32 v8, v8, v11
	v_and_b32_e32 v51, v51, v10
	v_lshlrev_b32_e32 v11, 29, v50
	v_mov_b32_e32 v10, v9
	v_cmp_gt_i64_e64 s[36:37], 0, v[10:11]
	v_not_b32_e32 v10, v11
	v_ashrrev_i32_e32 v10, 31, v10
	v_xor_b32_e32 v11, s37, v10
	v_xor_b32_e32 v10, s36, v10
	v_and_b32_e32 v8, v8, v11
	v_and_b32_e32 v51, v51, v10
	v_lshlrev_b32_e32 v11, 28, v50
	v_mov_b32_e32 v10, v9
	v_cmp_gt_i64_e64 s[36:37], 0, v[10:11]
	v_not_b32_e32 v10, v11
	v_ashrrev_i32_e32 v10, 31, v10
	;; [unrolled: 9-line block ×5, first 2 shown]
	v_xor_b32_e32 v11, s37, v10
	v_xor_b32_e32 v10, s36, v10
	v_and_b32_e32 v8, v8, v11
	v_lshlrev_b32_e32 v11, 24, v50
	v_and_b32_e32 v51, v51, v10
	v_mov_b32_e32 v10, v9
	v_not_b32_e32 v9, v11
	v_cmp_gt_i64_e64 s[36:37], 0, v[10:11]
	v_ashrrev_i32_e32 v9, 31, v9
	ds_read_b32 v48, v52 offset:64
	v_xor_b32_e32 v10, s37, v9
	v_xor_b32_e32 v11, s36, v9
	v_and_b32_e32 v9, v8, v10
	v_and_b32_e32 v8, v51, v11
	v_mbcnt_lo_u32_b32 v10, v8, 0
	v_mbcnt_hi_u32_b32 v50, v9, v10
	v_cmp_eq_u32_e64 s[36:37], 0, v50
	v_cmp_ne_u64_e64 s[38:39], 0, v[8:9]
	s_and_b64 s[38:39], s[38:39], s[36:37]
	; wave barrier
	s_and_saveexec_b64 s[36:37], s[38:39]
	s_cbranch_execz .LBB841_53
; %bb.52:
	v_bcnt_u32_b32 v8, v8, 0
	v_bcnt_u32_b32 v8, v9, v8
	s_waitcnt lgkmcnt(0)
	v_add_u32_e32 v8, v48, v8
	ds_write_b32 v52, v8 offset:64
.LBB841_53:
	s_or_b64 exec, exec, s[36:37]
	v_lshrrev_b32_e32 v8, s64, v21
	v_and_b32_e32 v53, s71, v8
	v_mul_lo_u32 v8, v53, s40
	v_lshl_add_u32 v55, v39, 2, v8
	v_and_b32_e32 v8, 1, v53
	v_mov_b32_e32 v9, 0
	v_lshl_add_u64 v[10:11], v[8:9], 0, -1
	v_cmp_ne_u32_e64 s[36:37], 0, v8
	; wave barrier
	s_nop 1
	v_xor_b32_e32 v10, s36, v10
	v_xor_b32_e32 v8, s37, v11
	v_and_b32_e32 v54, exec_lo, v10
	v_lshlrev_b32_e32 v11, 30, v53
	v_mov_b32_e32 v10, v9
	v_cmp_gt_i64_e64 s[36:37], 0, v[10:11]
	v_not_b32_e32 v10, v11
	v_ashrrev_i32_e32 v10, 31, v10
	v_and_b32_e32 v8, exec_hi, v8
	v_xor_b32_e32 v11, s37, v10
	v_xor_b32_e32 v10, s36, v10
	v_and_b32_e32 v8, v8, v11
	v_and_b32_e32 v54, v54, v10
	v_lshlrev_b32_e32 v11, 29, v53
	v_mov_b32_e32 v10, v9
	v_cmp_gt_i64_e64 s[36:37], 0, v[10:11]
	v_not_b32_e32 v10, v11
	v_ashrrev_i32_e32 v10, 31, v10
	v_xor_b32_e32 v11, s37, v10
	v_xor_b32_e32 v10, s36, v10
	v_and_b32_e32 v8, v8, v11
	v_and_b32_e32 v54, v54, v10
	v_lshlrev_b32_e32 v11, 28, v53
	v_mov_b32_e32 v10, v9
	v_cmp_gt_i64_e64 s[36:37], 0, v[10:11]
	v_not_b32_e32 v10, v11
	v_ashrrev_i32_e32 v10, 31, v10
	;; [unrolled: 9-line block ×6, first 2 shown]
	v_xor_b32_e32 v11, s37, v10
	v_xor_b32_e32 v10, s36, v10
	ds_read_b32 v51, v55 offset:64
	v_and_b32_e32 v10, v54, v10
	v_and_b32_e32 v11, v8, v11
	v_mbcnt_lo_u32_b32 v8, v10, 0
	v_mbcnt_hi_u32_b32 v53, v11, v8
	v_cmp_eq_u32_e64 s[36:37], 0, v53
	v_cmp_ne_u64_e64 s[38:39], 0, v[10:11]
	s_and_b64 s[38:39], s[38:39], s[36:37]
	; wave barrier
	s_and_saveexec_b64 s[36:37], s[38:39]
	s_cbranch_execz .LBB841_55
; %bb.54:
	v_bcnt_u32_b32 v8, v10, 0
	v_bcnt_u32_b32 v8, v11, v8
	s_waitcnt lgkmcnt(0)
	v_add_u32_e32 v8, v51, v8
	ds_write_b32 v55, v8 offset:64
.LBB841_55:
	s_or_b64 exec, exec, s[36:37]
	v_lshrrev_b32_e32 v8, s64, v20
	v_and_b32_e32 v56, s71, v8
	v_mul_lo_u32 v8, v56, s40
	v_lshl_add_u32 v58, v39, 2, v8
	v_and_b32_e32 v8, 1, v56
	v_lshl_add_u64 v[10:11], v[8:9], 0, -1
	v_cmp_ne_u32_e64 s[36:37], 0, v8
	; wave barrier
	s_nop 1
	v_xor_b32_e32 v10, s36, v10
	v_xor_b32_e32 v8, s37, v11
	v_and_b32_e32 v57, exec_lo, v10
	v_lshlrev_b32_e32 v11, 30, v56
	v_mov_b32_e32 v10, v9
	v_cmp_gt_i64_e64 s[36:37], 0, v[10:11]
	v_not_b32_e32 v10, v11
	v_ashrrev_i32_e32 v10, 31, v10
	v_and_b32_e32 v8, exec_hi, v8
	v_xor_b32_e32 v11, s37, v10
	v_xor_b32_e32 v10, s36, v10
	v_and_b32_e32 v8, v8, v11
	v_and_b32_e32 v57, v57, v10
	v_lshlrev_b32_e32 v11, 29, v56
	v_mov_b32_e32 v10, v9
	v_cmp_gt_i64_e64 s[36:37], 0, v[10:11]
	v_not_b32_e32 v10, v11
	v_ashrrev_i32_e32 v10, 31, v10
	v_xor_b32_e32 v11, s37, v10
	v_xor_b32_e32 v10, s36, v10
	v_and_b32_e32 v8, v8, v11
	v_and_b32_e32 v57, v57, v10
	v_lshlrev_b32_e32 v11, 28, v56
	v_mov_b32_e32 v10, v9
	v_cmp_gt_i64_e64 s[36:37], 0, v[10:11]
	v_not_b32_e32 v10, v11
	v_ashrrev_i32_e32 v10, 31, v10
	;; [unrolled: 9-line block ×5, first 2 shown]
	v_xor_b32_e32 v11, s37, v10
	v_xor_b32_e32 v10, s36, v10
	v_and_b32_e32 v8, v8, v11
	v_lshlrev_b32_e32 v11, 24, v56
	v_and_b32_e32 v57, v57, v10
	v_mov_b32_e32 v10, v9
	v_not_b32_e32 v9, v11
	v_cmp_gt_i64_e64 s[36:37], 0, v[10:11]
	v_ashrrev_i32_e32 v9, 31, v9
	ds_read_b32 v54, v58 offset:64
	v_xor_b32_e32 v10, s37, v9
	v_xor_b32_e32 v11, s36, v9
	v_and_b32_e32 v9, v8, v10
	v_and_b32_e32 v8, v57, v11
	v_mbcnt_lo_u32_b32 v10, v8, 0
	v_mbcnt_hi_u32_b32 v56, v9, v10
	v_cmp_eq_u32_e64 s[36:37], 0, v56
	v_cmp_ne_u64_e64 s[38:39], 0, v[8:9]
	s_and_b64 s[38:39], s[38:39], s[36:37]
	; wave barrier
	s_and_saveexec_b64 s[36:37], s[38:39]
	s_cbranch_execz .LBB841_57
; %bb.56:
	v_bcnt_u32_b32 v8, v8, 0
	v_bcnt_u32_b32 v8, v9, v8
	s_waitcnt lgkmcnt(0)
	v_add_u32_e32 v8, v54, v8
	ds_write_b32 v58, v8 offset:64
.LBB841_57:
	s_or_b64 exec, exec, s[36:37]
	v_lshrrev_b32_e32 v8, s64, v23
	v_and_b32_e32 v59, s71, v8
	v_mul_lo_u32 v8, v59, s40
	v_lshl_add_u32 v61, v39, 2, v8
	v_and_b32_e32 v8, 1, v59
	v_mov_b32_e32 v9, 0
	v_lshl_add_u64 v[10:11], v[8:9], 0, -1
	v_cmp_ne_u32_e64 s[36:37], 0, v8
	; wave barrier
	s_nop 1
	v_xor_b32_e32 v10, s36, v10
	v_xor_b32_e32 v8, s37, v11
	v_and_b32_e32 v60, exec_lo, v10
	v_lshlrev_b32_e32 v11, 30, v59
	v_mov_b32_e32 v10, v9
	v_cmp_gt_i64_e64 s[36:37], 0, v[10:11]
	v_not_b32_e32 v10, v11
	v_ashrrev_i32_e32 v10, 31, v10
	v_and_b32_e32 v8, exec_hi, v8
	v_xor_b32_e32 v11, s37, v10
	v_xor_b32_e32 v10, s36, v10
	v_and_b32_e32 v8, v8, v11
	v_and_b32_e32 v60, v60, v10
	v_lshlrev_b32_e32 v11, 29, v59
	v_mov_b32_e32 v10, v9
	v_cmp_gt_i64_e64 s[36:37], 0, v[10:11]
	v_not_b32_e32 v10, v11
	v_ashrrev_i32_e32 v10, 31, v10
	v_xor_b32_e32 v11, s37, v10
	v_xor_b32_e32 v10, s36, v10
	v_and_b32_e32 v8, v8, v11
	v_and_b32_e32 v60, v60, v10
	v_lshlrev_b32_e32 v11, 28, v59
	v_mov_b32_e32 v10, v9
	v_cmp_gt_i64_e64 s[36:37], 0, v[10:11]
	v_not_b32_e32 v10, v11
	v_ashrrev_i32_e32 v10, 31, v10
	;; [unrolled: 9-line block ×6, first 2 shown]
	v_xor_b32_e32 v11, s37, v10
	v_xor_b32_e32 v10, s36, v10
	ds_read_b32 v57, v61 offset:64
	v_and_b32_e32 v10, v60, v10
	v_and_b32_e32 v11, v8, v11
	v_mbcnt_lo_u32_b32 v8, v10, 0
	v_mbcnt_hi_u32_b32 v59, v11, v8
	v_cmp_eq_u32_e64 s[36:37], 0, v59
	v_cmp_ne_u64_e64 s[38:39], 0, v[10:11]
	s_and_b64 s[38:39], s[38:39], s[36:37]
	; wave barrier
	s_and_saveexec_b64 s[36:37], s[38:39]
	s_cbranch_execz .LBB841_59
; %bb.58:
	v_bcnt_u32_b32 v8, v10, 0
	v_bcnt_u32_b32 v8, v11, v8
	s_waitcnt lgkmcnt(0)
	v_add_u32_e32 v8, v57, v8
	ds_write_b32 v61, v8 offset:64
.LBB841_59:
	s_or_b64 exec, exec, s[36:37]
	v_lshrrev_b32_e32 v8, s64, v22
	v_and_b32_e32 v62, s71, v8
	v_mul_lo_u32 v8, v62, s40
	v_lshl_add_u32 v64, v39, 2, v8
	v_and_b32_e32 v8, 1, v62
	v_lshl_add_u64 v[10:11], v[8:9], 0, -1
	v_cmp_ne_u32_e64 s[36:37], 0, v8
	; wave barrier
	s_nop 1
	v_xor_b32_e32 v10, s36, v10
	v_xor_b32_e32 v8, s37, v11
	v_and_b32_e32 v63, exec_lo, v10
	v_lshlrev_b32_e32 v11, 30, v62
	v_mov_b32_e32 v10, v9
	v_cmp_gt_i64_e64 s[36:37], 0, v[10:11]
	v_not_b32_e32 v10, v11
	v_ashrrev_i32_e32 v10, 31, v10
	v_and_b32_e32 v8, exec_hi, v8
	v_xor_b32_e32 v11, s37, v10
	v_xor_b32_e32 v10, s36, v10
	v_and_b32_e32 v8, v8, v11
	v_and_b32_e32 v63, v63, v10
	v_lshlrev_b32_e32 v11, 29, v62
	v_mov_b32_e32 v10, v9
	v_cmp_gt_i64_e64 s[36:37], 0, v[10:11]
	v_not_b32_e32 v10, v11
	v_ashrrev_i32_e32 v10, 31, v10
	v_xor_b32_e32 v11, s37, v10
	v_xor_b32_e32 v10, s36, v10
	v_and_b32_e32 v8, v8, v11
	v_and_b32_e32 v63, v63, v10
	v_lshlrev_b32_e32 v11, 28, v62
	v_mov_b32_e32 v10, v9
	v_cmp_gt_i64_e64 s[36:37], 0, v[10:11]
	v_not_b32_e32 v10, v11
	v_ashrrev_i32_e32 v10, 31, v10
	;; [unrolled: 9-line block ×5, first 2 shown]
	v_xor_b32_e32 v11, s37, v10
	v_xor_b32_e32 v10, s36, v10
	v_and_b32_e32 v8, v8, v11
	v_lshlrev_b32_e32 v11, 24, v62
	v_and_b32_e32 v63, v63, v10
	v_mov_b32_e32 v10, v9
	v_not_b32_e32 v9, v11
	v_cmp_gt_i64_e64 s[36:37], 0, v[10:11]
	v_ashrrev_i32_e32 v9, 31, v9
	ds_read_b32 v60, v64 offset:64
	v_xor_b32_e32 v10, s37, v9
	v_xor_b32_e32 v11, s36, v9
	v_and_b32_e32 v9, v8, v10
	v_and_b32_e32 v8, v63, v11
	v_mbcnt_lo_u32_b32 v10, v8, 0
	v_mbcnt_hi_u32_b32 v62, v9, v10
	v_cmp_eq_u32_e64 s[36:37], 0, v62
	v_cmp_ne_u64_e64 s[38:39], 0, v[8:9]
	s_and_b64 s[38:39], s[38:39], s[36:37]
	; wave barrier
	s_and_saveexec_b64 s[36:37], s[38:39]
	s_cbranch_execz .LBB841_61
; %bb.60:
	v_bcnt_u32_b32 v8, v8, 0
	v_bcnt_u32_b32 v8, v9, v8
	s_waitcnt lgkmcnt(0)
	v_add_u32_e32 v8, v60, v8
	ds_write_b32 v64, v8 offset:64
.LBB841_61:
	s_or_b64 exec, exec, s[36:37]
	v_lshrrev_b32_e32 v8, s64, v25
	v_and_b32_e32 v65, s71, v8
	v_mul_lo_u32 v8, v65, s40
	v_lshl_add_u32 v67, v39, 2, v8
	v_and_b32_e32 v8, 1, v65
	v_mov_b32_e32 v9, 0
	v_lshl_add_u64 v[10:11], v[8:9], 0, -1
	v_cmp_ne_u32_e64 s[36:37], 0, v8
	; wave barrier
	s_nop 1
	v_xor_b32_e32 v10, s36, v10
	v_xor_b32_e32 v8, s37, v11
	v_and_b32_e32 v66, exec_lo, v10
	v_lshlrev_b32_e32 v11, 30, v65
	v_mov_b32_e32 v10, v9
	v_cmp_gt_i64_e64 s[36:37], 0, v[10:11]
	v_not_b32_e32 v10, v11
	v_ashrrev_i32_e32 v10, 31, v10
	v_and_b32_e32 v8, exec_hi, v8
	v_xor_b32_e32 v11, s37, v10
	v_xor_b32_e32 v10, s36, v10
	v_and_b32_e32 v8, v8, v11
	v_and_b32_e32 v66, v66, v10
	v_lshlrev_b32_e32 v11, 29, v65
	v_mov_b32_e32 v10, v9
	v_cmp_gt_i64_e64 s[36:37], 0, v[10:11]
	v_not_b32_e32 v10, v11
	v_ashrrev_i32_e32 v10, 31, v10
	v_xor_b32_e32 v11, s37, v10
	v_xor_b32_e32 v10, s36, v10
	v_and_b32_e32 v8, v8, v11
	v_and_b32_e32 v66, v66, v10
	v_lshlrev_b32_e32 v11, 28, v65
	v_mov_b32_e32 v10, v9
	v_cmp_gt_i64_e64 s[36:37], 0, v[10:11]
	v_not_b32_e32 v10, v11
	v_ashrrev_i32_e32 v10, 31, v10
	;; [unrolled: 9-line block ×6, first 2 shown]
	v_xor_b32_e32 v11, s37, v10
	v_xor_b32_e32 v10, s36, v10
	ds_read_b32 v63, v67 offset:64
	v_and_b32_e32 v10, v66, v10
	v_and_b32_e32 v11, v8, v11
	v_mbcnt_lo_u32_b32 v8, v10, 0
	v_mbcnt_hi_u32_b32 v65, v11, v8
	v_cmp_eq_u32_e64 s[36:37], 0, v65
	v_cmp_ne_u64_e64 s[38:39], 0, v[10:11]
	s_and_b64 s[38:39], s[38:39], s[36:37]
	; wave barrier
	s_and_saveexec_b64 s[36:37], s[38:39]
	s_cbranch_execz .LBB841_63
; %bb.62:
	v_bcnt_u32_b32 v8, v10, 0
	v_bcnt_u32_b32 v8, v11, v8
	s_waitcnt lgkmcnt(0)
	v_add_u32_e32 v8, v63, v8
	ds_write_b32 v67, v8 offset:64
.LBB841_63:
	s_or_b64 exec, exec, s[36:37]
	v_lshrrev_b32_e32 v8, s64, v24
	v_and_b32_e32 v68, s71, v8
	v_mul_lo_u32 v8, v68, s40
	v_lshl_add_u32 v70, v39, 2, v8
	v_and_b32_e32 v8, 1, v68
	v_lshl_add_u64 v[10:11], v[8:9], 0, -1
	v_cmp_ne_u32_e64 s[36:37], 0, v8
	; wave barrier
	s_nop 1
	v_xor_b32_e32 v10, s36, v10
	v_xor_b32_e32 v8, s37, v11
	v_and_b32_e32 v69, exec_lo, v10
	v_lshlrev_b32_e32 v11, 30, v68
	v_mov_b32_e32 v10, v9
	v_cmp_gt_i64_e64 s[36:37], 0, v[10:11]
	v_not_b32_e32 v10, v11
	v_ashrrev_i32_e32 v10, 31, v10
	v_and_b32_e32 v8, exec_hi, v8
	v_xor_b32_e32 v11, s37, v10
	v_xor_b32_e32 v10, s36, v10
	v_and_b32_e32 v8, v8, v11
	v_and_b32_e32 v69, v69, v10
	v_lshlrev_b32_e32 v11, 29, v68
	v_mov_b32_e32 v10, v9
	v_cmp_gt_i64_e64 s[36:37], 0, v[10:11]
	v_not_b32_e32 v10, v11
	v_ashrrev_i32_e32 v10, 31, v10
	v_xor_b32_e32 v11, s37, v10
	v_xor_b32_e32 v10, s36, v10
	v_and_b32_e32 v8, v8, v11
	v_and_b32_e32 v69, v69, v10
	v_lshlrev_b32_e32 v11, 28, v68
	v_mov_b32_e32 v10, v9
	v_cmp_gt_i64_e64 s[36:37], 0, v[10:11]
	v_not_b32_e32 v10, v11
	v_ashrrev_i32_e32 v10, 31, v10
	;; [unrolled: 9-line block ×5, first 2 shown]
	v_xor_b32_e32 v11, s37, v10
	v_xor_b32_e32 v10, s36, v10
	v_and_b32_e32 v8, v8, v11
	v_lshlrev_b32_e32 v11, 24, v68
	v_and_b32_e32 v69, v69, v10
	v_mov_b32_e32 v10, v9
	v_not_b32_e32 v9, v11
	v_cmp_gt_i64_e64 s[36:37], 0, v[10:11]
	v_ashrrev_i32_e32 v9, 31, v9
	ds_read_b32 v66, v70 offset:64
	v_xor_b32_e32 v10, s37, v9
	v_xor_b32_e32 v11, s36, v9
	v_and_b32_e32 v9, v8, v10
	v_and_b32_e32 v8, v69, v11
	v_mbcnt_lo_u32_b32 v10, v8, 0
	v_mbcnt_hi_u32_b32 v68, v9, v10
	v_cmp_eq_u32_e64 s[36:37], 0, v68
	v_cmp_ne_u64_e64 s[38:39], 0, v[8:9]
	s_and_b64 s[38:39], s[38:39], s[36:37]
	; wave barrier
	s_and_saveexec_b64 s[36:37], s[38:39]
	s_cbranch_execz .LBB841_65
; %bb.64:
	v_bcnt_u32_b32 v8, v8, 0
	v_bcnt_u32_b32 v8, v9, v8
	s_waitcnt lgkmcnt(0)
	v_add_u32_e32 v8, v66, v8
	ds_write_b32 v70, v8 offset:64
.LBB841_65:
	s_or_b64 exec, exec, s[36:37]
	v_lshrrev_b32_e32 v8, s64, v27
	v_and_b32_e32 v71, s71, v8
	v_mul_lo_u32 v8, v71, s40
	v_lshl_add_u32 v72, v39, 2, v8
	v_and_b32_e32 v8, 1, v71
	v_mov_b32_e32 v9, 0
	v_lshl_add_u64 v[10:11], v[8:9], 0, -1
	v_cmp_ne_u32_e64 s[36:37], 0, v8
	; wave barrier
	s_nop 1
	v_xor_b32_e32 v10, s36, v10
	v_xor_b32_e32 v8, s37, v11
	v_and_b32_e32 v73, exec_lo, v10
	v_lshlrev_b32_e32 v11, 30, v71
	v_mov_b32_e32 v10, v9
	v_cmp_gt_i64_e64 s[36:37], 0, v[10:11]
	v_not_b32_e32 v10, v11
	v_ashrrev_i32_e32 v10, 31, v10
	v_and_b32_e32 v8, exec_hi, v8
	v_xor_b32_e32 v11, s37, v10
	v_xor_b32_e32 v10, s36, v10
	v_and_b32_e32 v8, v8, v11
	v_and_b32_e32 v73, v73, v10
	v_lshlrev_b32_e32 v11, 29, v71
	v_mov_b32_e32 v10, v9
	v_cmp_gt_i64_e64 s[36:37], 0, v[10:11]
	v_not_b32_e32 v10, v11
	v_ashrrev_i32_e32 v10, 31, v10
	v_xor_b32_e32 v11, s37, v10
	v_xor_b32_e32 v10, s36, v10
	v_and_b32_e32 v8, v8, v11
	v_and_b32_e32 v73, v73, v10
	v_lshlrev_b32_e32 v11, 28, v71
	v_mov_b32_e32 v10, v9
	v_cmp_gt_i64_e64 s[36:37], 0, v[10:11]
	v_not_b32_e32 v10, v11
	v_ashrrev_i32_e32 v10, 31, v10
	v_xor_b32_e32 v11, s37, v10
	v_xor_b32_e32 v10, s36, v10
	v_and_b32_e32 v8, v8, v11
	v_and_b32_e32 v73, v73, v10
	v_lshlrev_b32_e32 v11, 27, v71
	v_mov_b32_e32 v10, v9
	v_cmp_gt_i64_e64 s[36:37], 0, v[10:11]
	v_not_b32_e32 v10, v11
	v_ashrrev_i32_e32 v10, 31, v10
	v_xor_b32_e32 v11, s37, v10
	v_xor_b32_e32 v10, s36, v10
	v_and_b32_e32 v8, v8, v11
	v_and_b32_e32 v73, v73, v10
	v_lshlrev_b32_e32 v11, 26, v71
	v_mov_b32_e32 v10, v9
	v_cmp_gt_i64_e64 s[36:37], 0, v[10:11]
	v_not_b32_e32 v10, v11
	v_ashrrev_i32_e32 v10, 31, v10
	v_xor_b32_e32 v11, s37, v10
	v_xor_b32_e32 v10, s36, v10
	v_and_b32_e32 v8, v8, v11
	v_and_b32_e32 v73, v73, v10
	v_lshlrev_b32_e32 v11, 25, v71
	v_mov_b32_e32 v10, v9
	v_cmp_gt_i64_e64 s[36:37], 0, v[10:11]
	v_not_b32_e32 v10, v11
	v_ashrrev_i32_e32 v10, 31, v10
	v_xor_b32_e32 v11, s37, v10
	v_xor_b32_e32 v10, s36, v10
	v_and_b32_e32 v8, v8, v11
	v_and_b32_e32 v73, v73, v10
	v_lshlrev_b32_e32 v11, 24, v71
	v_mov_b32_e32 v10, v9
	v_cmp_gt_i64_e64 s[36:37], 0, v[10:11]
	v_not_b32_e32 v10, v11
	v_ashrrev_i32_e32 v10, 31, v10
	v_xor_b32_e32 v11, s37, v10
	v_xor_b32_e32 v10, s36, v10
	ds_read_b32 v69, v72 offset:64
	v_and_b32_e32 v10, v73, v10
	v_and_b32_e32 v11, v8, v11
	v_mbcnt_lo_u32_b32 v8, v10, 0
	v_mbcnt_hi_u32_b32 v71, v11, v8
	v_cmp_eq_u32_e64 s[36:37], 0, v71
	v_cmp_ne_u64_e64 s[38:39], 0, v[10:11]
	s_and_b64 s[38:39], s[38:39], s[36:37]
	; wave barrier
	s_and_saveexec_b64 s[36:37], s[38:39]
	s_cbranch_execz .LBB841_67
; %bb.66:
	v_bcnt_u32_b32 v8, v10, 0
	v_bcnt_u32_b32 v8, v11, v8
	s_waitcnt lgkmcnt(0)
	v_add_u32_e32 v8, v69, v8
	ds_write_b32 v72, v8 offset:64
.LBB841_67:
	s_or_b64 exec, exec, s[36:37]
	v_lshrrev_b32_e32 v8, s64, v26
	v_and_b32_e32 v73, s71, v8
	v_mul_lo_u32 v8, v73, s40
	v_lshl_add_u32 v74, v39, 2, v8
	v_and_b32_e32 v8, 1, v73
	v_lshl_add_u64 v[10:11], v[8:9], 0, -1
	v_cmp_ne_u32_e64 s[36:37], 0, v8
	; wave barrier
	s_nop 1
	v_xor_b32_e32 v10, s36, v10
	v_xor_b32_e32 v8, s37, v11
	v_and_b32_e32 v75, exec_lo, v10
	v_lshlrev_b32_e32 v11, 30, v73
	v_mov_b32_e32 v10, v9
	v_cmp_gt_i64_e64 s[36:37], 0, v[10:11]
	v_not_b32_e32 v10, v11
	v_ashrrev_i32_e32 v10, 31, v10
	v_and_b32_e32 v8, exec_hi, v8
	v_xor_b32_e32 v11, s37, v10
	v_xor_b32_e32 v10, s36, v10
	v_and_b32_e32 v8, v8, v11
	v_and_b32_e32 v75, v75, v10
	v_lshlrev_b32_e32 v11, 29, v73
	v_mov_b32_e32 v10, v9
	v_cmp_gt_i64_e64 s[36:37], 0, v[10:11]
	v_not_b32_e32 v10, v11
	v_ashrrev_i32_e32 v10, 31, v10
	v_xor_b32_e32 v11, s37, v10
	v_xor_b32_e32 v10, s36, v10
	v_and_b32_e32 v8, v8, v11
	v_and_b32_e32 v75, v75, v10
	v_lshlrev_b32_e32 v11, 28, v73
	v_mov_b32_e32 v10, v9
	v_cmp_gt_i64_e64 s[36:37], 0, v[10:11]
	v_not_b32_e32 v10, v11
	v_ashrrev_i32_e32 v10, 31, v10
	;; [unrolled: 9-line block ×5, first 2 shown]
	v_xor_b32_e32 v11, s37, v10
	v_xor_b32_e32 v10, s36, v10
	v_and_b32_e32 v8, v8, v11
	v_lshlrev_b32_e32 v11, 24, v73
	v_and_b32_e32 v75, v75, v10
	v_mov_b32_e32 v10, v9
	v_not_b32_e32 v9, v11
	v_cmp_gt_i64_e64 s[36:37], 0, v[10:11]
	v_ashrrev_i32_e32 v9, 31, v9
	ds_read_b32 v39, v74 offset:64
	v_xor_b32_e32 v10, s37, v9
	v_xor_b32_e32 v11, s36, v9
	v_and_b32_e32 v9, v8, v10
	v_and_b32_e32 v8, v75, v11
	v_mbcnt_lo_u32_b32 v10, v8, 0
	v_mbcnt_hi_u32_b32 v73, v9, v10
	v_cmp_eq_u32_e64 s[36:37], 0, v73
	v_cmp_ne_u64_e64 s[38:39], 0, v[8:9]
	s_and_b64 s[38:39], s[38:39], s[36:37]
	; wave barrier
	s_and_saveexec_b64 s[36:37], s[38:39]
	s_cbranch_execz .LBB841_69
; %bb.68:
	v_bcnt_u32_b32 v8, v8, 0
	v_bcnt_u32_b32 v8, v9, v8
	s_waitcnt lgkmcnt(0)
	v_add_u32_e32 v8, v39, v8
	ds_write_b32 v74, v8 offset:64
.LBB841_69:
	s_or_b64 exec, exec, s[36:37]
	; wave barrier
	s_waitcnt lgkmcnt(0)
	s_barrier
	ds_read2_b32 v[10:11], v13 offset0:16 offset1:17
	ds_read2_b32 v[8:9], v13 offset0:18 offset1:19
	ds_read_b32 v75, v13 offset:80
	v_cmp_lt_u32_e64 s[46:47], 31, v12
	s_waitcnt lgkmcnt(1)
	v_add3_u32 v76, v11, v10, v8
	s_waitcnt lgkmcnt(0)
	v_add3_u32 v75, v76, v9, v75
	v_and_b32_e32 v76, 15, v12
	v_cmp_eq_u32_e64 s[36:37], 0, v76
	v_mov_b32_dpp v77, v75 row_shr:1 row_mask:0xf bank_mask:0xf
	v_cmp_lt_u32_e64 s[38:39], 1, v76
	v_cndmask_b32_e64 v77, v77, 0, s[36:37]
	v_add_u32_e32 v75, v77, v75
	v_cmp_lt_u32_e64 s[40:41], 3, v76
	v_cmp_lt_u32_e64 s[42:43], 7, v76
	v_mov_b32_dpp v77, v75 row_shr:2 row_mask:0xf bank_mask:0xf
	v_cndmask_b32_e64 v77, 0, v77, s[38:39]
	v_add_u32_e32 v75, v75, v77
	s_nop 1
	v_mov_b32_dpp v77, v75 row_shr:4 row_mask:0xf bank_mask:0xf
	v_cndmask_b32_e64 v77, 0, v77, s[40:41]
	v_add_u32_e32 v75, v75, v77
	s_nop 1
	v_mov_b32_dpp v77, v75 row_shr:8 row_mask:0xf bank_mask:0xf
	v_cndmask_b32_e64 v76, 0, v77, s[42:43]
	v_add_u32_e32 v75, v75, v76
	v_bfe_i32 v77, v12, 4, 1
	s_nop 0
	v_mov_b32_dpp v76, v75 row_bcast:15 row_mask:0xf bank_mask:0xf
	v_and_b32_e32 v76, v77, v76
	v_add_u32_e32 v75, v75, v76
	v_and_b32_e32 v77, 63, v2
	s_nop 0
	v_mov_b32_dpp v76, v75 row_bcast:31 row_mask:0xf bank_mask:0xf
	v_cndmask_b32_e64 v76, 0, v76, s[46:47]
	v_add_u32_e32 v75, v75, v76
	v_lshrrev_b32_e32 v76, 6, v2
	v_cmp_eq_u32_e64 s[46:47], 63, v77
	s_and_saveexec_b64 s[48:49], s[46:47]
; %bb.70:
	v_lshlrev_b32_e32 v77, 2, v76
	ds_write_b32 v77, v75
; %bb.71:
	s_or_b64 exec, exec, s[48:49]
	v_cmp_gt_u32_e64 s[46:47], 16, v2
	s_waitcnt lgkmcnt(0)
	s_barrier
	s_and_saveexec_b64 s[48:49], s[46:47]
	s_cbranch_execz .LBB841_73
; %bb.72:
	v_lshlrev_b32_e32 v77, 2, v2
	ds_read_b32 v78, v77
	s_waitcnt lgkmcnt(0)
	s_nop 0
	v_mov_b32_dpp v79, v78 row_shr:1 row_mask:0xf bank_mask:0xf
	v_cndmask_b32_e64 v79, v79, 0, s[36:37]
	v_add_u32_e32 v78, v79, v78
	s_nop 1
	v_mov_b32_dpp v79, v78 row_shr:2 row_mask:0xf bank_mask:0xf
	v_cndmask_b32_e64 v79, 0, v79, s[38:39]
	v_add_u32_e32 v78, v78, v79
	;; [unrolled: 4-line block ×4, first 2 shown]
	ds_write_b32 v77, v78
.LBB841_73:
	s_or_b64 exec, exec, s[48:49]
	v_cmp_lt_u32_e64 s[36:37], 63, v2
	v_mov_b32_e32 v77, 0
	s_waitcnt lgkmcnt(0)
	s_barrier
	s_and_saveexec_b64 s[38:39], s[36:37]
; %bb.74:
	v_lshl_add_u32 v76, v76, 2, -4
	ds_read_b32 v77, v76
; %bb.75:
	s_or_b64 exec, exec, s[38:39]
	v_subrev_co_u32_e64 v76, s[36:37], 1, v12
	v_and_b32_e32 v78, 64, v12
	v_cmp_lt_i32_e64 s[38:39], v76, v78
	s_waitcnt lgkmcnt(0)
	v_add_u32_e32 v75, v77, v75
	s_movk_i32 s40, 0x100
	v_cndmask_b32_e64 v12, v76, v12, s[38:39]
	v_lshlrev_b32_e32 v12, 2, v12
	ds_bpermute_b32 v12, v12, v75
	v_cmp_gt_u32_e64 s[38:39], s40, v2
	s_waitcnt lgkmcnt(0)
	v_cndmask_b32_e64 v12, v12, v77, s[36:37]
	v_cndmask_b32_e64 v12, v12, 0, s[44:45]
	v_add_u32_e32 v10, v12, v10
	v_add_u32_e32 v11, v10, v11
	;; [unrolled: 1-line block ×4, first 2 shown]
	ds_write2_b32 v13, v12, v10 offset0:16 offset1:17
	ds_write2_b32 v13, v11, v8 offset0:18 offset1:19
	ds_write_b32 v13, v9 offset:80
	s_waitcnt lgkmcnt(0)
	s_barrier
	ds_read_b32 v84, v32 offset:64
	ds_read_b32 v75, v34 offset:64
	;; [unrolled: 1-line block ×16, first 2 shown]
	s_movk_i32 s36, 0xff
	v_cmp_lt_u32_e64 s[36:37], s36, v2
                                        ; implicit-def: $vgpr32
                                        ; implicit-def: $vgpr34
	s_and_saveexec_b64 s[42:43], s[38:39]
	s_cbranch_execz .LBB841_79
; %bb.76:
	v_mul_u32_u24_e32 v8, 0x44, v2
	ds_read_b32 v32, v8 offset:64
	v_add_u32_e32 v9, 1, v2
	v_cmp_ne_u32_e64 s[40:41], s40, v9
	v_mov_b32_e32 v8, 0x4000
	s_and_saveexec_b64 s[46:47], s[40:41]
; %bb.77:
	v_mul_u32_u24_e32 v8, 0x44, v9
	ds_read_b32 v8, v8 offset:64
; %bb.78:
	s_or_b64 exec, exec, s[46:47]
	s_waitcnt lgkmcnt(0)
	v_sub_u32_e32 v34, v8, v32
.LBB841_79:
	s_or_b64 exec, exec, s[42:43]
	v_mov_b32_e32 v9, 0
	v_lshlrev_b32_e32 v37, 2, v2
	s_waitcnt lgkmcnt(0)
	s_barrier
	s_and_saveexec_b64 s[40:41], s[38:39]
	s_cbranch_execz .LBB841_89
; %bb.80:
	v_lshl_add_u32 v8, s33, 8, v2
	v_lshl_add_u64 v[10:11], v[8:9], 2, s[68:69]
	v_or_b32_e32 v8, 2.0, v34
	s_mov_b64 s[42:43], 0
	s_brev_b32 s50, -4
	s_mov_b32 s51, s33
	v_mov_b32_e32 v55, 0
	global_store_dword v[10:11], v8, off sc1
                                        ; implicit-def: $sgpr38_sgpr39
	s_branch .LBB841_83
.LBB841_81:                             ;   in Loop: Header=BB841_83 Depth=1
	s_or_b64 exec, exec, s[48:49]
.LBB841_82:                             ;   in Loop: Header=BB841_83 Depth=1
	s_or_b64 exec, exec, s[46:47]
	v_and_b32_e32 v12, 0x3fffffff, v8
	v_add_u32_e32 v55, v12, v55
	v_cmp_gt_i32_e64 s[38:39], -2.0, v8
	s_and_b64 s[46:47], exec, s[38:39]
	s_or_b64 s[42:43], s[46:47], s[42:43]
	s_andn2_b64 exec, exec, s[42:43]
	s_cbranch_execz .LBB841_88
.LBB841_83:                             ; =>This Loop Header: Depth=1
                                        ;     Child Loop BB841_86 Depth 2
	s_or_b64 s[38:39], s[38:39], exec
	s_cmp_eq_u32 s51, 0
	s_cbranch_scc1 .LBB841_87
; %bb.84:                               ;   in Loop: Header=BB841_83 Depth=1
	s_add_i32 s51, s51, -1
	v_lshl_or_b32 v8, s51, 8, v2
	v_lshl_add_u64 v[12:13], v[8:9], 2, s[68:69]
	global_load_dword v8, v[12:13], off sc1
	s_waitcnt vmcnt(0)
	v_cmp_gt_u32_e64 s[38:39], 2.0, v8
	s_and_saveexec_b64 s[46:47], s[38:39]
	s_cbranch_execz .LBB841_82
; %bb.85:                               ;   in Loop: Header=BB841_83 Depth=1
	s_mov_b64 s[48:49], 0
.LBB841_86:                             ;   Parent Loop BB841_83 Depth=1
                                        ; =>  This Inner Loop Header: Depth=2
	global_load_dword v8, v[12:13], off sc1
	s_waitcnt vmcnt(0)
	v_cmp_lt_u32_e64 s[38:39], s50, v8
	s_or_b64 s[48:49], s[38:39], s[48:49]
	s_andn2_b64 exec, exec, s[48:49]
	s_cbranch_execnz .LBB841_86
	s_branch .LBB841_81
.LBB841_87:                             ;   in Loop: Header=BB841_83 Depth=1
                                        ; implicit-def: $sgpr51
	s_and_b64 s[46:47], exec, s[38:39]
	s_or_b64 s[42:43], s[46:47], s[42:43]
	s_andn2_b64 exec, exec, s[42:43]
	s_cbranch_execnz .LBB841_83
.LBB841_88:
	s_or_b64 exec, exec, s[42:43]
	v_add_u32_e32 v8, v55, v34
	v_or_b32_e32 v8, 0x80000000, v8
	global_store_dword v[10:11], v8, off sc1
	global_load_dword v8, v37, s[60:61]
	v_sub_u32_e32 v9, v55, v32
	s_waitcnt vmcnt(0)
	v_add_u32_e32 v8, v9, v8
	ds_write_b32 v37, v8
.LBB841_89:
	s_or_b64 exec, exec, s[40:41]
	v_add_u32_e32 v10, v84, v29
	v_add3_u32 v8, v30, v28, v75
	v_add3_u32 v9, v33, v31, v76
	;; [unrolled: 1-line block ×15, first 2 shown]
	v_mov_b32_e32 v88, 0x400
	s_movk_i32 s42, 0x400
	v_lshl_add_u32 v11, v11, 2, v88
	v_add3_u32 v12, v73, v49, v39
	v_lshl_add_u32 v13, v13, 2, v88
	v_add3_u32 v29, v71, v44, v69
	;; [unrolled: 2-line block ×15, first 2 shown]
	v_lshl_add_u32 v30, v10, 2, v88
	s_mov_b32 s43, 0
	s_mov_b32 s46, 0
	s_movk_i32 s47, 0x1000
	v_mov_b32_e32 v9, 0
	s_movk_i32 s48, 0x800
	s_movk_i32 s49, 0xc00
	v_mov_b32_e32 v59, v2
	s_mov_b32 s50, 0
	s_branch .LBB841_91
.LBB841_90:                             ;   in Loop: Header=BB841_91 Depth=1
	s_or_b64 exec, exec, s[40:41]
	s_addk_i32 s50, 0xc000
	s_add_i32 s43, s43, 16
	s_addk_i32 s46, 0xf000
	s_cmp_eq_u32 s50, 0xffff0000
	v_add_u32_e32 v59, 0x1000, v59
	s_barrier
	s_cbranch_scc1 .LBB841_131
.LBB841_91:                             ; =>This Inner Loop Header: Depth=1
	v_add_u32_e32 v8, s46, v10
	v_cmp_gt_u32_e64 s[38:39], s47, v8
	s_and_saveexec_b64 s[40:41], s[38:39]
; %bb.92:                               ;   in Loop: Header=BB841_91 Depth=1
	v_add_u32_e32 v8, s50, v30
	ds_write_b32 v8, v5
; %bb.93:                               ;   in Loop: Header=BB841_91 Depth=1
	s_or_b64 exec, exec, s[40:41]
	v_add_u32_e32 v8, s46, v28
	v_cmp_gt_u32_e64 s[38:39], s47, v8
	s_and_saveexec_b64 s[40:41], s[38:39]
; %bb.94:                               ;   in Loop: Header=BB841_91 Depth=1
	v_add_u32_e32 v8, s50, v33
	ds_write_b32 v8, v14
; %bb.95:                               ;   in Loop: Header=BB841_91 Depth=1
	s_or_b64 exec, exec, s[40:41]
	;; [unrolled: 8-line block ×4, first 2 shown]
	v_add_u32_e32 v8, s46, v38
	v_cmp_gt_u32_e64 s[38:39], s47, v8
	s_and_saveexec_b64 s[40:41], s[38:39]
; %bb.100:                              ;   in Loop: Header=BB841_91 Depth=1
	v_add_u32_e32 v8, s50, v43
	ds_write_b32 v8, v17
; %bb.101:                              ;   in Loop: Header=BB841_91 Depth=1
	s_or_b64 exec, exec, s[40:41]
	v_add_u32_e32 v8, s46, v42
	v_cmp_gt_u32_e64 s[38:39], s47, v8
	s_and_saveexec_b64 s[40:41], s[38:39]
; %bb.102:                              ;   in Loop: Header=BB841_91 Depth=1
	v_add_u32_e32 v8, s50, v47
	ds_write_b32 v8, v16
; %bb.103:                              ;   in Loop: Header=BB841_91 Depth=1
	s_or_b64 exec, exec, s[40:41]
	;; [unrolled: 8-line block ×12, first 2 shown]
	v_cmp_gt_u32_e64 s[38:39], s3, v59
	s_waitcnt lgkmcnt(0)
	s_barrier
	s_and_saveexec_b64 s[40:41], s[38:39]
	s_cbranch_execz .LBB841_125
; %bb.124:                              ;   in Loop: Header=BB841_91 Depth=1
	ds_read_b32 v8, v37 offset:1024
	s_waitcnt lgkmcnt(0)
	v_lshrrev_b32_e32 v60, s64, v8
	v_and_b32_e32 v62, s71, v60
	v_lshlrev_b32_e32 v60, 2, v62
	ds_read_b32 v60, v60
	v_xor_b32_e32 v63, 0x80000000, v8
	s_waitcnt lgkmcnt(0)
	v_add_u32_e32 v8, v59, v60
	v_lshl_add_u64 v[60:61], v[8:9], 2, s[54:55]
	global_store_dword v[60:61], v63, off
	scratch_store_dword off, v62, s43
.LBB841_125:                            ;   in Loop: Header=BB841_91 Depth=1
	s_or_b64 exec, exec, s[40:41]
	v_add_u32_e32 v8, 0x400, v59
	v_cmp_gt_u32_e64 s[38:39], s3, v8
	s_and_saveexec_b64 s[40:41], s[38:39]
	s_cbranch_execz .LBB841_127
; %bb.126:                              ;   in Loop: Header=BB841_91 Depth=1
	ds_read_b32 v8, v37 offset:5120
	s_add_i32 s38, s43, 4
	s_waitcnt lgkmcnt(0)
	v_lshrrev_b32_e32 v60, s64, v8
	v_and_b32_e32 v62, s71, v60
	v_lshlrev_b32_e32 v60, 2, v62
	ds_read_b32 v60, v60
	v_xor_b32_e32 v63, 0x80000000, v8
	s_waitcnt lgkmcnt(0)
	v_add3_u32 v8, v59, v60, s42
	v_lshl_add_u64 v[60:61], v[8:9], 2, s[54:55]
	global_store_dword v[60:61], v63, off
	scratch_store_dword off, v62, s38
.LBB841_127:                            ;   in Loop: Header=BB841_91 Depth=1
	s_or_b64 exec, exec, s[40:41]
	v_add_u32_e32 v8, 0x800, v59
	v_cmp_gt_u32_e64 s[38:39], s3, v8
	s_and_saveexec_b64 s[40:41], s[38:39]
	s_cbranch_execz .LBB841_129
; %bb.128:                              ;   in Loop: Header=BB841_91 Depth=1
	ds_read_b32 v8, v37 offset:9216
	s_add_i32 s38, s43, 8
	s_waitcnt lgkmcnt(0)
	v_lshrrev_b32_e32 v60, s64, v8
	v_and_b32_e32 v62, s71, v60
	v_lshlrev_b32_e32 v60, 2, v62
	ds_read_b32 v60, v60
	v_xor_b32_e32 v63, 0x80000000, v8
	s_waitcnt lgkmcnt(0)
	v_add3_u32 v8, v59, v60, s48
	v_lshl_add_u64 v[60:61], v[8:9], 2, s[54:55]
	global_store_dword v[60:61], v63, off
	scratch_store_dword off, v62, s38
.LBB841_129:                            ;   in Loop: Header=BB841_91 Depth=1
	s_or_b64 exec, exec, s[40:41]
	v_add_u32_e32 v8, 0xc00, v59
	v_cmp_gt_u32_e64 s[38:39], s3, v8
	s_and_saveexec_b64 s[40:41], s[38:39]
	s_cbranch_execz .LBB841_90
; %bb.130:                              ;   in Loop: Header=BB841_91 Depth=1
	ds_read_b32 v8, v37 offset:13312
	s_add_i32 s38, s43, 12
	s_waitcnt lgkmcnt(0)
	v_lshrrev_b32_e32 v60, s64, v8
	v_and_b32_e32 v62, s71, v60
	v_lshlrev_b32_e32 v60, 2, v62
	ds_read_b32 v60, v60
	v_xor_b32_e32 v63, 0x80000000, v8
	s_waitcnt lgkmcnt(0)
	v_add3_u32 v8, v59, v60, s49
	v_lshl_add_u64 v[60:61], v[8:9], 2, s[54:55]
	global_store_dword v[60:61], v63, off
	scratch_store_dword off, v62, s38
	s_branch .LBB841_90
.LBB841_131:
	s_add_u32 s38, s56, s66
	s_addc_u32 s39, s57, s67
	v_mov_b32_e32 v5, 0
	v_lshl_add_u64 v[8:9], s[38:39], 0, v[4:5]
	v_mov_b32_e32 v7, v5
	v_lshl_add_u64 v[4:5], v[8:9], 0, v[6:7]
                                        ; implicit-def: $vgpr6
	s_and_saveexec_b64 s[38:39], vcc
	s_cbranch_execz .LBB841_147
; %bb.132:
	global_load_dword v6, v[4:5], off
	s_or_b64 exec, exec, s[38:39]
                                        ; implicit-def: $vgpr7
	s_and_saveexec_b64 s[38:39], s[4:5]
	s_cbranch_execnz .LBB841_148
.LBB841_133:
	s_or_b64 exec, exec, s[38:39]
                                        ; implicit-def: $vgpr8
	s_and_saveexec_b64 s[4:5], s[6:7]
	s_cbranch_execz .LBB841_149
.LBB841_134:
	global_load_dword v8, v[4:5], off offset:512
	s_or_b64 exec, exec, s[4:5]
                                        ; implicit-def: $vgpr9
	s_and_saveexec_b64 s[4:5], s[8:9]
	s_cbranch_execnz .LBB841_150
.LBB841_135:
	s_or_b64 exec, exec, s[4:5]
                                        ; implicit-def: $vgpr14
	s_and_saveexec_b64 s[4:5], s[10:11]
	s_cbranch_execz .LBB841_151
.LBB841_136:
	global_load_dword v14, v[4:5], off offset:1024
	s_or_b64 exec, exec, s[4:5]
                                        ; implicit-def: $vgpr15
	s_and_saveexec_b64 s[4:5], s[12:13]
	s_cbranch_execnz .LBB841_152
.LBB841_137:
	s_or_b64 exec, exec, s[4:5]
                                        ; implicit-def: $vgpr16
	s_and_saveexec_b64 s[4:5], s[14:15]
	s_cbranch_execz .LBB841_153
.LBB841_138:
	global_load_dword v16, v[4:5], off offset:1536
	s_or_b64 exec, exec, s[4:5]
                                        ; implicit-def: $vgpr17
	s_and_saveexec_b64 s[4:5], s[16:17]
	s_cbranch_execnz .LBB841_154
.LBB841_139:
	s_or_b64 exec, exec, s[4:5]
                                        ; implicit-def: $vgpr18
	s_and_saveexec_b64 s[4:5], s[18:19]
	s_cbranch_execz .LBB841_155
.LBB841_140:
	global_load_dword v18, v[4:5], off offset:2048
	s_or_b64 exec, exec, s[4:5]
                                        ; implicit-def: $vgpr19
	s_and_saveexec_b64 s[4:5], s[20:21]
	s_cbranch_execnz .LBB841_156
.LBB841_141:
	s_or_b64 exec, exec, s[4:5]
                                        ; implicit-def: $vgpr20
	s_and_saveexec_b64 s[4:5], s[22:23]
	s_cbranch_execz .LBB841_157
.LBB841_142:
	global_load_dword v20, v[4:5], off offset:2560
	s_or_b64 exec, exec, s[4:5]
                                        ; implicit-def: $vgpr21
	s_and_saveexec_b64 s[4:5], s[24:25]
	s_cbranch_execnz .LBB841_158
.LBB841_143:
	s_or_b64 exec, exec, s[4:5]
                                        ; implicit-def: $vgpr22
	s_and_saveexec_b64 s[4:5], s[26:27]
	s_cbranch_execz .LBB841_159
.LBB841_144:
	global_load_dword v22, v[4:5], off offset:3072
	s_or_b64 exec, exec, s[4:5]
                                        ; implicit-def: $vgpr23
	s_and_saveexec_b64 s[4:5], s[28:29]
	s_cbranch_execnz .LBB841_160
.LBB841_145:
	s_or_b64 exec, exec, s[4:5]
                                        ; implicit-def: $vgpr24
	s_and_saveexec_b64 s[4:5], s[30:31]
	s_cbranch_execz .LBB841_161
.LBB841_146:
	global_load_dword v24, v[4:5], off offset:3584
	s_or_b64 exec, exec, s[4:5]
                                        ; implicit-def: $vgpr25
	s_and_saveexec_b64 s[4:5], s[34:35]
	s_cbranch_execnz .LBB841_162
	s_branch .LBB841_163
.LBB841_147:
	s_or_b64 exec, exec, s[38:39]
                                        ; implicit-def: $vgpr7
	s_and_saveexec_b64 s[38:39], s[4:5]
	s_cbranch_execz .LBB841_133
.LBB841_148:
	global_load_dword v7, v[4:5], off offset:256
	s_or_b64 exec, exec, s[38:39]
                                        ; implicit-def: $vgpr8
	s_and_saveexec_b64 s[4:5], s[6:7]
	s_cbranch_execnz .LBB841_134
.LBB841_149:
	s_or_b64 exec, exec, s[4:5]
                                        ; implicit-def: $vgpr9
	s_and_saveexec_b64 s[4:5], s[8:9]
	s_cbranch_execz .LBB841_135
.LBB841_150:
	global_load_dword v9, v[4:5], off offset:768
	s_or_b64 exec, exec, s[4:5]
                                        ; implicit-def: $vgpr14
	s_and_saveexec_b64 s[4:5], s[10:11]
	s_cbranch_execnz .LBB841_136
.LBB841_151:
	s_or_b64 exec, exec, s[4:5]
                                        ; implicit-def: $vgpr15
	s_and_saveexec_b64 s[4:5], s[12:13]
	s_cbranch_execz .LBB841_137
.LBB841_152:
	global_load_dword v15, v[4:5], off offset:1280
	s_or_b64 exec, exec, s[4:5]
                                        ; implicit-def: $vgpr16
	s_and_saveexec_b64 s[4:5], s[14:15]
	s_cbranch_execnz .LBB841_138
.LBB841_153:
	s_or_b64 exec, exec, s[4:5]
                                        ; implicit-def: $vgpr17
	s_and_saveexec_b64 s[4:5], s[16:17]
	s_cbranch_execz .LBB841_139
.LBB841_154:
	global_load_dword v17, v[4:5], off offset:1792
	s_or_b64 exec, exec, s[4:5]
                                        ; implicit-def: $vgpr18
	s_and_saveexec_b64 s[4:5], s[18:19]
	s_cbranch_execnz .LBB841_140
.LBB841_155:
	s_or_b64 exec, exec, s[4:5]
                                        ; implicit-def: $vgpr19
	s_and_saveexec_b64 s[4:5], s[20:21]
	s_cbranch_execz .LBB841_141
.LBB841_156:
	global_load_dword v19, v[4:5], off offset:2304
	s_or_b64 exec, exec, s[4:5]
                                        ; implicit-def: $vgpr20
	s_and_saveexec_b64 s[4:5], s[22:23]
	s_cbranch_execnz .LBB841_142
.LBB841_157:
	s_or_b64 exec, exec, s[4:5]
                                        ; implicit-def: $vgpr21
	s_and_saveexec_b64 s[4:5], s[24:25]
	s_cbranch_execz .LBB841_143
.LBB841_158:
	global_load_dword v21, v[4:5], off offset:2816
	s_or_b64 exec, exec, s[4:5]
                                        ; implicit-def: $vgpr22
	s_and_saveexec_b64 s[4:5], s[26:27]
	s_cbranch_execnz .LBB841_144
.LBB841_159:
	s_or_b64 exec, exec, s[4:5]
                                        ; implicit-def: $vgpr23
	s_and_saveexec_b64 s[4:5], s[28:29]
	s_cbranch_execz .LBB841_145
.LBB841_160:
	global_load_dword v23, v[4:5], off offset:3328
	s_or_b64 exec, exec, s[4:5]
                                        ; implicit-def: $vgpr24
	s_and_saveexec_b64 s[4:5], s[30:31]
	s_cbranch_execnz .LBB841_146
.LBB841_161:
	s_or_b64 exec, exec, s[4:5]
                                        ; implicit-def: $vgpr25
	s_and_saveexec_b64 s[4:5], s[34:35]
	s_cbranch_execz .LBB841_163
.LBB841_162:
	global_load_dword v25, v[4:5], off offset:3840
.LBB841_163:
	s_or_b64 exec, exec, s[4:5]
	s_mov_b32 s6, 0
	s_mov_b32 s7, 0
	s_movk_i32 s8, 0x1000
	v_mov_b32_e32 v5, 0
	s_movk_i32 s9, 0x400
	s_movk_i32 s10, 0x800
	s_movk_i32 s11, 0xc00
	s_mov_b32 s12, 0
	v_mov_b32_e32 v26, v2
	s_branch .LBB841_165
.LBB841_164:                            ;   in Loop: Header=BB841_165 Depth=1
	s_or_b64 exec, exec, s[4:5]
	s_addk_i32 s12, 0xc000
	s_addk_i32 s7, 0xf000
	s_add_i32 s6, s6, 16
	s_cmp_eq_u32 s12, 0xffff0000
	v_add_u32_e32 v26, 0x1000, v26
	s_barrier
	s_cbranch_scc1 .LBB841_205
.LBB841_165:                            ; =>This Inner Loop Header: Depth=1
	v_add_u32_e32 v4, s7, v10
	v_cmp_gt_u32_e32 vcc, s8, v4
	s_and_saveexec_b64 s[4:5], vcc
	s_cbranch_execz .LBB841_167
; %bb.166:                              ;   in Loop: Header=BB841_165 Depth=1
	v_add_u32_e32 v4, s12, v30
	s_waitcnt vmcnt(0)
	ds_write_b32 v4, v6
.LBB841_167:                            ;   in Loop: Header=BB841_165 Depth=1
	s_or_b64 exec, exec, s[4:5]
	v_add_u32_e32 v4, s7, v28
	v_cmp_gt_u32_e32 vcc, s8, v4
	s_and_saveexec_b64 s[4:5], vcc
	s_cbranch_execz .LBB841_169
; %bb.168:                              ;   in Loop: Header=BB841_165 Depth=1
	v_add_u32_e32 v4, s12, v33
	s_waitcnt vmcnt(0)
	ds_write_b32 v4, v7
.LBB841_169:                            ;   in Loop: Header=BB841_165 Depth=1
	s_or_b64 exec, exec, s[4:5]
	;; [unrolled: 10-line block ×16, first 2 shown]
	v_cmp_gt_u32_e32 vcc, s3, v26
	s_waitcnt lgkmcnt(0)
	s_barrier
	s_and_saveexec_b64 s[4:5], vcc
	s_cbranch_execz .LBB841_199
; %bb.198:                              ;   in Loop: Header=BB841_165 Depth=1
	scratch_load_dword v4, off, s6
	s_waitcnt vmcnt(0)
	v_lshlrev_b32_e32 v4, 2, v4
	ds_read_b32 v4, v4
	ds_read_b32 v27, v37 offset:1024
	s_waitcnt lgkmcnt(1)
	v_add_u32_e32 v4, v26, v4
	v_lshl_add_u64 v[60:61], v[4:5], 2, s[58:59]
	s_waitcnt lgkmcnt(0)
	global_store_dword v[60:61], v27, off
.LBB841_199:                            ;   in Loop: Header=BB841_165 Depth=1
	s_or_b64 exec, exec, s[4:5]
	v_add_u32_e32 v4, 0x400, v26
	v_cmp_gt_u32_e32 vcc, s3, v4
	s_and_saveexec_b64 s[4:5], vcc
	s_cbranch_execz .LBB841_201
; %bb.200:                              ;   in Loop: Header=BB841_165 Depth=1
	s_add_i32 s13, s6, 4
	scratch_load_dword v4, off, s13
	s_waitcnt vmcnt(0)
	v_lshlrev_b32_e32 v4, 2, v4
	ds_read_b32 v4, v4
	ds_read_b32 v27, v37 offset:5120
	s_waitcnt lgkmcnt(1)
	v_add3_u32 v4, v26, v4, s9
	v_lshl_add_u64 v[60:61], v[4:5], 2, s[58:59]
	s_waitcnt lgkmcnt(0)
	global_store_dword v[60:61], v27, off
.LBB841_201:                            ;   in Loop: Header=BB841_165 Depth=1
	s_or_b64 exec, exec, s[4:5]
	v_add_u32_e32 v4, 0x800, v26
	v_cmp_gt_u32_e32 vcc, s3, v4
	s_and_saveexec_b64 s[4:5], vcc
	s_cbranch_execz .LBB841_203
; %bb.202:                              ;   in Loop: Header=BB841_165 Depth=1
	s_add_i32 s13, s6, 8
	scratch_load_dword v4, off, s13
	s_waitcnt vmcnt(0)
	v_lshlrev_b32_e32 v4, 2, v4
	ds_read_b32 v4, v4
	ds_read_b32 v27, v37 offset:9216
	s_waitcnt lgkmcnt(1)
	v_add3_u32 v4, v26, v4, s10
	v_lshl_add_u64 v[60:61], v[4:5], 2, s[58:59]
	s_waitcnt lgkmcnt(0)
	global_store_dword v[60:61], v27, off
.LBB841_203:                            ;   in Loop: Header=BB841_165 Depth=1
	s_or_b64 exec, exec, s[4:5]
	v_add_u32_e32 v4, 0xc00, v26
	v_cmp_gt_u32_e32 vcc, s3, v4
	s_and_saveexec_b64 s[4:5], vcc
	s_cbranch_execz .LBB841_164
; %bb.204:                              ;   in Loop: Header=BB841_165 Depth=1
	s_add_i32 s13, s6, 12
	scratch_load_dword v4, off, s13
	s_waitcnt vmcnt(0)
	v_lshlrev_b32_e32 v4, 2, v4
	ds_read_b32 v4, v4
	ds_read_b32 v27, v37 offset:13312
	s_waitcnt lgkmcnt(1)
	v_add3_u32 v4, v26, v4, s11
	v_lshl_add_u64 v[60:61], v[4:5], 2, s[58:59]
	s_waitcnt lgkmcnt(0)
	global_store_dword v[60:61], v27, off
	s_branch .LBB841_164
.LBB841_205:
	s_add_i32 s70, s70, -1
	s_cmp_eq_u32 s33, s70
	s_cselect_b64 s[4:5], -1, 0
	s_xor_b64 s[6:7], s[36:37], -1
	s_and_b64 s[6:7], s[6:7], s[4:5]
	s_and_saveexec_b64 s[4:5], s[6:7]
	s_cbranch_execz .LBB841_207
; %bb.206:
	ds_read_b32 v4, v37
	s_waitcnt lgkmcnt(0)
	v_add3_u32 v4, v32, v34, v4
	global_store_dword v37, v4, s[62:63]
.LBB841_207:
	s_or_b64 exec, exec, s[4:5]
	s_mov_b64 s[4:5], 0
.LBB841_208:
	s_and_b64 vcc, exec, s[4:5]
	s_cbranch_vccz .LBB841_331
; %bb.209:
	s_lshl_b32 s4, s33, 14
	s_mov_b32 s5, 0
	s_load_dword s12, s[0:1], 0x58
	s_load_dword s3, s[0:1], 0x64
	s_lshl_b64 s[8:9], s[4:5], 2
	v_mbcnt_hi_u32_b32 v10, -1, v3
	s_add_u32 s4, s52, s8
	v_and_b32_e32 v3, 63, v10
	s_waitcnt vmcnt(0)
	v_and_b32_e32 v6, 0x3c00, v1
	v_mov_b32_e32 v1, 0
	s_addc_u32 s5, s53, s9
	v_lshlrev_b32_e32 v4, 2, v3
	v_mov_b32_e32 v5, v1
	v_lshl_add_u64 v[8:9], s[4:5], 0, v[4:5]
	v_lshlrev_b32_e32 v6, 2, v6
	v_mov_b32_e32 v7, v1
	s_add_u32 s0, s0, 0x58
	v_lshl_add_u64 v[8:9], v[8:9], 0, v[6:7]
	s_addc_u32 s1, s1, 0
	s_waitcnt lgkmcnt(0)
	s_lshr_b32 s3, s3, 16
	global_load_dword v3, v[8:9], off
	s_cmp_lt_u32 s2, s12
	s_cselect_b32 s2, 12, 18
	s_add_u32 s0, s0, s2
	s_addc_u32 s1, s1, 0
	global_load_ushort v13, v1, s[0:1]
	v_mul_u32_u24_e32 v11, 20, v2
	ds_write2_b32 v11, v1, v1 offset0:16 offset1:17
	ds_write2_b32 v11, v1, v1 offset0:18 offset1:19
	ds_write_b32 v11, v1 offset:80
	global_load_dword v5, v[8:9], off offset:256
	global_load_dword v7, v[8:9], off offset:512
	;; [unrolled: 1-line block ×15, first 2 shown]
	v_bfe_u32 v14, v0, 10, 10
	v_bfe_u32 v0, v0, 20, 10
	v_mad_u32_u24 v8, v0, s3, v14
	s_lshl_b32 s0, -1, s65
	v_mov_b32_e32 v16, v1
	v_mov_b32_e32 v26, v1
	s_not_b32 s13, s0
	v_mov_b32_e32 v20, v1
	s_movk_i32 s6, 0x44
	s_waitcnt lgkmcnt(0)
	s_barrier
	s_waitcnt vmcnt(16)
	; wave barrier
	v_xor_b32_e32 v3, 0x80000000, v3
	v_lshrrev_b32_e32 v0, s64, v3
	v_bitop3_b32 v14, v0, s0, v0 bitop3:0x30
	v_and_b32_e32 v0, 1, v14
	v_lshlrev_b32_e32 v17, 30, v14
	v_lshlrev_b32_e32 v21, 29, v14
	;; [unrolled: 1-line block ×3, first 2 shown]
	s_waitcnt vmcnt(15)
	v_mad_u64_u32 v[8:9], s[0:1], v8, v13, v[2:3]
	v_lshl_add_u64 v[32:33], v[0:1], 0, -1
	v_cmp_ne_u32_e32 vcc, 0, v0
	v_not_b32_e32 v0, v17
	v_cmp_gt_i64_e64 s[0:1], 0, v[16:17]
	v_not_b32_e32 v9, v21
	v_cmp_gt_i64_e64 s[4:5], 0, v[26:27]
	v_not_b32_e32 v13, v27
	v_lshrrev_b32_e32 v27, 6, v8
	v_xor_b32_e32 v8, vcc_hi, v33
	v_ashrrev_i32_e32 v0, 31, v0
	v_cmp_gt_i64_e64 s[2:3], 0, v[20:21]
	v_xor_b32_e32 v16, vcc_lo, v32
	v_ashrrev_i32_e32 v9, 31, v9
	v_and_b32_e32 v8, exec_hi, v8
	v_xor_b32_e32 v17, s1, v0
	v_ashrrev_i32_e32 v13, 31, v13
	v_and_b32_e32 v16, exec_lo, v16
	v_xor_b32_e32 v0, s0, v0
	v_xor_b32_e32 v20, s3, v9
	v_and_b32_e32 v8, v8, v17
	v_xor_b32_e32 v9, s2, v9
	v_xor_b32_e32 v21, s5, v13
	v_and_b32_e32 v0, v16, v0
	v_and_b32_e32 v8, v8, v20
	;; [unrolled: 1-line block ×4, first 2 shown]
	v_lshlrev_b32_e32 v9, 27, v14
	v_mov_b32_e32 v8, v1
	v_cmp_gt_i64_e32 vcc, 0, v[8:9]
	v_not_b32_e32 v8, v9
	v_xor_b32_e32 v13, s4, v13
	v_ashrrev_i32_e32 v8, 31, v8
	v_and_b32_e32 v0, v0, v13
	v_xor_b32_e32 v9, vcc_hi, v8
	v_xor_b32_e32 v8, vcc_lo, v8
	v_and_b32_e32 v13, v16, v9
	v_and_b32_e32 v0, v0, v8
	v_lshlrev_b32_e32 v9, 26, v14
	v_mov_b32_e32 v8, v1
	v_cmp_gt_i64_e32 vcc, 0, v[8:9]
	v_not_b32_e32 v8, v9
	v_ashrrev_i32_e32 v8, 31, v8
	v_xor_b32_e32 v9, vcc_hi, v8
	v_xor_b32_e32 v8, vcc_lo, v8
	v_and_b32_e32 v13, v13, v9
	v_and_b32_e32 v0, v0, v8
	v_lshlrev_b32_e32 v9, 25, v14
	v_mov_b32_e32 v8, v1
	v_cmp_gt_i64_e32 vcc, 0, v[8:9]
	v_not_b32_e32 v8, v9
	v_ashrrev_i32_e32 v8, 31, v8
	;; [unrolled: 9-line block ×3, first 2 shown]
	v_xor_b32_e32 v9, vcc_hi, v8
	v_xor_b32_e32 v8, vcc_lo, v8
	v_and_b32_e32 v8, v0, v8
	v_and_b32_e32 v9, v13, v9
	v_mbcnt_lo_u32_b32 v0, v8, 0
	v_mul_lo_u32 v18, v14, s6
	v_mbcnt_hi_u32_b32 v14, v9, v0
	v_cmp_eq_u32_e32 vcc, 0, v14
	v_cmp_ne_u64_e64 s[0:1], 0, v[8:9]
	v_lshl_add_u32 v18, v27, 2, v18
	s_and_b64 s[2:3], s[0:1], vcc
	s_and_saveexec_b64 s[0:1], s[2:3]
; %bb.210:
	v_bcnt_u32_b32 v0, v8, 0
	v_bcnt_u32_b32 v0, v9, v0
	ds_write_b32 v18, v0 offset:64
; %bb.211:
	s_or_b64 exec, exec, s[0:1]
	s_waitcnt vmcnt(14)
	v_xor_b32_e32 v5, 0x80000000, v5
	v_lshrrev_b32_e32 v0, s64, v5
	v_and_b32_e32 v16, s13, v0
	v_mul_lo_u32 v0, v16, s6
	v_lshl_add_u32 v21, v27, 2, v0
	v_and_b32_e32 v0, 1, v16
	v_lshl_add_u64 v[8:9], v[0:1], 0, -1
	v_cmp_ne_u32_e32 vcc, 0, v0
	; wave barrier
	s_nop 1
	v_xor_b32_e32 v8, vcc_lo, v8
	v_xor_b32_e32 v0, vcc_hi, v9
	v_and_b32_e32 v17, exec_lo, v8
	v_lshlrev_b32_e32 v9, 30, v16
	v_mov_b32_e32 v8, v1
	v_cmp_gt_i64_e32 vcc, 0, v[8:9]
	v_not_b32_e32 v8, v9
	v_ashrrev_i32_e32 v8, 31, v8
	v_and_b32_e32 v0, exec_hi, v0
	v_xor_b32_e32 v9, vcc_hi, v8
	v_xor_b32_e32 v8, vcc_lo, v8
	v_and_b32_e32 v0, v0, v9
	v_and_b32_e32 v17, v17, v8
	v_lshlrev_b32_e32 v9, 29, v16
	v_mov_b32_e32 v8, v1
	v_cmp_gt_i64_e32 vcc, 0, v[8:9]
	v_not_b32_e32 v8, v9
	v_ashrrev_i32_e32 v8, 31, v8
	v_xor_b32_e32 v9, vcc_hi, v8
	v_xor_b32_e32 v8, vcc_lo, v8
	v_and_b32_e32 v0, v0, v9
	v_and_b32_e32 v17, v17, v8
	v_lshlrev_b32_e32 v9, 28, v16
	v_mov_b32_e32 v8, v1
	v_cmp_gt_i64_e32 vcc, 0, v[8:9]
	v_not_b32_e32 v8, v9
	v_ashrrev_i32_e32 v8, 31, v8
	;; [unrolled: 9-line block ×5, first 2 shown]
	v_xor_b32_e32 v9, vcc_hi, v8
	v_xor_b32_e32 v8, vcc_lo, v8
	v_and_b32_e32 v0, v0, v9
	v_lshlrev_b32_e32 v9, 24, v16
	v_and_b32_e32 v17, v17, v8
	v_mov_b32_e32 v8, v1
	v_not_b32_e32 v1, v9
	v_cmp_gt_i64_e32 vcc, 0, v[8:9]
	v_ashrrev_i32_e32 v1, 31, v1
	ds_read_b32 v13, v21 offset:64
	v_xor_b32_e32 v8, vcc_hi, v1
	v_xor_b32_e32 v9, vcc_lo, v1
	v_and_b32_e32 v1, v0, v8
	v_and_b32_e32 v0, v17, v9
	v_mbcnt_lo_u32_b32 v8, v0, 0
	v_mbcnt_hi_u32_b32 v16, v1, v8
	v_cmp_eq_u32_e32 vcc, 0, v16
	v_cmp_ne_u64_e64 s[0:1], 0, v[0:1]
	s_and_b64 s[2:3], s[0:1], vcc
	; wave barrier
	s_and_saveexec_b64 s[0:1], s[2:3]
	s_cbranch_execz .LBB841_213
; %bb.212:
	v_bcnt_u32_b32 v0, v0, 0
	v_bcnt_u32_b32 v0, v1, v0
	s_waitcnt lgkmcnt(0)
	v_add_u32_e32 v0, v13, v0
	ds_write_b32 v21, v0 offset:64
.LBB841_213:
	s_or_b64 exec, exec, s[0:1]
	s_waitcnt vmcnt(13)
	v_xor_b32_e32 v7, 0x80000000, v7
	v_lshrrev_b32_e32 v0, s64, v7
	v_and_b32_e32 v20, s13, v0
	s_movk_i32 s2, 0x44
	v_mul_lo_u32 v0, v20, s2
	v_lshl_add_u32 v26, v27, 2, v0
	v_and_b32_e32 v0, 1, v20
	v_mov_b32_e32 v1, 0
	v_lshl_add_u64 v[8:9], v[0:1], 0, -1
	v_cmp_ne_u32_e32 vcc, 0, v0
	; wave barrier
	s_nop 1
	v_xor_b32_e32 v8, vcc_lo, v8
	v_xor_b32_e32 v0, vcc_hi, v9
	v_and_b32_e32 v22, exec_lo, v8
	v_lshlrev_b32_e32 v9, 30, v20
	v_mov_b32_e32 v8, v1
	v_cmp_gt_i64_e32 vcc, 0, v[8:9]
	v_not_b32_e32 v8, v9
	v_ashrrev_i32_e32 v8, 31, v8
	v_and_b32_e32 v0, exec_hi, v0
	v_xor_b32_e32 v9, vcc_hi, v8
	v_xor_b32_e32 v8, vcc_lo, v8
	v_and_b32_e32 v0, v0, v9
	v_and_b32_e32 v22, v22, v8
	v_lshlrev_b32_e32 v9, 29, v20
	v_mov_b32_e32 v8, v1
	v_cmp_gt_i64_e32 vcc, 0, v[8:9]
	v_not_b32_e32 v8, v9
	v_ashrrev_i32_e32 v8, 31, v8
	v_xor_b32_e32 v9, vcc_hi, v8
	v_xor_b32_e32 v8, vcc_lo, v8
	v_and_b32_e32 v0, v0, v9
	v_and_b32_e32 v22, v22, v8
	v_lshlrev_b32_e32 v9, 28, v20
	v_mov_b32_e32 v8, v1
	v_cmp_gt_i64_e32 vcc, 0, v[8:9]
	v_not_b32_e32 v8, v9
	v_ashrrev_i32_e32 v8, 31, v8
	;; [unrolled: 9-line block ×6, first 2 shown]
	v_xor_b32_e32 v9, vcc_hi, v8
	v_xor_b32_e32 v8, vcc_lo, v8
	ds_read_b32 v17, v26 offset:64
	v_and_b32_e32 v8, v22, v8
	v_and_b32_e32 v9, v0, v9
	v_mbcnt_lo_u32_b32 v0, v8, 0
	v_mbcnt_hi_u32_b32 v20, v9, v0
	v_cmp_eq_u32_e32 vcc, 0, v20
	v_cmp_ne_u64_e64 s[0:1], 0, v[8:9]
	s_and_b64 s[4:5], s[0:1], vcc
	; wave barrier
	s_and_saveexec_b64 s[0:1], s[4:5]
	s_cbranch_execz .LBB841_215
; %bb.214:
	v_bcnt_u32_b32 v0, v8, 0
	v_bcnt_u32_b32 v0, v9, v0
	s_waitcnt lgkmcnt(0)
	v_add_u32_e32 v0, v17, v0
	ds_write_b32 v26, v0 offset:64
.LBB841_215:
	s_or_b64 exec, exec, s[0:1]
	s_waitcnt vmcnt(12)
	v_xor_b32_e32 v12, 0x80000000, v12
	v_lshrrev_b32_e32 v0, s64, v12
	v_and_b32_e32 v24, s13, v0
	v_mul_lo_u32 v0, v24, s2
	v_lshl_add_u32 v32, v27, 2, v0
	v_and_b32_e32 v0, 1, v24
	v_lshl_add_u64 v[8:9], v[0:1], 0, -1
	v_cmp_ne_u32_e32 vcc, 0, v0
	; wave barrier
	s_nop 1
	v_xor_b32_e32 v8, vcc_lo, v8
	v_xor_b32_e32 v0, vcc_hi, v9
	v_and_b32_e32 v28, exec_lo, v8
	v_lshlrev_b32_e32 v9, 30, v24
	v_mov_b32_e32 v8, v1
	v_cmp_gt_i64_e32 vcc, 0, v[8:9]
	v_not_b32_e32 v8, v9
	v_ashrrev_i32_e32 v8, 31, v8
	v_and_b32_e32 v0, exec_hi, v0
	v_xor_b32_e32 v9, vcc_hi, v8
	v_xor_b32_e32 v8, vcc_lo, v8
	v_and_b32_e32 v0, v0, v9
	v_and_b32_e32 v28, v28, v8
	v_lshlrev_b32_e32 v9, 29, v24
	v_mov_b32_e32 v8, v1
	v_cmp_gt_i64_e32 vcc, 0, v[8:9]
	v_not_b32_e32 v8, v9
	v_ashrrev_i32_e32 v8, 31, v8
	v_xor_b32_e32 v9, vcc_hi, v8
	v_xor_b32_e32 v8, vcc_lo, v8
	v_and_b32_e32 v0, v0, v9
	v_and_b32_e32 v28, v28, v8
	v_lshlrev_b32_e32 v9, 28, v24
	v_mov_b32_e32 v8, v1
	v_cmp_gt_i64_e32 vcc, 0, v[8:9]
	v_not_b32_e32 v8, v9
	v_ashrrev_i32_e32 v8, 31, v8
	;; [unrolled: 9-line block ×5, first 2 shown]
	v_xor_b32_e32 v9, vcc_hi, v8
	v_xor_b32_e32 v8, vcc_lo, v8
	v_and_b32_e32 v0, v0, v9
	v_lshlrev_b32_e32 v9, 24, v24
	v_and_b32_e32 v28, v28, v8
	v_mov_b32_e32 v8, v1
	v_not_b32_e32 v1, v9
	v_cmp_gt_i64_e32 vcc, 0, v[8:9]
	v_ashrrev_i32_e32 v1, 31, v1
	ds_read_b32 v22, v32 offset:64
	v_xor_b32_e32 v8, vcc_hi, v1
	v_xor_b32_e32 v9, vcc_lo, v1
	v_and_b32_e32 v1, v0, v8
	v_and_b32_e32 v0, v28, v9
	v_mbcnt_lo_u32_b32 v8, v0, 0
	v_mbcnt_hi_u32_b32 v24, v1, v8
	v_cmp_eq_u32_e32 vcc, 0, v24
	v_cmp_ne_u64_e64 s[0:1], 0, v[0:1]
	s_and_b64 s[2:3], s[0:1], vcc
	; wave barrier
	s_and_saveexec_b64 s[0:1], s[2:3]
	s_cbranch_execz .LBB841_217
; %bb.216:
	v_bcnt_u32_b32 v0, v0, 0
	v_bcnt_u32_b32 v0, v1, v0
	s_waitcnt lgkmcnt(0)
	v_add_u32_e32 v0, v22, v0
	ds_write_b32 v32, v0 offset:64
.LBB841_217:
	s_or_b64 exec, exec, s[0:1]
	s_waitcnt vmcnt(11)
	v_xor_b32_e32 v15, 0x80000000, v15
	v_lshrrev_b32_e32 v0, s64, v15
	v_and_b32_e32 v30, s13, v0
	s_movk_i32 s2, 0x44
	v_mul_lo_u32 v0, v30, s2
	v_lshl_add_u32 v37, v27, 2, v0
	v_and_b32_e32 v0, 1, v30
	v_mov_b32_e32 v1, 0
	v_lshl_add_u64 v[8:9], v[0:1], 0, -1
	v_cmp_ne_u32_e32 vcc, 0, v0
	; wave barrier
	s_nop 1
	v_xor_b32_e32 v8, vcc_lo, v8
	v_xor_b32_e32 v0, vcc_hi, v9
	v_and_b32_e32 v33, exec_lo, v8
	v_lshlrev_b32_e32 v9, 30, v30
	v_mov_b32_e32 v8, v1
	v_cmp_gt_i64_e32 vcc, 0, v[8:9]
	v_not_b32_e32 v8, v9
	v_ashrrev_i32_e32 v8, 31, v8
	v_and_b32_e32 v0, exec_hi, v0
	v_xor_b32_e32 v9, vcc_hi, v8
	v_xor_b32_e32 v8, vcc_lo, v8
	v_and_b32_e32 v0, v0, v9
	v_and_b32_e32 v33, v33, v8
	v_lshlrev_b32_e32 v9, 29, v30
	v_mov_b32_e32 v8, v1
	v_cmp_gt_i64_e32 vcc, 0, v[8:9]
	v_not_b32_e32 v8, v9
	v_ashrrev_i32_e32 v8, 31, v8
	v_xor_b32_e32 v9, vcc_hi, v8
	v_xor_b32_e32 v8, vcc_lo, v8
	v_and_b32_e32 v0, v0, v9
	v_and_b32_e32 v33, v33, v8
	v_lshlrev_b32_e32 v9, 28, v30
	v_mov_b32_e32 v8, v1
	v_cmp_gt_i64_e32 vcc, 0, v[8:9]
	v_not_b32_e32 v8, v9
	v_ashrrev_i32_e32 v8, 31, v8
	v_xor_b32_e32 v9, vcc_hi, v8
	v_xor_b32_e32 v8, vcc_lo, v8
	v_and_b32_e32 v0, v0, v9
	v_and_b32_e32 v33, v33, v8
	v_lshlrev_b32_e32 v9, 27, v30
	v_mov_b32_e32 v8, v1
	v_cmp_gt_i64_e32 vcc, 0, v[8:9]
	v_not_b32_e32 v8, v9
	v_ashrrev_i32_e32 v8, 31, v8
	v_xor_b32_e32 v9, vcc_hi, v8
	v_xor_b32_e32 v8, vcc_lo, v8
	v_and_b32_e32 v0, v0, v9
	v_and_b32_e32 v33, v33, v8
	v_lshlrev_b32_e32 v9, 26, v30
	v_mov_b32_e32 v8, v1
	v_cmp_gt_i64_e32 vcc, 0, v[8:9]
	v_not_b32_e32 v8, v9
	v_ashrrev_i32_e32 v8, 31, v8
	v_xor_b32_e32 v9, vcc_hi, v8
	v_xor_b32_e32 v8, vcc_lo, v8
	v_and_b32_e32 v0, v0, v9
	v_and_b32_e32 v33, v33, v8
	v_lshlrev_b32_e32 v9, 25, v30
	v_mov_b32_e32 v8, v1
	v_cmp_gt_i64_e32 vcc, 0, v[8:9]
	v_not_b32_e32 v8, v9
	v_ashrrev_i32_e32 v8, 31, v8
	v_xor_b32_e32 v9, vcc_hi, v8
	v_xor_b32_e32 v8, vcc_lo, v8
	v_and_b32_e32 v0, v0, v9
	v_and_b32_e32 v33, v33, v8
	v_lshlrev_b32_e32 v9, 24, v30
	v_mov_b32_e32 v8, v1
	v_cmp_gt_i64_e32 vcc, 0, v[8:9]
	v_not_b32_e32 v8, v9
	v_ashrrev_i32_e32 v8, 31, v8
	v_xor_b32_e32 v9, vcc_hi, v8
	v_xor_b32_e32 v8, vcc_lo, v8
	ds_read_b32 v28, v37 offset:64
	v_and_b32_e32 v8, v33, v8
	v_and_b32_e32 v9, v0, v9
	v_mbcnt_lo_u32_b32 v0, v8, 0
	v_mbcnt_hi_u32_b32 v30, v9, v0
	v_cmp_eq_u32_e32 vcc, 0, v30
	v_cmp_ne_u64_e64 s[0:1], 0, v[8:9]
	s_and_b64 s[4:5], s[0:1], vcc
	; wave barrier
	s_and_saveexec_b64 s[0:1], s[4:5]
	s_cbranch_execz .LBB841_219
; %bb.218:
	v_bcnt_u32_b32 v0, v8, 0
	v_bcnt_u32_b32 v0, v9, v0
	s_waitcnt lgkmcnt(0)
	v_add_u32_e32 v0, v28, v0
	ds_write_b32 v37, v0 offset:64
.LBB841_219:
	s_or_b64 exec, exec, s[0:1]
	s_waitcnt vmcnt(10)
	v_xor_b32_e32 v19, 0x80000000, v19
	v_lshrrev_b32_e32 v0, s64, v19
	v_and_b32_e32 v35, s13, v0
	v_mul_lo_u32 v0, v35, s2
	v_lshl_add_u32 v41, v27, 2, v0
	v_and_b32_e32 v0, 1, v35
	v_lshl_add_u64 v[8:9], v[0:1], 0, -1
	v_cmp_ne_u32_e32 vcc, 0, v0
	; wave barrier
	s_nop 1
	v_xor_b32_e32 v8, vcc_lo, v8
	v_xor_b32_e32 v0, vcc_hi, v9
	v_and_b32_e32 v38, exec_lo, v8
	v_lshlrev_b32_e32 v9, 30, v35
	v_mov_b32_e32 v8, v1
	v_cmp_gt_i64_e32 vcc, 0, v[8:9]
	v_not_b32_e32 v8, v9
	v_ashrrev_i32_e32 v8, 31, v8
	v_and_b32_e32 v0, exec_hi, v0
	v_xor_b32_e32 v9, vcc_hi, v8
	v_xor_b32_e32 v8, vcc_lo, v8
	v_and_b32_e32 v0, v0, v9
	v_and_b32_e32 v38, v38, v8
	v_lshlrev_b32_e32 v9, 29, v35
	v_mov_b32_e32 v8, v1
	v_cmp_gt_i64_e32 vcc, 0, v[8:9]
	v_not_b32_e32 v8, v9
	v_ashrrev_i32_e32 v8, 31, v8
	v_xor_b32_e32 v9, vcc_hi, v8
	v_xor_b32_e32 v8, vcc_lo, v8
	v_and_b32_e32 v0, v0, v9
	v_and_b32_e32 v38, v38, v8
	v_lshlrev_b32_e32 v9, 28, v35
	v_mov_b32_e32 v8, v1
	v_cmp_gt_i64_e32 vcc, 0, v[8:9]
	v_not_b32_e32 v8, v9
	v_ashrrev_i32_e32 v8, 31, v8
	;; [unrolled: 9-line block ×5, first 2 shown]
	v_xor_b32_e32 v9, vcc_hi, v8
	v_xor_b32_e32 v8, vcc_lo, v8
	v_and_b32_e32 v0, v0, v9
	v_lshlrev_b32_e32 v9, 24, v35
	v_and_b32_e32 v38, v38, v8
	v_mov_b32_e32 v8, v1
	v_not_b32_e32 v1, v9
	v_cmp_gt_i64_e32 vcc, 0, v[8:9]
	v_ashrrev_i32_e32 v1, 31, v1
	ds_read_b32 v33, v41 offset:64
	v_xor_b32_e32 v8, vcc_hi, v1
	v_xor_b32_e32 v9, vcc_lo, v1
	v_and_b32_e32 v1, v0, v8
	v_and_b32_e32 v0, v38, v9
	v_mbcnt_lo_u32_b32 v8, v0, 0
	v_mbcnt_hi_u32_b32 v35, v1, v8
	v_cmp_eq_u32_e32 vcc, 0, v35
	v_cmp_ne_u64_e64 s[0:1], 0, v[0:1]
	s_and_b64 s[2:3], s[0:1], vcc
	; wave barrier
	s_and_saveexec_b64 s[0:1], s[2:3]
	s_cbranch_execz .LBB841_221
; %bb.220:
	v_bcnt_u32_b32 v0, v0, 0
	v_bcnt_u32_b32 v0, v1, v0
	s_waitcnt lgkmcnt(0)
	v_add_u32_e32 v0, v33, v0
	ds_write_b32 v41, v0 offset:64
.LBB841_221:
	s_or_b64 exec, exec, s[0:1]
	s_waitcnt vmcnt(9)
	v_xor_b32_e32 v23, 0x80000000, v23
	v_lshrrev_b32_e32 v0, s64, v23
	v_and_b32_e32 v42, s13, v0
	s_movk_i32 s2, 0x44
	v_mul_lo_u32 v0, v42, s2
	v_lshl_add_u32 v46, v27, 2, v0
	v_and_b32_e32 v0, 1, v42
	v_mov_b32_e32 v1, 0
	v_lshl_add_u64 v[8:9], v[0:1], 0, -1
	v_cmp_ne_u32_e32 vcc, 0, v0
	; wave barrier
	s_nop 1
	v_xor_b32_e32 v8, vcc_lo, v8
	v_xor_b32_e32 v0, vcc_hi, v9
	v_and_b32_e32 v43, exec_lo, v8
	v_lshlrev_b32_e32 v9, 30, v42
	v_mov_b32_e32 v8, v1
	v_cmp_gt_i64_e32 vcc, 0, v[8:9]
	v_not_b32_e32 v8, v9
	v_ashrrev_i32_e32 v8, 31, v8
	v_and_b32_e32 v0, exec_hi, v0
	v_xor_b32_e32 v9, vcc_hi, v8
	v_xor_b32_e32 v8, vcc_lo, v8
	v_and_b32_e32 v0, v0, v9
	v_and_b32_e32 v43, v43, v8
	v_lshlrev_b32_e32 v9, 29, v42
	v_mov_b32_e32 v8, v1
	v_cmp_gt_i64_e32 vcc, 0, v[8:9]
	v_not_b32_e32 v8, v9
	v_ashrrev_i32_e32 v8, 31, v8
	v_xor_b32_e32 v9, vcc_hi, v8
	v_xor_b32_e32 v8, vcc_lo, v8
	v_and_b32_e32 v0, v0, v9
	v_and_b32_e32 v43, v43, v8
	v_lshlrev_b32_e32 v9, 28, v42
	v_mov_b32_e32 v8, v1
	v_cmp_gt_i64_e32 vcc, 0, v[8:9]
	v_not_b32_e32 v8, v9
	v_ashrrev_i32_e32 v8, 31, v8
	;; [unrolled: 9-line block ×6, first 2 shown]
	v_xor_b32_e32 v9, vcc_hi, v8
	v_xor_b32_e32 v8, vcc_lo, v8
	ds_read_b32 v38, v46 offset:64
	v_and_b32_e32 v8, v43, v8
	v_and_b32_e32 v9, v0, v9
	v_mbcnt_lo_u32_b32 v0, v8, 0
	v_mbcnt_hi_u32_b32 v42, v9, v0
	v_cmp_eq_u32_e32 vcc, 0, v42
	v_cmp_ne_u64_e64 s[0:1], 0, v[8:9]
	s_and_b64 s[4:5], s[0:1], vcc
	; wave barrier
	s_and_saveexec_b64 s[0:1], s[4:5]
	s_cbranch_execz .LBB841_223
; %bb.222:
	v_bcnt_u32_b32 v0, v8, 0
	v_bcnt_u32_b32 v0, v9, v0
	s_waitcnt lgkmcnt(0)
	v_add_u32_e32 v0, v38, v0
	ds_write_b32 v46, v0 offset:64
.LBB841_223:
	s_or_b64 exec, exec, s[0:1]
	s_waitcnt vmcnt(8)
	v_xor_b32_e32 v29, 0x80000000, v29
	v_lshrrev_b32_e32 v0, s64, v29
	v_and_b32_e32 v47, s13, v0
	v_mul_lo_u32 v0, v47, s2
	v_lshl_add_u32 v49, v27, 2, v0
	v_and_b32_e32 v0, 1, v47
	v_lshl_add_u64 v[8:9], v[0:1], 0, -1
	v_cmp_ne_u32_e32 vcc, 0, v0
	; wave barrier
	s_nop 1
	v_xor_b32_e32 v8, vcc_lo, v8
	v_xor_b32_e32 v0, vcc_hi, v9
	v_and_b32_e32 v48, exec_lo, v8
	v_lshlrev_b32_e32 v9, 30, v47
	v_mov_b32_e32 v8, v1
	v_cmp_gt_i64_e32 vcc, 0, v[8:9]
	v_not_b32_e32 v8, v9
	v_ashrrev_i32_e32 v8, 31, v8
	v_and_b32_e32 v0, exec_hi, v0
	v_xor_b32_e32 v9, vcc_hi, v8
	v_xor_b32_e32 v8, vcc_lo, v8
	v_and_b32_e32 v0, v0, v9
	v_and_b32_e32 v48, v48, v8
	v_lshlrev_b32_e32 v9, 29, v47
	v_mov_b32_e32 v8, v1
	v_cmp_gt_i64_e32 vcc, 0, v[8:9]
	v_not_b32_e32 v8, v9
	v_ashrrev_i32_e32 v8, 31, v8
	v_xor_b32_e32 v9, vcc_hi, v8
	v_xor_b32_e32 v8, vcc_lo, v8
	v_and_b32_e32 v0, v0, v9
	v_and_b32_e32 v48, v48, v8
	v_lshlrev_b32_e32 v9, 28, v47
	v_mov_b32_e32 v8, v1
	v_cmp_gt_i64_e32 vcc, 0, v[8:9]
	v_not_b32_e32 v8, v9
	v_ashrrev_i32_e32 v8, 31, v8
	;; [unrolled: 9-line block ×5, first 2 shown]
	v_xor_b32_e32 v9, vcc_hi, v8
	v_xor_b32_e32 v8, vcc_lo, v8
	v_and_b32_e32 v0, v0, v9
	v_lshlrev_b32_e32 v9, 24, v47
	v_and_b32_e32 v48, v48, v8
	v_mov_b32_e32 v8, v1
	v_not_b32_e32 v1, v9
	v_cmp_gt_i64_e32 vcc, 0, v[8:9]
	v_ashrrev_i32_e32 v1, 31, v1
	ds_read_b32 v43, v49 offset:64
	v_xor_b32_e32 v8, vcc_hi, v1
	v_xor_b32_e32 v9, vcc_lo, v1
	v_and_b32_e32 v1, v0, v8
	v_and_b32_e32 v0, v48, v9
	v_mbcnt_lo_u32_b32 v8, v0, 0
	v_mbcnt_hi_u32_b32 v47, v1, v8
	v_cmp_eq_u32_e32 vcc, 0, v47
	v_cmp_ne_u64_e64 s[0:1], 0, v[0:1]
	s_and_b64 s[2:3], s[0:1], vcc
	; wave barrier
	s_and_saveexec_b64 s[0:1], s[2:3]
	s_cbranch_execz .LBB841_225
; %bb.224:
	v_bcnt_u32_b32 v0, v0, 0
	v_bcnt_u32_b32 v0, v1, v0
	s_waitcnt lgkmcnt(0)
	v_add_u32_e32 v0, v43, v0
	ds_write_b32 v49, v0 offset:64
.LBB841_225:
	s_or_b64 exec, exec, s[0:1]
	s_waitcnt vmcnt(7)
	v_xor_b32_e32 v34, 0x80000000, v34
	v_lshrrev_b32_e32 v0, s64, v34
	v_and_b32_e32 v50, s13, v0
	s_movk_i32 s2, 0x44
	v_mul_lo_u32 v0, v50, s2
	v_lshl_add_u32 v52, v27, 2, v0
	v_and_b32_e32 v0, 1, v50
	v_mov_b32_e32 v1, 0
	v_lshl_add_u64 v[8:9], v[0:1], 0, -1
	v_cmp_ne_u32_e32 vcc, 0, v0
	; wave barrier
	s_nop 1
	v_xor_b32_e32 v8, vcc_lo, v8
	v_xor_b32_e32 v0, vcc_hi, v9
	v_and_b32_e32 v51, exec_lo, v8
	v_lshlrev_b32_e32 v9, 30, v50
	v_mov_b32_e32 v8, v1
	v_cmp_gt_i64_e32 vcc, 0, v[8:9]
	v_not_b32_e32 v8, v9
	v_ashrrev_i32_e32 v8, 31, v8
	v_and_b32_e32 v0, exec_hi, v0
	v_xor_b32_e32 v9, vcc_hi, v8
	v_xor_b32_e32 v8, vcc_lo, v8
	v_and_b32_e32 v0, v0, v9
	v_and_b32_e32 v51, v51, v8
	v_lshlrev_b32_e32 v9, 29, v50
	v_mov_b32_e32 v8, v1
	v_cmp_gt_i64_e32 vcc, 0, v[8:9]
	v_not_b32_e32 v8, v9
	v_ashrrev_i32_e32 v8, 31, v8
	v_xor_b32_e32 v9, vcc_hi, v8
	v_xor_b32_e32 v8, vcc_lo, v8
	v_and_b32_e32 v0, v0, v9
	v_and_b32_e32 v51, v51, v8
	v_lshlrev_b32_e32 v9, 28, v50
	v_mov_b32_e32 v8, v1
	v_cmp_gt_i64_e32 vcc, 0, v[8:9]
	v_not_b32_e32 v8, v9
	v_ashrrev_i32_e32 v8, 31, v8
	;; [unrolled: 9-line block ×6, first 2 shown]
	v_xor_b32_e32 v9, vcc_hi, v8
	v_xor_b32_e32 v8, vcc_lo, v8
	ds_read_b32 v48, v52 offset:64
	v_and_b32_e32 v8, v51, v8
	v_and_b32_e32 v9, v0, v9
	v_mbcnt_lo_u32_b32 v0, v8, 0
	v_mbcnt_hi_u32_b32 v50, v9, v0
	v_cmp_eq_u32_e32 vcc, 0, v50
	v_cmp_ne_u64_e64 s[0:1], 0, v[8:9]
	s_and_b64 s[4:5], s[0:1], vcc
	; wave barrier
	s_and_saveexec_b64 s[0:1], s[4:5]
	s_cbranch_execz .LBB841_227
; %bb.226:
	v_bcnt_u32_b32 v0, v8, 0
	v_bcnt_u32_b32 v0, v9, v0
	s_waitcnt lgkmcnt(0)
	v_add_u32_e32 v0, v48, v0
	ds_write_b32 v52, v0 offset:64
.LBB841_227:
	s_or_b64 exec, exec, s[0:1]
	s_waitcnt vmcnt(6)
	v_xor_b32_e32 v39, 0x80000000, v39
	v_lshrrev_b32_e32 v0, s64, v39
	v_and_b32_e32 v53, s13, v0
	v_mul_lo_u32 v0, v53, s2
	v_lshl_add_u32 v55, v27, 2, v0
	v_and_b32_e32 v0, 1, v53
	v_lshl_add_u64 v[8:9], v[0:1], 0, -1
	v_cmp_ne_u32_e32 vcc, 0, v0
	; wave barrier
	s_nop 1
	v_xor_b32_e32 v8, vcc_lo, v8
	v_xor_b32_e32 v0, vcc_hi, v9
	v_and_b32_e32 v54, exec_lo, v8
	v_lshlrev_b32_e32 v9, 30, v53
	v_mov_b32_e32 v8, v1
	v_cmp_gt_i64_e32 vcc, 0, v[8:9]
	v_not_b32_e32 v8, v9
	v_ashrrev_i32_e32 v8, 31, v8
	v_and_b32_e32 v0, exec_hi, v0
	v_xor_b32_e32 v9, vcc_hi, v8
	v_xor_b32_e32 v8, vcc_lo, v8
	v_and_b32_e32 v0, v0, v9
	v_and_b32_e32 v54, v54, v8
	v_lshlrev_b32_e32 v9, 29, v53
	v_mov_b32_e32 v8, v1
	v_cmp_gt_i64_e32 vcc, 0, v[8:9]
	v_not_b32_e32 v8, v9
	v_ashrrev_i32_e32 v8, 31, v8
	v_xor_b32_e32 v9, vcc_hi, v8
	v_xor_b32_e32 v8, vcc_lo, v8
	v_and_b32_e32 v0, v0, v9
	v_and_b32_e32 v54, v54, v8
	v_lshlrev_b32_e32 v9, 28, v53
	v_mov_b32_e32 v8, v1
	v_cmp_gt_i64_e32 vcc, 0, v[8:9]
	v_not_b32_e32 v8, v9
	v_ashrrev_i32_e32 v8, 31, v8
	;; [unrolled: 9-line block ×5, first 2 shown]
	v_xor_b32_e32 v9, vcc_hi, v8
	v_xor_b32_e32 v8, vcc_lo, v8
	v_and_b32_e32 v0, v0, v9
	v_lshlrev_b32_e32 v9, 24, v53
	v_and_b32_e32 v54, v54, v8
	v_mov_b32_e32 v8, v1
	v_not_b32_e32 v1, v9
	v_cmp_gt_i64_e32 vcc, 0, v[8:9]
	v_ashrrev_i32_e32 v1, 31, v1
	ds_read_b32 v51, v55 offset:64
	v_xor_b32_e32 v8, vcc_hi, v1
	v_xor_b32_e32 v9, vcc_lo, v1
	v_and_b32_e32 v1, v0, v8
	v_and_b32_e32 v0, v54, v9
	v_mbcnt_lo_u32_b32 v8, v0, 0
	v_mbcnt_hi_u32_b32 v53, v1, v8
	v_cmp_eq_u32_e32 vcc, 0, v53
	v_cmp_ne_u64_e64 s[0:1], 0, v[0:1]
	s_and_b64 s[2:3], s[0:1], vcc
	; wave barrier
	s_and_saveexec_b64 s[0:1], s[2:3]
	s_cbranch_execz .LBB841_229
; %bb.228:
	v_bcnt_u32_b32 v0, v0, 0
	v_bcnt_u32_b32 v0, v1, v0
	s_waitcnt lgkmcnt(0)
	v_add_u32_e32 v0, v51, v0
	ds_write_b32 v55, v0 offset:64
.LBB841_229:
	s_or_b64 exec, exec, s[0:1]
	s_waitcnt vmcnt(5)
	v_xor_b32_e32 v44, 0x80000000, v44
	v_lshrrev_b32_e32 v0, s64, v44
	v_and_b32_e32 v56, s13, v0
	s_movk_i32 s2, 0x44
	v_mul_lo_u32 v0, v56, s2
	v_lshl_add_u32 v58, v27, 2, v0
	v_and_b32_e32 v0, 1, v56
	v_mov_b32_e32 v1, 0
	v_lshl_add_u64 v[8:9], v[0:1], 0, -1
	v_cmp_ne_u32_e32 vcc, 0, v0
	; wave barrier
	s_nop 1
	v_xor_b32_e32 v8, vcc_lo, v8
	v_xor_b32_e32 v0, vcc_hi, v9
	v_and_b32_e32 v57, exec_lo, v8
	v_lshlrev_b32_e32 v9, 30, v56
	v_mov_b32_e32 v8, v1
	v_cmp_gt_i64_e32 vcc, 0, v[8:9]
	v_not_b32_e32 v8, v9
	v_ashrrev_i32_e32 v8, 31, v8
	v_and_b32_e32 v0, exec_hi, v0
	v_xor_b32_e32 v9, vcc_hi, v8
	v_xor_b32_e32 v8, vcc_lo, v8
	v_and_b32_e32 v0, v0, v9
	v_and_b32_e32 v57, v57, v8
	v_lshlrev_b32_e32 v9, 29, v56
	v_mov_b32_e32 v8, v1
	v_cmp_gt_i64_e32 vcc, 0, v[8:9]
	v_not_b32_e32 v8, v9
	v_ashrrev_i32_e32 v8, 31, v8
	v_xor_b32_e32 v9, vcc_hi, v8
	v_xor_b32_e32 v8, vcc_lo, v8
	v_and_b32_e32 v0, v0, v9
	v_and_b32_e32 v57, v57, v8
	v_lshlrev_b32_e32 v9, 28, v56
	v_mov_b32_e32 v8, v1
	v_cmp_gt_i64_e32 vcc, 0, v[8:9]
	v_not_b32_e32 v8, v9
	v_ashrrev_i32_e32 v8, 31, v8
	;; [unrolled: 9-line block ×6, first 2 shown]
	v_xor_b32_e32 v9, vcc_hi, v8
	v_xor_b32_e32 v8, vcc_lo, v8
	ds_read_b32 v54, v58 offset:64
	v_and_b32_e32 v8, v57, v8
	v_and_b32_e32 v9, v0, v9
	v_mbcnt_lo_u32_b32 v0, v8, 0
	v_mbcnt_hi_u32_b32 v56, v9, v0
	v_cmp_eq_u32_e32 vcc, 0, v56
	v_cmp_ne_u64_e64 s[0:1], 0, v[8:9]
	s_and_b64 s[4:5], s[0:1], vcc
	; wave barrier
	s_and_saveexec_b64 s[0:1], s[4:5]
	s_cbranch_execz .LBB841_231
; %bb.230:
	v_bcnt_u32_b32 v0, v8, 0
	v_bcnt_u32_b32 v0, v9, v0
	s_waitcnt lgkmcnt(0)
	v_add_u32_e32 v0, v54, v0
	ds_write_b32 v58, v0 offset:64
.LBB841_231:
	s_or_b64 exec, exec, s[0:1]
	s_waitcnt vmcnt(4)
	v_xor_b32_e32 v45, 0x80000000, v45
	v_lshrrev_b32_e32 v0, s64, v45
	v_and_b32_e32 v59, s13, v0
	v_mul_lo_u32 v0, v59, s2
	v_lshl_add_u32 v62, v27, 2, v0
	v_and_b32_e32 v0, 1, v59
	v_lshl_add_u64 v[8:9], v[0:1], 0, -1
	v_cmp_ne_u32_e32 vcc, 0, v0
	; wave barrier
	s_nop 1
	v_xor_b32_e32 v8, vcc_lo, v8
	v_xor_b32_e32 v0, vcc_hi, v9
	v_and_b32_e32 v60, exec_lo, v8
	v_lshlrev_b32_e32 v9, 30, v59
	v_mov_b32_e32 v8, v1
	v_cmp_gt_i64_e32 vcc, 0, v[8:9]
	v_not_b32_e32 v8, v9
	v_ashrrev_i32_e32 v8, 31, v8
	v_and_b32_e32 v0, exec_hi, v0
	v_xor_b32_e32 v9, vcc_hi, v8
	v_xor_b32_e32 v8, vcc_lo, v8
	v_and_b32_e32 v0, v0, v9
	v_and_b32_e32 v60, v60, v8
	v_lshlrev_b32_e32 v9, 29, v59
	v_mov_b32_e32 v8, v1
	v_cmp_gt_i64_e32 vcc, 0, v[8:9]
	v_not_b32_e32 v8, v9
	v_ashrrev_i32_e32 v8, 31, v8
	v_xor_b32_e32 v9, vcc_hi, v8
	v_xor_b32_e32 v8, vcc_lo, v8
	v_and_b32_e32 v0, v0, v9
	v_and_b32_e32 v60, v60, v8
	v_lshlrev_b32_e32 v9, 28, v59
	v_mov_b32_e32 v8, v1
	v_cmp_gt_i64_e32 vcc, 0, v[8:9]
	v_not_b32_e32 v8, v9
	v_ashrrev_i32_e32 v8, 31, v8
	;; [unrolled: 9-line block ×5, first 2 shown]
	v_xor_b32_e32 v9, vcc_hi, v8
	v_xor_b32_e32 v8, vcc_lo, v8
	v_and_b32_e32 v0, v0, v9
	v_lshlrev_b32_e32 v9, 24, v59
	v_and_b32_e32 v60, v60, v8
	v_mov_b32_e32 v8, v1
	v_not_b32_e32 v1, v9
	v_cmp_gt_i64_e32 vcc, 0, v[8:9]
	v_ashrrev_i32_e32 v1, 31, v1
	ds_read_b32 v57, v62 offset:64
	v_xor_b32_e32 v8, vcc_hi, v1
	v_xor_b32_e32 v9, vcc_lo, v1
	v_and_b32_e32 v1, v0, v8
	v_and_b32_e32 v0, v60, v9
	v_mbcnt_lo_u32_b32 v8, v0, 0
	v_mbcnt_hi_u32_b32 v59, v1, v8
	v_cmp_eq_u32_e32 vcc, 0, v59
	v_cmp_ne_u64_e64 s[0:1], 0, v[0:1]
	s_and_b64 s[2:3], s[0:1], vcc
	; wave barrier
	s_and_saveexec_b64 s[0:1], s[2:3]
	s_cbranch_execz .LBB841_233
; %bb.232:
	v_bcnt_u32_b32 v0, v0, 0
	v_bcnt_u32_b32 v0, v1, v0
	s_waitcnt lgkmcnt(0)
	v_add_u32_e32 v0, v57, v0
	ds_write_b32 v62, v0 offset:64
.LBB841_233:
	s_or_b64 exec, exec, s[0:1]
	s_waitcnt vmcnt(3)
	v_xor_b32_e32 v40, 0x80000000, v40
	v_lshrrev_b32_e32 v0, s64, v40
	v_and_b32_e32 v61, s13, v0
	s_movk_i32 s2, 0x44
	v_mul_lo_u32 v0, v61, s2
	v_lshl_add_u32 v65, v27, 2, v0
	v_and_b32_e32 v0, 1, v61
	v_mov_b32_e32 v1, 0
	v_lshl_add_u64 v[8:9], v[0:1], 0, -1
	v_cmp_ne_u32_e32 vcc, 0, v0
	; wave barrier
	s_nop 1
	v_xor_b32_e32 v8, vcc_lo, v8
	v_xor_b32_e32 v0, vcc_hi, v9
	v_and_b32_e32 v63, exec_lo, v8
	v_lshlrev_b32_e32 v9, 30, v61
	v_mov_b32_e32 v8, v1
	v_cmp_gt_i64_e32 vcc, 0, v[8:9]
	v_not_b32_e32 v8, v9
	v_ashrrev_i32_e32 v8, 31, v8
	v_and_b32_e32 v0, exec_hi, v0
	v_xor_b32_e32 v9, vcc_hi, v8
	v_xor_b32_e32 v8, vcc_lo, v8
	v_and_b32_e32 v0, v0, v9
	v_and_b32_e32 v63, v63, v8
	v_lshlrev_b32_e32 v9, 29, v61
	v_mov_b32_e32 v8, v1
	v_cmp_gt_i64_e32 vcc, 0, v[8:9]
	v_not_b32_e32 v8, v9
	v_ashrrev_i32_e32 v8, 31, v8
	v_xor_b32_e32 v9, vcc_hi, v8
	v_xor_b32_e32 v8, vcc_lo, v8
	v_and_b32_e32 v0, v0, v9
	v_and_b32_e32 v63, v63, v8
	v_lshlrev_b32_e32 v9, 28, v61
	v_mov_b32_e32 v8, v1
	v_cmp_gt_i64_e32 vcc, 0, v[8:9]
	v_not_b32_e32 v8, v9
	v_ashrrev_i32_e32 v8, 31, v8
	;; [unrolled: 9-line block ×6, first 2 shown]
	v_xor_b32_e32 v9, vcc_hi, v8
	v_xor_b32_e32 v8, vcc_lo, v8
	ds_read_b32 v60, v65 offset:64
	v_and_b32_e32 v8, v63, v8
	v_and_b32_e32 v9, v0, v9
	v_mbcnt_lo_u32_b32 v0, v8, 0
	v_mbcnt_hi_u32_b32 v63, v9, v0
	v_cmp_eq_u32_e32 vcc, 0, v63
	v_cmp_ne_u64_e64 s[0:1], 0, v[8:9]
	s_and_b64 s[4:5], s[0:1], vcc
	; wave barrier
	s_and_saveexec_b64 s[0:1], s[4:5]
	s_cbranch_execz .LBB841_235
; %bb.234:
	v_bcnt_u32_b32 v0, v8, 0
	v_bcnt_u32_b32 v0, v9, v0
	s_waitcnt lgkmcnt(0)
	v_add_u32_e32 v0, v60, v0
	ds_write_b32 v65, v0 offset:64
.LBB841_235:
	s_or_b64 exec, exec, s[0:1]
	s_waitcnt vmcnt(2)
	v_xor_b32_e32 v36, 0x80000000, v36
	v_lshrrev_b32_e32 v0, s64, v36
	v_and_b32_e32 v61, s13, v0
	v_mul_lo_u32 v0, v61, s2
	v_lshl_add_u32 v68, v27, 2, v0
	v_and_b32_e32 v0, 1, v61
	v_lshl_add_u64 v[8:9], v[0:1], 0, -1
	v_cmp_ne_u32_e32 vcc, 0, v0
	; wave barrier
	s_nop 1
	v_xor_b32_e32 v8, vcc_lo, v8
	v_xor_b32_e32 v0, vcc_hi, v9
	v_and_b32_e32 v66, exec_lo, v8
	v_lshlrev_b32_e32 v9, 30, v61
	v_mov_b32_e32 v8, v1
	v_cmp_gt_i64_e32 vcc, 0, v[8:9]
	v_not_b32_e32 v8, v9
	v_ashrrev_i32_e32 v8, 31, v8
	v_and_b32_e32 v0, exec_hi, v0
	v_xor_b32_e32 v9, vcc_hi, v8
	v_xor_b32_e32 v8, vcc_lo, v8
	v_and_b32_e32 v0, v0, v9
	v_and_b32_e32 v66, v66, v8
	v_lshlrev_b32_e32 v9, 29, v61
	v_mov_b32_e32 v8, v1
	v_cmp_gt_i64_e32 vcc, 0, v[8:9]
	v_not_b32_e32 v8, v9
	v_ashrrev_i32_e32 v8, 31, v8
	v_xor_b32_e32 v9, vcc_hi, v8
	v_xor_b32_e32 v8, vcc_lo, v8
	v_and_b32_e32 v0, v0, v9
	v_and_b32_e32 v66, v66, v8
	v_lshlrev_b32_e32 v9, 28, v61
	v_mov_b32_e32 v8, v1
	v_cmp_gt_i64_e32 vcc, 0, v[8:9]
	v_not_b32_e32 v8, v9
	v_ashrrev_i32_e32 v8, 31, v8
	;; [unrolled: 9-line block ×5, first 2 shown]
	v_xor_b32_e32 v9, vcc_hi, v8
	v_xor_b32_e32 v8, vcc_lo, v8
	v_and_b32_e32 v0, v0, v9
	v_lshlrev_b32_e32 v9, 24, v61
	v_and_b32_e32 v66, v66, v8
	v_mov_b32_e32 v8, v1
	v_not_b32_e32 v1, v9
	v_cmp_gt_i64_e32 vcc, 0, v[8:9]
	v_ashrrev_i32_e32 v1, 31, v1
	ds_read_b32 v64, v68 offset:64
	v_xor_b32_e32 v8, vcc_hi, v1
	v_xor_b32_e32 v9, vcc_lo, v1
	v_and_b32_e32 v1, v0, v8
	v_and_b32_e32 v0, v66, v9
	v_mbcnt_lo_u32_b32 v8, v0, 0
	v_mbcnt_hi_u32_b32 v66, v1, v8
	v_cmp_eq_u32_e32 vcc, 0, v66
	v_cmp_ne_u64_e64 s[0:1], 0, v[0:1]
	s_and_b64 s[2:3], s[0:1], vcc
	; wave barrier
	s_and_saveexec_b64 s[0:1], s[2:3]
	s_cbranch_execz .LBB841_237
; %bb.236:
	v_bcnt_u32_b32 v0, v0, 0
	v_bcnt_u32_b32 v0, v1, v0
	s_waitcnt lgkmcnt(0)
	v_add_u32_e32 v0, v64, v0
	ds_write_b32 v68, v0 offset:64
.LBB841_237:
	s_or_b64 exec, exec, s[0:1]
	s_waitcnt vmcnt(1)
	v_xor_b32_e32 v31, 0x80000000, v31
	v_lshrrev_b32_e32 v0, s64, v31
	v_and_b32_e32 v61, s13, v0
	s_movk_i32 s2, 0x44
	v_mul_lo_u32 v0, v61, s2
	v_lshl_add_u32 v70, v27, 2, v0
	v_and_b32_e32 v0, 1, v61
	v_mov_b32_e32 v1, 0
	v_lshl_add_u64 v[8:9], v[0:1], 0, -1
	v_cmp_ne_u32_e32 vcc, 0, v0
	; wave barrier
	s_nop 1
	v_xor_b32_e32 v8, vcc_lo, v8
	v_xor_b32_e32 v0, vcc_hi, v9
	v_and_b32_e32 v69, exec_lo, v8
	v_lshlrev_b32_e32 v9, 30, v61
	v_mov_b32_e32 v8, v1
	v_cmp_gt_i64_e32 vcc, 0, v[8:9]
	v_not_b32_e32 v8, v9
	v_ashrrev_i32_e32 v8, 31, v8
	v_and_b32_e32 v0, exec_hi, v0
	v_xor_b32_e32 v9, vcc_hi, v8
	v_xor_b32_e32 v8, vcc_lo, v8
	v_and_b32_e32 v0, v0, v9
	v_and_b32_e32 v69, v69, v8
	v_lshlrev_b32_e32 v9, 29, v61
	v_mov_b32_e32 v8, v1
	v_cmp_gt_i64_e32 vcc, 0, v[8:9]
	v_not_b32_e32 v8, v9
	v_ashrrev_i32_e32 v8, 31, v8
	v_xor_b32_e32 v9, vcc_hi, v8
	v_xor_b32_e32 v8, vcc_lo, v8
	v_and_b32_e32 v0, v0, v9
	v_and_b32_e32 v69, v69, v8
	v_lshlrev_b32_e32 v9, 28, v61
	v_mov_b32_e32 v8, v1
	v_cmp_gt_i64_e32 vcc, 0, v[8:9]
	v_not_b32_e32 v8, v9
	v_ashrrev_i32_e32 v8, 31, v8
	;; [unrolled: 9-line block ×6, first 2 shown]
	v_xor_b32_e32 v9, vcc_hi, v8
	v_xor_b32_e32 v8, vcc_lo, v8
	ds_read_b32 v67, v70 offset:64
	v_and_b32_e32 v8, v69, v8
	v_and_b32_e32 v9, v0, v9
	v_mbcnt_lo_u32_b32 v0, v8, 0
	v_mbcnt_hi_u32_b32 v69, v9, v0
	v_cmp_eq_u32_e32 vcc, 0, v69
	v_cmp_ne_u64_e64 s[0:1], 0, v[8:9]
	s_and_b64 s[4:5], s[0:1], vcc
	; wave barrier
	s_and_saveexec_b64 s[0:1], s[4:5]
	s_cbranch_execz .LBB841_239
; %bb.238:
	v_bcnt_u32_b32 v0, v8, 0
	v_bcnt_u32_b32 v0, v9, v0
	s_waitcnt lgkmcnt(0)
	v_add_u32_e32 v0, v67, v0
	ds_write_b32 v70, v0 offset:64
.LBB841_239:
	s_or_b64 exec, exec, s[0:1]
	s_waitcnt vmcnt(0)
	v_xor_b32_e32 v61, 0x80000000, v25
	v_lshrrev_b32_e32 v0, s64, v61
	v_and_b32_e32 v25, s13, v0
	v_mul_lo_u32 v0, v25, s2
	v_lshl_add_u32 v72, v27, 2, v0
	v_and_b32_e32 v0, 1, v25
	v_lshl_add_u64 v[8:9], v[0:1], 0, -1
	v_cmp_ne_u32_e32 vcc, 0, v0
	; wave barrier
	s_nop 1
	v_xor_b32_e32 v8, vcc_lo, v8
	v_xor_b32_e32 v0, vcc_hi, v9
	v_and_b32_e32 v71, exec_lo, v8
	v_lshlrev_b32_e32 v9, 30, v25
	v_mov_b32_e32 v8, v1
	v_cmp_gt_i64_e32 vcc, 0, v[8:9]
	v_not_b32_e32 v8, v9
	v_ashrrev_i32_e32 v8, 31, v8
	v_and_b32_e32 v0, exec_hi, v0
	v_xor_b32_e32 v9, vcc_hi, v8
	v_xor_b32_e32 v8, vcc_lo, v8
	v_and_b32_e32 v0, v0, v9
	v_and_b32_e32 v71, v71, v8
	v_lshlrev_b32_e32 v9, 29, v25
	v_mov_b32_e32 v8, v1
	v_cmp_gt_i64_e32 vcc, 0, v[8:9]
	v_not_b32_e32 v8, v9
	v_ashrrev_i32_e32 v8, 31, v8
	v_xor_b32_e32 v9, vcc_hi, v8
	v_xor_b32_e32 v8, vcc_lo, v8
	v_and_b32_e32 v0, v0, v9
	v_and_b32_e32 v71, v71, v8
	v_lshlrev_b32_e32 v9, 28, v25
	v_mov_b32_e32 v8, v1
	v_cmp_gt_i64_e32 vcc, 0, v[8:9]
	v_not_b32_e32 v8, v9
	v_ashrrev_i32_e32 v8, 31, v8
	;; [unrolled: 9-line block ×5, first 2 shown]
	v_xor_b32_e32 v9, vcc_hi, v8
	v_xor_b32_e32 v8, vcc_lo, v8
	v_and_b32_e32 v0, v0, v9
	v_lshlrev_b32_e32 v9, 24, v25
	v_and_b32_e32 v71, v71, v8
	v_mov_b32_e32 v8, v1
	v_not_b32_e32 v1, v9
	v_cmp_gt_i64_e32 vcc, 0, v[8:9]
	v_ashrrev_i32_e32 v1, 31, v1
	ds_read_b32 v27, v72 offset:64
	v_xor_b32_e32 v8, vcc_hi, v1
	v_xor_b32_e32 v9, vcc_lo, v1
	v_and_b32_e32 v1, v0, v8
	v_and_b32_e32 v0, v71, v9
	v_mbcnt_lo_u32_b32 v8, v0, 0
	v_mbcnt_hi_u32_b32 v71, v1, v8
	v_cmp_eq_u32_e32 vcc, 0, v71
	v_cmp_ne_u64_e64 s[0:1], 0, v[0:1]
	s_and_b64 s[2:3], s[0:1], vcc
	; wave barrier
	s_and_saveexec_b64 s[0:1], s[2:3]
	s_cbranch_execz .LBB841_241
; %bb.240:
	v_bcnt_u32_b32 v0, v0, 0
	v_bcnt_u32_b32 v0, v1, v0
	s_waitcnt lgkmcnt(0)
	v_add_u32_e32 v0, v27, v0
	ds_write_b32 v72, v0 offset:64
.LBB841_241:
	s_or_b64 exec, exec, s[0:1]
	; wave barrier
	s_waitcnt lgkmcnt(0)
	s_barrier
	ds_read2_b32 v[8:9], v11 offset0:16 offset1:17
	ds_read2_b32 v[0:1], v11 offset0:18 offset1:19
	ds_read_b32 v25, v11 offset:80
	v_cmp_lt_u32_e64 s[2:3], 31, v10
	s_waitcnt lgkmcnt(1)
	v_add3_u32 v73, v9, v8, v0
	s_waitcnt lgkmcnt(0)
	v_add3_u32 v25, v73, v1, v25
	v_and_b32_e32 v73, 15, v10
	v_cmp_eq_u32_e32 vcc, 0, v73
	v_mov_b32_dpp v74, v25 row_shr:1 row_mask:0xf bank_mask:0xf
	v_cmp_lt_u32_e64 s[0:1], 1, v73
	v_cndmask_b32_e64 v74, v74, 0, vcc
	v_add_u32_e32 v25, v74, v25
	v_cmp_lt_u32_e64 s[4:5], 3, v73
	v_cmp_lt_u32_e64 s[6:7], 7, v73
	v_mov_b32_dpp v74, v25 row_shr:2 row_mask:0xf bank_mask:0xf
	v_cndmask_b32_e64 v74, 0, v74, s[0:1]
	v_add_u32_e32 v25, v25, v74
	s_nop 1
	v_mov_b32_dpp v74, v25 row_shr:4 row_mask:0xf bank_mask:0xf
	v_cndmask_b32_e64 v74, 0, v74, s[4:5]
	v_add_u32_e32 v25, v25, v74
	s_nop 1
	v_mov_b32_dpp v74, v25 row_shr:8 row_mask:0xf bank_mask:0xf
	v_cndmask_b32_e64 v73, 0, v74, s[6:7]
	v_add_u32_e32 v25, v25, v73
	v_bfe_i32 v74, v10, 4, 1
	s_nop 0
	v_mov_b32_dpp v73, v25 row_bcast:15 row_mask:0xf bank_mask:0xf
	v_and_b32_e32 v73, v74, v73
	v_add_u32_e32 v25, v25, v73
	v_lshrrev_b32_e32 v74, 6, v2
	s_nop 0
	v_mov_b32_dpp v73, v25 row_bcast:31 row_mask:0xf bank_mask:0xf
	v_cndmask_b32_e64 v73, 0, v73, s[2:3]
	v_add_u32_e32 v73, v25, v73
	v_and_b32_e32 v25, 63, v2
	v_cmp_eq_u32_e64 s[2:3], 63, v25
	s_and_saveexec_b64 s[10:11], s[2:3]
; %bb.242:
	v_lshlrev_b32_e32 v25, 2, v74
	ds_write_b32 v25, v73
; %bb.243:
	s_or_b64 exec, exec, s[10:11]
	v_cmp_gt_u32_e64 s[2:3], 16, v2
	v_lshlrev_b32_e32 v25, 2, v2
	s_waitcnt lgkmcnt(0)
	s_barrier
	s_and_saveexec_b64 s[10:11], s[2:3]
	s_cbranch_execz .LBB841_245
; %bb.244:
	ds_read_b32 v75, v25
	s_waitcnt lgkmcnt(0)
	s_nop 0
	v_mov_b32_dpp v76, v75 row_shr:1 row_mask:0xf bank_mask:0xf
	v_cndmask_b32_e64 v76, v76, 0, vcc
	v_add_u32_e32 v75, v76, v75
	s_nop 1
	v_mov_b32_dpp v76, v75 row_shr:2 row_mask:0xf bank_mask:0xf
	v_cndmask_b32_e64 v76, 0, v76, s[0:1]
	v_add_u32_e32 v75, v75, v76
	s_nop 1
	v_mov_b32_dpp v76, v75 row_shr:4 row_mask:0xf bank_mask:0xf
	v_cndmask_b32_e64 v76, 0, v76, s[4:5]
	;; [unrolled: 4-line block ×3, first 2 shown]
	v_add_u32_e32 v75, v75, v76
	ds_write_b32 v25, v75
.LBB841_245:
	s_or_b64 exec, exec, s[10:11]
	v_cmp_lt_u32_e32 vcc, 63, v2
	v_mov_b32_e32 v75, 0
	s_waitcnt lgkmcnt(0)
	s_barrier
	s_and_saveexec_b64 s[0:1], vcc
; %bb.246:
	v_lshl_add_u32 v74, v74, 2, -4
	ds_read_b32 v75, v74
; %bb.247:
	s_or_b64 exec, exec, s[0:1]
	v_subrev_co_u32_e32 v74, vcc, 1, v10
	v_and_b32_e32 v76, 64, v10
	v_cmp_lt_i32_e64 s[0:1], v74, v76
	s_waitcnt lgkmcnt(0)
	v_add_u32_e32 v73, v75, v73
	s_movk_i32 s2, 0x100
	v_cndmask_b32_e64 v10, v74, v10, s[0:1]
	v_lshlrev_b32_e32 v10, 2, v10
	ds_bpermute_b32 v10, v10, v73
	s_movk_i32 s0, 0xff
	s_waitcnt lgkmcnt(0)
	v_cndmask_b32_e32 v10, v10, v75, vcc
	v_cndmask_b32_e64 v10, v10, 0, s[44:45]
	v_add_u32_e32 v8, v10, v8
	v_add_u32_e32 v9, v8, v9
	;; [unrolled: 1-line block ×4, first 2 shown]
	ds_write2_b32 v11, v10, v8 offset0:16 offset1:17
	ds_write2_b32 v11, v9, v0 offset0:18 offset1:19
	ds_write_b32 v11, v1 offset:80
	s_waitcnt lgkmcnt(0)
	s_barrier
	ds_read_b32 v81, v18 offset:64
	ds_read_b32 v73, v21 offset:64
	ds_read_b32 v74, v26 offset:64
	ds_read_b32 v75, v32 offset:64
	ds_read_b32 v76, v37 offset:64
	ds_read_b32 v77, v41 offset:64
	ds_read_b32 v78, v46 offset:64
	ds_read_b32 v79, v49 offset:64
	ds_read_b32 v80, v52 offset:64
	ds_read_b32 v55, v55 offset:64
	ds_read_b32 v52, v58 offset:64
	ds_read_b32 v46, v62 offset:64
	ds_read_b32 v37, v65 offset:64
	ds_read_b32 v32, v68 offset:64
	ds_read_b32 v26, v70 offset:64
	ds_read_b32 v41, v72 offset:64
	v_cmp_lt_u32_e32 vcc, s0, v2
	v_cmp_gt_u32_e64 s[0:1], s2, v2
                                        ; implicit-def: $vgpr18
                                        ; implicit-def: $vgpr21
	s_and_saveexec_b64 s[4:5], s[0:1]
	s_cbranch_execz .LBB841_251
; %bb.248:
	v_mul_u32_u24_e32 v0, 0x44, v2
	ds_read_b32 v18, v0 offset:64
	v_add_u32_e32 v1, 1, v2
	v_cmp_ne_u32_e64 s[2:3], s2, v1
	v_mov_b32_e32 v0, 0x4000
	s_and_saveexec_b64 s[6:7], s[2:3]
; %bb.249:
	v_mul_u32_u24_e32 v0, 0x44, v1
	ds_read_b32 v0, v0 offset:64
; %bb.250:
	s_or_b64 exec, exec, s[6:7]
	s_waitcnt lgkmcnt(0)
	v_sub_u32_e32 v21, v0, v18
.LBB841_251:
	s_or_b64 exec, exec, s[4:5]
	v_mov_b32_e32 v1, 0
	s_waitcnt lgkmcnt(0)
	s_barrier
	s_and_saveexec_b64 s[2:3], s[0:1]
	s_cbranch_execz .LBB841_261
; %bb.252:
	v_lshl_add_u32 v0, s33, 8, v2
	v_lshl_add_u64 v[8:9], v[0:1], 2, s[68:69]
	v_or_b32_e32 v0, 2.0, v21
	s_mov_b64 s[4:5], 0
	s_brev_b32 s14, -4
	s_mov_b32 s15, s33
	v_mov_b32_e32 v49, 0
	global_store_dword v[8:9], v0, off sc1
                                        ; implicit-def: $sgpr0_sgpr1
	s_branch .LBB841_255
.LBB841_253:                            ;   in Loop: Header=BB841_255 Depth=1
	s_or_b64 exec, exec, s[10:11]
.LBB841_254:                            ;   in Loop: Header=BB841_255 Depth=1
	s_or_b64 exec, exec, s[6:7]
	v_and_b32_e32 v10, 0x3fffffff, v0
	v_add_u32_e32 v49, v10, v49
	v_cmp_gt_i32_e64 s[0:1], -2.0, v0
	s_and_b64 s[6:7], exec, s[0:1]
	s_or_b64 s[4:5], s[6:7], s[4:5]
	s_andn2_b64 exec, exec, s[4:5]
	s_cbranch_execz .LBB841_260
.LBB841_255:                            ; =>This Loop Header: Depth=1
                                        ;     Child Loop BB841_258 Depth 2
	s_or_b64 s[0:1], s[0:1], exec
	s_cmp_eq_u32 s15, 0
	s_cbranch_scc1 .LBB841_259
; %bb.256:                              ;   in Loop: Header=BB841_255 Depth=1
	s_add_i32 s15, s15, -1
	v_lshl_or_b32 v0, s15, 8, v2
	v_lshl_add_u64 v[10:11], v[0:1], 2, s[68:69]
	global_load_dword v0, v[10:11], off sc1
	s_waitcnt vmcnt(0)
	v_cmp_gt_u32_e64 s[0:1], 2.0, v0
	s_and_saveexec_b64 s[6:7], s[0:1]
	s_cbranch_execz .LBB841_254
; %bb.257:                              ;   in Loop: Header=BB841_255 Depth=1
	s_mov_b64 s[10:11], 0
.LBB841_258:                            ;   Parent Loop BB841_255 Depth=1
                                        ; =>  This Inner Loop Header: Depth=2
	global_load_dword v0, v[10:11], off sc1
	s_waitcnt vmcnt(0)
	v_cmp_lt_u32_e64 s[0:1], s14, v0
	s_or_b64 s[10:11], s[0:1], s[10:11]
	s_andn2_b64 exec, exec, s[10:11]
	s_cbranch_execnz .LBB841_258
	s_branch .LBB841_253
.LBB841_259:                            ;   in Loop: Header=BB841_255 Depth=1
                                        ; implicit-def: $sgpr15
	s_and_b64 s[6:7], exec, s[0:1]
	s_or_b64 s[4:5], s[6:7], s[4:5]
	s_andn2_b64 exec, exec, s[4:5]
	s_cbranch_execnz .LBB841_255
.LBB841_260:
	s_or_b64 exec, exec, s[4:5]
	v_add_u32_e32 v0, v49, v21
	v_or_b32_e32 v0, 0x80000000, v0
	global_store_dword v[8:9], v0, off sc1
	global_load_dword v0, v25, s[60:61]
	v_sub_u32_e32 v1, v49, v18
	s_waitcnt vmcnt(0)
	v_add_u32_e32 v0, v1, v0
	ds_write_b32 v25, v0
.LBB841_261:
	s_or_b64 exec, exec, s[2:3]
	v_add_u32_e32 v8, v81, v14
	v_add3_u32 v0, v16, v13, v73
	v_add3_u32 v1, v20, v17, v74
	v_add3_u32 v58, v24, v22, v75
	v_add3_u32 v62, v30, v28, v76
	v_add3_u32 v65, v35, v33, v77
	v_add3_u32 v68, v42, v38, v78
	v_add3_u32 v70, v47, v43, v79
	v_add3_u32 v72, v50, v48, v80
	v_add3_u32 v81, v53, v51, v55
	v_add3_u32 v49, v56, v54, v52
	v_add3_u32 v82, v59, v57, v46
	v_add3_u32 v83, v63, v60, v37
	v_add3_u32 v84, v66, v64, v32
	v_add3_u32 v11, v69, v67, v26
	v_add3_u32 v9, v71, v27, v41
	v_mov_b32_e32 v85, 0x400
	s_mov_b32 s4, s64
	s_mov_b32 s5, s13
	s_movk_i32 s6, 0x400
	v_lshl_add_u32 v9, v9, 2, v85
	v_add3_u32 v10, v71, v41, v27
	v_lshl_add_u32 v11, v11, 2, v85
	v_add3_u32 v14, v69, v26, v67
	;; [unrolled: 2-line block ×15, first 2 shown]
	v_lshl_add_u32 v16, v8, 2, v85
	s_mov_b32 s7, 0
	s_mov_b32 s10, 0
	s_movk_i32 s11, 0x1000
	v_mov_b32_e32 v1, 0
	s_movk_i32 s14, 0x800
	s_movk_i32 s15, 0xc00
	v_mov_b32_e32 v55, v2
	s_mov_b32 s16, 0
	s_branch .LBB841_263
.LBB841_262:                            ;   in Loop: Header=BB841_263 Depth=1
	s_or_b64 exec, exec, s[2:3]
	s_waitcnt lgkmcnt(0)
	s_barrier
	ds_read2st64_b32 v[56:57], v25 offset0:4 offset1:20
	ds_read2st64_b32 v[62:63], v25 offset0:36 offset1:52
	s_addk_i32 s16, 0xc000
	s_addk_i32 s10, 0xf000
	s_waitcnt lgkmcnt(1)
	v_xor_b32_e32 v60, 0x80000000, v56
	v_lshrrev_b32_e32 v56, s64, v56
	v_lshrrev_b32_e32 v0, s4, v57
	v_and_b32_e32 v56, s13, v56
	v_xor_b32_e32 v66, 0x80000000, v57
	v_and_b32_e32 v57, s5, v0
	v_lshlrev_b32_e32 v0, 2, v56
	ds_read_b32 v0, v0
	s_waitcnt lgkmcnt(1)
	v_lshrrev_b32_e32 v58, s4, v63
	v_lshrrev_b32_e32 v65, s64, v62
	v_and_b32_e32 v59, s5, v58
	v_lshlrev_b32_e32 v64, 2, v57
	v_and_b32_e32 v58, s13, v65
	v_lshlrev_b32_e32 v67, 2, v59
	v_lshlrev_b32_e32 v65, 2, v58
	ds_read_b32 v68, v64
	ds_read_b32 v69, v65
	;; [unrolled: 1-line block ×3, first 2 shown]
	s_waitcnt lgkmcnt(3)
	v_add_u32_e32 v0, v55, v0
	v_lshl_add_u64 v[64:65], v[0:1], 2, s[54:55]
	s_waitcnt lgkmcnt(2)
	v_add3_u32 v0, v55, v68, s6
	global_store_dword v[64:65], v60, off
	v_lshl_add_u64 v[64:65], v[0:1], 2, s[54:55]
	s_waitcnt lgkmcnt(1)
	v_add3_u32 v0, v55, v69, s14
	global_store_dword v[64:65], v66, off
	v_xor_b32_e32 v60, 0x80000000, v62
	v_xor_b32_e32 v64, 0x80000000, v63
	v_lshl_add_u64 v[62:63], v[0:1], 2, s[54:55]
	s_waitcnt lgkmcnt(0)
	v_add3_u32 v0, v55, v67, s15
	global_store_dword v[62:63], v60, off
	v_lshl_add_u64 v[62:63], v[0:1], 2, s[54:55]
	global_store_dword v[62:63], v64, off
	scratch_store_dwordx4 off, v[56:59], s7
	s_add_i32 s7, s7, 16
	s_cmp_eq_u32 s16, 0xffff0000
	v_add_u32_e32 v55, 0x1000, v55
	s_barrier
	s_cbranch_scc1 .LBB841_295
.LBB841_263:                            ; =>This Inner Loop Header: Depth=1
	v_add_u32_e32 v0, s10, v8
	v_cmp_gt_u32_e64 s[0:1], s11, v0
	s_and_saveexec_b64 s[2:3], s[0:1]
; %bb.264:                              ;   in Loop: Header=BB841_263 Depth=1
	v_add_u32_e32 v0, s16, v16
	ds_write_b32 v0, v3
; %bb.265:                              ;   in Loop: Header=BB841_263 Depth=1
	s_or_b64 exec, exec, s[2:3]
	v_add_u32_e32 v0, s10, v13
	v_cmp_gt_u32_e64 s[0:1], s11, v0
	s_and_saveexec_b64 s[2:3], s[0:1]
; %bb.266:                              ;   in Loop: Header=BB841_263 Depth=1
	v_add_u32_e32 v0, s16, v20
	ds_write_b32 v0, v5
; %bb.267:                              ;   in Loop: Header=BB841_263 Depth=1
	s_or_b64 exec, exec, s[2:3]
	;; [unrolled: 8-line block ×15, first 2 shown]
	v_add_u32_e32 v0, s10, v10
	v_cmp_gt_u32_e64 s[0:1], s11, v0
	s_and_saveexec_b64 s[2:3], s[0:1]
	s_cbranch_execz .LBB841_262
; %bb.294:                              ;   in Loop: Header=BB841_263 Depth=1
	v_add_u32_e32 v0, s16, v9
	ds_write_b32 v0, v61
	s_branch .LBB841_262
.LBB841_295:
	s_add_u32 s0, s56, s8
	s_addc_u32 s1, s57, s9
	v_mov_b32_e32 v5, 0
	v_lshl_add_u64 v[0:1], s[0:1], 0, v[4:5]
	v_mov_b32_e32 v7, v5
	v_lshl_add_u64 v[44:45], v[0:1], 0, v[6:7]
	global_load_dword v0, v[44:45], off
	global_load_dword v1, v[44:45], off offset:256
	global_load_dword v3, v[44:45], off offset:512
	;; [unrolled: 1-line block ×14, first 2 shown]
	s_nop 0
	global_load_dword v44, v[44:45], off offset:3840
	s_mov_b32 s4, 0
	s_mov_b32 s5, 0
	s_movk_i32 s6, 0x1000
	s_movk_i32 s7, 0x400
	;; [unrolled: 1-line block ×4, first 2 shown]
	s_mov_b32 s10, 0
	s_branch .LBB841_297
.LBB841_296:                            ;   in Loop: Header=BB841_297 Depth=1
	s_or_b64 exec, exec, s[2:3]
	s_waitcnt lgkmcnt(0)
	s_barrier
	scratch_load_dwordx4 v[56:59], off, s4
	ds_read2st64_b32 v[60:61], v25 offset0:4 offset1:20
	ds_read2st64_b32 v[62:63], v25 offset0:36 offset1:52
	s_addk_i32 s10, 0xc000
	s_addk_i32 s5, 0xf000
	s_add_i32 s4, s4, 16
	s_cmp_eq_u32 s10, 0xffff0000
	s_waitcnt vmcnt(0)
	v_lshlrev_b32_e32 v4, 2, v56
	ds_read_b32 v4, v4
	v_lshlrev_b32_e32 v45, 2, v57
	v_lshlrev_b32_e32 v55, 2, v58
	v_lshlrev_b32_e32 v56, 2, v59
	ds_read_b32 v45, v45
	ds_read_b32 v55, v55
	;; [unrolled: 1-line block ×3, first 2 shown]
	s_waitcnt lgkmcnt(3)
	v_add_u32_e32 v4, v2, v4
	v_lshl_add_u64 v[56:57], v[4:5], 2, s[58:59]
	s_waitcnt lgkmcnt(2)
	v_add3_u32 v4, v2, v45, s7
	global_store_dword v[56:57], v60, off
	v_lshl_add_u64 v[56:57], v[4:5], 2, s[58:59]
	s_waitcnt lgkmcnt(1)
	v_add3_u32 v4, v2, v55, s8
	global_store_dword v[56:57], v61, off
	;; [unrolled: 4-line block ×3, first 2 shown]
	v_lshl_add_u64 v[56:57], v[4:5], 2, s[58:59]
	v_add_u32_e32 v2, 0x1000, v2
	global_store_dword v[56:57], v63, off
	s_barrier
	s_cbranch_scc1 .LBB841_329
.LBB841_297:                            ; =>This Inner Loop Header: Depth=1
	v_add_u32_e32 v4, s5, v8
	v_cmp_gt_u32_e64 s[0:1], s6, v4
	s_and_saveexec_b64 s[2:3], s[0:1]
	s_cbranch_execz .LBB841_299
; %bb.298:                              ;   in Loop: Header=BB841_297 Depth=1
	v_add_u32_e32 v4, s10, v16
	s_waitcnt vmcnt(15)
	ds_write_b32 v4, v0
.LBB841_299:                            ;   in Loop: Header=BB841_297 Depth=1
	s_or_b64 exec, exec, s[2:3]
	v_add_u32_e32 v4, s5, v13
	v_cmp_gt_u32_e64 s[0:1], s6, v4
	s_and_saveexec_b64 s[2:3], s[0:1]
	s_cbranch_execz .LBB841_301
; %bb.300:                              ;   in Loop: Header=BB841_297 Depth=1
	v_add_u32_e32 v4, s10, v20
	s_waitcnt vmcnt(14)
	ds_write_b32 v4, v1
.LBB841_301:                            ;   in Loop: Header=BB841_297 Depth=1
	s_or_b64 exec, exec, s[2:3]
	;; [unrolled: 10-line block ×15, first 2 shown]
	v_add_u32_e32 v4, s5, v10
	v_cmp_gt_u32_e64 s[0:1], s6, v4
	s_and_saveexec_b64 s[2:3], s[0:1]
	s_cbranch_execz .LBB841_296
; %bb.328:                              ;   in Loop: Header=BB841_297 Depth=1
	v_add_u32_e32 v4, s10, v9
	s_waitcnt vmcnt(0)
	ds_write_b32 v4, v44
	s_branch .LBB841_296
.LBB841_329:
	s_add_i32 s12, s12, -1
	s_cmp_eq_u32 s33, s12
	s_cselect_b64 s[0:1], -1, 0
	s_xor_b64 s[2:3], vcc, -1
	s_and_b64 s[0:1], s[2:3], s[0:1]
	s_and_saveexec_b64 s[2:3], s[0:1]
	s_cbranch_execz .LBB841_331
; %bb.330:
	ds_read_b32 v0, v25
	s_waitcnt lgkmcnt(0)
	v_add3_u32 v0, v18, v21, v0
	global_store_dword v25, v0, s[62:63]
.LBB841_331:
	s_endpgm
	.section	.rodata,"a",@progbits
	.p2align	6, 0x0
	.amdhsa_kernel _ZN7rocprim17ROCPRIM_400000_NS6detail17trampoline_kernelINS0_14default_configENS1_35radix_sort_onesweep_config_selectorIiiEEZZNS1_29radix_sort_onesweep_iterationIS3_Lb0EN6thrust23THRUST_200600_302600_NS6detail15normal_iteratorINS8_10device_ptrIiEEEESD_SD_SD_jNS0_19identity_decomposerENS1_16block_id_wrapperIjLb1EEEEE10hipError_tT1_PNSt15iterator_traitsISI_E10value_typeET2_T3_PNSJ_ISO_E10value_typeET4_T5_PST_SU_PNS1_23onesweep_lookback_stateEbbT6_jjT7_P12ihipStream_tbENKUlT_T0_SI_SN_E_clIPiSD_S15_SD_EEDaS11_S12_SI_SN_EUlS11_E_NS1_11comp_targetILNS1_3genE6ELNS1_11target_archE950ELNS1_3gpuE13ELNS1_3repE0EEENS1_47radix_sort_onesweep_sort_config_static_selectorELNS0_4arch9wavefront6targetE1EEEvSI_
		.amdhsa_group_segment_fixed_size 20552
		.amdhsa_private_segment_fixed_size 80
		.amdhsa_kernarg_size 344
		.amdhsa_user_sgpr_count 2
		.amdhsa_user_sgpr_dispatch_ptr 0
		.amdhsa_user_sgpr_queue_ptr 0
		.amdhsa_user_sgpr_kernarg_segment_ptr 1
		.amdhsa_user_sgpr_dispatch_id 0
		.amdhsa_user_sgpr_kernarg_preload_length 0
		.amdhsa_user_sgpr_kernarg_preload_offset 0
		.amdhsa_user_sgpr_private_segment_size 0
		.amdhsa_uses_dynamic_stack 0
		.amdhsa_enable_private_segment 1
		.amdhsa_system_sgpr_workgroup_id_x 1
		.amdhsa_system_sgpr_workgroup_id_y 0
		.amdhsa_system_sgpr_workgroup_id_z 0
		.amdhsa_system_sgpr_workgroup_info 0
		.amdhsa_system_vgpr_workitem_id 2
		.amdhsa_next_free_vgpr 89
		.amdhsa_next_free_sgpr 73
		.amdhsa_accum_offset 92
		.amdhsa_reserve_vcc 1
		.amdhsa_float_round_mode_32 0
		.amdhsa_float_round_mode_16_64 0
		.amdhsa_float_denorm_mode_32 3
		.amdhsa_float_denorm_mode_16_64 3
		.amdhsa_dx10_clamp 1
		.amdhsa_ieee_mode 1
		.amdhsa_fp16_overflow 0
		.amdhsa_tg_split 0
		.amdhsa_exception_fp_ieee_invalid_op 0
		.amdhsa_exception_fp_denorm_src 0
		.amdhsa_exception_fp_ieee_div_zero 0
		.amdhsa_exception_fp_ieee_overflow 0
		.amdhsa_exception_fp_ieee_underflow 0
		.amdhsa_exception_fp_ieee_inexact 0
		.amdhsa_exception_int_div_zero 0
	.end_amdhsa_kernel
	.section	.text._ZN7rocprim17ROCPRIM_400000_NS6detail17trampoline_kernelINS0_14default_configENS1_35radix_sort_onesweep_config_selectorIiiEEZZNS1_29radix_sort_onesweep_iterationIS3_Lb0EN6thrust23THRUST_200600_302600_NS6detail15normal_iteratorINS8_10device_ptrIiEEEESD_SD_SD_jNS0_19identity_decomposerENS1_16block_id_wrapperIjLb1EEEEE10hipError_tT1_PNSt15iterator_traitsISI_E10value_typeET2_T3_PNSJ_ISO_E10value_typeET4_T5_PST_SU_PNS1_23onesweep_lookback_stateEbbT6_jjT7_P12ihipStream_tbENKUlT_T0_SI_SN_E_clIPiSD_S15_SD_EEDaS11_S12_SI_SN_EUlS11_E_NS1_11comp_targetILNS1_3genE6ELNS1_11target_archE950ELNS1_3gpuE13ELNS1_3repE0EEENS1_47radix_sort_onesweep_sort_config_static_selectorELNS0_4arch9wavefront6targetE1EEEvSI_,"axG",@progbits,_ZN7rocprim17ROCPRIM_400000_NS6detail17trampoline_kernelINS0_14default_configENS1_35radix_sort_onesweep_config_selectorIiiEEZZNS1_29radix_sort_onesweep_iterationIS3_Lb0EN6thrust23THRUST_200600_302600_NS6detail15normal_iteratorINS8_10device_ptrIiEEEESD_SD_SD_jNS0_19identity_decomposerENS1_16block_id_wrapperIjLb1EEEEE10hipError_tT1_PNSt15iterator_traitsISI_E10value_typeET2_T3_PNSJ_ISO_E10value_typeET4_T5_PST_SU_PNS1_23onesweep_lookback_stateEbbT6_jjT7_P12ihipStream_tbENKUlT_T0_SI_SN_E_clIPiSD_S15_SD_EEDaS11_S12_SI_SN_EUlS11_E_NS1_11comp_targetILNS1_3genE6ELNS1_11target_archE950ELNS1_3gpuE13ELNS1_3repE0EEENS1_47radix_sort_onesweep_sort_config_static_selectorELNS0_4arch9wavefront6targetE1EEEvSI_,comdat
.Lfunc_end841:
	.size	_ZN7rocprim17ROCPRIM_400000_NS6detail17trampoline_kernelINS0_14default_configENS1_35radix_sort_onesweep_config_selectorIiiEEZZNS1_29radix_sort_onesweep_iterationIS3_Lb0EN6thrust23THRUST_200600_302600_NS6detail15normal_iteratorINS8_10device_ptrIiEEEESD_SD_SD_jNS0_19identity_decomposerENS1_16block_id_wrapperIjLb1EEEEE10hipError_tT1_PNSt15iterator_traitsISI_E10value_typeET2_T3_PNSJ_ISO_E10value_typeET4_T5_PST_SU_PNS1_23onesweep_lookback_stateEbbT6_jjT7_P12ihipStream_tbENKUlT_T0_SI_SN_E_clIPiSD_S15_SD_EEDaS11_S12_SI_SN_EUlS11_E_NS1_11comp_targetILNS1_3genE6ELNS1_11target_archE950ELNS1_3gpuE13ELNS1_3repE0EEENS1_47radix_sort_onesweep_sort_config_static_selectorELNS0_4arch9wavefront6targetE1EEEvSI_, .Lfunc_end841-_ZN7rocprim17ROCPRIM_400000_NS6detail17trampoline_kernelINS0_14default_configENS1_35radix_sort_onesweep_config_selectorIiiEEZZNS1_29radix_sort_onesweep_iterationIS3_Lb0EN6thrust23THRUST_200600_302600_NS6detail15normal_iteratorINS8_10device_ptrIiEEEESD_SD_SD_jNS0_19identity_decomposerENS1_16block_id_wrapperIjLb1EEEEE10hipError_tT1_PNSt15iterator_traitsISI_E10value_typeET2_T3_PNSJ_ISO_E10value_typeET4_T5_PST_SU_PNS1_23onesweep_lookback_stateEbbT6_jjT7_P12ihipStream_tbENKUlT_T0_SI_SN_E_clIPiSD_S15_SD_EEDaS11_S12_SI_SN_EUlS11_E_NS1_11comp_targetILNS1_3genE6ELNS1_11target_archE950ELNS1_3gpuE13ELNS1_3repE0EEENS1_47radix_sort_onesweep_sort_config_static_selectorELNS0_4arch9wavefront6targetE1EEEvSI_
                                        ; -- End function
	.set _ZN7rocprim17ROCPRIM_400000_NS6detail17trampoline_kernelINS0_14default_configENS1_35radix_sort_onesweep_config_selectorIiiEEZZNS1_29radix_sort_onesweep_iterationIS3_Lb0EN6thrust23THRUST_200600_302600_NS6detail15normal_iteratorINS8_10device_ptrIiEEEESD_SD_SD_jNS0_19identity_decomposerENS1_16block_id_wrapperIjLb1EEEEE10hipError_tT1_PNSt15iterator_traitsISI_E10value_typeET2_T3_PNSJ_ISO_E10value_typeET4_T5_PST_SU_PNS1_23onesweep_lookback_stateEbbT6_jjT7_P12ihipStream_tbENKUlT_T0_SI_SN_E_clIPiSD_S15_SD_EEDaS11_S12_SI_SN_EUlS11_E_NS1_11comp_targetILNS1_3genE6ELNS1_11target_archE950ELNS1_3gpuE13ELNS1_3repE0EEENS1_47radix_sort_onesweep_sort_config_static_selectorELNS0_4arch9wavefront6targetE1EEEvSI_.num_vgpr, 89
	.set _ZN7rocprim17ROCPRIM_400000_NS6detail17trampoline_kernelINS0_14default_configENS1_35radix_sort_onesweep_config_selectorIiiEEZZNS1_29radix_sort_onesweep_iterationIS3_Lb0EN6thrust23THRUST_200600_302600_NS6detail15normal_iteratorINS8_10device_ptrIiEEEESD_SD_SD_jNS0_19identity_decomposerENS1_16block_id_wrapperIjLb1EEEEE10hipError_tT1_PNSt15iterator_traitsISI_E10value_typeET2_T3_PNSJ_ISO_E10value_typeET4_T5_PST_SU_PNS1_23onesweep_lookback_stateEbbT6_jjT7_P12ihipStream_tbENKUlT_T0_SI_SN_E_clIPiSD_S15_SD_EEDaS11_S12_SI_SN_EUlS11_E_NS1_11comp_targetILNS1_3genE6ELNS1_11target_archE950ELNS1_3gpuE13ELNS1_3repE0EEENS1_47radix_sort_onesweep_sort_config_static_selectorELNS0_4arch9wavefront6targetE1EEEvSI_.num_agpr, 0
	.set _ZN7rocprim17ROCPRIM_400000_NS6detail17trampoline_kernelINS0_14default_configENS1_35radix_sort_onesweep_config_selectorIiiEEZZNS1_29radix_sort_onesweep_iterationIS3_Lb0EN6thrust23THRUST_200600_302600_NS6detail15normal_iteratorINS8_10device_ptrIiEEEESD_SD_SD_jNS0_19identity_decomposerENS1_16block_id_wrapperIjLb1EEEEE10hipError_tT1_PNSt15iterator_traitsISI_E10value_typeET2_T3_PNSJ_ISO_E10value_typeET4_T5_PST_SU_PNS1_23onesweep_lookback_stateEbbT6_jjT7_P12ihipStream_tbENKUlT_T0_SI_SN_E_clIPiSD_S15_SD_EEDaS11_S12_SI_SN_EUlS11_E_NS1_11comp_targetILNS1_3genE6ELNS1_11target_archE950ELNS1_3gpuE13ELNS1_3repE0EEENS1_47radix_sort_onesweep_sort_config_static_selectorELNS0_4arch9wavefront6targetE1EEEvSI_.numbered_sgpr, 73
	.set _ZN7rocprim17ROCPRIM_400000_NS6detail17trampoline_kernelINS0_14default_configENS1_35radix_sort_onesweep_config_selectorIiiEEZZNS1_29radix_sort_onesweep_iterationIS3_Lb0EN6thrust23THRUST_200600_302600_NS6detail15normal_iteratorINS8_10device_ptrIiEEEESD_SD_SD_jNS0_19identity_decomposerENS1_16block_id_wrapperIjLb1EEEEE10hipError_tT1_PNSt15iterator_traitsISI_E10value_typeET2_T3_PNSJ_ISO_E10value_typeET4_T5_PST_SU_PNS1_23onesweep_lookback_stateEbbT6_jjT7_P12ihipStream_tbENKUlT_T0_SI_SN_E_clIPiSD_S15_SD_EEDaS11_S12_SI_SN_EUlS11_E_NS1_11comp_targetILNS1_3genE6ELNS1_11target_archE950ELNS1_3gpuE13ELNS1_3repE0EEENS1_47radix_sort_onesweep_sort_config_static_selectorELNS0_4arch9wavefront6targetE1EEEvSI_.num_named_barrier, 0
	.set _ZN7rocprim17ROCPRIM_400000_NS6detail17trampoline_kernelINS0_14default_configENS1_35radix_sort_onesweep_config_selectorIiiEEZZNS1_29radix_sort_onesweep_iterationIS3_Lb0EN6thrust23THRUST_200600_302600_NS6detail15normal_iteratorINS8_10device_ptrIiEEEESD_SD_SD_jNS0_19identity_decomposerENS1_16block_id_wrapperIjLb1EEEEE10hipError_tT1_PNSt15iterator_traitsISI_E10value_typeET2_T3_PNSJ_ISO_E10value_typeET4_T5_PST_SU_PNS1_23onesweep_lookback_stateEbbT6_jjT7_P12ihipStream_tbENKUlT_T0_SI_SN_E_clIPiSD_S15_SD_EEDaS11_S12_SI_SN_EUlS11_E_NS1_11comp_targetILNS1_3genE6ELNS1_11target_archE950ELNS1_3gpuE13ELNS1_3repE0EEENS1_47radix_sort_onesweep_sort_config_static_selectorELNS0_4arch9wavefront6targetE1EEEvSI_.private_seg_size, 80
	.set _ZN7rocprim17ROCPRIM_400000_NS6detail17trampoline_kernelINS0_14default_configENS1_35radix_sort_onesweep_config_selectorIiiEEZZNS1_29radix_sort_onesweep_iterationIS3_Lb0EN6thrust23THRUST_200600_302600_NS6detail15normal_iteratorINS8_10device_ptrIiEEEESD_SD_SD_jNS0_19identity_decomposerENS1_16block_id_wrapperIjLb1EEEEE10hipError_tT1_PNSt15iterator_traitsISI_E10value_typeET2_T3_PNSJ_ISO_E10value_typeET4_T5_PST_SU_PNS1_23onesweep_lookback_stateEbbT6_jjT7_P12ihipStream_tbENKUlT_T0_SI_SN_E_clIPiSD_S15_SD_EEDaS11_S12_SI_SN_EUlS11_E_NS1_11comp_targetILNS1_3genE6ELNS1_11target_archE950ELNS1_3gpuE13ELNS1_3repE0EEENS1_47radix_sort_onesweep_sort_config_static_selectorELNS0_4arch9wavefront6targetE1EEEvSI_.uses_vcc, 1
	.set _ZN7rocprim17ROCPRIM_400000_NS6detail17trampoline_kernelINS0_14default_configENS1_35radix_sort_onesweep_config_selectorIiiEEZZNS1_29radix_sort_onesweep_iterationIS3_Lb0EN6thrust23THRUST_200600_302600_NS6detail15normal_iteratorINS8_10device_ptrIiEEEESD_SD_SD_jNS0_19identity_decomposerENS1_16block_id_wrapperIjLb1EEEEE10hipError_tT1_PNSt15iterator_traitsISI_E10value_typeET2_T3_PNSJ_ISO_E10value_typeET4_T5_PST_SU_PNS1_23onesweep_lookback_stateEbbT6_jjT7_P12ihipStream_tbENKUlT_T0_SI_SN_E_clIPiSD_S15_SD_EEDaS11_S12_SI_SN_EUlS11_E_NS1_11comp_targetILNS1_3genE6ELNS1_11target_archE950ELNS1_3gpuE13ELNS1_3repE0EEENS1_47radix_sort_onesweep_sort_config_static_selectorELNS0_4arch9wavefront6targetE1EEEvSI_.uses_flat_scratch, 0
	.set _ZN7rocprim17ROCPRIM_400000_NS6detail17trampoline_kernelINS0_14default_configENS1_35radix_sort_onesweep_config_selectorIiiEEZZNS1_29radix_sort_onesweep_iterationIS3_Lb0EN6thrust23THRUST_200600_302600_NS6detail15normal_iteratorINS8_10device_ptrIiEEEESD_SD_SD_jNS0_19identity_decomposerENS1_16block_id_wrapperIjLb1EEEEE10hipError_tT1_PNSt15iterator_traitsISI_E10value_typeET2_T3_PNSJ_ISO_E10value_typeET4_T5_PST_SU_PNS1_23onesweep_lookback_stateEbbT6_jjT7_P12ihipStream_tbENKUlT_T0_SI_SN_E_clIPiSD_S15_SD_EEDaS11_S12_SI_SN_EUlS11_E_NS1_11comp_targetILNS1_3genE6ELNS1_11target_archE950ELNS1_3gpuE13ELNS1_3repE0EEENS1_47radix_sort_onesweep_sort_config_static_selectorELNS0_4arch9wavefront6targetE1EEEvSI_.has_dyn_sized_stack, 0
	.set _ZN7rocprim17ROCPRIM_400000_NS6detail17trampoline_kernelINS0_14default_configENS1_35radix_sort_onesweep_config_selectorIiiEEZZNS1_29radix_sort_onesweep_iterationIS3_Lb0EN6thrust23THRUST_200600_302600_NS6detail15normal_iteratorINS8_10device_ptrIiEEEESD_SD_SD_jNS0_19identity_decomposerENS1_16block_id_wrapperIjLb1EEEEE10hipError_tT1_PNSt15iterator_traitsISI_E10value_typeET2_T3_PNSJ_ISO_E10value_typeET4_T5_PST_SU_PNS1_23onesweep_lookback_stateEbbT6_jjT7_P12ihipStream_tbENKUlT_T0_SI_SN_E_clIPiSD_S15_SD_EEDaS11_S12_SI_SN_EUlS11_E_NS1_11comp_targetILNS1_3genE6ELNS1_11target_archE950ELNS1_3gpuE13ELNS1_3repE0EEENS1_47radix_sort_onesweep_sort_config_static_selectorELNS0_4arch9wavefront6targetE1EEEvSI_.has_recursion, 0
	.set _ZN7rocprim17ROCPRIM_400000_NS6detail17trampoline_kernelINS0_14default_configENS1_35radix_sort_onesweep_config_selectorIiiEEZZNS1_29radix_sort_onesweep_iterationIS3_Lb0EN6thrust23THRUST_200600_302600_NS6detail15normal_iteratorINS8_10device_ptrIiEEEESD_SD_SD_jNS0_19identity_decomposerENS1_16block_id_wrapperIjLb1EEEEE10hipError_tT1_PNSt15iterator_traitsISI_E10value_typeET2_T3_PNSJ_ISO_E10value_typeET4_T5_PST_SU_PNS1_23onesweep_lookback_stateEbbT6_jjT7_P12ihipStream_tbENKUlT_T0_SI_SN_E_clIPiSD_S15_SD_EEDaS11_S12_SI_SN_EUlS11_E_NS1_11comp_targetILNS1_3genE6ELNS1_11target_archE950ELNS1_3gpuE13ELNS1_3repE0EEENS1_47radix_sort_onesweep_sort_config_static_selectorELNS0_4arch9wavefront6targetE1EEEvSI_.has_indirect_call, 0
	.section	.AMDGPU.csdata,"",@progbits
; Kernel info:
; codeLenInByte = 22700
; TotalNumSgprs: 79
; NumVgprs: 89
; NumAgprs: 0
; TotalNumVgprs: 89
; ScratchSize: 80
; MemoryBound: 0
; FloatMode: 240
; IeeeMode: 1
; LDSByteSize: 20552 bytes/workgroup (compile time only)
; SGPRBlocks: 9
; VGPRBlocks: 11
; NumSGPRsForWavesPerEU: 79
; NumVGPRsForWavesPerEU: 89
; AccumOffset: 92
; Occupancy: 5
; WaveLimiterHint : 1
; COMPUTE_PGM_RSRC2:SCRATCH_EN: 1
; COMPUTE_PGM_RSRC2:USER_SGPR: 2
; COMPUTE_PGM_RSRC2:TRAP_HANDLER: 0
; COMPUTE_PGM_RSRC2:TGID_X_EN: 1
; COMPUTE_PGM_RSRC2:TGID_Y_EN: 0
; COMPUTE_PGM_RSRC2:TGID_Z_EN: 0
; COMPUTE_PGM_RSRC2:TIDIG_COMP_CNT: 2
; COMPUTE_PGM_RSRC3_GFX90A:ACCUM_OFFSET: 22
; COMPUTE_PGM_RSRC3_GFX90A:TG_SPLIT: 0
	.section	.text._ZN7rocprim17ROCPRIM_400000_NS6detail17trampoline_kernelINS0_14default_configENS1_35radix_sort_onesweep_config_selectorIiiEEZZNS1_29radix_sort_onesweep_iterationIS3_Lb0EN6thrust23THRUST_200600_302600_NS6detail15normal_iteratorINS8_10device_ptrIiEEEESD_SD_SD_jNS0_19identity_decomposerENS1_16block_id_wrapperIjLb1EEEEE10hipError_tT1_PNSt15iterator_traitsISI_E10value_typeET2_T3_PNSJ_ISO_E10value_typeET4_T5_PST_SU_PNS1_23onesweep_lookback_stateEbbT6_jjT7_P12ihipStream_tbENKUlT_T0_SI_SN_E_clIPiSD_S15_SD_EEDaS11_S12_SI_SN_EUlS11_E_NS1_11comp_targetILNS1_3genE5ELNS1_11target_archE942ELNS1_3gpuE9ELNS1_3repE0EEENS1_47radix_sort_onesweep_sort_config_static_selectorELNS0_4arch9wavefront6targetE1EEEvSI_,"axG",@progbits,_ZN7rocprim17ROCPRIM_400000_NS6detail17trampoline_kernelINS0_14default_configENS1_35radix_sort_onesweep_config_selectorIiiEEZZNS1_29radix_sort_onesweep_iterationIS3_Lb0EN6thrust23THRUST_200600_302600_NS6detail15normal_iteratorINS8_10device_ptrIiEEEESD_SD_SD_jNS0_19identity_decomposerENS1_16block_id_wrapperIjLb1EEEEE10hipError_tT1_PNSt15iterator_traitsISI_E10value_typeET2_T3_PNSJ_ISO_E10value_typeET4_T5_PST_SU_PNS1_23onesweep_lookback_stateEbbT6_jjT7_P12ihipStream_tbENKUlT_T0_SI_SN_E_clIPiSD_S15_SD_EEDaS11_S12_SI_SN_EUlS11_E_NS1_11comp_targetILNS1_3genE5ELNS1_11target_archE942ELNS1_3gpuE9ELNS1_3repE0EEENS1_47radix_sort_onesweep_sort_config_static_selectorELNS0_4arch9wavefront6targetE1EEEvSI_,comdat
	.protected	_ZN7rocprim17ROCPRIM_400000_NS6detail17trampoline_kernelINS0_14default_configENS1_35radix_sort_onesweep_config_selectorIiiEEZZNS1_29radix_sort_onesweep_iterationIS3_Lb0EN6thrust23THRUST_200600_302600_NS6detail15normal_iteratorINS8_10device_ptrIiEEEESD_SD_SD_jNS0_19identity_decomposerENS1_16block_id_wrapperIjLb1EEEEE10hipError_tT1_PNSt15iterator_traitsISI_E10value_typeET2_T3_PNSJ_ISO_E10value_typeET4_T5_PST_SU_PNS1_23onesweep_lookback_stateEbbT6_jjT7_P12ihipStream_tbENKUlT_T0_SI_SN_E_clIPiSD_S15_SD_EEDaS11_S12_SI_SN_EUlS11_E_NS1_11comp_targetILNS1_3genE5ELNS1_11target_archE942ELNS1_3gpuE9ELNS1_3repE0EEENS1_47radix_sort_onesweep_sort_config_static_selectorELNS0_4arch9wavefront6targetE1EEEvSI_ ; -- Begin function _ZN7rocprim17ROCPRIM_400000_NS6detail17trampoline_kernelINS0_14default_configENS1_35radix_sort_onesweep_config_selectorIiiEEZZNS1_29radix_sort_onesweep_iterationIS3_Lb0EN6thrust23THRUST_200600_302600_NS6detail15normal_iteratorINS8_10device_ptrIiEEEESD_SD_SD_jNS0_19identity_decomposerENS1_16block_id_wrapperIjLb1EEEEE10hipError_tT1_PNSt15iterator_traitsISI_E10value_typeET2_T3_PNSJ_ISO_E10value_typeET4_T5_PST_SU_PNS1_23onesweep_lookback_stateEbbT6_jjT7_P12ihipStream_tbENKUlT_T0_SI_SN_E_clIPiSD_S15_SD_EEDaS11_S12_SI_SN_EUlS11_E_NS1_11comp_targetILNS1_3genE5ELNS1_11target_archE942ELNS1_3gpuE9ELNS1_3repE0EEENS1_47radix_sort_onesweep_sort_config_static_selectorELNS0_4arch9wavefront6targetE1EEEvSI_
	.globl	_ZN7rocprim17ROCPRIM_400000_NS6detail17trampoline_kernelINS0_14default_configENS1_35radix_sort_onesweep_config_selectorIiiEEZZNS1_29radix_sort_onesweep_iterationIS3_Lb0EN6thrust23THRUST_200600_302600_NS6detail15normal_iteratorINS8_10device_ptrIiEEEESD_SD_SD_jNS0_19identity_decomposerENS1_16block_id_wrapperIjLb1EEEEE10hipError_tT1_PNSt15iterator_traitsISI_E10value_typeET2_T3_PNSJ_ISO_E10value_typeET4_T5_PST_SU_PNS1_23onesweep_lookback_stateEbbT6_jjT7_P12ihipStream_tbENKUlT_T0_SI_SN_E_clIPiSD_S15_SD_EEDaS11_S12_SI_SN_EUlS11_E_NS1_11comp_targetILNS1_3genE5ELNS1_11target_archE942ELNS1_3gpuE9ELNS1_3repE0EEENS1_47radix_sort_onesweep_sort_config_static_selectorELNS0_4arch9wavefront6targetE1EEEvSI_
	.p2align	8
	.type	_ZN7rocprim17ROCPRIM_400000_NS6detail17trampoline_kernelINS0_14default_configENS1_35radix_sort_onesweep_config_selectorIiiEEZZNS1_29radix_sort_onesweep_iterationIS3_Lb0EN6thrust23THRUST_200600_302600_NS6detail15normal_iteratorINS8_10device_ptrIiEEEESD_SD_SD_jNS0_19identity_decomposerENS1_16block_id_wrapperIjLb1EEEEE10hipError_tT1_PNSt15iterator_traitsISI_E10value_typeET2_T3_PNSJ_ISO_E10value_typeET4_T5_PST_SU_PNS1_23onesweep_lookback_stateEbbT6_jjT7_P12ihipStream_tbENKUlT_T0_SI_SN_E_clIPiSD_S15_SD_EEDaS11_S12_SI_SN_EUlS11_E_NS1_11comp_targetILNS1_3genE5ELNS1_11target_archE942ELNS1_3gpuE9ELNS1_3repE0EEENS1_47radix_sort_onesweep_sort_config_static_selectorELNS0_4arch9wavefront6targetE1EEEvSI_,@function
_ZN7rocprim17ROCPRIM_400000_NS6detail17trampoline_kernelINS0_14default_configENS1_35radix_sort_onesweep_config_selectorIiiEEZZNS1_29radix_sort_onesweep_iterationIS3_Lb0EN6thrust23THRUST_200600_302600_NS6detail15normal_iteratorINS8_10device_ptrIiEEEESD_SD_SD_jNS0_19identity_decomposerENS1_16block_id_wrapperIjLb1EEEEE10hipError_tT1_PNSt15iterator_traitsISI_E10value_typeET2_T3_PNSJ_ISO_E10value_typeET4_T5_PST_SU_PNS1_23onesweep_lookback_stateEbbT6_jjT7_P12ihipStream_tbENKUlT_T0_SI_SN_E_clIPiSD_S15_SD_EEDaS11_S12_SI_SN_EUlS11_E_NS1_11comp_targetILNS1_3genE5ELNS1_11target_archE942ELNS1_3gpuE9ELNS1_3repE0EEENS1_47radix_sort_onesweep_sort_config_static_selectorELNS0_4arch9wavefront6targetE1EEEvSI_: ; @_ZN7rocprim17ROCPRIM_400000_NS6detail17trampoline_kernelINS0_14default_configENS1_35radix_sort_onesweep_config_selectorIiiEEZZNS1_29radix_sort_onesweep_iterationIS3_Lb0EN6thrust23THRUST_200600_302600_NS6detail15normal_iteratorINS8_10device_ptrIiEEEESD_SD_SD_jNS0_19identity_decomposerENS1_16block_id_wrapperIjLb1EEEEE10hipError_tT1_PNSt15iterator_traitsISI_E10value_typeET2_T3_PNSJ_ISO_E10value_typeET4_T5_PST_SU_PNS1_23onesweep_lookback_stateEbbT6_jjT7_P12ihipStream_tbENKUlT_T0_SI_SN_E_clIPiSD_S15_SD_EEDaS11_S12_SI_SN_EUlS11_E_NS1_11comp_targetILNS1_3genE5ELNS1_11target_archE942ELNS1_3gpuE9ELNS1_3repE0EEENS1_47radix_sort_onesweep_sort_config_static_selectorELNS0_4arch9wavefront6targetE1EEEvSI_
; %bb.0:
	.section	.rodata,"a",@progbits
	.p2align	6, 0x0
	.amdhsa_kernel _ZN7rocprim17ROCPRIM_400000_NS6detail17trampoline_kernelINS0_14default_configENS1_35radix_sort_onesweep_config_selectorIiiEEZZNS1_29radix_sort_onesweep_iterationIS3_Lb0EN6thrust23THRUST_200600_302600_NS6detail15normal_iteratorINS8_10device_ptrIiEEEESD_SD_SD_jNS0_19identity_decomposerENS1_16block_id_wrapperIjLb1EEEEE10hipError_tT1_PNSt15iterator_traitsISI_E10value_typeET2_T3_PNSJ_ISO_E10value_typeET4_T5_PST_SU_PNS1_23onesweep_lookback_stateEbbT6_jjT7_P12ihipStream_tbENKUlT_T0_SI_SN_E_clIPiSD_S15_SD_EEDaS11_S12_SI_SN_EUlS11_E_NS1_11comp_targetILNS1_3genE5ELNS1_11target_archE942ELNS1_3gpuE9ELNS1_3repE0EEENS1_47radix_sort_onesweep_sort_config_static_selectorELNS0_4arch9wavefront6targetE1EEEvSI_
		.amdhsa_group_segment_fixed_size 0
		.amdhsa_private_segment_fixed_size 0
		.amdhsa_kernarg_size 88
		.amdhsa_user_sgpr_count 2
		.amdhsa_user_sgpr_dispatch_ptr 0
		.amdhsa_user_sgpr_queue_ptr 0
		.amdhsa_user_sgpr_kernarg_segment_ptr 1
		.amdhsa_user_sgpr_dispatch_id 0
		.amdhsa_user_sgpr_kernarg_preload_length 0
		.amdhsa_user_sgpr_kernarg_preload_offset 0
		.amdhsa_user_sgpr_private_segment_size 0
		.amdhsa_uses_dynamic_stack 0
		.amdhsa_enable_private_segment 0
		.amdhsa_system_sgpr_workgroup_id_x 1
		.amdhsa_system_sgpr_workgroup_id_y 0
		.amdhsa_system_sgpr_workgroup_id_z 0
		.amdhsa_system_sgpr_workgroup_info 0
		.amdhsa_system_vgpr_workitem_id 0
		.amdhsa_next_free_vgpr 1
		.amdhsa_next_free_sgpr 0
		.amdhsa_accum_offset 4
		.amdhsa_reserve_vcc 0
		.amdhsa_float_round_mode_32 0
		.amdhsa_float_round_mode_16_64 0
		.amdhsa_float_denorm_mode_32 3
		.amdhsa_float_denorm_mode_16_64 3
		.amdhsa_dx10_clamp 1
		.amdhsa_ieee_mode 1
		.amdhsa_fp16_overflow 0
		.amdhsa_tg_split 0
		.amdhsa_exception_fp_ieee_invalid_op 0
		.amdhsa_exception_fp_denorm_src 0
		.amdhsa_exception_fp_ieee_div_zero 0
		.amdhsa_exception_fp_ieee_overflow 0
		.amdhsa_exception_fp_ieee_underflow 0
		.amdhsa_exception_fp_ieee_inexact 0
		.amdhsa_exception_int_div_zero 0
	.end_amdhsa_kernel
	.section	.text._ZN7rocprim17ROCPRIM_400000_NS6detail17trampoline_kernelINS0_14default_configENS1_35radix_sort_onesweep_config_selectorIiiEEZZNS1_29radix_sort_onesweep_iterationIS3_Lb0EN6thrust23THRUST_200600_302600_NS6detail15normal_iteratorINS8_10device_ptrIiEEEESD_SD_SD_jNS0_19identity_decomposerENS1_16block_id_wrapperIjLb1EEEEE10hipError_tT1_PNSt15iterator_traitsISI_E10value_typeET2_T3_PNSJ_ISO_E10value_typeET4_T5_PST_SU_PNS1_23onesweep_lookback_stateEbbT6_jjT7_P12ihipStream_tbENKUlT_T0_SI_SN_E_clIPiSD_S15_SD_EEDaS11_S12_SI_SN_EUlS11_E_NS1_11comp_targetILNS1_3genE5ELNS1_11target_archE942ELNS1_3gpuE9ELNS1_3repE0EEENS1_47radix_sort_onesweep_sort_config_static_selectorELNS0_4arch9wavefront6targetE1EEEvSI_,"axG",@progbits,_ZN7rocprim17ROCPRIM_400000_NS6detail17trampoline_kernelINS0_14default_configENS1_35radix_sort_onesweep_config_selectorIiiEEZZNS1_29radix_sort_onesweep_iterationIS3_Lb0EN6thrust23THRUST_200600_302600_NS6detail15normal_iteratorINS8_10device_ptrIiEEEESD_SD_SD_jNS0_19identity_decomposerENS1_16block_id_wrapperIjLb1EEEEE10hipError_tT1_PNSt15iterator_traitsISI_E10value_typeET2_T3_PNSJ_ISO_E10value_typeET4_T5_PST_SU_PNS1_23onesweep_lookback_stateEbbT6_jjT7_P12ihipStream_tbENKUlT_T0_SI_SN_E_clIPiSD_S15_SD_EEDaS11_S12_SI_SN_EUlS11_E_NS1_11comp_targetILNS1_3genE5ELNS1_11target_archE942ELNS1_3gpuE9ELNS1_3repE0EEENS1_47radix_sort_onesweep_sort_config_static_selectorELNS0_4arch9wavefront6targetE1EEEvSI_,comdat
.Lfunc_end842:
	.size	_ZN7rocprim17ROCPRIM_400000_NS6detail17trampoline_kernelINS0_14default_configENS1_35radix_sort_onesweep_config_selectorIiiEEZZNS1_29radix_sort_onesweep_iterationIS3_Lb0EN6thrust23THRUST_200600_302600_NS6detail15normal_iteratorINS8_10device_ptrIiEEEESD_SD_SD_jNS0_19identity_decomposerENS1_16block_id_wrapperIjLb1EEEEE10hipError_tT1_PNSt15iterator_traitsISI_E10value_typeET2_T3_PNSJ_ISO_E10value_typeET4_T5_PST_SU_PNS1_23onesweep_lookback_stateEbbT6_jjT7_P12ihipStream_tbENKUlT_T0_SI_SN_E_clIPiSD_S15_SD_EEDaS11_S12_SI_SN_EUlS11_E_NS1_11comp_targetILNS1_3genE5ELNS1_11target_archE942ELNS1_3gpuE9ELNS1_3repE0EEENS1_47radix_sort_onesweep_sort_config_static_selectorELNS0_4arch9wavefront6targetE1EEEvSI_, .Lfunc_end842-_ZN7rocprim17ROCPRIM_400000_NS6detail17trampoline_kernelINS0_14default_configENS1_35radix_sort_onesweep_config_selectorIiiEEZZNS1_29radix_sort_onesweep_iterationIS3_Lb0EN6thrust23THRUST_200600_302600_NS6detail15normal_iteratorINS8_10device_ptrIiEEEESD_SD_SD_jNS0_19identity_decomposerENS1_16block_id_wrapperIjLb1EEEEE10hipError_tT1_PNSt15iterator_traitsISI_E10value_typeET2_T3_PNSJ_ISO_E10value_typeET4_T5_PST_SU_PNS1_23onesweep_lookback_stateEbbT6_jjT7_P12ihipStream_tbENKUlT_T0_SI_SN_E_clIPiSD_S15_SD_EEDaS11_S12_SI_SN_EUlS11_E_NS1_11comp_targetILNS1_3genE5ELNS1_11target_archE942ELNS1_3gpuE9ELNS1_3repE0EEENS1_47radix_sort_onesweep_sort_config_static_selectorELNS0_4arch9wavefront6targetE1EEEvSI_
                                        ; -- End function
	.set _ZN7rocprim17ROCPRIM_400000_NS6detail17trampoline_kernelINS0_14default_configENS1_35radix_sort_onesweep_config_selectorIiiEEZZNS1_29radix_sort_onesweep_iterationIS3_Lb0EN6thrust23THRUST_200600_302600_NS6detail15normal_iteratorINS8_10device_ptrIiEEEESD_SD_SD_jNS0_19identity_decomposerENS1_16block_id_wrapperIjLb1EEEEE10hipError_tT1_PNSt15iterator_traitsISI_E10value_typeET2_T3_PNSJ_ISO_E10value_typeET4_T5_PST_SU_PNS1_23onesweep_lookback_stateEbbT6_jjT7_P12ihipStream_tbENKUlT_T0_SI_SN_E_clIPiSD_S15_SD_EEDaS11_S12_SI_SN_EUlS11_E_NS1_11comp_targetILNS1_3genE5ELNS1_11target_archE942ELNS1_3gpuE9ELNS1_3repE0EEENS1_47radix_sort_onesweep_sort_config_static_selectorELNS0_4arch9wavefront6targetE1EEEvSI_.num_vgpr, 0
	.set _ZN7rocprim17ROCPRIM_400000_NS6detail17trampoline_kernelINS0_14default_configENS1_35radix_sort_onesweep_config_selectorIiiEEZZNS1_29radix_sort_onesweep_iterationIS3_Lb0EN6thrust23THRUST_200600_302600_NS6detail15normal_iteratorINS8_10device_ptrIiEEEESD_SD_SD_jNS0_19identity_decomposerENS1_16block_id_wrapperIjLb1EEEEE10hipError_tT1_PNSt15iterator_traitsISI_E10value_typeET2_T3_PNSJ_ISO_E10value_typeET4_T5_PST_SU_PNS1_23onesweep_lookback_stateEbbT6_jjT7_P12ihipStream_tbENKUlT_T0_SI_SN_E_clIPiSD_S15_SD_EEDaS11_S12_SI_SN_EUlS11_E_NS1_11comp_targetILNS1_3genE5ELNS1_11target_archE942ELNS1_3gpuE9ELNS1_3repE0EEENS1_47radix_sort_onesweep_sort_config_static_selectorELNS0_4arch9wavefront6targetE1EEEvSI_.num_agpr, 0
	.set _ZN7rocprim17ROCPRIM_400000_NS6detail17trampoline_kernelINS0_14default_configENS1_35radix_sort_onesweep_config_selectorIiiEEZZNS1_29radix_sort_onesweep_iterationIS3_Lb0EN6thrust23THRUST_200600_302600_NS6detail15normal_iteratorINS8_10device_ptrIiEEEESD_SD_SD_jNS0_19identity_decomposerENS1_16block_id_wrapperIjLb1EEEEE10hipError_tT1_PNSt15iterator_traitsISI_E10value_typeET2_T3_PNSJ_ISO_E10value_typeET4_T5_PST_SU_PNS1_23onesweep_lookback_stateEbbT6_jjT7_P12ihipStream_tbENKUlT_T0_SI_SN_E_clIPiSD_S15_SD_EEDaS11_S12_SI_SN_EUlS11_E_NS1_11comp_targetILNS1_3genE5ELNS1_11target_archE942ELNS1_3gpuE9ELNS1_3repE0EEENS1_47radix_sort_onesweep_sort_config_static_selectorELNS0_4arch9wavefront6targetE1EEEvSI_.numbered_sgpr, 0
	.set _ZN7rocprim17ROCPRIM_400000_NS6detail17trampoline_kernelINS0_14default_configENS1_35radix_sort_onesweep_config_selectorIiiEEZZNS1_29radix_sort_onesweep_iterationIS3_Lb0EN6thrust23THRUST_200600_302600_NS6detail15normal_iteratorINS8_10device_ptrIiEEEESD_SD_SD_jNS0_19identity_decomposerENS1_16block_id_wrapperIjLb1EEEEE10hipError_tT1_PNSt15iterator_traitsISI_E10value_typeET2_T3_PNSJ_ISO_E10value_typeET4_T5_PST_SU_PNS1_23onesweep_lookback_stateEbbT6_jjT7_P12ihipStream_tbENKUlT_T0_SI_SN_E_clIPiSD_S15_SD_EEDaS11_S12_SI_SN_EUlS11_E_NS1_11comp_targetILNS1_3genE5ELNS1_11target_archE942ELNS1_3gpuE9ELNS1_3repE0EEENS1_47radix_sort_onesweep_sort_config_static_selectorELNS0_4arch9wavefront6targetE1EEEvSI_.num_named_barrier, 0
	.set _ZN7rocprim17ROCPRIM_400000_NS6detail17trampoline_kernelINS0_14default_configENS1_35radix_sort_onesweep_config_selectorIiiEEZZNS1_29radix_sort_onesweep_iterationIS3_Lb0EN6thrust23THRUST_200600_302600_NS6detail15normal_iteratorINS8_10device_ptrIiEEEESD_SD_SD_jNS0_19identity_decomposerENS1_16block_id_wrapperIjLb1EEEEE10hipError_tT1_PNSt15iterator_traitsISI_E10value_typeET2_T3_PNSJ_ISO_E10value_typeET4_T5_PST_SU_PNS1_23onesweep_lookback_stateEbbT6_jjT7_P12ihipStream_tbENKUlT_T0_SI_SN_E_clIPiSD_S15_SD_EEDaS11_S12_SI_SN_EUlS11_E_NS1_11comp_targetILNS1_3genE5ELNS1_11target_archE942ELNS1_3gpuE9ELNS1_3repE0EEENS1_47radix_sort_onesweep_sort_config_static_selectorELNS0_4arch9wavefront6targetE1EEEvSI_.private_seg_size, 0
	.set _ZN7rocprim17ROCPRIM_400000_NS6detail17trampoline_kernelINS0_14default_configENS1_35radix_sort_onesweep_config_selectorIiiEEZZNS1_29radix_sort_onesweep_iterationIS3_Lb0EN6thrust23THRUST_200600_302600_NS6detail15normal_iteratorINS8_10device_ptrIiEEEESD_SD_SD_jNS0_19identity_decomposerENS1_16block_id_wrapperIjLb1EEEEE10hipError_tT1_PNSt15iterator_traitsISI_E10value_typeET2_T3_PNSJ_ISO_E10value_typeET4_T5_PST_SU_PNS1_23onesweep_lookback_stateEbbT6_jjT7_P12ihipStream_tbENKUlT_T0_SI_SN_E_clIPiSD_S15_SD_EEDaS11_S12_SI_SN_EUlS11_E_NS1_11comp_targetILNS1_3genE5ELNS1_11target_archE942ELNS1_3gpuE9ELNS1_3repE0EEENS1_47radix_sort_onesweep_sort_config_static_selectorELNS0_4arch9wavefront6targetE1EEEvSI_.uses_vcc, 0
	.set _ZN7rocprim17ROCPRIM_400000_NS6detail17trampoline_kernelINS0_14default_configENS1_35radix_sort_onesweep_config_selectorIiiEEZZNS1_29radix_sort_onesweep_iterationIS3_Lb0EN6thrust23THRUST_200600_302600_NS6detail15normal_iteratorINS8_10device_ptrIiEEEESD_SD_SD_jNS0_19identity_decomposerENS1_16block_id_wrapperIjLb1EEEEE10hipError_tT1_PNSt15iterator_traitsISI_E10value_typeET2_T3_PNSJ_ISO_E10value_typeET4_T5_PST_SU_PNS1_23onesweep_lookback_stateEbbT6_jjT7_P12ihipStream_tbENKUlT_T0_SI_SN_E_clIPiSD_S15_SD_EEDaS11_S12_SI_SN_EUlS11_E_NS1_11comp_targetILNS1_3genE5ELNS1_11target_archE942ELNS1_3gpuE9ELNS1_3repE0EEENS1_47radix_sort_onesweep_sort_config_static_selectorELNS0_4arch9wavefront6targetE1EEEvSI_.uses_flat_scratch, 0
	.set _ZN7rocprim17ROCPRIM_400000_NS6detail17trampoline_kernelINS0_14default_configENS1_35radix_sort_onesweep_config_selectorIiiEEZZNS1_29radix_sort_onesweep_iterationIS3_Lb0EN6thrust23THRUST_200600_302600_NS6detail15normal_iteratorINS8_10device_ptrIiEEEESD_SD_SD_jNS0_19identity_decomposerENS1_16block_id_wrapperIjLb1EEEEE10hipError_tT1_PNSt15iterator_traitsISI_E10value_typeET2_T3_PNSJ_ISO_E10value_typeET4_T5_PST_SU_PNS1_23onesweep_lookback_stateEbbT6_jjT7_P12ihipStream_tbENKUlT_T0_SI_SN_E_clIPiSD_S15_SD_EEDaS11_S12_SI_SN_EUlS11_E_NS1_11comp_targetILNS1_3genE5ELNS1_11target_archE942ELNS1_3gpuE9ELNS1_3repE0EEENS1_47radix_sort_onesweep_sort_config_static_selectorELNS0_4arch9wavefront6targetE1EEEvSI_.has_dyn_sized_stack, 0
	.set _ZN7rocprim17ROCPRIM_400000_NS6detail17trampoline_kernelINS0_14default_configENS1_35radix_sort_onesweep_config_selectorIiiEEZZNS1_29radix_sort_onesweep_iterationIS3_Lb0EN6thrust23THRUST_200600_302600_NS6detail15normal_iteratorINS8_10device_ptrIiEEEESD_SD_SD_jNS0_19identity_decomposerENS1_16block_id_wrapperIjLb1EEEEE10hipError_tT1_PNSt15iterator_traitsISI_E10value_typeET2_T3_PNSJ_ISO_E10value_typeET4_T5_PST_SU_PNS1_23onesweep_lookback_stateEbbT6_jjT7_P12ihipStream_tbENKUlT_T0_SI_SN_E_clIPiSD_S15_SD_EEDaS11_S12_SI_SN_EUlS11_E_NS1_11comp_targetILNS1_3genE5ELNS1_11target_archE942ELNS1_3gpuE9ELNS1_3repE0EEENS1_47radix_sort_onesweep_sort_config_static_selectorELNS0_4arch9wavefront6targetE1EEEvSI_.has_recursion, 0
	.set _ZN7rocprim17ROCPRIM_400000_NS6detail17trampoline_kernelINS0_14default_configENS1_35radix_sort_onesweep_config_selectorIiiEEZZNS1_29radix_sort_onesweep_iterationIS3_Lb0EN6thrust23THRUST_200600_302600_NS6detail15normal_iteratorINS8_10device_ptrIiEEEESD_SD_SD_jNS0_19identity_decomposerENS1_16block_id_wrapperIjLb1EEEEE10hipError_tT1_PNSt15iterator_traitsISI_E10value_typeET2_T3_PNSJ_ISO_E10value_typeET4_T5_PST_SU_PNS1_23onesweep_lookback_stateEbbT6_jjT7_P12ihipStream_tbENKUlT_T0_SI_SN_E_clIPiSD_S15_SD_EEDaS11_S12_SI_SN_EUlS11_E_NS1_11comp_targetILNS1_3genE5ELNS1_11target_archE942ELNS1_3gpuE9ELNS1_3repE0EEENS1_47radix_sort_onesweep_sort_config_static_selectorELNS0_4arch9wavefront6targetE1EEEvSI_.has_indirect_call, 0
	.section	.AMDGPU.csdata,"",@progbits
; Kernel info:
; codeLenInByte = 0
; TotalNumSgprs: 6
; NumVgprs: 0
; NumAgprs: 0
; TotalNumVgprs: 0
; ScratchSize: 0
; MemoryBound: 0
; FloatMode: 240
; IeeeMode: 1
; LDSByteSize: 0 bytes/workgroup (compile time only)
; SGPRBlocks: 0
; VGPRBlocks: 0
; NumSGPRsForWavesPerEU: 6
; NumVGPRsForWavesPerEU: 1
; AccumOffset: 4
; Occupancy: 8
; WaveLimiterHint : 0
; COMPUTE_PGM_RSRC2:SCRATCH_EN: 0
; COMPUTE_PGM_RSRC2:USER_SGPR: 2
; COMPUTE_PGM_RSRC2:TRAP_HANDLER: 0
; COMPUTE_PGM_RSRC2:TGID_X_EN: 1
; COMPUTE_PGM_RSRC2:TGID_Y_EN: 0
; COMPUTE_PGM_RSRC2:TGID_Z_EN: 0
; COMPUTE_PGM_RSRC2:TIDIG_COMP_CNT: 0
; COMPUTE_PGM_RSRC3_GFX90A:ACCUM_OFFSET: 0
; COMPUTE_PGM_RSRC3_GFX90A:TG_SPLIT: 0
	.section	.text._ZN7rocprim17ROCPRIM_400000_NS6detail17trampoline_kernelINS0_14default_configENS1_35radix_sort_onesweep_config_selectorIiiEEZZNS1_29radix_sort_onesweep_iterationIS3_Lb0EN6thrust23THRUST_200600_302600_NS6detail15normal_iteratorINS8_10device_ptrIiEEEESD_SD_SD_jNS0_19identity_decomposerENS1_16block_id_wrapperIjLb1EEEEE10hipError_tT1_PNSt15iterator_traitsISI_E10value_typeET2_T3_PNSJ_ISO_E10value_typeET4_T5_PST_SU_PNS1_23onesweep_lookback_stateEbbT6_jjT7_P12ihipStream_tbENKUlT_T0_SI_SN_E_clIPiSD_S15_SD_EEDaS11_S12_SI_SN_EUlS11_E_NS1_11comp_targetILNS1_3genE2ELNS1_11target_archE906ELNS1_3gpuE6ELNS1_3repE0EEENS1_47radix_sort_onesweep_sort_config_static_selectorELNS0_4arch9wavefront6targetE1EEEvSI_,"axG",@progbits,_ZN7rocprim17ROCPRIM_400000_NS6detail17trampoline_kernelINS0_14default_configENS1_35radix_sort_onesweep_config_selectorIiiEEZZNS1_29radix_sort_onesweep_iterationIS3_Lb0EN6thrust23THRUST_200600_302600_NS6detail15normal_iteratorINS8_10device_ptrIiEEEESD_SD_SD_jNS0_19identity_decomposerENS1_16block_id_wrapperIjLb1EEEEE10hipError_tT1_PNSt15iterator_traitsISI_E10value_typeET2_T3_PNSJ_ISO_E10value_typeET4_T5_PST_SU_PNS1_23onesweep_lookback_stateEbbT6_jjT7_P12ihipStream_tbENKUlT_T0_SI_SN_E_clIPiSD_S15_SD_EEDaS11_S12_SI_SN_EUlS11_E_NS1_11comp_targetILNS1_3genE2ELNS1_11target_archE906ELNS1_3gpuE6ELNS1_3repE0EEENS1_47radix_sort_onesweep_sort_config_static_selectorELNS0_4arch9wavefront6targetE1EEEvSI_,comdat
	.protected	_ZN7rocprim17ROCPRIM_400000_NS6detail17trampoline_kernelINS0_14default_configENS1_35radix_sort_onesweep_config_selectorIiiEEZZNS1_29radix_sort_onesweep_iterationIS3_Lb0EN6thrust23THRUST_200600_302600_NS6detail15normal_iteratorINS8_10device_ptrIiEEEESD_SD_SD_jNS0_19identity_decomposerENS1_16block_id_wrapperIjLb1EEEEE10hipError_tT1_PNSt15iterator_traitsISI_E10value_typeET2_T3_PNSJ_ISO_E10value_typeET4_T5_PST_SU_PNS1_23onesweep_lookback_stateEbbT6_jjT7_P12ihipStream_tbENKUlT_T0_SI_SN_E_clIPiSD_S15_SD_EEDaS11_S12_SI_SN_EUlS11_E_NS1_11comp_targetILNS1_3genE2ELNS1_11target_archE906ELNS1_3gpuE6ELNS1_3repE0EEENS1_47radix_sort_onesweep_sort_config_static_selectorELNS0_4arch9wavefront6targetE1EEEvSI_ ; -- Begin function _ZN7rocprim17ROCPRIM_400000_NS6detail17trampoline_kernelINS0_14default_configENS1_35radix_sort_onesweep_config_selectorIiiEEZZNS1_29radix_sort_onesweep_iterationIS3_Lb0EN6thrust23THRUST_200600_302600_NS6detail15normal_iteratorINS8_10device_ptrIiEEEESD_SD_SD_jNS0_19identity_decomposerENS1_16block_id_wrapperIjLb1EEEEE10hipError_tT1_PNSt15iterator_traitsISI_E10value_typeET2_T3_PNSJ_ISO_E10value_typeET4_T5_PST_SU_PNS1_23onesweep_lookback_stateEbbT6_jjT7_P12ihipStream_tbENKUlT_T0_SI_SN_E_clIPiSD_S15_SD_EEDaS11_S12_SI_SN_EUlS11_E_NS1_11comp_targetILNS1_3genE2ELNS1_11target_archE906ELNS1_3gpuE6ELNS1_3repE0EEENS1_47radix_sort_onesweep_sort_config_static_selectorELNS0_4arch9wavefront6targetE1EEEvSI_
	.globl	_ZN7rocprim17ROCPRIM_400000_NS6detail17trampoline_kernelINS0_14default_configENS1_35radix_sort_onesweep_config_selectorIiiEEZZNS1_29radix_sort_onesweep_iterationIS3_Lb0EN6thrust23THRUST_200600_302600_NS6detail15normal_iteratorINS8_10device_ptrIiEEEESD_SD_SD_jNS0_19identity_decomposerENS1_16block_id_wrapperIjLb1EEEEE10hipError_tT1_PNSt15iterator_traitsISI_E10value_typeET2_T3_PNSJ_ISO_E10value_typeET4_T5_PST_SU_PNS1_23onesweep_lookback_stateEbbT6_jjT7_P12ihipStream_tbENKUlT_T0_SI_SN_E_clIPiSD_S15_SD_EEDaS11_S12_SI_SN_EUlS11_E_NS1_11comp_targetILNS1_3genE2ELNS1_11target_archE906ELNS1_3gpuE6ELNS1_3repE0EEENS1_47radix_sort_onesweep_sort_config_static_selectorELNS0_4arch9wavefront6targetE1EEEvSI_
	.p2align	8
	.type	_ZN7rocprim17ROCPRIM_400000_NS6detail17trampoline_kernelINS0_14default_configENS1_35radix_sort_onesweep_config_selectorIiiEEZZNS1_29radix_sort_onesweep_iterationIS3_Lb0EN6thrust23THRUST_200600_302600_NS6detail15normal_iteratorINS8_10device_ptrIiEEEESD_SD_SD_jNS0_19identity_decomposerENS1_16block_id_wrapperIjLb1EEEEE10hipError_tT1_PNSt15iterator_traitsISI_E10value_typeET2_T3_PNSJ_ISO_E10value_typeET4_T5_PST_SU_PNS1_23onesweep_lookback_stateEbbT6_jjT7_P12ihipStream_tbENKUlT_T0_SI_SN_E_clIPiSD_S15_SD_EEDaS11_S12_SI_SN_EUlS11_E_NS1_11comp_targetILNS1_3genE2ELNS1_11target_archE906ELNS1_3gpuE6ELNS1_3repE0EEENS1_47radix_sort_onesweep_sort_config_static_selectorELNS0_4arch9wavefront6targetE1EEEvSI_,@function
_ZN7rocprim17ROCPRIM_400000_NS6detail17trampoline_kernelINS0_14default_configENS1_35radix_sort_onesweep_config_selectorIiiEEZZNS1_29radix_sort_onesweep_iterationIS3_Lb0EN6thrust23THRUST_200600_302600_NS6detail15normal_iteratorINS8_10device_ptrIiEEEESD_SD_SD_jNS0_19identity_decomposerENS1_16block_id_wrapperIjLb1EEEEE10hipError_tT1_PNSt15iterator_traitsISI_E10value_typeET2_T3_PNSJ_ISO_E10value_typeET4_T5_PST_SU_PNS1_23onesweep_lookback_stateEbbT6_jjT7_P12ihipStream_tbENKUlT_T0_SI_SN_E_clIPiSD_S15_SD_EEDaS11_S12_SI_SN_EUlS11_E_NS1_11comp_targetILNS1_3genE2ELNS1_11target_archE906ELNS1_3gpuE6ELNS1_3repE0EEENS1_47radix_sort_onesweep_sort_config_static_selectorELNS0_4arch9wavefront6targetE1EEEvSI_: ; @_ZN7rocprim17ROCPRIM_400000_NS6detail17trampoline_kernelINS0_14default_configENS1_35radix_sort_onesweep_config_selectorIiiEEZZNS1_29radix_sort_onesweep_iterationIS3_Lb0EN6thrust23THRUST_200600_302600_NS6detail15normal_iteratorINS8_10device_ptrIiEEEESD_SD_SD_jNS0_19identity_decomposerENS1_16block_id_wrapperIjLb1EEEEE10hipError_tT1_PNSt15iterator_traitsISI_E10value_typeET2_T3_PNSJ_ISO_E10value_typeET4_T5_PST_SU_PNS1_23onesweep_lookback_stateEbbT6_jjT7_P12ihipStream_tbENKUlT_T0_SI_SN_E_clIPiSD_S15_SD_EEDaS11_S12_SI_SN_EUlS11_E_NS1_11comp_targetILNS1_3genE2ELNS1_11target_archE906ELNS1_3gpuE6ELNS1_3repE0EEENS1_47radix_sort_onesweep_sort_config_static_selectorELNS0_4arch9wavefront6targetE1EEEvSI_
; %bb.0:
	.section	.rodata,"a",@progbits
	.p2align	6, 0x0
	.amdhsa_kernel _ZN7rocprim17ROCPRIM_400000_NS6detail17trampoline_kernelINS0_14default_configENS1_35radix_sort_onesweep_config_selectorIiiEEZZNS1_29radix_sort_onesweep_iterationIS3_Lb0EN6thrust23THRUST_200600_302600_NS6detail15normal_iteratorINS8_10device_ptrIiEEEESD_SD_SD_jNS0_19identity_decomposerENS1_16block_id_wrapperIjLb1EEEEE10hipError_tT1_PNSt15iterator_traitsISI_E10value_typeET2_T3_PNSJ_ISO_E10value_typeET4_T5_PST_SU_PNS1_23onesweep_lookback_stateEbbT6_jjT7_P12ihipStream_tbENKUlT_T0_SI_SN_E_clIPiSD_S15_SD_EEDaS11_S12_SI_SN_EUlS11_E_NS1_11comp_targetILNS1_3genE2ELNS1_11target_archE906ELNS1_3gpuE6ELNS1_3repE0EEENS1_47radix_sort_onesweep_sort_config_static_selectorELNS0_4arch9wavefront6targetE1EEEvSI_
		.amdhsa_group_segment_fixed_size 0
		.amdhsa_private_segment_fixed_size 0
		.amdhsa_kernarg_size 88
		.amdhsa_user_sgpr_count 2
		.amdhsa_user_sgpr_dispatch_ptr 0
		.amdhsa_user_sgpr_queue_ptr 0
		.amdhsa_user_sgpr_kernarg_segment_ptr 1
		.amdhsa_user_sgpr_dispatch_id 0
		.amdhsa_user_sgpr_kernarg_preload_length 0
		.amdhsa_user_sgpr_kernarg_preload_offset 0
		.amdhsa_user_sgpr_private_segment_size 0
		.amdhsa_uses_dynamic_stack 0
		.amdhsa_enable_private_segment 0
		.amdhsa_system_sgpr_workgroup_id_x 1
		.amdhsa_system_sgpr_workgroup_id_y 0
		.amdhsa_system_sgpr_workgroup_id_z 0
		.amdhsa_system_sgpr_workgroup_info 0
		.amdhsa_system_vgpr_workitem_id 0
		.amdhsa_next_free_vgpr 1
		.amdhsa_next_free_sgpr 0
		.amdhsa_accum_offset 4
		.amdhsa_reserve_vcc 0
		.amdhsa_float_round_mode_32 0
		.amdhsa_float_round_mode_16_64 0
		.amdhsa_float_denorm_mode_32 3
		.amdhsa_float_denorm_mode_16_64 3
		.amdhsa_dx10_clamp 1
		.amdhsa_ieee_mode 1
		.amdhsa_fp16_overflow 0
		.amdhsa_tg_split 0
		.amdhsa_exception_fp_ieee_invalid_op 0
		.amdhsa_exception_fp_denorm_src 0
		.amdhsa_exception_fp_ieee_div_zero 0
		.amdhsa_exception_fp_ieee_overflow 0
		.amdhsa_exception_fp_ieee_underflow 0
		.amdhsa_exception_fp_ieee_inexact 0
		.amdhsa_exception_int_div_zero 0
	.end_amdhsa_kernel
	.section	.text._ZN7rocprim17ROCPRIM_400000_NS6detail17trampoline_kernelINS0_14default_configENS1_35radix_sort_onesweep_config_selectorIiiEEZZNS1_29radix_sort_onesweep_iterationIS3_Lb0EN6thrust23THRUST_200600_302600_NS6detail15normal_iteratorINS8_10device_ptrIiEEEESD_SD_SD_jNS0_19identity_decomposerENS1_16block_id_wrapperIjLb1EEEEE10hipError_tT1_PNSt15iterator_traitsISI_E10value_typeET2_T3_PNSJ_ISO_E10value_typeET4_T5_PST_SU_PNS1_23onesweep_lookback_stateEbbT6_jjT7_P12ihipStream_tbENKUlT_T0_SI_SN_E_clIPiSD_S15_SD_EEDaS11_S12_SI_SN_EUlS11_E_NS1_11comp_targetILNS1_3genE2ELNS1_11target_archE906ELNS1_3gpuE6ELNS1_3repE0EEENS1_47radix_sort_onesweep_sort_config_static_selectorELNS0_4arch9wavefront6targetE1EEEvSI_,"axG",@progbits,_ZN7rocprim17ROCPRIM_400000_NS6detail17trampoline_kernelINS0_14default_configENS1_35radix_sort_onesweep_config_selectorIiiEEZZNS1_29radix_sort_onesweep_iterationIS3_Lb0EN6thrust23THRUST_200600_302600_NS6detail15normal_iteratorINS8_10device_ptrIiEEEESD_SD_SD_jNS0_19identity_decomposerENS1_16block_id_wrapperIjLb1EEEEE10hipError_tT1_PNSt15iterator_traitsISI_E10value_typeET2_T3_PNSJ_ISO_E10value_typeET4_T5_PST_SU_PNS1_23onesweep_lookback_stateEbbT6_jjT7_P12ihipStream_tbENKUlT_T0_SI_SN_E_clIPiSD_S15_SD_EEDaS11_S12_SI_SN_EUlS11_E_NS1_11comp_targetILNS1_3genE2ELNS1_11target_archE906ELNS1_3gpuE6ELNS1_3repE0EEENS1_47radix_sort_onesweep_sort_config_static_selectorELNS0_4arch9wavefront6targetE1EEEvSI_,comdat
.Lfunc_end843:
	.size	_ZN7rocprim17ROCPRIM_400000_NS6detail17trampoline_kernelINS0_14default_configENS1_35radix_sort_onesweep_config_selectorIiiEEZZNS1_29radix_sort_onesweep_iterationIS3_Lb0EN6thrust23THRUST_200600_302600_NS6detail15normal_iteratorINS8_10device_ptrIiEEEESD_SD_SD_jNS0_19identity_decomposerENS1_16block_id_wrapperIjLb1EEEEE10hipError_tT1_PNSt15iterator_traitsISI_E10value_typeET2_T3_PNSJ_ISO_E10value_typeET4_T5_PST_SU_PNS1_23onesweep_lookback_stateEbbT6_jjT7_P12ihipStream_tbENKUlT_T0_SI_SN_E_clIPiSD_S15_SD_EEDaS11_S12_SI_SN_EUlS11_E_NS1_11comp_targetILNS1_3genE2ELNS1_11target_archE906ELNS1_3gpuE6ELNS1_3repE0EEENS1_47radix_sort_onesweep_sort_config_static_selectorELNS0_4arch9wavefront6targetE1EEEvSI_, .Lfunc_end843-_ZN7rocprim17ROCPRIM_400000_NS6detail17trampoline_kernelINS0_14default_configENS1_35radix_sort_onesweep_config_selectorIiiEEZZNS1_29radix_sort_onesweep_iterationIS3_Lb0EN6thrust23THRUST_200600_302600_NS6detail15normal_iteratorINS8_10device_ptrIiEEEESD_SD_SD_jNS0_19identity_decomposerENS1_16block_id_wrapperIjLb1EEEEE10hipError_tT1_PNSt15iterator_traitsISI_E10value_typeET2_T3_PNSJ_ISO_E10value_typeET4_T5_PST_SU_PNS1_23onesweep_lookback_stateEbbT6_jjT7_P12ihipStream_tbENKUlT_T0_SI_SN_E_clIPiSD_S15_SD_EEDaS11_S12_SI_SN_EUlS11_E_NS1_11comp_targetILNS1_3genE2ELNS1_11target_archE906ELNS1_3gpuE6ELNS1_3repE0EEENS1_47radix_sort_onesweep_sort_config_static_selectorELNS0_4arch9wavefront6targetE1EEEvSI_
                                        ; -- End function
	.set _ZN7rocprim17ROCPRIM_400000_NS6detail17trampoline_kernelINS0_14default_configENS1_35radix_sort_onesweep_config_selectorIiiEEZZNS1_29radix_sort_onesweep_iterationIS3_Lb0EN6thrust23THRUST_200600_302600_NS6detail15normal_iteratorINS8_10device_ptrIiEEEESD_SD_SD_jNS0_19identity_decomposerENS1_16block_id_wrapperIjLb1EEEEE10hipError_tT1_PNSt15iterator_traitsISI_E10value_typeET2_T3_PNSJ_ISO_E10value_typeET4_T5_PST_SU_PNS1_23onesweep_lookback_stateEbbT6_jjT7_P12ihipStream_tbENKUlT_T0_SI_SN_E_clIPiSD_S15_SD_EEDaS11_S12_SI_SN_EUlS11_E_NS1_11comp_targetILNS1_3genE2ELNS1_11target_archE906ELNS1_3gpuE6ELNS1_3repE0EEENS1_47radix_sort_onesweep_sort_config_static_selectorELNS0_4arch9wavefront6targetE1EEEvSI_.num_vgpr, 0
	.set _ZN7rocprim17ROCPRIM_400000_NS6detail17trampoline_kernelINS0_14default_configENS1_35radix_sort_onesweep_config_selectorIiiEEZZNS1_29radix_sort_onesweep_iterationIS3_Lb0EN6thrust23THRUST_200600_302600_NS6detail15normal_iteratorINS8_10device_ptrIiEEEESD_SD_SD_jNS0_19identity_decomposerENS1_16block_id_wrapperIjLb1EEEEE10hipError_tT1_PNSt15iterator_traitsISI_E10value_typeET2_T3_PNSJ_ISO_E10value_typeET4_T5_PST_SU_PNS1_23onesweep_lookback_stateEbbT6_jjT7_P12ihipStream_tbENKUlT_T0_SI_SN_E_clIPiSD_S15_SD_EEDaS11_S12_SI_SN_EUlS11_E_NS1_11comp_targetILNS1_3genE2ELNS1_11target_archE906ELNS1_3gpuE6ELNS1_3repE0EEENS1_47radix_sort_onesweep_sort_config_static_selectorELNS0_4arch9wavefront6targetE1EEEvSI_.num_agpr, 0
	.set _ZN7rocprim17ROCPRIM_400000_NS6detail17trampoline_kernelINS0_14default_configENS1_35radix_sort_onesweep_config_selectorIiiEEZZNS1_29radix_sort_onesweep_iterationIS3_Lb0EN6thrust23THRUST_200600_302600_NS6detail15normal_iteratorINS8_10device_ptrIiEEEESD_SD_SD_jNS0_19identity_decomposerENS1_16block_id_wrapperIjLb1EEEEE10hipError_tT1_PNSt15iterator_traitsISI_E10value_typeET2_T3_PNSJ_ISO_E10value_typeET4_T5_PST_SU_PNS1_23onesweep_lookback_stateEbbT6_jjT7_P12ihipStream_tbENKUlT_T0_SI_SN_E_clIPiSD_S15_SD_EEDaS11_S12_SI_SN_EUlS11_E_NS1_11comp_targetILNS1_3genE2ELNS1_11target_archE906ELNS1_3gpuE6ELNS1_3repE0EEENS1_47radix_sort_onesweep_sort_config_static_selectorELNS0_4arch9wavefront6targetE1EEEvSI_.numbered_sgpr, 0
	.set _ZN7rocprim17ROCPRIM_400000_NS6detail17trampoline_kernelINS0_14default_configENS1_35radix_sort_onesweep_config_selectorIiiEEZZNS1_29radix_sort_onesweep_iterationIS3_Lb0EN6thrust23THRUST_200600_302600_NS6detail15normal_iteratorINS8_10device_ptrIiEEEESD_SD_SD_jNS0_19identity_decomposerENS1_16block_id_wrapperIjLb1EEEEE10hipError_tT1_PNSt15iterator_traitsISI_E10value_typeET2_T3_PNSJ_ISO_E10value_typeET4_T5_PST_SU_PNS1_23onesweep_lookback_stateEbbT6_jjT7_P12ihipStream_tbENKUlT_T0_SI_SN_E_clIPiSD_S15_SD_EEDaS11_S12_SI_SN_EUlS11_E_NS1_11comp_targetILNS1_3genE2ELNS1_11target_archE906ELNS1_3gpuE6ELNS1_3repE0EEENS1_47radix_sort_onesweep_sort_config_static_selectorELNS0_4arch9wavefront6targetE1EEEvSI_.num_named_barrier, 0
	.set _ZN7rocprim17ROCPRIM_400000_NS6detail17trampoline_kernelINS0_14default_configENS1_35radix_sort_onesweep_config_selectorIiiEEZZNS1_29radix_sort_onesweep_iterationIS3_Lb0EN6thrust23THRUST_200600_302600_NS6detail15normal_iteratorINS8_10device_ptrIiEEEESD_SD_SD_jNS0_19identity_decomposerENS1_16block_id_wrapperIjLb1EEEEE10hipError_tT1_PNSt15iterator_traitsISI_E10value_typeET2_T3_PNSJ_ISO_E10value_typeET4_T5_PST_SU_PNS1_23onesweep_lookback_stateEbbT6_jjT7_P12ihipStream_tbENKUlT_T0_SI_SN_E_clIPiSD_S15_SD_EEDaS11_S12_SI_SN_EUlS11_E_NS1_11comp_targetILNS1_3genE2ELNS1_11target_archE906ELNS1_3gpuE6ELNS1_3repE0EEENS1_47radix_sort_onesweep_sort_config_static_selectorELNS0_4arch9wavefront6targetE1EEEvSI_.private_seg_size, 0
	.set _ZN7rocprim17ROCPRIM_400000_NS6detail17trampoline_kernelINS0_14default_configENS1_35radix_sort_onesweep_config_selectorIiiEEZZNS1_29radix_sort_onesweep_iterationIS3_Lb0EN6thrust23THRUST_200600_302600_NS6detail15normal_iteratorINS8_10device_ptrIiEEEESD_SD_SD_jNS0_19identity_decomposerENS1_16block_id_wrapperIjLb1EEEEE10hipError_tT1_PNSt15iterator_traitsISI_E10value_typeET2_T3_PNSJ_ISO_E10value_typeET4_T5_PST_SU_PNS1_23onesweep_lookback_stateEbbT6_jjT7_P12ihipStream_tbENKUlT_T0_SI_SN_E_clIPiSD_S15_SD_EEDaS11_S12_SI_SN_EUlS11_E_NS1_11comp_targetILNS1_3genE2ELNS1_11target_archE906ELNS1_3gpuE6ELNS1_3repE0EEENS1_47radix_sort_onesweep_sort_config_static_selectorELNS0_4arch9wavefront6targetE1EEEvSI_.uses_vcc, 0
	.set _ZN7rocprim17ROCPRIM_400000_NS6detail17trampoline_kernelINS0_14default_configENS1_35radix_sort_onesweep_config_selectorIiiEEZZNS1_29radix_sort_onesweep_iterationIS3_Lb0EN6thrust23THRUST_200600_302600_NS6detail15normal_iteratorINS8_10device_ptrIiEEEESD_SD_SD_jNS0_19identity_decomposerENS1_16block_id_wrapperIjLb1EEEEE10hipError_tT1_PNSt15iterator_traitsISI_E10value_typeET2_T3_PNSJ_ISO_E10value_typeET4_T5_PST_SU_PNS1_23onesweep_lookback_stateEbbT6_jjT7_P12ihipStream_tbENKUlT_T0_SI_SN_E_clIPiSD_S15_SD_EEDaS11_S12_SI_SN_EUlS11_E_NS1_11comp_targetILNS1_3genE2ELNS1_11target_archE906ELNS1_3gpuE6ELNS1_3repE0EEENS1_47radix_sort_onesweep_sort_config_static_selectorELNS0_4arch9wavefront6targetE1EEEvSI_.uses_flat_scratch, 0
	.set _ZN7rocprim17ROCPRIM_400000_NS6detail17trampoline_kernelINS0_14default_configENS1_35radix_sort_onesweep_config_selectorIiiEEZZNS1_29radix_sort_onesweep_iterationIS3_Lb0EN6thrust23THRUST_200600_302600_NS6detail15normal_iteratorINS8_10device_ptrIiEEEESD_SD_SD_jNS0_19identity_decomposerENS1_16block_id_wrapperIjLb1EEEEE10hipError_tT1_PNSt15iterator_traitsISI_E10value_typeET2_T3_PNSJ_ISO_E10value_typeET4_T5_PST_SU_PNS1_23onesweep_lookback_stateEbbT6_jjT7_P12ihipStream_tbENKUlT_T0_SI_SN_E_clIPiSD_S15_SD_EEDaS11_S12_SI_SN_EUlS11_E_NS1_11comp_targetILNS1_3genE2ELNS1_11target_archE906ELNS1_3gpuE6ELNS1_3repE0EEENS1_47radix_sort_onesweep_sort_config_static_selectorELNS0_4arch9wavefront6targetE1EEEvSI_.has_dyn_sized_stack, 0
	.set _ZN7rocprim17ROCPRIM_400000_NS6detail17trampoline_kernelINS0_14default_configENS1_35radix_sort_onesweep_config_selectorIiiEEZZNS1_29radix_sort_onesweep_iterationIS3_Lb0EN6thrust23THRUST_200600_302600_NS6detail15normal_iteratorINS8_10device_ptrIiEEEESD_SD_SD_jNS0_19identity_decomposerENS1_16block_id_wrapperIjLb1EEEEE10hipError_tT1_PNSt15iterator_traitsISI_E10value_typeET2_T3_PNSJ_ISO_E10value_typeET4_T5_PST_SU_PNS1_23onesweep_lookback_stateEbbT6_jjT7_P12ihipStream_tbENKUlT_T0_SI_SN_E_clIPiSD_S15_SD_EEDaS11_S12_SI_SN_EUlS11_E_NS1_11comp_targetILNS1_3genE2ELNS1_11target_archE906ELNS1_3gpuE6ELNS1_3repE0EEENS1_47radix_sort_onesweep_sort_config_static_selectorELNS0_4arch9wavefront6targetE1EEEvSI_.has_recursion, 0
	.set _ZN7rocprim17ROCPRIM_400000_NS6detail17trampoline_kernelINS0_14default_configENS1_35radix_sort_onesweep_config_selectorIiiEEZZNS1_29radix_sort_onesweep_iterationIS3_Lb0EN6thrust23THRUST_200600_302600_NS6detail15normal_iteratorINS8_10device_ptrIiEEEESD_SD_SD_jNS0_19identity_decomposerENS1_16block_id_wrapperIjLb1EEEEE10hipError_tT1_PNSt15iterator_traitsISI_E10value_typeET2_T3_PNSJ_ISO_E10value_typeET4_T5_PST_SU_PNS1_23onesweep_lookback_stateEbbT6_jjT7_P12ihipStream_tbENKUlT_T0_SI_SN_E_clIPiSD_S15_SD_EEDaS11_S12_SI_SN_EUlS11_E_NS1_11comp_targetILNS1_3genE2ELNS1_11target_archE906ELNS1_3gpuE6ELNS1_3repE0EEENS1_47radix_sort_onesweep_sort_config_static_selectorELNS0_4arch9wavefront6targetE1EEEvSI_.has_indirect_call, 0
	.section	.AMDGPU.csdata,"",@progbits
; Kernel info:
; codeLenInByte = 0
; TotalNumSgprs: 6
; NumVgprs: 0
; NumAgprs: 0
; TotalNumVgprs: 0
; ScratchSize: 0
; MemoryBound: 0
; FloatMode: 240
; IeeeMode: 1
; LDSByteSize: 0 bytes/workgroup (compile time only)
; SGPRBlocks: 0
; VGPRBlocks: 0
; NumSGPRsForWavesPerEU: 6
; NumVGPRsForWavesPerEU: 1
; AccumOffset: 4
; Occupancy: 8
; WaveLimiterHint : 0
; COMPUTE_PGM_RSRC2:SCRATCH_EN: 0
; COMPUTE_PGM_RSRC2:USER_SGPR: 2
; COMPUTE_PGM_RSRC2:TRAP_HANDLER: 0
; COMPUTE_PGM_RSRC2:TGID_X_EN: 1
; COMPUTE_PGM_RSRC2:TGID_Y_EN: 0
; COMPUTE_PGM_RSRC2:TGID_Z_EN: 0
; COMPUTE_PGM_RSRC2:TIDIG_COMP_CNT: 0
; COMPUTE_PGM_RSRC3_GFX90A:ACCUM_OFFSET: 0
; COMPUTE_PGM_RSRC3_GFX90A:TG_SPLIT: 0
	.section	.text._ZN7rocprim17ROCPRIM_400000_NS6detail17trampoline_kernelINS0_14default_configENS1_35radix_sort_onesweep_config_selectorIiiEEZZNS1_29radix_sort_onesweep_iterationIS3_Lb0EN6thrust23THRUST_200600_302600_NS6detail15normal_iteratorINS8_10device_ptrIiEEEESD_SD_SD_jNS0_19identity_decomposerENS1_16block_id_wrapperIjLb1EEEEE10hipError_tT1_PNSt15iterator_traitsISI_E10value_typeET2_T3_PNSJ_ISO_E10value_typeET4_T5_PST_SU_PNS1_23onesweep_lookback_stateEbbT6_jjT7_P12ihipStream_tbENKUlT_T0_SI_SN_E_clIPiSD_S15_SD_EEDaS11_S12_SI_SN_EUlS11_E_NS1_11comp_targetILNS1_3genE4ELNS1_11target_archE910ELNS1_3gpuE8ELNS1_3repE0EEENS1_47radix_sort_onesweep_sort_config_static_selectorELNS0_4arch9wavefront6targetE1EEEvSI_,"axG",@progbits,_ZN7rocprim17ROCPRIM_400000_NS6detail17trampoline_kernelINS0_14default_configENS1_35radix_sort_onesweep_config_selectorIiiEEZZNS1_29radix_sort_onesweep_iterationIS3_Lb0EN6thrust23THRUST_200600_302600_NS6detail15normal_iteratorINS8_10device_ptrIiEEEESD_SD_SD_jNS0_19identity_decomposerENS1_16block_id_wrapperIjLb1EEEEE10hipError_tT1_PNSt15iterator_traitsISI_E10value_typeET2_T3_PNSJ_ISO_E10value_typeET4_T5_PST_SU_PNS1_23onesweep_lookback_stateEbbT6_jjT7_P12ihipStream_tbENKUlT_T0_SI_SN_E_clIPiSD_S15_SD_EEDaS11_S12_SI_SN_EUlS11_E_NS1_11comp_targetILNS1_3genE4ELNS1_11target_archE910ELNS1_3gpuE8ELNS1_3repE0EEENS1_47radix_sort_onesweep_sort_config_static_selectorELNS0_4arch9wavefront6targetE1EEEvSI_,comdat
	.protected	_ZN7rocprim17ROCPRIM_400000_NS6detail17trampoline_kernelINS0_14default_configENS1_35radix_sort_onesweep_config_selectorIiiEEZZNS1_29radix_sort_onesweep_iterationIS3_Lb0EN6thrust23THRUST_200600_302600_NS6detail15normal_iteratorINS8_10device_ptrIiEEEESD_SD_SD_jNS0_19identity_decomposerENS1_16block_id_wrapperIjLb1EEEEE10hipError_tT1_PNSt15iterator_traitsISI_E10value_typeET2_T3_PNSJ_ISO_E10value_typeET4_T5_PST_SU_PNS1_23onesweep_lookback_stateEbbT6_jjT7_P12ihipStream_tbENKUlT_T0_SI_SN_E_clIPiSD_S15_SD_EEDaS11_S12_SI_SN_EUlS11_E_NS1_11comp_targetILNS1_3genE4ELNS1_11target_archE910ELNS1_3gpuE8ELNS1_3repE0EEENS1_47radix_sort_onesweep_sort_config_static_selectorELNS0_4arch9wavefront6targetE1EEEvSI_ ; -- Begin function _ZN7rocprim17ROCPRIM_400000_NS6detail17trampoline_kernelINS0_14default_configENS1_35radix_sort_onesweep_config_selectorIiiEEZZNS1_29radix_sort_onesweep_iterationIS3_Lb0EN6thrust23THRUST_200600_302600_NS6detail15normal_iteratorINS8_10device_ptrIiEEEESD_SD_SD_jNS0_19identity_decomposerENS1_16block_id_wrapperIjLb1EEEEE10hipError_tT1_PNSt15iterator_traitsISI_E10value_typeET2_T3_PNSJ_ISO_E10value_typeET4_T5_PST_SU_PNS1_23onesweep_lookback_stateEbbT6_jjT7_P12ihipStream_tbENKUlT_T0_SI_SN_E_clIPiSD_S15_SD_EEDaS11_S12_SI_SN_EUlS11_E_NS1_11comp_targetILNS1_3genE4ELNS1_11target_archE910ELNS1_3gpuE8ELNS1_3repE0EEENS1_47radix_sort_onesweep_sort_config_static_selectorELNS0_4arch9wavefront6targetE1EEEvSI_
	.globl	_ZN7rocprim17ROCPRIM_400000_NS6detail17trampoline_kernelINS0_14default_configENS1_35radix_sort_onesweep_config_selectorIiiEEZZNS1_29radix_sort_onesweep_iterationIS3_Lb0EN6thrust23THRUST_200600_302600_NS6detail15normal_iteratorINS8_10device_ptrIiEEEESD_SD_SD_jNS0_19identity_decomposerENS1_16block_id_wrapperIjLb1EEEEE10hipError_tT1_PNSt15iterator_traitsISI_E10value_typeET2_T3_PNSJ_ISO_E10value_typeET4_T5_PST_SU_PNS1_23onesweep_lookback_stateEbbT6_jjT7_P12ihipStream_tbENKUlT_T0_SI_SN_E_clIPiSD_S15_SD_EEDaS11_S12_SI_SN_EUlS11_E_NS1_11comp_targetILNS1_3genE4ELNS1_11target_archE910ELNS1_3gpuE8ELNS1_3repE0EEENS1_47radix_sort_onesweep_sort_config_static_selectorELNS0_4arch9wavefront6targetE1EEEvSI_
	.p2align	8
	.type	_ZN7rocprim17ROCPRIM_400000_NS6detail17trampoline_kernelINS0_14default_configENS1_35radix_sort_onesweep_config_selectorIiiEEZZNS1_29radix_sort_onesweep_iterationIS3_Lb0EN6thrust23THRUST_200600_302600_NS6detail15normal_iteratorINS8_10device_ptrIiEEEESD_SD_SD_jNS0_19identity_decomposerENS1_16block_id_wrapperIjLb1EEEEE10hipError_tT1_PNSt15iterator_traitsISI_E10value_typeET2_T3_PNSJ_ISO_E10value_typeET4_T5_PST_SU_PNS1_23onesweep_lookback_stateEbbT6_jjT7_P12ihipStream_tbENKUlT_T0_SI_SN_E_clIPiSD_S15_SD_EEDaS11_S12_SI_SN_EUlS11_E_NS1_11comp_targetILNS1_3genE4ELNS1_11target_archE910ELNS1_3gpuE8ELNS1_3repE0EEENS1_47radix_sort_onesweep_sort_config_static_selectorELNS0_4arch9wavefront6targetE1EEEvSI_,@function
_ZN7rocprim17ROCPRIM_400000_NS6detail17trampoline_kernelINS0_14default_configENS1_35radix_sort_onesweep_config_selectorIiiEEZZNS1_29radix_sort_onesweep_iterationIS3_Lb0EN6thrust23THRUST_200600_302600_NS6detail15normal_iteratorINS8_10device_ptrIiEEEESD_SD_SD_jNS0_19identity_decomposerENS1_16block_id_wrapperIjLb1EEEEE10hipError_tT1_PNSt15iterator_traitsISI_E10value_typeET2_T3_PNSJ_ISO_E10value_typeET4_T5_PST_SU_PNS1_23onesweep_lookback_stateEbbT6_jjT7_P12ihipStream_tbENKUlT_T0_SI_SN_E_clIPiSD_S15_SD_EEDaS11_S12_SI_SN_EUlS11_E_NS1_11comp_targetILNS1_3genE4ELNS1_11target_archE910ELNS1_3gpuE8ELNS1_3repE0EEENS1_47radix_sort_onesweep_sort_config_static_selectorELNS0_4arch9wavefront6targetE1EEEvSI_: ; @_ZN7rocprim17ROCPRIM_400000_NS6detail17trampoline_kernelINS0_14default_configENS1_35radix_sort_onesweep_config_selectorIiiEEZZNS1_29radix_sort_onesweep_iterationIS3_Lb0EN6thrust23THRUST_200600_302600_NS6detail15normal_iteratorINS8_10device_ptrIiEEEESD_SD_SD_jNS0_19identity_decomposerENS1_16block_id_wrapperIjLb1EEEEE10hipError_tT1_PNSt15iterator_traitsISI_E10value_typeET2_T3_PNSJ_ISO_E10value_typeET4_T5_PST_SU_PNS1_23onesweep_lookback_stateEbbT6_jjT7_P12ihipStream_tbENKUlT_T0_SI_SN_E_clIPiSD_S15_SD_EEDaS11_S12_SI_SN_EUlS11_E_NS1_11comp_targetILNS1_3genE4ELNS1_11target_archE910ELNS1_3gpuE8ELNS1_3repE0EEENS1_47radix_sort_onesweep_sort_config_static_selectorELNS0_4arch9wavefront6targetE1EEEvSI_
; %bb.0:
	.section	.rodata,"a",@progbits
	.p2align	6, 0x0
	.amdhsa_kernel _ZN7rocprim17ROCPRIM_400000_NS6detail17trampoline_kernelINS0_14default_configENS1_35radix_sort_onesweep_config_selectorIiiEEZZNS1_29radix_sort_onesweep_iterationIS3_Lb0EN6thrust23THRUST_200600_302600_NS6detail15normal_iteratorINS8_10device_ptrIiEEEESD_SD_SD_jNS0_19identity_decomposerENS1_16block_id_wrapperIjLb1EEEEE10hipError_tT1_PNSt15iterator_traitsISI_E10value_typeET2_T3_PNSJ_ISO_E10value_typeET4_T5_PST_SU_PNS1_23onesweep_lookback_stateEbbT6_jjT7_P12ihipStream_tbENKUlT_T0_SI_SN_E_clIPiSD_S15_SD_EEDaS11_S12_SI_SN_EUlS11_E_NS1_11comp_targetILNS1_3genE4ELNS1_11target_archE910ELNS1_3gpuE8ELNS1_3repE0EEENS1_47radix_sort_onesweep_sort_config_static_selectorELNS0_4arch9wavefront6targetE1EEEvSI_
		.amdhsa_group_segment_fixed_size 0
		.amdhsa_private_segment_fixed_size 0
		.amdhsa_kernarg_size 88
		.amdhsa_user_sgpr_count 2
		.amdhsa_user_sgpr_dispatch_ptr 0
		.amdhsa_user_sgpr_queue_ptr 0
		.amdhsa_user_sgpr_kernarg_segment_ptr 1
		.amdhsa_user_sgpr_dispatch_id 0
		.amdhsa_user_sgpr_kernarg_preload_length 0
		.amdhsa_user_sgpr_kernarg_preload_offset 0
		.amdhsa_user_sgpr_private_segment_size 0
		.amdhsa_uses_dynamic_stack 0
		.amdhsa_enable_private_segment 0
		.amdhsa_system_sgpr_workgroup_id_x 1
		.amdhsa_system_sgpr_workgroup_id_y 0
		.amdhsa_system_sgpr_workgroup_id_z 0
		.amdhsa_system_sgpr_workgroup_info 0
		.amdhsa_system_vgpr_workitem_id 0
		.amdhsa_next_free_vgpr 1
		.amdhsa_next_free_sgpr 0
		.amdhsa_accum_offset 4
		.amdhsa_reserve_vcc 0
		.amdhsa_float_round_mode_32 0
		.amdhsa_float_round_mode_16_64 0
		.amdhsa_float_denorm_mode_32 3
		.amdhsa_float_denorm_mode_16_64 3
		.amdhsa_dx10_clamp 1
		.amdhsa_ieee_mode 1
		.amdhsa_fp16_overflow 0
		.amdhsa_tg_split 0
		.amdhsa_exception_fp_ieee_invalid_op 0
		.amdhsa_exception_fp_denorm_src 0
		.amdhsa_exception_fp_ieee_div_zero 0
		.amdhsa_exception_fp_ieee_overflow 0
		.amdhsa_exception_fp_ieee_underflow 0
		.amdhsa_exception_fp_ieee_inexact 0
		.amdhsa_exception_int_div_zero 0
	.end_amdhsa_kernel
	.section	.text._ZN7rocprim17ROCPRIM_400000_NS6detail17trampoline_kernelINS0_14default_configENS1_35radix_sort_onesweep_config_selectorIiiEEZZNS1_29radix_sort_onesweep_iterationIS3_Lb0EN6thrust23THRUST_200600_302600_NS6detail15normal_iteratorINS8_10device_ptrIiEEEESD_SD_SD_jNS0_19identity_decomposerENS1_16block_id_wrapperIjLb1EEEEE10hipError_tT1_PNSt15iterator_traitsISI_E10value_typeET2_T3_PNSJ_ISO_E10value_typeET4_T5_PST_SU_PNS1_23onesweep_lookback_stateEbbT6_jjT7_P12ihipStream_tbENKUlT_T0_SI_SN_E_clIPiSD_S15_SD_EEDaS11_S12_SI_SN_EUlS11_E_NS1_11comp_targetILNS1_3genE4ELNS1_11target_archE910ELNS1_3gpuE8ELNS1_3repE0EEENS1_47radix_sort_onesweep_sort_config_static_selectorELNS0_4arch9wavefront6targetE1EEEvSI_,"axG",@progbits,_ZN7rocprim17ROCPRIM_400000_NS6detail17trampoline_kernelINS0_14default_configENS1_35radix_sort_onesweep_config_selectorIiiEEZZNS1_29radix_sort_onesweep_iterationIS3_Lb0EN6thrust23THRUST_200600_302600_NS6detail15normal_iteratorINS8_10device_ptrIiEEEESD_SD_SD_jNS0_19identity_decomposerENS1_16block_id_wrapperIjLb1EEEEE10hipError_tT1_PNSt15iterator_traitsISI_E10value_typeET2_T3_PNSJ_ISO_E10value_typeET4_T5_PST_SU_PNS1_23onesweep_lookback_stateEbbT6_jjT7_P12ihipStream_tbENKUlT_T0_SI_SN_E_clIPiSD_S15_SD_EEDaS11_S12_SI_SN_EUlS11_E_NS1_11comp_targetILNS1_3genE4ELNS1_11target_archE910ELNS1_3gpuE8ELNS1_3repE0EEENS1_47radix_sort_onesweep_sort_config_static_selectorELNS0_4arch9wavefront6targetE1EEEvSI_,comdat
.Lfunc_end844:
	.size	_ZN7rocprim17ROCPRIM_400000_NS6detail17trampoline_kernelINS0_14default_configENS1_35radix_sort_onesweep_config_selectorIiiEEZZNS1_29radix_sort_onesweep_iterationIS3_Lb0EN6thrust23THRUST_200600_302600_NS6detail15normal_iteratorINS8_10device_ptrIiEEEESD_SD_SD_jNS0_19identity_decomposerENS1_16block_id_wrapperIjLb1EEEEE10hipError_tT1_PNSt15iterator_traitsISI_E10value_typeET2_T3_PNSJ_ISO_E10value_typeET4_T5_PST_SU_PNS1_23onesweep_lookback_stateEbbT6_jjT7_P12ihipStream_tbENKUlT_T0_SI_SN_E_clIPiSD_S15_SD_EEDaS11_S12_SI_SN_EUlS11_E_NS1_11comp_targetILNS1_3genE4ELNS1_11target_archE910ELNS1_3gpuE8ELNS1_3repE0EEENS1_47radix_sort_onesweep_sort_config_static_selectorELNS0_4arch9wavefront6targetE1EEEvSI_, .Lfunc_end844-_ZN7rocprim17ROCPRIM_400000_NS6detail17trampoline_kernelINS0_14default_configENS1_35radix_sort_onesweep_config_selectorIiiEEZZNS1_29radix_sort_onesweep_iterationIS3_Lb0EN6thrust23THRUST_200600_302600_NS6detail15normal_iteratorINS8_10device_ptrIiEEEESD_SD_SD_jNS0_19identity_decomposerENS1_16block_id_wrapperIjLb1EEEEE10hipError_tT1_PNSt15iterator_traitsISI_E10value_typeET2_T3_PNSJ_ISO_E10value_typeET4_T5_PST_SU_PNS1_23onesweep_lookback_stateEbbT6_jjT7_P12ihipStream_tbENKUlT_T0_SI_SN_E_clIPiSD_S15_SD_EEDaS11_S12_SI_SN_EUlS11_E_NS1_11comp_targetILNS1_3genE4ELNS1_11target_archE910ELNS1_3gpuE8ELNS1_3repE0EEENS1_47radix_sort_onesweep_sort_config_static_selectorELNS0_4arch9wavefront6targetE1EEEvSI_
                                        ; -- End function
	.set _ZN7rocprim17ROCPRIM_400000_NS6detail17trampoline_kernelINS0_14default_configENS1_35radix_sort_onesweep_config_selectorIiiEEZZNS1_29radix_sort_onesweep_iterationIS3_Lb0EN6thrust23THRUST_200600_302600_NS6detail15normal_iteratorINS8_10device_ptrIiEEEESD_SD_SD_jNS0_19identity_decomposerENS1_16block_id_wrapperIjLb1EEEEE10hipError_tT1_PNSt15iterator_traitsISI_E10value_typeET2_T3_PNSJ_ISO_E10value_typeET4_T5_PST_SU_PNS1_23onesweep_lookback_stateEbbT6_jjT7_P12ihipStream_tbENKUlT_T0_SI_SN_E_clIPiSD_S15_SD_EEDaS11_S12_SI_SN_EUlS11_E_NS1_11comp_targetILNS1_3genE4ELNS1_11target_archE910ELNS1_3gpuE8ELNS1_3repE0EEENS1_47radix_sort_onesweep_sort_config_static_selectorELNS0_4arch9wavefront6targetE1EEEvSI_.num_vgpr, 0
	.set _ZN7rocprim17ROCPRIM_400000_NS6detail17trampoline_kernelINS0_14default_configENS1_35radix_sort_onesweep_config_selectorIiiEEZZNS1_29radix_sort_onesweep_iterationIS3_Lb0EN6thrust23THRUST_200600_302600_NS6detail15normal_iteratorINS8_10device_ptrIiEEEESD_SD_SD_jNS0_19identity_decomposerENS1_16block_id_wrapperIjLb1EEEEE10hipError_tT1_PNSt15iterator_traitsISI_E10value_typeET2_T3_PNSJ_ISO_E10value_typeET4_T5_PST_SU_PNS1_23onesweep_lookback_stateEbbT6_jjT7_P12ihipStream_tbENKUlT_T0_SI_SN_E_clIPiSD_S15_SD_EEDaS11_S12_SI_SN_EUlS11_E_NS1_11comp_targetILNS1_3genE4ELNS1_11target_archE910ELNS1_3gpuE8ELNS1_3repE0EEENS1_47radix_sort_onesweep_sort_config_static_selectorELNS0_4arch9wavefront6targetE1EEEvSI_.num_agpr, 0
	.set _ZN7rocprim17ROCPRIM_400000_NS6detail17trampoline_kernelINS0_14default_configENS1_35radix_sort_onesweep_config_selectorIiiEEZZNS1_29radix_sort_onesweep_iterationIS3_Lb0EN6thrust23THRUST_200600_302600_NS6detail15normal_iteratorINS8_10device_ptrIiEEEESD_SD_SD_jNS0_19identity_decomposerENS1_16block_id_wrapperIjLb1EEEEE10hipError_tT1_PNSt15iterator_traitsISI_E10value_typeET2_T3_PNSJ_ISO_E10value_typeET4_T5_PST_SU_PNS1_23onesweep_lookback_stateEbbT6_jjT7_P12ihipStream_tbENKUlT_T0_SI_SN_E_clIPiSD_S15_SD_EEDaS11_S12_SI_SN_EUlS11_E_NS1_11comp_targetILNS1_3genE4ELNS1_11target_archE910ELNS1_3gpuE8ELNS1_3repE0EEENS1_47radix_sort_onesweep_sort_config_static_selectorELNS0_4arch9wavefront6targetE1EEEvSI_.numbered_sgpr, 0
	.set _ZN7rocprim17ROCPRIM_400000_NS6detail17trampoline_kernelINS0_14default_configENS1_35radix_sort_onesweep_config_selectorIiiEEZZNS1_29radix_sort_onesweep_iterationIS3_Lb0EN6thrust23THRUST_200600_302600_NS6detail15normal_iteratorINS8_10device_ptrIiEEEESD_SD_SD_jNS0_19identity_decomposerENS1_16block_id_wrapperIjLb1EEEEE10hipError_tT1_PNSt15iterator_traitsISI_E10value_typeET2_T3_PNSJ_ISO_E10value_typeET4_T5_PST_SU_PNS1_23onesweep_lookback_stateEbbT6_jjT7_P12ihipStream_tbENKUlT_T0_SI_SN_E_clIPiSD_S15_SD_EEDaS11_S12_SI_SN_EUlS11_E_NS1_11comp_targetILNS1_3genE4ELNS1_11target_archE910ELNS1_3gpuE8ELNS1_3repE0EEENS1_47radix_sort_onesweep_sort_config_static_selectorELNS0_4arch9wavefront6targetE1EEEvSI_.num_named_barrier, 0
	.set _ZN7rocprim17ROCPRIM_400000_NS6detail17trampoline_kernelINS0_14default_configENS1_35radix_sort_onesweep_config_selectorIiiEEZZNS1_29radix_sort_onesweep_iterationIS3_Lb0EN6thrust23THRUST_200600_302600_NS6detail15normal_iteratorINS8_10device_ptrIiEEEESD_SD_SD_jNS0_19identity_decomposerENS1_16block_id_wrapperIjLb1EEEEE10hipError_tT1_PNSt15iterator_traitsISI_E10value_typeET2_T3_PNSJ_ISO_E10value_typeET4_T5_PST_SU_PNS1_23onesweep_lookback_stateEbbT6_jjT7_P12ihipStream_tbENKUlT_T0_SI_SN_E_clIPiSD_S15_SD_EEDaS11_S12_SI_SN_EUlS11_E_NS1_11comp_targetILNS1_3genE4ELNS1_11target_archE910ELNS1_3gpuE8ELNS1_3repE0EEENS1_47radix_sort_onesweep_sort_config_static_selectorELNS0_4arch9wavefront6targetE1EEEvSI_.private_seg_size, 0
	.set _ZN7rocprim17ROCPRIM_400000_NS6detail17trampoline_kernelINS0_14default_configENS1_35radix_sort_onesweep_config_selectorIiiEEZZNS1_29radix_sort_onesweep_iterationIS3_Lb0EN6thrust23THRUST_200600_302600_NS6detail15normal_iteratorINS8_10device_ptrIiEEEESD_SD_SD_jNS0_19identity_decomposerENS1_16block_id_wrapperIjLb1EEEEE10hipError_tT1_PNSt15iterator_traitsISI_E10value_typeET2_T3_PNSJ_ISO_E10value_typeET4_T5_PST_SU_PNS1_23onesweep_lookback_stateEbbT6_jjT7_P12ihipStream_tbENKUlT_T0_SI_SN_E_clIPiSD_S15_SD_EEDaS11_S12_SI_SN_EUlS11_E_NS1_11comp_targetILNS1_3genE4ELNS1_11target_archE910ELNS1_3gpuE8ELNS1_3repE0EEENS1_47radix_sort_onesweep_sort_config_static_selectorELNS0_4arch9wavefront6targetE1EEEvSI_.uses_vcc, 0
	.set _ZN7rocprim17ROCPRIM_400000_NS6detail17trampoline_kernelINS0_14default_configENS1_35radix_sort_onesweep_config_selectorIiiEEZZNS1_29radix_sort_onesweep_iterationIS3_Lb0EN6thrust23THRUST_200600_302600_NS6detail15normal_iteratorINS8_10device_ptrIiEEEESD_SD_SD_jNS0_19identity_decomposerENS1_16block_id_wrapperIjLb1EEEEE10hipError_tT1_PNSt15iterator_traitsISI_E10value_typeET2_T3_PNSJ_ISO_E10value_typeET4_T5_PST_SU_PNS1_23onesweep_lookback_stateEbbT6_jjT7_P12ihipStream_tbENKUlT_T0_SI_SN_E_clIPiSD_S15_SD_EEDaS11_S12_SI_SN_EUlS11_E_NS1_11comp_targetILNS1_3genE4ELNS1_11target_archE910ELNS1_3gpuE8ELNS1_3repE0EEENS1_47radix_sort_onesweep_sort_config_static_selectorELNS0_4arch9wavefront6targetE1EEEvSI_.uses_flat_scratch, 0
	.set _ZN7rocprim17ROCPRIM_400000_NS6detail17trampoline_kernelINS0_14default_configENS1_35radix_sort_onesweep_config_selectorIiiEEZZNS1_29radix_sort_onesweep_iterationIS3_Lb0EN6thrust23THRUST_200600_302600_NS6detail15normal_iteratorINS8_10device_ptrIiEEEESD_SD_SD_jNS0_19identity_decomposerENS1_16block_id_wrapperIjLb1EEEEE10hipError_tT1_PNSt15iterator_traitsISI_E10value_typeET2_T3_PNSJ_ISO_E10value_typeET4_T5_PST_SU_PNS1_23onesweep_lookback_stateEbbT6_jjT7_P12ihipStream_tbENKUlT_T0_SI_SN_E_clIPiSD_S15_SD_EEDaS11_S12_SI_SN_EUlS11_E_NS1_11comp_targetILNS1_3genE4ELNS1_11target_archE910ELNS1_3gpuE8ELNS1_3repE0EEENS1_47radix_sort_onesweep_sort_config_static_selectorELNS0_4arch9wavefront6targetE1EEEvSI_.has_dyn_sized_stack, 0
	.set _ZN7rocprim17ROCPRIM_400000_NS6detail17trampoline_kernelINS0_14default_configENS1_35radix_sort_onesweep_config_selectorIiiEEZZNS1_29radix_sort_onesweep_iterationIS3_Lb0EN6thrust23THRUST_200600_302600_NS6detail15normal_iteratorINS8_10device_ptrIiEEEESD_SD_SD_jNS0_19identity_decomposerENS1_16block_id_wrapperIjLb1EEEEE10hipError_tT1_PNSt15iterator_traitsISI_E10value_typeET2_T3_PNSJ_ISO_E10value_typeET4_T5_PST_SU_PNS1_23onesweep_lookback_stateEbbT6_jjT7_P12ihipStream_tbENKUlT_T0_SI_SN_E_clIPiSD_S15_SD_EEDaS11_S12_SI_SN_EUlS11_E_NS1_11comp_targetILNS1_3genE4ELNS1_11target_archE910ELNS1_3gpuE8ELNS1_3repE0EEENS1_47radix_sort_onesweep_sort_config_static_selectorELNS0_4arch9wavefront6targetE1EEEvSI_.has_recursion, 0
	.set _ZN7rocprim17ROCPRIM_400000_NS6detail17trampoline_kernelINS0_14default_configENS1_35radix_sort_onesweep_config_selectorIiiEEZZNS1_29radix_sort_onesweep_iterationIS3_Lb0EN6thrust23THRUST_200600_302600_NS6detail15normal_iteratorINS8_10device_ptrIiEEEESD_SD_SD_jNS0_19identity_decomposerENS1_16block_id_wrapperIjLb1EEEEE10hipError_tT1_PNSt15iterator_traitsISI_E10value_typeET2_T3_PNSJ_ISO_E10value_typeET4_T5_PST_SU_PNS1_23onesweep_lookback_stateEbbT6_jjT7_P12ihipStream_tbENKUlT_T0_SI_SN_E_clIPiSD_S15_SD_EEDaS11_S12_SI_SN_EUlS11_E_NS1_11comp_targetILNS1_3genE4ELNS1_11target_archE910ELNS1_3gpuE8ELNS1_3repE0EEENS1_47radix_sort_onesweep_sort_config_static_selectorELNS0_4arch9wavefront6targetE1EEEvSI_.has_indirect_call, 0
	.section	.AMDGPU.csdata,"",@progbits
; Kernel info:
; codeLenInByte = 0
; TotalNumSgprs: 6
; NumVgprs: 0
; NumAgprs: 0
; TotalNumVgprs: 0
; ScratchSize: 0
; MemoryBound: 0
; FloatMode: 240
; IeeeMode: 1
; LDSByteSize: 0 bytes/workgroup (compile time only)
; SGPRBlocks: 0
; VGPRBlocks: 0
; NumSGPRsForWavesPerEU: 6
; NumVGPRsForWavesPerEU: 1
; AccumOffset: 4
; Occupancy: 8
; WaveLimiterHint : 0
; COMPUTE_PGM_RSRC2:SCRATCH_EN: 0
; COMPUTE_PGM_RSRC2:USER_SGPR: 2
; COMPUTE_PGM_RSRC2:TRAP_HANDLER: 0
; COMPUTE_PGM_RSRC2:TGID_X_EN: 1
; COMPUTE_PGM_RSRC2:TGID_Y_EN: 0
; COMPUTE_PGM_RSRC2:TGID_Z_EN: 0
; COMPUTE_PGM_RSRC2:TIDIG_COMP_CNT: 0
; COMPUTE_PGM_RSRC3_GFX90A:ACCUM_OFFSET: 0
; COMPUTE_PGM_RSRC3_GFX90A:TG_SPLIT: 0
	.section	.text._ZN7rocprim17ROCPRIM_400000_NS6detail17trampoline_kernelINS0_14default_configENS1_35radix_sort_onesweep_config_selectorIiiEEZZNS1_29radix_sort_onesweep_iterationIS3_Lb0EN6thrust23THRUST_200600_302600_NS6detail15normal_iteratorINS8_10device_ptrIiEEEESD_SD_SD_jNS0_19identity_decomposerENS1_16block_id_wrapperIjLb1EEEEE10hipError_tT1_PNSt15iterator_traitsISI_E10value_typeET2_T3_PNSJ_ISO_E10value_typeET4_T5_PST_SU_PNS1_23onesweep_lookback_stateEbbT6_jjT7_P12ihipStream_tbENKUlT_T0_SI_SN_E_clIPiSD_S15_SD_EEDaS11_S12_SI_SN_EUlS11_E_NS1_11comp_targetILNS1_3genE3ELNS1_11target_archE908ELNS1_3gpuE7ELNS1_3repE0EEENS1_47radix_sort_onesweep_sort_config_static_selectorELNS0_4arch9wavefront6targetE1EEEvSI_,"axG",@progbits,_ZN7rocprim17ROCPRIM_400000_NS6detail17trampoline_kernelINS0_14default_configENS1_35radix_sort_onesweep_config_selectorIiiEEZZNS1_29radix_sort_onesweep_iterationIS3_Lb0EN6thrust23THRUST_200600_302600_NS6detail15normal_iteratorINS8_10device_ptrIiEEEESD_SD_SD_jNS0_19identity_decomposerENS1_16block_id_wrapperIjLb1EEEEE10hipError_tT1_PNSt15iterator_traitsISI_E10value_typeET2_T3_PNSJ_ISO_E10value_typeET4_T5_PST_SU_PNS1_23onesweep_lookback_stateEbbT6_jjT7_P12ihipStream_tbENKUlT_T0_SI_SN_E_clIPiSD_S15_SD_EEDaS11_S12_SI_SN_EUlS11_E_NS1_11comp_targetILNS1_3genE3ELNS1_11target_archE908ELNS1_3gpuE7ELNS1_3repE0EEENS1_47radix_sort_onesweep_sort_config_static_selectorELNS0_4arch9wavefront6targetE1EEEvSI_,comdat
	.protected	_ZN7rocprim17ROCPRIM_400000_NS6detail17trampoline_kernelINS0_14default_configENS1_35radix_sort_onesweep_config_selectorIiiEEZZNS1_29radix_sort_onesweep_iterationIS3_Lb0EN6thrust23THRUST_200600_302600_NS6detail15normal_iteratorINS8_10device_ptrIiEEEESD_SD_SD_jNS0_19identity_decomposerENS1_16block_id_wrapperIjLb1EEEEE10hipError_tT1_PNSt15iterator_traitsISI_E10value_typeET2_T3_PNSJ_ISO_E10value_typeET4_T5_PST_SU_PNS1_23onesweep_lookback_stateEbbT6_jjT7_P12ihipStream_tbENKUlT_T0_SI_SN_E_clIPiSD_S15_SD_EEDaS11_S12_SI_SN_EUlS11_E_NS1_11comp_targetILNS1_3genE3ELNS1_11target_archE908ELNS1_3gpuE7ELNS1_3repE0EEENS1_47radix_sort_onesweep_sort_config_static_selectorELNS0_4arch9wavefront6targetE1EEEvSI_ ; -- Begin function _ZN7rocprim17ROCPRIM_400000_NS6detail17trampoline_kernelINS0_14default_configENS1_35radix_sort_onesweep_config_selectorIiiEEZZNS1_29radix_sort_onesweep_iterationIS3_Lb0EN6thrust23THRUST_200600_302600_NS6detail15normal_iteratorINS8_10device_ptrIiEEEESD_SD_SD_jNS0_19identity_decomposerENS1_16block_id_wrapperIjLb1EEEEE10hipError_tT1_PNSt15iterator_traitsISI_E10value_typeET2_T3_PNSJ_ISO_E10value_typeET4_T5_PST_SU_PNS1_23onesweep_lookback_stateEbbT6_jjT7_P12ihipStream_tbENKUlT_T0_SI_SN_E_clIPiSD_S15_SD_EEDaS11_S12_SI_SN_EUlS11_E_NS1_11comp_targetILNS1_3genE3ELNS1_11target_archE908ELNS1_3gpuE7ELNS1_3repE0EEENS1_47radix_sort_onesweep_sort_config_static_selectorELNS0_4arch9wavefront6targetE1EEEvSI_
	.globl	_ZN7rocprim17ROCPRIM_400000_NS6detail17trampoline_kernelINS0_14default_configENS1_35radix_sort_onesweep_config_selectorIiiEEZZNS1_29radix_sort_onesweep_iterationIS3_Lb0EN6thrust23THRUST_200600_302600_NS6detail15normal_iteratorINS8_10device_ptrIiEEEESD_SD_SD_jNS0_19identity_decomposerENS1_16block_id_wrapperIjLb1EEEEE10hipError_tT1_PNSt15iterator_traitsISI_E10value_typeET2_T3_PNSJ_ISO_E10value_typeET4_T5_PST_SU_PNS1_23onesweep_lookback_stateEbbT6_jjT7_P12ihipStream_tbENKUlT_T0_SI_SN_E_clIPiSD_S15_SD_EEDaS11_S12_SI_SN_EUlS11_E_NS1_11comp_targetILNS1_3genE3ELNS1_11target_archE908ELNS1_3gpuE7ELNS1_3repE0EEENS1_47radix_sort_onesweep_sort_config_static_selectorELNS0_4arch9wavefront6targetE1EEEvSI_
	.p2align	8
	.type	_ZN7rocprim17ROCPRIM_400000_NS6detail17trampoline_kernelINS0_14default_configENS1_35radix_sort_onesweep_config_selectorIiiEEZZNS1_29radix_sort_onesweep_iterationIS3_Lb0EN6thrust23THRUST_200600_302600_NS6detail15normal_iteratorINS8_10device_ptrIiEEEESD_SD_SD_jNS0_19identity_decomposerENS1_16block_id_wrapperIjLb1EEEEE10hipError_tT1_PNSt15iterator_traitsISI_E10value_typeET2_T3_PNSJ_ISO_E10value_typeET4_T5_PST_SU_PNS1_23onesweep_lookback_stateEbbT6_jjT7_P12ihipStream_tbENKUlT_T0_SI_SN_E_clIPiSD_S15_SD_EEDaS11_S12_SI_SN_EUlS11_E_NS1_11comp_targetILNS1_3genE3ELNS1_11target_archE908ELNS1_3gpuE7ELNS1_3repE0EEENS1_47radix_sort_onesweep_sort_config_static_selectorELNS0_4arch9wavefront6targetE1EEEvSI_,@function
_ZN7rocprim17ROCPRIM_400000_NS6detail17trampoline_kernelINS0_14default_configENS1_35radix_sort_onesweep_config_selectorIiiEEZZNS1_29radix_sort_onesweep_iterationIS3_Lb0EN6thrust23THRUST_200600_302600_NS6detail15normal_iteratorINS8_10device_ptrIiEEEESD_SD_SD_jNS0_19identity_decomposerENS1_16block_id_wrapperIjLb1EEEEE10hipError_tT1_PNSt15iterator_traitsISI_E10value_typeET2_T3_PNSJ_ISO_E10value_typeET4_T5_PST_SU_PNS1_23onesweep_lookback_stateEbbT6_jjT7_P12ihipStream_tbENKUlT_T0_SI_SN_E_clIPiSD_S15_SD_EEDaS11_S12_SI_SN_EUlS11_E_NS1_11comp_targetILNS1_3genE3ELNS1_11target_archE908ELNS1_3gpuE7ELNS1_3repE0EEENS1_47radix_sort_onesweep_sort_config_static_selectorELNS0_4arch9wavefront6targetE1EEEvSI_: ; @_ZN7rocprim17ROCPRIM_400000_NS6detail17trampoline_kernelINS0_14default_configENS1_35radix_sort_onesweep_config_selectorIiiEEZZNS1_29radix_sort_onesweep_iterationIS3_Lb0EN6thrust23THRUST_200600_302600_NS6detail15normal_iteratorINS8_10device_ptrIiEEEESD_SD_SD_jNS0_19identity_decomposerENS1_16block_id_wrapperIjLb1EEEEE10hipError_tT1_PNSt15iterator_traitsISI_E10value_typeET2_T3_PNSJ_ISO_E10value_typeET4_T5_PST_SU_PNS1_23onesweep_lookback_stateEbbT6_jjT7_P12ihipStream_tbENKUlT_T0_SI_SN_E_clIPiSD_S15_SD_EEDaS11_S12_SI_SN_EUlS11_E_NS1_11comp_targetILNS1_3genE3ELNS1_11target_archE908ELNS1_3gpuE7ELNS1_3repE0EEENS1_47radix_sort_onesweep_sort_config_static_selectorELNS0_4arch9wavefront6targetE1EEEvSI_
; %bb.0:
	.section	.rodata,"a",@progbits
	.p2align	6, 0x0
	.amdhsa_kernel _ZN7rocprim17ROCPRIM_400000_NS6detail17trampoline_kernelINS0_14default_configENS1_35radix_sort_onesweep_config_selectorIiiEEZZNS1_29radix_sort_onesweep_iterationIS3_Lb0EN6thrust23THRUST_200600_302600_NS6detail15normal_iteratorINS8_10device_ptrIiEEEESD_SD_SD_jNS0_19identity_decomposerENS1_16block_id_wrapperIjLb1EEEEE10hipError_tT1_PNSt15iterator_traitsISI_E10value_typeET2_T3_PNSJ_ISO_E10value_typeET4_T5_PST_SU_PNS1_23onesweep_lookback_stateEbbT6_jjT7_P12ihipStream_tbENKUlT_T0_SI_SN_E_clIPiSD_S15_SD_EEDaS11_S12_SI_SN_EUlS11_E_NS1_11comp_targetILNS1_3genE3ELNS1_11target_archE908ELNS1_3gpuE7ELNS1_3repE0EEENS1_47radix_sort_onesweep_sort_config_static_selectorELNS0_4arch9wavefront6targetE1EEEvSI_
		.amdhsa_group_segment_fixed_size 0
		.amdhsa_private_segment_fixed_size 0
		.amdhsa_kernarg_size 88
		.amdhsa_user_sgpr_count 2
		.amdhsa_user_sgpr_dispatch_ptr 0
		.amdhsa_user_sgpr_queue_ptr 0
		.amdhsa_user_sgpr_kernarg_segment_ptr 1
		.amdhsa_user_sgpr_dispatch_id 0
		.amdhsa_user_sgpr_kernarg_preload_length 0
		.amdhsa_user_sgpr_kernarg_preload_offset 0
		.amdhsa_user_sgpr_private_segment_size 0
		.amdhsa_uses_dynamic_stack 0
		.amdhsa_enable_private_segment 0
		.amdhsa_system_sgpr_workgroup_id_x 1
		.amdhsa_system_sgpr_workgroup_id_y 0
		.amdhsa_system_sgpr_workgroup_id_z 0
		.amdhsa_system_sgpr_workgroup_info 0
		.amdhsa_system_vgpr_workitem_id 0
		.amdhsa_next_free_vgpr 1
		.amdhsa_next_free_sgpr 0
		.amdhsa_accum_offset 4
		.amdhsa_reserve_vcc 0
		.amdhsa_float_round_mode_32 0
		.amdhsa_float_round_mode_16_64 0
		.amdhsa_float_denorm_mode_32 3
		.amdhsa_float_denorm_mode_16_64 3
		.amdhsa_dx10_clamp 1
		.amdhsa_ieee_mode 1
		.amdhsa_fp16_overflow 0
		.amdhsa_tg_split 0
		.amdhsa_exception_fp_ieee_invalid_op 0
		.amdhsa_exception_fp_denorm_src 0
		.amdhsa_exception_fp_ieee_div_zero 0
		.amdhsa_exception_fp_ieee_overflow 0
		.amdhsa_exception_fp_ieee_underflow 0
		.amdhsa_exception_fp_ieee_inexact 0
		.amdhsa_exception_int_div_zero 0
	.end_amdhsa_kernel
	.section	.text._ZN7rocprim17ROCPRIM_400000_NS6detail17trampoline_kernelINS0_14default_configENS1_35radix_sort_onesweep_config_selectorIiiEEZZNS1_29radix_sort_onesweep_iterationIS3_Lb0EN6thrust23THRUST_200600_302600_NS6detail15normal_iteratorINS8_10device_ptrIiEEEESD_SD_SD_jNS0_19identity_decomposerENS1_16block_id_wrapperIjLb1EEEEE10hipError_tT1_PNSt15iterator_traitsISI_E10value_typeET2_T3_PNSJ_ISO_E10value_typeET4_T5_PST_SU_PNS1_23onesweep_lookback_stateEbbT6_jjT7_P12ihipStream_tbENKUlT_T0_SI_SN_E_clIPiSD_S15_SD_EEDaS11_S12_SI_SN_EUlS11_E_NS1_11comp_targetILNS1_3genE3ELNS1_11target_archE908ELNS1_3gpuE7ELNS1_3repE0EEENS1_47radix_sort_onesweep_sort_config_static_selectorELNS0_4arch9wavefront6targetE1EEEvSI_,"axG",@progbits,_ZN7rocprim17ROCPRIM_400000_NS6detail17trampoline_kernelINS0_14default_configENS1_35radix_sort_onesweep_config_selectorIiiEEZZNS1_29radix_sort_onesweep_iterationIS3_Lb0EN6thrust23THRUST_200600_302600_NS6detail15normal_iteratorINS8_10device_ptrIiEEEESD_SD_SD_jNS0_19identity_decomposerENS1_16block_id_wrapperIjLb1EEEEE10hipError_tT1_PNSt15iterator_traitsISI_E10value_typeET2_T3_PNSJ_ISO_E10value_typeET4_T5_PST_SU_PNS1_23onesweep_lookback_stateEbbT6_jjT7_P12ihipStream_tbENKUlT_T0_SI_SN_E_clIPiSD_S15_SD_EEDaS11_S12_SI_SN_EUlS11_E_NS1_11comp_targetILNS1_3genE3ELNS1_11target_archE908ELNS1_3gpuE7ELNS1_3repE0EEENS1_47radix_sort_onesweep_sort_config_static_selectorELNS0_4arch9wavefront6targetE1EEEvSI_,comdat
.Lfunc_end845:
	.size	_ZN7rocprim17ROCPRIM_400000_NS6detail17trampoline_kernelINS0_14default_configENS1_35radix_sort_onesweep_config_selectorIiiEEZZNS1_29radix_sort_onesweep_iterationIS3_Lb0EN6thrust23THRUST_200600_302600_NS6detail15normal_iteratorINS8_10device_ptrIiEEEESD_SD_SD_jNS0_19identity_decomposerENS1_16block_id_wrapperIjLb1EEEEE10hipError_tT1_PNSt15iterator_traitsISI_E10value_typeET2_T3_PNSJ_ISO_E10value_typeET4_T5_PST_SU_PNS1_23onesweep_lookback_stateEbbT6_jjT7_P12ihipStream_tbENKUlT_T0_SI_SN_E_clIPiSD_S15_SD_EEDaS11_S12_SI_SN_EUlS11_E_NS1_11comp_targetILNS1_3genE3ELNS1_11target_archE908ELNS1_3gpuE7ELNS1_3repE0EEENS1_47radix_sort_onesweep_sort_config_static_selectorELNS0_4arch9wavefront6targetE1EEEvSI_, .Lfunc_end845-_ZN7rocprim17ROCPRIM_400000_NS6detail17trampoline_kernelINS0_14default_configENS1_35radix_sort_onesweep_config_selectorIiiEEZZNS1_29radix_sort_onesweep_iterationIS3_Lb0EN6thrust23THRUST_200600_302600_NS6detail15normal_iteratorINS8_10device_ptrIiEEEESD_SD_SD_jNS0_19identity_decomposerENS1_16block_id_wrapperIjLb1EEEEE10hipError_tT1_PNSt15iterator_traitsISI_E10value_typeET2_T3_PNSJ_ISO_E10value_typeET4_T5_PST_SU_PNS1_23onesweep_lookback_stateEbbT6_jjT7_P12ihipStream_tbENKUlT_T0_SI_SN_E_clIPiSD_S15_SD_EEDaS11_S12_SI_SN_EUlS11_E_NS1_11comp_targetILNS1_3genE3ELNS1_11target_archE908ELNS1_3gpuE7ELNS1_3repE0EEENS1_47radix_sort_onesweep_sort_config_static_selectorELNS0_4arch9wavefront6targetE1EEEvSI_
                                        ; -- End function
	.set _ZN7rocprim17ROCPRIM_400000_NS6detail17trampoline_kernelINS0_14default_configENS1_35radix_sort_onesweep_config_selectorIiiEEZZNS1_29radix_sort_onesweep_iterationIS3_Lb0EN6thrust23THRUST_200600_302600_NS6detail15normal_iteratorINS8_10device_ptrIiEEEESD_SD_SD_jNS0_19identity_decomposerENS1_16block_id_wrapperIjLb1EEEEE10hipError_tT1_PNSt15iterator_traitsISI_E10value_typeET2_T3_PNSJ_ISO_E10value_typeET4_T5_PST_SU_PNS1_23onesweep_lookback_stateEbbT6_jjT7_P12ihipStream_tbENKUlT_T0_SI_SN_E_clIPiSD_S15_SD_EEDaS11_S12_SI_SN_EUlS11_E_NS1_11comp_targetILNS1_3genE3ELNS1_11target_archE908ELNS1_3gpuE7ELNS1_3repE0EEENS1_47radix_sort_onesweep_sort_config_static_selectorELNS0_4arch9wavefront6targetE1EEEvSI_.num_vgpr, 0
	.set _ZN7rocprim17ROCPRIM_400000_NS6detail17trampoline_kernelINS0_14default_configENS1_35radix_sort_onesweep_config_selectorIiiEEZZNS1_29radix_sort_onesweep_iterationIS3_Lb0EN6thrust23THRUST_200600_302600_NS6detail15normal_iteratorINS8_10device_ptrIiEEEESD_SD_SD_jNS0_19identity_decomposerENS1_16block_id_wrapperIjLb1EEEEE10hipError_tT1_PNSt15iterator_traitsISI_E10value_typeET2_T3_PNSJ_ISO_E10value_typeET4_T5_PST_SU_PNS1_23onesweep_lookback_stateEbbT6_jjT7_P12ihipStream_tbENKUlT_T0_SI_SN_E_clIPiSD_S15_SD_EEDaS11_S12_SI_SN_EUlS11_E_NS1_11comp_targetILNS1_3genE3ELNS1_11target_archE908ELNS1_3gpuE7ELNS1_3repE0EEENS1_47radix_sort_onesweep_sort_config_static_selectorELNS0_4arch9wavefront6targetE1EEEvSI_.num_agpr, 0
	.set _ZN7rocprim17ROCPRIM_400000_NS6detail17trampoline_kernelINS0_14default_configENS1_35radix_sort_onesweep_config_selectorIiiEEZZNS1_29radix_sort_onesweep_iterationIS3_Lb0EN6thrust23THRUST_200600_302600_NS6detail15normal_iteratorINS8_10device_ptrIiEEEESD_SD_SD_jNS0_19identity_decomposerENS1_16block_id_wrapperIjLb1EEEEE10hipError_tT1_PNSt15iterator_traitsISI_E10value_typeET2_T3_PNSJ_ISO_E10value_typeET4_T5_PST_SU_PNS1_23onesweep_lookback_stateEbbT6_jjT7_P12ihipStream_tbENKUlT_T0_SI_SN_E_clIPiSD_S15_SD_EEDaS11_S12_SI_SN_EUlS11_E_NS1_11comp_targetILNS1_3genE3ELNS1_11target_archE908ELNS1_3gpuE7ELNS1_3repE0EEENS1_47radix_sort_onesweep_sort_config_static_selectorELNS0_4arch9wavefront6targetE1EEEvSI_.numbered_sgpr, 0
	.set _ZN7rocprim17ROCPRIM_400000_NS6detail17trampoline_kernelINS0_14default_configENS1_35radix_sort_onesweep_config_selectorIiiEEZZNS1_29radix_sort_onesweep_iterationIS3_Lb0EN6thrust23THRUST_200600_302600_NS6detail15normal_iteratorINS8_10device_ptrIiEEEESD_SD_SD_jNS0_19identity_decomposerENS1_16block_id_wrapperIjLb1EEEEE10hipError_tT1_PNSt15iterator_traitsISI_E10value_typeET2_T3_PNSJ_ISO_E10value_typeET4_T5_PST_SU_PNS1_23onesweep_lookback_stateEbbT6_jjT7_P12ihipStream_tbENKUlT_T0_SI_SN_E_clIPiSD_S15_SD_EEDaS11_S12_SI_SN_EUlS11_E_NS1_11comp_targetILNS1_3genE3ELNS1_11target_archE908ELNS1_3gpuE7ELNS1_3repE0EEENS1_47radix_sort_onesweep_sort_config_static_selectorELNS0_4arch9wavefront6targetE1EEEvSI_.num_named_barrier, 0
	.set _ZN7rocprim17ROCPRIM_400000_NS6detail17trampoline_kernelINS0_14default_configENS1_35radix_sort_onesweep_config_selectorIiiEEZZNS1_29radix_sort_onesweep_iterationIS3_Lb0EN6thrust23THRUST_200600_302600_NS6detail15normal_iteratorINS8_10device_ptrIiEEEESD_SD_SD_jNS0_19identity_decomposerENS1_16block_id_wrapperIjLb1EEEEE10hipError_tT1_PNSt15iterator_traitsISI_E10value_typeET2_T3_PNSJ_ISO_E10value_typeET4_T5_PST_SU_PNS1_23onesweep_lookback_stateEbbT6_jjT7_P12ihipStream_tbENKUlT_T0_SI_SN_E_clIPiSD_S15_SD_EEDaS11_S12_SI_SN_EUlS11_E_NS1_11comp_targetILNS1_3genE3ELNS1_11target_archE908ELNS1_3gpuE7ELNS1_3repE0EEENS1_47radix_sort_onesweep_sort_config_static_selectorELNS0_4arch9wavefront6targetE1EEEvSI_.private_seg_size, 0
	.set _ZN7rocprim17ROCPRIM_400000_NS6detail17trampoline_kernelINS0_14default_configENS1_35radix_sort_onesweep_config_selectorIiiEEZZNS1_29radix_sort_onesweep_iterationIS3_Lb0EN6thrust23THRUST_200600_302600_NS6detail15normal_iteratorINS8_10device_ptrIiEEEESD_SD_SD_jNS0_19identity_decomposerENS1_16block_id_wrapperIjLb1EEEEE10hipError_tT1_PNSt15iterator_traitsISI_E10value_typeET2_T3_PNSJ_ISO_E10value_typeET4_T5_PST_SU_PNS1_23onesweep_lookback_stateEbbT6_jjT7_P12ihipStream_tbENKUlT_T0_SI_SN_E_clIPiSD_S15_SD_EEDaS11_S12_SI_SN_EUlS11_E_NS1_11comp_targetILNS1_3genE3ELNS1_11target_archE908ELNS1_3gpuE7ELNS1_3repE0EEENS1_47radix_sort_onesweep_sort_config_static_selectorELNS0_4arch9wavefront6targetE1EEEvSI_.uses_vcc, 0
	.set _ZN7rocprim17ROCPRIM_400000_NS6detail17trampoline_kernelINS0_14default_configENS1_35radix_sort_onesweep_config_selectorIiiEEZZNS1_29radix_sort_onesweep_iterationIS3_Lb0EN6thrust23THRUST_200600_302600_NS6detail15normal_iteratorINS8_10device_ptrIiEEEESD_SD_SD_jNS0_19identity_decomposerENS1_16block_id_wrapperIjLb1EEEEE10hipError_tT1_PNSt15iterator_traitsISI_E10value_typeET2_T3_PNSJ_ISO_E10value_typeET4_T5_PST_SU_PNS1_23onesweep_lookback_stateEbbT6_jjT7_P12ihipStream_tbENKUlT_T0_SI_SN_E_clIPiSD_S15_SD_EEDaS11_S12_SI_SN_EUlS11_E_NS1_11comp_targetILNS1_3genE3ELNS1_11target_archE908ELNS1_3gpuE7ELNS1_3repE0EEENS1_47radix_sort_onesweep_sort_config_static_selectorELNS0_4arch9wavefront6targetE1EEEvSI_.uses_flat_scratch, 0
	.set _ZN7rocprim17ROCPRIM_400000_NS6detail17trampoline_kernelINS0_14default_configENS1_35radix_sort_onesweep_config_selectorIiiEEZZNS1_29radix_sort_onesweep_iterationIS3_Lb0EN6thrust23THRUST_200600_302600_NS6detail15normal_iteratorINS8_10device_ptrIiEEEESD_SD_SD_jNS0_19identity_decomposerENS1_16block_id_wrapperIjLb1EEEEE10hipError_tT1_PNSt15iterator_traitsISI_E10value_typeET2_T3_PNSJ_ISO_E10value_typeET4_T5_PST_SU_PNS1_23onesweep_lookback_stateEbbT6_jjT7_P12ihipStream_tbENKUlT_T0_SI_SN_E_clIPiSD_S15_SD_EEDaS11_S12_SI_SN_EUlS11_E_NS1_11comp_targetILNS1_3genE3ELNS1_11target_archE908ELNS1_3gpuE7ELNS1_3repE0EEENS1_47radix_sort_onesweep_sort_config_static_selectorELNS0_4arch9wavefront6targetE1EEEvSI_.has_dyn_sized_stack, 0
	.set _ZN7rocprim17ROCPRIM_400000_NS6detail17trampoline_kernelINS0_14default_configENS1_35radix_sort_onesweep_config_selectorIiiEEZZNS1_29radix_sort_onesweep_iterationIS3_Lb0EN6thrust23THRUST_200600_302600_NS6detail15normal_iteratorINS8_10device_ptrIiEEEESD_SD_SD_jNS0_19identity_decomposerENS1_16block_id_wrapperIjLb1EEEEE10hipError_tT1_PNSt15iterator_traitsISI_E10value_typeET2_T3_PNSJ_ISO_E10value_typeET4_T5_PST_SU_PNS1_23onesweep_lookback_stateEbbT6_jjT7_P12ihipStream_tbENKUlT_T0_SI_SN_E_clIPiSD_S15_SD_EEDaS11_S12_SI_SN_EUlS11_E_NS1_11comp_targetILNS1_3genE3ELNS1_11target_archE908ELNS1_3gpuE7ELNS1_3repE0EEENS1_47radix_sort_onesweep_sort_config_static_selectorELNS0_4arch9wavefront6targetE1EEEvSI_.has_recursion, 0
	.set _ZN7rocprim17ROCPRIM_400000_NS6detail17trampoline_kernelINS0_14default_configENS1_35radix_sort_onesweep_config_selectorIiiEEZZNS1_29radix_sort_onesweep_iterationIS3_Lb0EN6thrust23THRUST_200600_302600_NS6detail15normal_iteratorINS8_10device_ptrIiEEEESD_SD_SD_jNS0_19identity_decomposerENS1_16block_id_wrapperIjLb1EEEEE10hipError_tT1_PNSt15iterator_traitsISI_E10value_typeET2_T3_PNSJ_ISO_E10value_typeET4_T5_PST_SU_PNS1_23onesweep_lookback_stateEbbT6_jjT7_P12ihipStream_tbENKUlT_T0_SI_SN_E_clIPiSD_S15_SD_EEDaS11_S12_SI_SN_EUlS11_E_NS1_11comp_targetILNS1_3genE3ELNS1_11target_archE908ELNS1_3gpuE7ELNS1_3repE0EEENS1_47radix_sort_onesweep_sort_config_static_selectorELNS0_4arch9wavefront6targetE1EEEvSI_.has_indirect_call, 0
	.section	.AMDGPU.csdata,"",@progbits
; Kernel info:
; codeLenInByte = 0
; TotalNumSgprs: 6
; NumVgprs: 0
; NumAgprs: 0
; TotalNumVgprs: 0
; ScratchSize: 0
; MemoryBound: 0
; FloatMode: 240
; IeeeMode: 1
; LDSByteSize: 0 bytes/workgroup (compile time only)
; SGPRBlocks: 0
; VGPRBlocks: 0
; NumSGPRsForWavesPerEU: 6
; NumVGPRsForWavesPerEU: 1
; AccumOffset: 4
; Occupancy: 8
; WaveLimiterHint : 0
; COMPUTE_PGM_RSRC2:SCRATCH_EN: 0
; COMPUTE_PGM_RSRC2:USER_SGPR: 2
; COMPUTE_PGM_RSRC2:TRAP_HANDLER: 0
; COMPUTE_PGM_RSRC2:TGID_X_EN: 1
; COMPUTE_PGM_RSRC2:TGID_Y_EN: 0
; COMPUTE_PGM_RSRC2:TGID_Z_EN: 0
; COMPUTE_PGM_RSRC2:TIDIG_COMP_CNT: 0
; COMPUTE_PGM_RSRC3_GFX90A:ACCUM_OFFSET: 0
; COMPUTE_PGM_RSRC3_GFX90A:TG_SPLIT: 0
	.section	.text._ZN7rocprim17ROCPRIM_400000_NS6detail17trampoline_kernelINS0_14default_configENS1_35radix_sort_onesweep_config_selectorIiiEEZZNS1_29radix_sort_onesweep_iterationIS3_Lb0EN6thrust23THRUST_200600_302600_NS6detail15normal_iteratorINS8_10device_ptrIiEEEESD_SD_SD_jNS0_19identity_decomposerENS1_16block_id_wrapperIjLb1EEEEE10hipError_tT1_PNSt15iterator_traitsISI_E10value_typeET2_T3_PNSJ_ISO_E10value_typeET4_T5_PST_SU_PNS1_23onesweep_lookback_stateEbbT6_jjT7_P12ihipStream_tbENKUlT_T0_SI_SN_E_clIPiSD_S15_SD_EEDaS11_S12_SI_SN_EUlS11_E_NS1_11comp_targetILNS1_3genE10ELNS1_11target_archE1201ELNS1_3gpuE5ELNS1_3repE0EEENS1_47radix_sort_onesweep_sort_config_static_selectorELNS0_4arch9wavefront6targetE1EEEvSI_,"axG",@progbits,_ZN7rocprim17ROCPRIM_400000_NS6detail17trampoline_kernelINS0_14default_configENS1_35radix_sort_onesweep_config_selectorIiiEEZZNS1_29radix_sort_onesweep_iterationIS3_Lb0EN6thrust23THRUST_200600_302600_NS6detail15normal_iteratorINS8_10device_ptrIiEEEESD_SD_SD_jNS0_19identity_decomposerENS1_16block_id_wrapperIjLb1EEEEE10hipError_tT1_PNSt15iterator_traitsISI_E10value_typeET2_T3_PNSJ_ISO_E10value_typeET4_T5_PST_SU_PNS1_23onesweep_lookback_stateEbbT6_jjT7_P12ihipStream_tbENKUlT_T0_SI_SN_E_clIPiSD_S15_SD_EEDaS11_S12_SI_SN_EUlS11_E_NS1_11comp_targetILNS1_3genE10ELNS1_11target_archE1201ELNS1_3gpuE5ELNS1_3repE0EEENS1_47radix_sort_onesweep_sort_config_static_selectorELNS0_4arch9wavefront6targetE1EEEvSI_,comdat
	.protected	_ZN7rocprim17ROCPRIM_400000_NS6detail17trampoline_kernelINS0_14default_configENS1_35radix_sort_onesweep_config_selectorIiiEEZZNS1_29radix_sort_onesweep_iterationIS3_Lb0EN6thrust23THRUST_200600_302600_NS6detail15normal_iteratorINS8_10device_ptrIiEEEESD_SD_SD_jNS0_19identity_decomposerENS1_16block_id_wrapperIjLb1EEEEE10hipError_tT1_PNSt15iterator_traitsISI_E10value_typeET2_T3_PNSJ_ISO_E10value_typeET4_T5_PST_SU_PNS1_23onesweep_lookback_stateEbbT6_jjT7_P12ihipStream_tbENKUlT_T0_SI_SN_E_clIPiSD_S15_SD_EEDaS11_S12_SI_SN_EUlS11_E_NS1_11comp_targetILNS1_3genE10ELNS1_11target_archE1201ELNS1_3gpuE5ELNS1_3repE0EEENS1_47radix_sort_onesweep_sort_config_static_selectorELNS0_4arch9wavefront6targetE1EEEvSI_ ; -- Begin function _ZN7rocprim17ROCPRIM_400000_NS6detail17trampoline_kernelINS0_14default_configENS1_35radix_sort_onesweep_config_selectorIiiEEZZNS1_29radix_sort_onesweep_iterationIS3_Lb0EN6thrust23THRUST_200600_302600_NS6detail15normal_iteratorINS8_10device_ptrIiEEEESD_SD_SD_jNS0_19identity_decomposerENS1_16block_id_wrapperIjLb1EEEEE10hipError_tT1_PNSt15iterator_traitsISI_E10value_typeET2_T3_PNSJ_ISO_E10value_typeET4_T5_PST_SU_PNS1_23onesweep_lookback_stateEbbT6_jjT7_P12ihipStream_tbENKUlT_T0_SI_SN_E_clIPiSD_S15_SD_EEDaS11_S12_SI_SN_EUlS11_E_NS1_11comp_targetILNS1_3genE10ELNS1_11target_archE1201ELNS1_3gpuE5ELNS1_3repE0EEENS1_47radix_sort_onesweep_sort_config_static_selectorELNS0_4arch9wavefront6targetE1EEEvSI_
	.globl	_ZN7rocprim17ROCPRIM_400000_NS6detail17trampoline_kernelINS0_14default_configENS1_35radix_sort_onesweep_config_selectorIiiEEZZNS1_29radix_sort_onesweep_iterationIS3_Lb0EN6thrust23THRUST_200600_302600_NS6detail15normal_iteratorINS8_10device_ptrIiEEEESD_SD_SD_jNS0_19identity_decomposerENS1_16block_id_wrapperIjLb1EEEEE10hipError_tT1_PNSt15iterator_traitsISI_E10value_typeET2_T3_PNSJ_ISO_E10value_typeET4_T5_PST_SU_PNS1_23onesweep_lookback_stateEbbT6_jjT7_P12ihipStream_tbENKUlT_T0_SI_SN_E_clIPiSD_S15_SD_EEDaS11_S12_SI_SN_EUlS11_E_NS1_11comp_targetILNS1_3genE10ELNS1_11target_archE1201ELNS1_3gpuE5ELNS1_3repE0EEENS1_47radix_sort_onesweep_sort_config_static_selectorELNS0_4arch9wavefront6targetE1EEEvSI_
	.p2align	8
	.type	_ZN7rocprim17ROCPRIM_400000_NS6detail17trampoline_kernelINS0_14default_configENS1_35radix_sort_onesweep_config_selectorIiiEEZZNS1_29radix_sort_onesweep_iterationIS3_Lb0EN6thrust23THRUST_200600_302600_NS6detail15normal_iteratorINS8_10device_ptrIiEEEESD_SD_SD_jNS0_19identity_decomposerENS1_16block_id_wrapperIjLb1EEEEE10hipError_tT1_PNSt15iterator_traitsISI_E10value_typeET2_T3_PNSJ_ISO_E10value_typeET4_T5_PST_SU_PNS1_23onesweep_lookback_stateEbbT6_jjT7_P12ihipStream_tbENKUlT_T0_SI_SN_E_clIPiSD_S15_SD_EEDaS11_S12_SI_SN_EUlS11_E_NS1_11comp_targetILNS1_3genE10ELNS1_11target_archE1201ELNS1_3gpuE5ELNS1_3repE0EEENS1_47radix_sort_onesweep_sort_config_static_selectorELNS0_4arch9wavefront6targetE1EEEvSI_,@function
_ZN7rocprim17ROCPRIM_400000_NS6detail17trampoline_kernelINS0_14default_configENS1_35radix_sort_onesweep_config_selectorIiiEEZZNS1_29radix_sort_onesweep_iterationIS3_Lb0EN6thrust23THRUST_200600_302600_NS6detail15normal_iteratorINS8_10device_ptrIiEEEESD_SD_SD_jNS0_19identity_decomposerENS1_16block_id_wrapperIjLb1EEEEE10hipError_tT1_PNSt15iterator_traitsISI_E10value_typeET2_T3_PNSJ_ISO_E10value_typeET4_T5_PST_SU_PNS1_23onesweep_lookback_stateEbbT6_jjT7_P12ihipStream_tbENKUlT_T0_SI_SN_E_clIPiSD_S15_SD_EEDaS11_S12_SI_SN_EUlS11_E_NS1_11comp_targetILNS1_3genE10ELNS1_11target_archE1201ELNS1_3gpuE5ELNS1_3repE0EEENS1_47radix_sort_onesweep_sort_config_static_selectorELNS0_4arch9wavefront6targetE1EEEvSI_: ; @_ZN7rocprim17ROCPRIM_400000_NS6detail17trampoline_kernelINS0_14default_configENS1_35radix_sort_onesweep_config_selectorIiiEEZZNS1_29radix_sort_onesweep_iterationIS3_Lb0EN6thrust23THRUST_200600_302600_NS6detail15normal_iteratorINS8_10device_ptrIiEEEESD_SD_SD_jNS0_19identity_decomposerENS1_16block_id_wrapperIjLb1EEEEE10hipError_tT1_PNSt15iterator_traitsISI_E10value_typeET2_T3_PNSJ_ISO_E10value_typeET4_T5_PST_SU_PNS1_23onesweep_lookback_stateEbbT6_jjT7_P12ihipStream_tbENKUlT_T0_SI_SN_E_clIPiSD_S15_SD_EEDaS11_S12_SI_SN_EUlS11_E_NS1_11comp_targetILNS1_3genE10ELNS1_11target_archE1201ELNS1_3gpuE5ELNS1_3repE0EEENS1_47radix_sort_onesweep_sort_config_static_selectorELNS0_4arch9wavefront6targetE1EEEvSI_
; %bb.0:
	.section	.rodata,"a",@progbits
	.p2align	6, 0x0
	.amdhsa_kernel _ZN7rocprim17ROCPRIM_400000_NS6detail17trampoline_kernelINS0_14default_configENS1_35radix_sort_onesweep_config_selectorIiiEEZZNS1_29radix_sort_onesweep_iterationIS3_Lb0EN6thrust23THRUST_200600_302600_NS6detail15normal_iteratorINS8_10device_ptrIiEEEESD_SD_SD_jNS0_19identity_decomposerENS1_16block_id_wrapperIjLb1EEEEE10hipError_tT1_PNSt15iterator_traitsISI_E10value_typeET2_T3_PNSJ_ISO_E10value_typeET4_T5_PST_SU_PNS1_23onesweep_lookback_stateEbbT6_jjT7_P12ihipStream_tbENKUlT_T0_SI_SN_E_clIPiSD_S15_SD_EEDaS11_S12_SI_SN_EUlS11_E_NS1_11comp_targetILNS1_3genE10ELNS1_11target_archE1201ELNS1_3gpuE5ELNS1_3repE0EEENS1_47radix_sort_onesweep_sort_config_static_selectorELNS0_4arch9wavefront6targetE1EEEvSI_
		.amdhsa_group_segment_fixed_size 0
		.amdhsa_private_segment_fixed_size 0
		.amdhsa_kernarg_size 88
		.amdhsa_user_sgpr_count 2
		.amdhsa_user_sgpr_dispatch_ptr 0
		.amdhsa_user_sgpr_queue_ptr 0
		.amdhsa_user_sgpr_kernarg_segment_ptr 1
		.amdhsa_user_sgpr_dispatch_id 0
		.amdhsa_user_sgpr_kernarg_preload_length 0
		.amdhsa_user_sgpr_kernarg_preload_offset 0
		.amdhsa_user_sgpr_private_segment_size 0
		.amdhsa_uses_dynamic_stack 0
		.amdhsa_enable_private_segment 0
		.amdhsa_system_sgpr_workgroup_id_x 1
		.amdhsa_system_sgpr_workgroup_id_y 0
		.amdhsa_system_sgpr_workgroup_id_z 0
		.amdhsa_system_sgpr_workgroup_info 0
		.amdhsa_system_vgpr_workitem_id 0
		.amdhsa_next_free_vgpr 1
		.amdhsa_next_free_sgpr 0
		.amdhsa_accum_offset 4
		.amdhsa_reserve_vcc 0
		.amdhsa_float_round_mode_32 0
		.amdhsa_float_round_mode_16_64 0
		.amdhsa_float_denorm_mode_32 3
		.amdhsa_float_denorm_mode_16_64 3
		.amdhsa_dx10_clamp 1
		.amdhsa_ieee_mode 1
		.amdhsa_fp16_overflow 0
		.amdhsa_tg_split 0
		.amdhsa_exception_fp_ieee_invalid_op 0
		.amdhsa_exception_fp_denorm_src 0
		.amdhsa_exception_fp_ieee_div_zero 0
		.amdhsa_exception_fp_ieee_overflow 0
		.amdhsa_exception_fp_ieee_underflow 0
		.amdhsa_exception_fp_ieee_inexact 0
		.amdhsa_exception_int_div_zero 0
	.end_amdhsa_kernel
	.section	.text._ZN7rocprim17ROCPRIM_400000_NS6detail17trampoline_kernelINS0_14default_configENS1_35radix_sort_onesweep_config_selectorIiiEEZZNS1_29radix_sort_onesweep_iterationIS3_Lb0EN6thrust23THRUST_200600_302600_NS6detail15normal_iteratorINS8_10device_ptrIiEEEESD_SD_SD_jNS0_19identity_decomposerENS1_16block_id_wrapperIjLb1EEEEE10hipError_tT1_PNSt15iterator_traitsISI_E10value_typeET2_T3_PNSJ_ISO_E10value_typeET4_T5_PST_SU_PNS1_23onesweep_lookback_stateEbbT6_jjT7_P12ihipStream_tbENKUlT_T0_SI_SN_E_clIPiSD_S15_SD_EEDaS11_S12_SI_SN_EUlS11_E_NS1_11comp_targetILNS1_3genE10ELNS1_11target_archE1201ELNS1_3gpuE5ELNS1_3repE0EEENS1_47radix_sort_onesweep_sort_config_static_selectorELNS0_4arch9wavefront6targetE1EEEvSI_,"axG",@progbits,_ZN7rocprim17ROCPRIM_400000_NS6detail17trampoline_kernelINS0_14default_configENS1_35radix_sort_onesweep_config_selectorIiiEEZZNS1_29radix_sort_onesweep_iterationIS3_Lb0EN6thrust23THRUST_200600_302600_NS6detail15normal_iteratorINS8_10device_ptrIiEEEESD_SD_SD_jNS0_19identity_decomposerENS1_16block_id_wrapperIjLb1EEEEE10hipError_tT1_PNSt15iterator_traitsISI_E10value_typeET2_T3_PNSJ_ISO_E10value_typeET4_T5_PST_SU_PNS1_23onesweep_lookback_stateEbbT6_jjT7_P12ihipStream_tbENKUlT_T0_SI_SN_E_clIPiSD_S15_SD_EEDaS11_S12_SI_SN_EUlS11_E_NS1_11comp_targetILNS1_3genE10ELNS1_11target_archE1201ELNS1_3gpuE5ELNS1_3repE0EEENS1_47radix_sort_onesweep_sort_config_static_selectorELNS0_4arch9wavefront6targetE1EEEvSI_,comdat
.Lfunc_end846:
	.size	_ZN7rocprim17ROCPRIM_400000_NS6detail17trampoline_kernelINS0_14default_configENS1_35radix_sort_onesweep_config_selectorIiiEEZZNS1_29radix_sort_onesweep_iterationIS3_Lb0EN6thrust23THRUST_200600_302600_NS6detail15normal_iteratorINS8_10device_ptrIiEEEESD_SD_SD_jNS0_19identity_decomposerENS1_16block_id_wrapperIjLb1EEEEE10hipError_tT1_PNSt15iterator_traitsISI_E10value_typeET2_T3_PNSJ_ISO_E10value_typeET4_T5_PST_SU_PNS1_23onesweep_lookback_stateEbbT6_jjT7_P12ihipStream_tbENKUlT_T0_SI_SN_E_clIPiSD_S15_SD_EEDaS11_S12_SI_SN_EUlS11_E_NS1_11comp_targetILNS1_3genE10ELNS1_11target_archE1201ELNS1_3gpuE5ELNS1_3repE0EEENS1_47radix_sort_onesweep_sort_config_static_selectorELNS0_4arch9wavefront6targetE1EEEvSI_, .Lfunc_end846-_ZN7rocprim17ROCPRIM_400000_NS6detail17trampoline_kernelINS0_14default_configENS1_35radix_sort_onesweep_config_selectorIiiEEZZNS1_29radix_sort_onesweep_iterationIS3_Lb0EN6thrust23THRUST_200600_302600_NS6detail15normal_iteratorINS8_10device_ptrIiEEEESD_SD_SD_jNS0_19identity_decomposerENS1_16block_id_wrapperIjLb1EEEEE10hipError_tT1_PNSt15iterator_traitsISI_E10value_typeET2_T3_PNSJ_ISO_E10value_typeET4_T5_PST_SU_PNS1_23onesweep_lookback_stateEbbT6_jjT7_P12ihipStream_tbENKUlT_T0_SI_SN_E_clIPiSD_S15_SD_EEDaS11_S12_SI_SN_EUlS11_E_NS1_11comp_targetILNS1_3genE10ELNS1_11target_archE1201ELNS1_3gpuE5ELNS1_3repE0EEENS1_47radix_sort_onesweep_sort_config_static_selectorELNS0_4arch9wavefront6targetE1EEEvSI_
                                        ; -- End function
	.set _ZN7rocprim17ROCPRIM_400000_NS6detail17trampoline_kernelINS0_14default_configENS1_35radix_sort_onesweep_config_selectorIiiEEZZNS1_29radix_sort_onesweep_iterationIS3_Lb0EN6thrust23THRUST_200600_302600_NS6detail15normal_iteratorINS8_10device_ptrIiEEEESD_SD_SD_jNS0_19identity_decomposerENS1_16block_id_wrapperIjLb1EEEEE10hipError_tT1_PNSt15iterator_traitsISI_E10value_typeET2_T3_PNSJ_ISO_E10value_typeET4_T5_PST_SU_PNS1_23onesweep_lookback_stateEbbT6_jjT7_P12ihipStream_tbENKUlT_T0_SI_SN_E_clIPiSD_S15_SD_EEDaS11_S12_SI_SN_EUlS11_E_NS1_11comp_targetILNS1_3genE10ELNS1_11target_archE1201ELNS1_3gpuE5ELNS1_3repE0EEENS1_47radix_sort_onesweep_sort_config_static_selectorELNS0_4arch9wavefront6targetE1EEEvSI_.num_vgpr, 0
	.set _ZN7rocprim17ROCPRIM_400000_NS6detail17trampoline_kernelINS0_14default_configENS1_35radix_sort_onesweep_config_selectorIiiEEZZNS1_29radix_sort_onesweep_iterationIS3_Lb0EN6thrust23THRUST_200600_302600_NS6detail15normal_iteratorINS8_10device_ptrIiEEEESD_SD_SD_jNS0_19identity_decomposerENS1_16block_id_wrapperIjLb1EEEEE10hipError_tT1_PNSt15iterator_traitsISI_E10value_typeET2_T3_PNSJ_ISO_E10value_typeET4_T5_PST_SU_PNS1_23onesweep_lookback_stateEbbT6_jjT7_P12ihipStream_tbENKUlT_T0_SI_SN_E_clIPiSD_S15_SD_EEDaS11_S12_SI_SN_EUlS11_E_NS1_11comp_targetILNS1_3genE10ELNS1_11target_archE1201ELNS1_3gpuE5ELNS1_3repE0EEENS1_47radix_sort_onesweep_sort_config_static_selectorELNS0_4arch9wavefront6targetE1EEEvSI_.num_agpr, 0
	.set _ZN7rocprim17ROCPRIM_400000_NS6detail17trampoline_kernelINS0_14default_configENS1_35radix_sort_onesweep_config_selectorIiiEEZZNS1_29radix_sort_onesweep_iterationIS3_Lb0EN6thrust23THRUST_200600_302600_NS6detail15normal_iteratorINS8_10device_ptrIiEEEESD_SD_SD_jNS0_19identity_decomposerENS1_16block_id_wrapperIjLb1EEEEE10hipError_tT1_PNSt15iterator_traitsISI_E10value_typeET2_T3_PNSJ_ISO_E10value_typeET4_T5_PST_SU_PNS1_23onesweep_lookback_stateEbbT6_jjT7_P12ihipStream_tbENKUlT_T0_SI_SN_E_clIPiSD_S15_SD_EEDaS11_S12_SI_SN_EUlS11_E_NS1_11comp_targetILNS1_3genE10ELNS1_11target_archE1201ELNS1_3gpuE5ELNS1_3repE0EEENS1_47radix_sort_onesweep_sort_config_static_selectorELNS0_4arch9wavefront6targetE1EEEvSI_.numbered_sgpr, 0
	.set _ZN7rocprim17ROCPRIM_400000_NS6detail17trampoline_kernelINS0_14default_configENS1_35radix_sort_onesweep_config_selectorIiiEEZZNS1_29radix_sort_onesweep_iterationIS3_Lb0EN6thrust23THRUST_200600_302600_NS6detail15normal_iteratorINS8_10device_ptrIiEEEESD_SD_SD_jNS0_19identity_decomposerENS1_16block_id_wrapperIjLb1EEEEE10hipError_tT1_PNSt15iterator_traitsISI_E10value_typeET2_T3_PNSJ_ISO_E10value_typeET4_T5_PST_SU_PNS1_23onesweep_lookback_stateEbbT6_jjT7_P12ihipStream_tbENKUlT_T0_SI_SN_E_clIPiSD_S15_SD_EEDaS11_S12_SI_SN_EUlS11_E_NS1_11comp_targetILNS1_3genE10ELNS1_11target_archE1201ELNS1_3gpuE5ELNS1_3repE0EEENS1_47radix_sort_onesweep_sort_config_static_selectorELNS0_4arch9wavefront6targetE1EEEvSI_.num_named_barrier, 0
	.set _ZN7rocprim17ROCPRIM_400000_NS6detail17trampoline_kernelINS0_14default_configENS1_35radix_sort_onesweep_config_selectorIiiEEZZNS1_29radix_sort_onesweep_iterationIS3_Lb0EN6thrust23THRUST_200600_302600_NS6detail15normal_iteratorINS8_10device_ptrIiEEEESD_SD_SD_jNS0_19identity_decomposerENS1_16block_id_wrapperIjLb1EEEEE10hipError_tT1_PNSt15iterator_traitsISI_E10value_typeET2_T3_PNSJ_ISO_E10value_typeET4_T5_PST_SU_PNS1_23onesweep_lookback_stateEbbT6_jjT7_P12ihipStream_tbENKUlT_T0_SI_SN_E_clIPiSD_S15_SD_EEDaS11_S12_SI_SN_EUlS11_E_NS1_11comp_targetILNS1_3genE10ELNS1_11target_archE1201ELNS1_3gpuE5ELNS1_3repE0EEENS1_47radix_sort_onesweep_sort_config_static_selectorELNS0_4arch9wavefront6targetE1EEEvSI_.private_seg_size, 0
	.set _ZN7rocprim17ROCPRIM_400000_NS6detail17trampoline_kernelINS0_14default_configENS1_35radix_sort_onesweep_config_selectorIiiEEZZNS1_29radix_sort_onesweep_iterationIS3_Lb0EN6thrust23THRUST_200600_302600_NS6detail15normal_iteratorINS8_10device_ptrIiEEEESD_SD_SD_jNS0_19identity_decomposerENS1_16block_id_wrapperIjLb1EEEEE10hipError_tT1_PNSt15iterator_traitsISI_E10value_typeET2_T3_PNSJ_ISO_E10value_typeET4_T5_PST_SU_PNS1_23onesweep_lookback_stateEbbT6_jjT7_P12ihipStream_tbENKUlT_T0_SI_SN_E_clIPiSD_S15_SD_EEDaS11_S12_SI_SN_EUlS11_E_NS1_11comp_targetILNS1_3genE10ELNS1_11target_archE1201ELNS1_3gpuE5ELNS1_3repE0EEENS1_47radix_sort_onesweep_sort_config_static_selectorELNS0_4arch9wavefront6targetE1EEEvSI_.uses_vcc, 0
	.set _ZN7rocprim17ROCPRIM_400000_NS6detail17trampoline_kernelINS0_14default_configENS1_35radix_sort_onesweep_config_selectorIiiEEZZNS1_29radix_sort_onesweep_iterationIS3_Lb0EN6thrust23THRUST_200600_302600_NS6detail15normal_iteratorINS8_10device_ptrIiEEEESD_SD_SD_jNS0_19identity_decomposerENS1_16block_id_wrapperIjLb1EEEEE10hipError_tT1_PNSt15iterator_traitsISI_E10value_typeET2_T3_PNSJ_ISO_E10value_typeET4_T5_PST_SU_PNS1_23onesweep_lookback_stateEbbT6_jjT7_P12ihipStream_tbENKUlT_T0_SI_SN_E_clIPiSD_S15_SD_EEDaS11_S12_SI_SN_EUlS11_E_NS1_11comp_targetILNS1_3genE10ELNS1_11target_archE1201ELNS1_3gpuE5ELNS1_3repE0EEENS1_47radix_sort_onesweep_sort_config_static_selectorELNS0_4arch9wavefront6targetE1EEEvSI_.uses_flat_scratch, 0
	.set _ZN7rocprim17ROCPRIM_400000_NS6detail17trampoline_kernelINS0_14default_configENS1_35radix_sort_onesweep_config_selectorIiiEEZZNS1_29radix_sort_onesweep_iterationIS3_Lb0EN6thrust23THRUST_200600_302600_NS6detail15normal_iteratorINS8_10device_ptrIiEEEESD_SD_SD_jNS0_19identity_decomposerENS1_16block_id_wrapperIjLb1EEEEE10hipError_tT1_PNSt15iterator_traitsISI_E10value_typeET2_T3_PNSJ_ISO_E10value_typeET4_T5_PST_SU_PNS1_23onesweep_lookback_stateEbbT6_jjT7_P12ihipStream_tbENKUlT_T0_SI_SN_E_clIPiSD_S15_SD_EEDaS11_S12_SI_SN_EUlS11_E_NS1_11comp_targetILNS1_3genE10ELNS1_11target_archE1201ELNS1_3gpuE5ELNS1_3repE0EEENS1_47radix_sort_onesweep_sort_config_static_selectorELNS0_4arch9wavefront6targetE1EEEvSI_.has_dyn_sized_stack, 0
	.set _ZN7rocprim17ROCPRIM_400000_NS6detail17trampoline_kernelINS0_14default_configENS1_35radix_sort_onesweep_config_selectorIiiEEZZNS1_29radix_sort_onesweep_iterationIS3_Lb0EN6thrust23THRUST_200600_302600_NS6detail15normal_iteratorINS8_10device_ptrIiEEEESD_SD_SD_jNS0_19identity_decomposerENS1_16block_id_wrapperIjLb1EEEEE10hipError_tT1_PNSt15iterator_traitsISI_E10value_typeET2_T3_PNSJ_ISO_E10value_typeET4_T5_PST_SU_PNS1_23onesweep_lookback_stateEbbT6_jjT7_P12ihipStream_tbENKUlT_T0_SI_SN_E_clIPiSD_S15_SD_EEDaS11_S12_SI_SN_EUlS11_E_NS1_11comp_targetILNS1_3genE10ELNS1_11target_archE1201ELNS1_3gpuE5ELNS1_3repE0EEENS1_47radix_sort_onesweep_sort_config_static_selectorELNS0_4arch9wavefront6targetE1EEEvSI_.has_recursion, 0
	.set _ZN7rocprim17ROCPRIM_400000_NS6detail17trampoline_kernelINS0_14default_configENS1_35radix_sort_onesweep_config_selectorIiiEEZZNS1_29radix_sort_onesweep_iterationIS3_Lb0EN6thrust23THRUST_200600_302600_NS6detail15normal_iteratorINS8_10device_ptrIiEEEESD_SD_SD_jNS0_19identity_decomposerENS1_16block_id_wrapperIjLb1EEEEE10hipError_tT1_PNSt15iterator_traitsISI_E10value_typeET2_T3_PNSJ_ISO_E10value_typeET4_T5_PST_SU_PNS1_23onesweep_lookback_stateEbbT6_jjT7_P12ihipStream_tbENKUlT_T0_SI_SN_E_clIPiSD_S15_SD_EEDaS11_S12_SI_SN_EUlS11_E_NS1_11comp_targetILNS1_3genE10ELNS1_11target_archE1201ELNS1_3gpuE5ELNS1_3repE0EEENS1_47radix_sort_onesweep_sort_config_static_selectorELNS0_4arch9wavefront6targetE1EEEvSI_.has_indirect_call, 0
	.section	.AMDGPU.csdata,"",@progbits
; Kernel info:
; codeLenInByte = 0
; TotalNumSgprs: 6
; NumVgprs: 0
; NumAgprs: 0
; TotalNumVgprs: 0
; ScratchSize: 0
; MemoryBound: 0
; FloatMode: 240
; IeeeMode: 1
; LDSByteSize: 0 bytes/workgroup (compile time only)
; SGPRBlocks: 0
; VGPRBlocks: 0
; NumSGPRsForWavesPerEU: 6
; NumVGPRsForWavesPerEU: 1
; AccumOffset: 4
; Occupancy: 8
; WaveLimiterHint : 0
; COMPUTE_PGM_RSRC2:SCRATCH_EN: 0
; COMPUTE_PGM_RSRC2:USER_SGPR: 2
; COMPUTE_PGM_RSRC2:TRAP_HANDLER: 0
; COMPUTE_PGM_RSRC2:TGID_X_EN: 1
; COMPUTE_PGM_RSRC2:TGID_Y_EN: 0
; COMPUTE_PGM_RSRC2:TGID_Z_EN: 0
; COMPUTE_PGM_RSRC2:TIDIG_COMP_CNT: 0
; COMPUTE_PGM_RSRC3_GFX90A:ACCUM_OFFSET: 0
; COMPUTE_PGM_RSRC3_GFX90A:TG_SPLIT: 0
	.section	.text._ZN7rocprim17ROCPRIM_400000_NS6detail17trampoline_kernelINS0_14default_configENS1_35radix_sort_onesweep_config_selectorIiiEEZZNS1_29radix_sort_onesweep_iterationIS3_Lb0EN6thrust23THRUST_200600_302600_NS6detail15normal_iteratorINS8_10device_ptrIiEEEESD_SD_SD_jNS0_19identity_decomposerENS1_16block_id_wrapperIjLb1EEEEE10hipError_tT1_PNSt15iterator_traitsISI_E10value_typeET2_T3_PNSJ_ISO_E10value_typeET4_T5_PST_SU_PNS1_23onesweep_lookback_stateEbbT6_jjT7_P12ihipStream_tbENKUlT_T0_SI_SN_E_clIPiSD_S15_SD_EEDaS11_S12_SI_SN_EUlS11_E_NS1_11comp_targetILNS1_3genE9ELNS1_11target_archE1100ELNS1_3gpuE3ELNS1_3repE0EEENS1_47radix_sort_onesweep_sort_config_static_selectorELNS0_4arch9wavefront6targetE1EEEvSI_,"axG",@progbits,_ZN7rocprim17ROCPRIM_400000_NS6detail17trampoline_kernelINS0_14default_configENS1_35radix_sort_onesweep_config_selectorIiiEEZZNS1_29radix_sort_onesweep_iterationIS3_Lb0EN6thrust23THRUST_200600_302600_NS6detail15normal_iteratorINS8_10device_ptrIiEEEESD_SD_SD_jNS0_19identity_decomposerENS1_16block_id_wrapperIjLb1EEEEE10hipError_tT1_PNSt15iterator_traitsISI_E10value_typeET2_T3_PNSJ_ISO_E10value_typeET4_T5_PST_SU_PNS1_23onesweep_lookback_stateEbbT6_jjT7_P12ihipStream_tbENKUlT_T0_SI_SN_E_clIPiSD_S15_SD_EEDaS11_S12_SI_SN_EUlS11_E_NS1_11comp_targetILNS1_3genE9ELNS1_11target_archE1100ELNS1_3gpuE3ELNS1_3repE0EEENS1_47radix_sort_onesweep_sort_config_static_selectorELNS0_4arch9wavefront6targetE1EEEvSI_,comdat
	.protected	_ZN7rocprim17ROCPRIM_400000_NS6detail17trampoline_kernelINS0_14default_configENS1_35radix_sort_onesweep_config_selectorIiiEEZZNS1_29radix_sort_onesweep_iterationIS3_Lb0EN6thrust23THRUST_200600_302600_NS6detail15normal_iteratorINS8_10device_ptrIiEEEESD_SD_SD_jNS0_19identity_decomposerENS1_16block_id_wrapperIjLb1EEEEE10hipError_tT1_PNSt15iterator_traitsISI_E10value_typeET2_T3_PNSJ_ISO_E10value_typeET4_T5_PST_SU_PNS1_23onesweep_lookback_stateEbbT6_jjT7_P12ihipStream_tbENKUlT_T0_SI_SN_E_clIPiSD_S15_SD_EEDaS11_S12_SI_SN_EUlS11_E_NS1_11comp_targetILNS1_3genE9ELNS1_11target_archE1100ELNS1_3gpuE3ELNS1_3repE0EEENS1_47radix_sort_onesweep_sort_config_static_selectorELNS0_4arch9wavefront6targetE1EEEvSI_ ; -- Begin function _ZN7rocprim17ROCPRIM_400000_NS6detail17trampoline_kernelINS0_14default_configENS1_35radix_sort_onesweep_config_selectorIiiEEZZNS1_29radix_sort_onesweep_iterationIS3_Lb0EN6thrust23THRUST_200600_302600_NS6detail15normal_iteratorINS8_10device_ptrIiEEEESD_SD_SD_jNS0_19identity_decomposerENS1_16block_id_wrapperIjLb1EEEEE10hipError_tT1_PNSt15iterator_traitsISI_E10value_typeET2_T3_PNSJ_ISO_E10value_typeET4_T5_PST_SU_PNS1_23onesweep_lookback_stateEbbT6_jjT7_P12ihipStream_tbENKUlT_T0_SI_SN_E_clIPiSD_S15_SD_EEDaS11_S12_SI_SN_EUlS11_E_NS1_11comp_targetILNS1_3genE9ELNS1_11target_archE1100ELNS1_3gpuE3ELNS1_3repE0EEENS1_47radix_sort_onesweep_sort_config_static_selectorELNS0_4arch9wavefront6targetE1EEEvSI_
	.globl	_ZN7rocprim17ROCPRIM_400000_NS6detail17trampoline_kernelINS0_14default_configENS1_35radix_sort_onesweep_config_selectorIiiEEZZNS1_29radix_sort_onesweep_iterationIS3_Lb0EN6thrust23THRUST_200600_302600_NS6detail15normal_iteratorINS8_10device_ptrIiEEEESD_SD_SD_jNS0_19identity_decomposerENS1_16block_id_wrapperIjLb1EEEEE10hipError_tT1_PNSt15iterator_traitsISI_E10value_typeET2_T3_PNSJ_ISO_E10value_typeET4_T5_PST_SU_PNS1_23onesweep_lookback_stateEbbT6_jjT7_P12ihipStream_tbENKUlT_T0_SI_SN_E_clIPiSD_S15_SD_EEDaS11_S12_SI_SN_EUlS11_E_NS1_11comp_targetILNS1_3genE9ELNS1_11target_archE1100ELNS1_3gpuE3ELNS1_3repE0EEENS1_47radix_sort_onesweep_sort_config_static_selectorELNS0_4arch9wavefront6targetE1EEEvSI_
	.p2align	8
	.type	_ZN7rocprim17ROCPRIM_400000_NS6detail17trampoline_kernelINS0_14default_configENS1_35radix_sort_onesweep_config_selectorIiiEEZZNS1_29radix_sort_onesweep_iterationIS3_Lb0EN6thrust23THRUST_200600_302600_NS6detail15normal_iteratorINS8_10device_ptrIiEEEESD_SD_SD_jNS0_19identity_decomposerENS1_16block_id_wrapperIjLb1EEEEE10hipError_tT1_PNSt15iterator_traitsISI_E10value_typeET2_T3_PNSJ_ISO_E10value_typeET4_T5_PST_SU_PNS1_23onesweep_lookback_stateEbbT6_jjT7_P12ihipStream_tbENKUlT_T0_SI_SN_E_clIPiSD_S15_SD_EEDaS11_S12_SI_SN_EUlS11_E_NS1_11comp_targetILNS1_3genE9ELNS1_11target_archE1100ELNS1_3gpuE3ELNS1_3repE0EEENS1_47radix_sort_onesweep_sort_config_static_selectorELNS0_4arch9wavefront6targetE1EEEvSI_,@function
_ZN7rocprim17ROCPRIM_400000_NS6detail17trampoline_kernelINS0_14default_configENS1_35radix_sort_onesweep_config_selectorIiiEEZZNS1_29radix_sort_onesweep_iterationIS3_Lb0EN6thrust23THRUST_200600_302600_NS6detail15normal_iteratorINS8_10device_ptrIiEEEESD_SD_SD_jNS0_19identity_decomposerENS1_16block_id_wrapperIjLb1EEEEE10hipError_tT1_PNSt15iterator_traitsISI_E10value_typeET2_T3_PNSJ_ISO_E10value_typeET4_T5_PST_SU_PNS1_23onesweep_lookback_stateEbbT6_jjT7_P12ihipStream_tbENKUlT_T0_SI_SN_E_clIPiSD_S15_SD_EEDaS11_S12_SI_SN_EUlS11_E_NS1_11comp_targetILNS1_3genE9ELNS1_11target_archE1100ELNS1_3gpuE3ELNS1_3repE0EEENS1_47radix_sort_onesweep_sort_config_static_selectorELNS0_4arch9wavefront6targetE1EEEvSI_: ; @_ZN7rocprim17ROCPRIM_400000_NS6detail17trampoline_kernelINS0_14default_configENS1_35radix_sort_onesweep_config_selectorIiiEEZZNS1_29radix_sort_onesweep_iterationIS3_Lb0EN6thrust23THRUST_200600_302600_NS6detail15normal_iteratorINS8_10device_ptrIiEEEESD_SD_SD_jNS0_19identity_decomposerENS1_16block_id_wrapperIjLb1EEEEE10hipError_tT1_PNSt15iterator_traitsISI_E10value_typeET2_T3_PNSJ_ISO_E10value_typeET4_T5_PST_SU_PNS1_23onesweep_lookback_stateEbbT6_jjT7_P12ihipStream_tbENKUlT_T0_SI_SN_E_clIPiSD_S15_SD_EEDaS11_S12_SI_SN_EUlS11_E_NS1_11comp_targetILNS1_3genE9ELNS1_11target_archE1100ELNS1_3gpuE3ELNS1_3repE0EEENS1_47radix_sort_onesweep_sort_config_static_selectorELNS0_4arch9wavefront6targetE1EEEvSI_
; %bb.0:
	.section	.rodata,"a",@progbits
	.p2align	6, 0x0
	.amdhsa_kernel _ZN7rocprim17ROCPRIM_400000_NS6detail17trampoline_kernelINS0_14default_configENS1_35radix_sort_onesweep_config_selectorIiiEEZZNS1_29radix_sort_onesweep_iterationIS3_Lb0EN6thrust23THRUST_200600_302600_NS6detail15normal_iteratorINS8_10device_ptrIiEEEESD_SD_SD_jNS0_19identity_decomposerENS1_16block_id_wrapperIjLb1EEEEE10hipError_tT1_PNSt15iterator_traitsISI_E10value_typeET2_T3_PNSJ_ISO_E10value_typeET4_T5_PST_SU_PNS1_23onesweep_lookback_stateEbbT6_jjT7_P12ihipStream_tbENKUlT_T0_SI_SN_E_clIPiSD_S15_SD_EEDaS11_S12_SI_SN_EUlS11_E_NS1_11comp_targetILNS1_3genE9ELNS1_11target_archE1100ELNS1_3gpuE3ELNS1_3repE0EEENS1_47radix_sort_onesweep_sort_config_static_selectorELNS0_4arch9wavefront6targetE1EEEvSI_
		.amdhsa_group_segment_fixed_size 0
		.amdhsa_private_segment_fixed_size 0
		.amdhsa_kernarg_size 88
		.amdhsa_user_sgpr_count 2
		.amdhsa_user_sgpr_dispatch_ptr 0
		.amdhsa_user_sgpr_queue_ptr 0
		.amdhsa_user_sgpr_kernarg_segment_ptr 1
		.amdhsa_user_sgpr_dispatch_id 0
		.amdhsa_user_sgpr_kernarg_preload_length 0
		.amdhsa_user_sgpr_kernarg_preload_offset 0
		.amdhsa_user_sgpr_private_segment_size 0
		.amdhsa_uses_dynamic_stack 0
		.amdhsa_enable_private_segment 0
		.amdhsa_system_sgpr_workgroup_id_x 1
		.amdhsa_system_sgpr_workgroup_id_y 0
		.amdhsa_system_sgpr_workgroup_id_z 0
		.amdhsa_system_sgpr_workgroup_info 0
		.amdhsa_system_vgpr_workitem_id 0
		.amdhsa_next_free_vgpr 1
		.amdhsa_next_free_sgpr 0
		.amdhsa_accum_offset 4
		.amdhsa_reserve_vcc 0
		.amdhsa_float_round_mode_32 0
		.amdhsa_float_round_mode_16_64 0
		.amdhsa_float_denorm_mode_32 3
		.amdhsa_float_denorm_mode_16_64 3
		.amdhsa_dx10_clamp 1
		.amdhsa_ieee_mode 1
		.amdhsa_fp16_overflow 0
		.amdhsa_tg_split 0
		.amdhsa_exception_fp_ieee_invalid_op 0
		.amdhsa_exception_fp_denorm_src 0
		.amdhsa_exception_fp_ieee_div_zero 0
		.amdhsa_exception_fp_ieee_overflow 0
		.amdhsa_exception_fp_ieee_underflow 0
		.amdhsa_exception_fp_ieee_inexact 0
		.amdhsa_exception_int_div_zero 0
	.end_amdhsa_kernel
	.section	.text._ZN7rocprim17ROCPRIM_400000_NS6detail17trampoline_kernelINS0_14default_configENS1_35radix_sort_onesweep_config_selectorIiiEEZZNS1_29radix_sort_onesweep_iterationIS3_Lb0EN6thrust23THRUST_200600_302600_NS6detail15normal_iteratorINS8_10device_ptrIiEEEESD_SD_SD_jNS0_19identity_decomposerENS1_16block_id_wrapperIjLb1EEEEE10hipError_tT1_PNSt15iterator_traitsISI_E10value_typeET2_T3_PNSJ_ISO_E10value_typeET4_T5_PST_SU_PNS1_23onesweep_lookback_stateEbbT6_jjT7_P12ihipStream_tbENKUlT_T0_SI_SN_E_clIPiSD_S15_SD_EEDaS11_S12_SI_SN_EUlS11_E_NS1_11comp_targetILNS1_3genE9ELNS1_11target_archE1100ELNS1_3gpuE3ELNS1_3repE0EEENS1_47radix_sort_onesweep_sort_config_static_selectorELNS0_4arch9wavefront6targetE1EEEvSI_,"axG",@progbits,_ZN7rocprim17ROCPRIM_400000_NS6detail17trampoline_kernelINS0_14default_configENS1_35radix_sort_onesweep_config_selectorIiiEEZZNS1_29radix_sort_onesweep_iterationIS3_Lb0EN6thrust23THRUST_200600_302600_NS6detail15normal_iteratorINS8_10device_ptrIiEEEESD_SD_SD_jNS0_19identity_decomposerENS1_16block_id_wrapperIjLb1EEEEE10hipError_tT1_PNSt15iterator_traitsISI_E10value_typeET2_T3_PNSJ_ISO_E10value_typeET4_T5_PST_SU_PNS1_23onesweep_lookback_stateEbbT6_jjT7_P12ihipStream_tbENKUlT_T0_SI_SN_E_clIPiSD_S15_SD_EEDaS11_S12_SI_SN_EUlS11_E_NS1_11comp_targetILNS1_3genE9ELNS1_11target_archE1100ELNS1_3gpuE3ELNS1_3repE0EEENS1_47radix_sort_onesweep_sort_config_static_selectorELNS0_4arch9wavefront6targetE1EEEvSI_,comdat
.Lfunc_end847:
	.size	_ZN7rocprim17ROCPRIM_400000_NS6detail17trampoline_kernelINS0_14default_configENS1_35radix_sort_onesweep_config_selectorIiiEEZZNS1_29radix_sort_onesweep_iterationIS3_Lb0EN6thrust23THRUST_200600_302600_NS6detail15normal_iteratorINS8_10device_ptrIiEEEESD_SD_SD_jNS0_19identity_decomposerENS1_16block_id_wrapperIjLb1EEEEE10hipError_tT1_PNSt15iterator_traitsISI_E10value_typeET2_T3_PNSJ_ISO_E10value_typeET4_T5_PST_SU_PNS1_23onesweep_lookback_stateEbbT6_jjT7_P12ihipStream_tbENKUlT_T0_SI_SN_E_clIPiSD_S15_SD_EEDaS11_S12_SI_SN_EUlS11_E_NS1_11comp_targetILNS1_3genE9ELNS1_11target_archE1100ELNS1_3gpuE3ELNS1_3repE0EEENS1_47radix_sort_onesweep_sort_config_static_selectorELNS0_4arch9wavefront6targetE1EEEvSI_, .Lfunc_end847-_ZN7rocprim17ROCPRIM_400000_NS6detail17trampoline_kernelINS0_14default_configENS1_35radix_sort_onesweep_config_selectorIiiEEZZNS1_29radix_sort_onesweep_iterationIS3_Lb0EN6thrust23THRUST_200600_302600_NS6detail15normal_iteratorINS8_10device_ptrIiEEEESD_SD_SD_jNS0_19identity_decomposerENS1_16block_id_wrapperIjLb1EEEEE10hipError_tT1_PNSt15iterator_traitsISI_E10value_typeET2_T3_PNSJ_ISO_E10value_typeET4_T5_PST_SU_PNS1_23onesweep_lookback_stateEbbT6_jjT7_P12ihipStream_tbENKUlT_T0_SI_SN_E_clIPiSD_S15_SD_EEDaS11_S12_SI_SN_EUlS11_E_NS1_11comp_targetILNS1_3genE9ELNS1_11target_archE1100ELNS1_3gpuE3ELNS1_3repE0EEENS1_47radix_sort_onesweep_sort_config_static_selectorELNS0_4arch9wavefront6targetE1EEEvSI_
                                        ; -- End function
	.set _ZN7rocprim17ROCPRIM_400000_NS6detail17trampoline_kernelINS0_14default_configENS1_35radix_sort_onesweep_config_selectorIiiEEZZNS1_29radix_sort_onesweep_iterationIS3_Lb0EN6thrust23THRUST_200600_302600_NS6detail15normal_iteratorINS8_10device_ptrIiEEEESD_SD_SD_jNS0_19identity_decomposerENS1_16block_id_wrapperIjLb1EEEEE10hipError_tT1_PNSt15iterator_traitsISI_E10value_typeET2_T3_PNSJ_ISO_E10value_typeET4_T5_PST_SU_PNS1_23onesweep_lookback_stateEbbT6_jjT7_P12ihipStream_tbENKUlT_T0_SI_SN_E_clIPiSD_S15_SD_EEDaS11_S12_SI_SN_EUlS11_E_NS1_11comp_targetILNS1_3genE9ELNS1_11target_archE1100ELNS1_3gpuE3ELNS1_3repE0EEENS1_47radix_sort_onesweep_sort_config_static_selectorELNS0_4arch9wavefront6targetE1EEEvSI_.num_vgpr, 0
	.set _ZN7rocprim17ROCPRIM_400000_NS6detail17trampoline_kernelINS0_14default_configENS1_35radix_sort_onesweep_config_selectorIiiEEZZNS1_29radix_sort_onesweep_iterationIS3_Lb0EN6thrust23THRUST_200600_302600_NS6detail15normal_iteratorINS8_10device_ptrIiEEEESD_SD_SD_jNS0_19identity_decomposerENS1_16block_id_wrapperIjLb1EEEEE10hipError_tT1_PNSt15iterator_traitsISI_E10value_typeET2_T3_PNSJ_ISO_E10value_typeET4_T5_PST_SU_PNS1_23onesweep_lookback_stateEbbT6_jjT7_P12ihipStream_tbENKUlT_T0_SI_SN_E_clIPiSD_S15_SD_EEDaS11_S12_SI_SN_EUlS11_E_NS1_11comp_targetILNS1_3genE9ELNS1_11target_archE1100ELNS1_3gpuE3ELNS1_3repE0EEENS1_47radix_sort_onesweep_sort_config_static_selectorELNS0_4arch9wavefront6targetE1EEEvSI_.num_agpr, 0
	.set _ZN7rocprim17ROCPRIM_400000_NS6detail17trampoline_kernelINS0_14default_configENS1_35radix_sort_onesweep_config_selectorIiiEEZZNS1_29radix_sort_onesweep_iterationIS3_Lb0EN6thrust23THRUST_200600_302600_NS6detail15normal_iteratorINS8_10device_ptrIiEEEESD_SD_SD_jNS0_19identity_decomposerENS1_16block_id_wrapperIjLb1EEEEE10hipError_tT1_PNSt15iterator_traitsISI_E10value_typeET2_T3_PNSJ_ISO_E10value_typeET4_T5_PST_SU_PNS1_23onesweep_lookback_stateEbbT6_jjT7_P12ihipStream_tbENKUlT_T0_SI_SN_E_clIPiSD_S15_SD_EEDaS11_S12_SI_SN_EUlS11_E_NS1_11comp_targetILNS1_3genE9ELNS1_11target_archE1100ELNS1_3gpuE3ELNS1_3repE0EEENS1_47radix_sort_onesweep_sort_config_static_selectorELNS0_4arch9wavefront6targetE1EEEvSI_.numbered_sgpr, 0
	.set _ZN7rocprim17ROCPRIM_400000_NS6detail17trampoline_kernelINS0_14default_configENS1_35radix_sort_onesweep_config_selectorIiiEEZZNS1_29radix_sort_onesweep_iterationIS3_Lb0EN6thrust23THRUST_200600_302600_NS6detail15normal_iteratorINS8_10device_ptrIiEEEESD_SD_SD_jNS0_19identity_decomposerENS1_16block_id_wrapperIjLb1EEEEE10hipError_tT1_PNSt15iterator_traitsISI_E10value_typeET2_T3_PNSJ_ISO_E10value_typeET4_T5_PST_SU_PNS1_23onesweep_lookback_stateEbbT6_jjT7_P12ihipStream_tbENKUlT_T0_SI_SN_E_clIPiSD_S15_SD_EEDaS11_S12_SI_SN_EUlS11_E_NS1_11comp_targetILNS1_3genE9ELNS1_11target_archE1100ELNS1_3gpuE3ELNS1_3repE0EEENS1_47radix_sort_onesweep_sort_config_static_selectorELNS0_4arch9wavefront6targetE1EEEvSI_.num_named_barrier, 0
	.set _ZN7rocprim17ROCPRIM_400000_NS6detail17trampoline_kernelINS0_14default_configENS1_35radix_sort_onesweep_config_selectorIiiEEZZNS1_29radix_sort_onesweep_iterationIS3_Lb0EN6thrust23THRUST_200600_302600_NS6detail15normal_iteratorINS8_10device_ptrIiEEEESD_SD_SD_jNS0_19identity_decomposerENS1_16block_id_wrapperIjLb1EEEEE10hipError_tT1_PNSt15iterator_traitsISI_E10value_typeET2_T3_PNSJ_ISO_E10value_typeET4_T5_PST_SU_PNS1_23onesweep_lookback_stateEbbT6_jjT7_P12ihipStream_tbENKUlT_T0_SI_SN_E_clIPiSD_S15_SD_EEDaS11_S12_SI_SN_EUlS11_E_NS1_11comp_targetILNS1_3genE9ELNS1_11target_archE1100ELNS1_3gpuE3ELNS1_3repE0EEENS1_47radix_sort_onesweep_sort_config_static_selectorELNS0_4arch9wavefront6targetE1EEEvSI_.private_seg_size, 0
	.set _ZN7rocprim17ROCPRIM_400000_NS6detail17trampoline_kernelINS0_14default_configENS1_35radix_sort_onesweep_config_selectorIiiEEZZNS1_29radix_sort_onesweep_iterationIS3_Lb0EN6thrust23THRUST_200600_302600_NS6detail15normal_iteratorINS8_10device_ptrIiEEEESD_SD_SD_jNS0_19identity_decomposerENS1_16block_id_wrapperIjLb1EEEEE10hipError_tT1_PNSt15iterator_traitsISI_E10value_typeET2_T3_PNSJ_ISO_E10value_typeET4_T5_PST_SU_PNS1_23onesweep_lookback_stateEbbT6_jjT7_P12ihipStream_tbENKUlT_T0_SI_SN_E_clIPiSD_S15_SD_EEDaS11_S12_SI_SN_EUlS11_E_NS1_11comp_targetILNS1_3genE9ELNS1_11target_archE1100ELNS1_3gpuE3ELNS1_3repE0EEENS1_47radix_sort_onesweep_sort_config_static_selectorELNS0_4arch9wavefront6targetE1EEEvSI_.uses_vcc, 0
	.set _ZN7rocprim17ROCPRIM_400000_NS6detail17trampoline_kernelINS0_14default_configENS1_35radix_sort_onesweep_config_selectorIiiEEZZNS1_29radix_sort_onesweep_iterationIS3_Lb0EN6thrust23THRUST_200600_302600_NS6detail15normal_iteratorINS8_10device_ptrIiEEEESD_SD_SD_jNS0_19identity_decomposerENS1_16block_id_wrapperIjLb1EEEEE10hipError_tT1_PNSt15iterator_traitsISI_E10value_typeET2_T3_PNSJ_ISO_E10value_typeET4_T5_PST_SU_PNS1_23onesweep_lookback_stateEbbT6_jjT7_P12ihipStream_tbENKUlT_T0_SI_SN_E_clIPiSD_S15_SD_EEDaS11_S12_SI_SN_EUlS11_E_NS1_11comp_targetILNS1_3genE9ELNS1_11target_archE1100ELNS1_3gpuE3ELNS1_3repE0EEENS1_47radix_sort_onesweep_sort_config_static_selectorELNS0_4arch9wavefront6targetE1EEEvSI_.uses_flat_scratch, 0
	.set _ZN7rocprim17ROCPRIM_400000_NS6detail17trampoline_kernelINS0_14default_configENS1_35radix_sort_onesweep_config_selectorIiiEEZZNS1_29radix_sort_onesweep_iterationIS3_Lb0EN6thrust23THRUST_200600_302600_NS6detail15normal_iteratorINS8_10device_ptrIiEEEESD_SD_SD_jNS0_19identity_decomposerENS1_16block_id_wrapperIjLb1EEEEE10hipError_tT1_PNSt15iterator_traitsISI_E10value_typeET2_T3_PNSJ_ISO_E10value_typeET4_T5_PST_SU_PNS1_23onesweep_lookback_stateEbbT6_jjT7_P12ihipStream_tbENKUlT_T0_SI_SN_E_clIPiSD_S15_SD_EEDaS11_S12_SI_SN_EUlS11_E_NS1_11comp_targetILNS1_3genE9ELNS1_11target_archE1100ELNS1_3gpuE3ELNS1_3repE0EEENS1_47radix_sort_onesweep_sort_config_static_selectorELNS0_4arch9wavefront6targetE1EEEvSI_.has_dyn_sized_stack, 0
	.set _ZN7rocprim17ROCPRIM_400000_NS6detail17trampoline_kernelINS0_14default_configENS1_35radix_sort_onesweep_config_selectorIiiEEZZNS1_29radix_sort_onesweep_iterationIS3_Lb0EN6thrust23THRUST_200600_302600_NS6detail15normal_iteratorINS8_10device_ptrIiEEEESD_SD_SD_jNS0_19identity_decomposerENS1_16block_id_wrapperIjLb1EEEEE10hipError_tT1_PNSt15iterator_traitsISI_E10value_typeET2_T3_PNSJ_ISO_E10value_typeET4_T5_PST_SU_PNS1_23onesweep_lookback_stateEbbT6_jjT7_P12ihipStream_tbENKUlT_T0_SI_SN_E_clIPiSD_S15_SD_EEDaS11_S12_SI_SN_EUlS11_E_NS1_11comp_targetILNS1_3genE9ELNS1_11target_archE1100ELNS1_3gpuE3ELNS1_3repE0EEENS1_47radix_sort_onesweep_sort_config_static_selectorELNS0_4arch9wavefront6targetE1EEEvSI_.has_recursion, 0
	.set _ZN7rocprim17ROCPRIM_400000_NS6detail17trampoline_kernelINS0_14default_configENS1_35radix_sort_onesweep_config_selectorIiiEEZZNS1_29radix_sort_onesweep_iterationIS3_Lb0EN6thrust23THRUST_200600_302600_NS6detail15normal_iteratorINS8_10device_ptrIiEEEESD_SD_SD_jNS0_19identity_decomposerENS1_16block_id_wrapperIjLb1EEEEE10hipError_tT1_PNSt15iterator_traitsISI_E10value_typeET2_T3_PNSJ_ISO_E10value_typeET4_T5_PST_SU_PNS1_23onesweep_lookback_stateEbbT6_jjT7_P12ihipStream_tbENKUlT_T0_SI_SN_E_clIPiSD_S15_SD_EEDaS11_S12_SI_SN_EUlS11_E_NS1_11comp_targetILNS1_3genE9ELNS1_11target_archE1100ELNS1_3gpuE3ELNS1_3repE0EEENS1_47radix_sort_onesweep_sort_config_static_selectorELNS0_4arch9wavefront6targetE1EEEvSI_.has_indirect_call, 0
	.section	.AMDGPU.csdata,"",@progbits
; Kernel info:
; codeLenInByte = 0
; TotalNumSgprs: 6
; NumVgprs: 0
; NumAgprs: 0
; TotalNumVgprs: 0
; ScratchSize: 0
; MemoryBound: 0
; FloatMode: 240
; IeeeMode: 1
; LDSByteSize: 0 bytes/workgroup (compile time only)
; SGPRBlocks: 0
; VGPRBlocks: 0
; NumSGPRsForWavesPerEU: 6
; NumVGPRsForWavesPerEU: 1
; AccumOffset: 4
; Occupancy: 8
; WaveLimiterHint : 0
; COMPUTE_PGM_RSRC2:SCRATCH_EN: 0
; COMPUTE_PGM_RSRC2:USER_SGPR: 2
; COMPUTE_PGM_RSRC2:TRAP_HANDLER: 0
; COMPUTE_PGM_RSRC2:TGID_X_EN: 1
; COMPUTE_PGM_RSRC2:TGID_Y_EN: 0
; COMPUTE_PGM_RSRC2:TGID_Z_EN: 0
; COMPUTE_PGM_RSRC2:TIDIG_COMP_CNT: 0
; COMPUTE_PGM_RSRC3_GFX90A:ACCUM_OFFSET: 0
; COMPUTE_PGM_RSRC3_GFX90A:TG_SPLIT: 0
	.section	.text._ZN7rocprim17ROCPRIM_400000_NS6detail17trampoline_kernelINS0_14default_configENS1_35radix_sort_onesweep_config_selectorIiiEEZZNS1_29radix_sort_onesweep_iterationIS3_Lb0EN6thrust23THRUST_200600_302600_NS6detail15normal_iteratorINS8_10device_ptrIiEEEESD_SD_SD_jNS0_19identity_decomposerENS1_16block_id_wrapperIjLb1EEEEE10hipError_tT1_PNSt15iterator_traitsISI_E10value_typeET2_T3_PNSJ_ISO_E10value_typeET4_T5_PST_SU_PNS1_23onesweep_lookback_stateEbbT6_jjT7_P12ihipStream_tbENKUlT_T0_SI_SN_E_clIPiSD_S15_SD_EEDaS11_S12_SI_SN_EUlS11_E_NS1_11comp_targetILNS1_3genE8ELNS1_11target_archE1030ELNS1_3gpuE2ELNS1_3repE0EEENS1_47radix_sort_onesweep_sort_config_static_selectorELNS0_4arch9wavefront6targetE1EEEvSI_,"axG",@progbits,_ZN7rocprim17ROCPRIM_400000_NS6detail17trampoline_kernelINS0_14default_configENS1_35radix_sort_onesweep_config_selectorIiiEEZZNS1_29radix_sort_onesweep_iterationIS3_Lb0EN6thrust23THRUST_200600_302600_NS6detail15normal_iteratorINS8_10device_ptrIiEEEESD_SD_SD_jNS0_19identity_decomposerENS1_16block_id_wrapperIjLb1EEEEE10hipError_tT1_PNSt15iterator_traitsISI_E10value_typeET2_T3_PNSJ_ISO_E10value_typeET4_T5_PST_SU_PNS1_23onesweep_lookback_stateEbbT6_jjT7_P12ihipStream_tbENKUlT_T0_SI_SN_E_clIPiSD_S15_SD_EEDaS11_S12_SI_SN_EUlS11_E_NS1_11comp_targetILNS1_3genE8ELNS1_11target_archE1030ELNS1_3gpuE2ELNS1_3repE0EEENS1_47radix_sort_onesweep_sort_config_static_selectorELNS0_4arch9wavefront6targetE1EEEvSI_,comdat
	.protected	_ZN7rocprim17ROCPRIM_400000_NS6detail17trampoline_kernelINS0_14default_configENS1_35radix_sort_onesweep_config_selectorIiiEEZZNS1_29radix_sort_onesweep_iterationIS3_Lb0EN6thrust23THRUST_200600_302600_NS6detail15normal_iteratorINS8_10device_ptrIiEEEESD_SD_SD_jNS0_19identity_decomposerENS1_16block_id_wrapperIjLb1EEEEE10hipError_tT1_PNSt15iterator_traitsISI_E10value_typeET2_T3_PNSJ_ISO_E10value_typeET4_T5_PST_SU_PNS1_23onesweep_lookback_stateEbbT6_jjT7_P12ihipStream_tbENKUlT_T0_SI_SN_E_clIPiSD_S15_SD_EEDaS11_S12_SI_SN_EUlS11_E_NS1_11comp_targetILNS1_3genE8ELNS1_11target_archE1030ELNS1_3gpuE2ELNS1_3repE0EEENS1_47radix_sort_onesweep_sort_config_static_selectorELNS0_4arch9wavefront6targetE1EEEvSI_ ; -- Begin function _ZN7rocprim17ROCPRIM_400000_NS6detail17trampoline_kernelINS0_14default_configENS1_35radix_sort_onesweep_config_selectorIiiEEZZNS1_29radix_sort_onesweep_iterationIS3_Lb0EN6thrust23THRUST_200600_302600_NS6detail15normal_iteratorINS8_10device_ptrIiEEEESD_SD_SD_jNS0_19identity_decomposerENS1_16block_id_wrapperIjLb1EEEEE10hipError_tT1_PNSt15iterator_traitsISI_E10value_typeET2_T3_PNSJ_ISO_E10value_typeET4_T5_PST_SU_PNS1_23onesweep_lookback_stateEbbT6_jjT7_P12ihipStream_tbENKUlT_T0_SI_SN_E_clIPiSD_S15_SD_EEDaS11_S12_SI_SN_EUlS11_E_NS1_11comp_targetILNS1_3genE8ELNS1_11target_archE1030ELNS1_3gpuE2ELNS1_3repE0EEENS1_47radix_sort_onesweep_sort_config_static_selectorELNS0_4arch9wavefront6targetE1EEEvSI_
	.globl	_ZN7rocprim17ROCPRIM_400000_NS6detail17trampoline_kernelINS0_14default_configENS1_35radix_sort_onesweep_config_selectorIiiEEZZNS1_29radix_sort_onesweep_iterationIS3_Lb0EN6thrust23THRUST_200600_302600_NS6detail15normal_iteratorINS8_10device_ptrIiEEEESD_SD_SD_jNS0_19identity_decomposerENS1_16block_id_wrapperIjLb1EEEEE10hipError_tT1_PNSt15iterator_traitsISI_E10value_typeET2_T3_PNSJ_ISO_E10value_typeET4_T5_PST_SU_PNS1_23onesweep_lookback_stateEbbT6_jjT7_P12ihipStream_tbENKUlT_T0_SI_SN_E_clIPiSD_S15_SD_EEDaS11_S12_SI_SN_EUlS11_E_NS1_11comp_targetILNS1_3genE8ELNS1_11target_archE1030ELNS1_3gpuE2ELNS1_3repE0EEENS1_47radix_sort_onesweep_sort_config_static_selectorELNS0_4arch9wavefront6targetE1EEEvSI_
	.p2align	8
	.type	_ZN7rocprim17ROCPRIM_400000_NS6detail17trampoline_kernelINS0_14default_configENS1_35radix_sort_onesweep_config_selectorIiiEEZZNS1_29radix_sort_onesweep_iterationIS3_Lb0EN6thrust23THRUST_200600_302600_NS6detail15normal_iteratorINS8_10device_ptrIiEEEESD_SD_SD_jNS0_19identity_decomposerENS1_16block_id_wrapperIjLb1EEEEE10hipError_tT1_PNSt15iterator_traitsISI_E10value_typeET2_T3_PNSJ_ISO_E10value_typeET4_T5_PST_SU_PNS1_23onesweep_lookback_stateEbbT6_jjT7_P12ihipStream_tbENKUlT_T0_SI_SN_E_clIPiSD_S15_SD_EEDaS11_S12_SI_SN_EUlS11_E_NS1_11comp_targetILNS1_3genE8ELNS1_11target_archE1030ELNS1_3gpuE2ELNS1_3repE0EEENS1_47radix_sort_onesweep_sort_config_static_selectorELNS0_4arch9wavefront6targetE1EEEvSI_,@function
_ZN7rocprim17ROCPRIM_400000_NS6detail17trampoline_kernelINS0_14default_configENS1_35radix_sort_onesweep_config_selectorIiiEEZZNS1_29radix_sort_onesweep_iterationIS3_Lb0EN6thrust23THRUST_200600_302600_NS6detail15normal_iteratorINS8_10device_ptrIiEEEESD_SD_SD_jNS0_19identity_decomposerENS1_16block_id_wrapperIjLb1EEEEE10hipError_tT1_PNSt15iterator_traitsISI_E10value_typeET2_T3_PNSJ_ISO_E10value_typeET4_T5_PST_SU_PNS1_23onesweep_lookback_stateEbbT6_jjT7_P12ihipStream_tbENKUlT_T0_SI_SN_E_clIPiSD_S15_SD_EEDaS11_S12_SI_SN_EUlS11_E_NS1_11comp_targetILNS1_3genE8ELNS1_11target_archE1030ELNS1_3gpuE2ELNS1_3repE0EEENS1_47radix_sort_onesweep_sort_config_static_selectorELNS0_4arch9wavefront6targetE1EEEvSI_: ; @_ZN7rocprim17ROCPRIM_400000_NS6detail17trampoline_kernelINS0_14default_configENS1_35radix_sort_onesweep_config_selectorIiiEEZZNS1_29radix_sort_onesweep_iterationIS3_Lb0EN6thrust23THRUST_200600_302600_NS6detail15normal_iteratorINS8_10device_ptrIiEEEESD_SD_SD_jNS0_19identity_decomposerENS1_16block_id_wrapperIjLb1EEEEE10hipError_tT1_PNSt15iterator_traitsISI_E10value_typeET2_T3_PNSJ_ISO_E10value_typeET4_T5_PST_SU_PNS1_23onesweep_lookback_stateEbbT6_jjT7_P12ihipStream_tbENKUlT_T0_SI_SN_E_clIPiSD_S15_SD_EEDaS11_S12_SI_SN_EUlS11_E_NS1_11comp_targetILNS1_3genE8ELNS1_11target_archE1030ELNS1_3gpuE2ELNS1_3repE0EEENS1_47radix_sort_onesweep_sort_config_static_selectorELNS0_4arch9wavefront6targetE1EEEvSI_
; %bb.0:
	.section	.rodata,"a",@progbits
	.p2align	6, 0x0
	.amdhsa_kernel _ZN7rocprim17ROCPRIM_400000_NS6detail17trampoline_kernelINS0_14default_configENS1_35radix_sort_onesweep_config_selectorIiiEEZZNS1_29radix_sort_onesweep_iterationIS3_Lb0EN6thrust23THRUST_200600_302600_NS6detail15normal_iteratorINS8_10device_ptrIiEEEESD_SD_SD_jNS0_19identity_decomposerENS1_16block_id_wrapperIjLb1EEEEE10hipError_tT1_PNSt15iterator_traitsISI_E10value_typeET2_T3_PNSJ_ISO_E10value_typeET4_T5_PST_SU_PNS1_23onesweep_lookback_stateEbbT6_jjT7_P12ihipStream_tbENKUlT_T0_SI_SN_E_clIPiSD_S15_SD_EEDaS11_S12_SI_SN_EUlS11_E_NS1_11comp_targetILNS1_3genE8ELNS1_11target_archE1030ELNS1_3gpuE2ELNS1_3repE0EEENS1_47radix_sort_onesweep_sort_config_static_selectorELNS0_4arch9wavefront6targetE1EEEvSI_
		.amdhsa_group_segment_fixed_size 0
		.amdhsa_private_segment_fixed_size 0
		.amdhsa_kernarg_size 88
		.amdhsa_user_sgpr_count 2
		.amdhsa_user_sgpr_dispatch_ptr 0
		.amdhsa_user_sgpr_queue_ptr 0
		.amdhsa_user_sgpr_kernarg_segment_ptr 1
		.amdhsa_user_sgpr_dispatch_id 0
		.amdhsa_user_sgpr_kernarg_preload_length 0
		.amdhsa_user_sgpr_kernarg_preload_offset 0
		.amdhsa_user_sgpr_private_segment_size 0
		.amdhsa_uses_dynamic_stack 0
		.amdhsa_enable_private_segment 0
		.amdhsa_system_sgpr_workgroup_id_x 1
		.amdhsa_system_sgpr_workgroup_id_y 0
		.amdhsa_system_sgpr_workgroup_id_z 0
		.amdhsa_system_sgpr_workgroup_info 0
		.amdhsa_system_vgpr_workitem_id 0
		.amdhsa_next_free_vgpr 1
		.amdhsa_next_free_sgpr 0
		.amdhsa_accum_offset 4
		.amdhsa_reserve_vcc 0
		.amdhsa_float_round_mode_32 0
		.amdhsa_float_round_mode_16_64 0
		.amdhsa_float_denorm_mode_32 3
		.amdhsa_float_denorm_mode_16_64 3
		.amdhsa_dx10_clamp 1
		.amdhsa_ieee_mode 1
		.amdhsa_fp16_overflow 0
		.amdhsa_tg_split 0
		.amdhsa_exception_fp_ieee_invalid_op 0
		.amdhsa_exception_fp_denorm_src 0
		.amdhsa_exception_fp_ieee_div_zero 0
		.amdhsa_exception_fp_ieee_overflow 0
		.amdhsa_exception_fp_ieee_underflow 0
		.amdhsa_exception_fp_ieee_inexact 0
		.amdhsa_exception_int_div_zero 0
	.end_amdhsa_kernel
	.section	.text._ZN7rocprim17ROCPRIM_400000_NS6detail17trampoline_kernelINS0_14default_configENS1_35radix_sort_onesweep_config_selectorIiiEEZZNS1_29radix_sort_onesweep_iterationIS3_Lb0EN6thrust23THRUST_200600_302600_NS6detail15normal_iteratorINS8_10device_ptrIiEEEESD_SD_SD_jNS0_19identity_decomposerENS1_16block_id_wrapperIjLb1EEEEE10hipError_tT1_PNSt15iterator_traitsISI_E10value_typeET2_T3_PNSJ_ISO_E10value_typeET4_T5_PST_SU_PNS1_23onesweep_lookback_stateEbbT6_jjT7_P12ihipStream_tbENKUlT_T0_SI_SN_E_clIPiSD_S15_SD_EEDaS11_S12_SI_SN_EUlS11_E_NS1_11comp_targetILNS1_3genE8ELNS1_11target_archE1030ELNS1_3gpuE2ELNS1_3repE0EEENS1_47radix_sort_onesweep_sort_config_static_selectorELNS0_4arch9wavefront6targetE1EEEvSI_,"axG",@progbits,_ZN7rocprim17ROCPRIM_400000_NS6detail17trampoline_kernelINS0_14default_configENS1_35radix_sort_onesweep_config_selectorIiiEEZZNS1_29radix_sort_onesweep_iterationIS3_Lb0EN6thrust23THRUST_200600_302600_NS6detail15normal_iteratorINS8_10device_ptrIiEEEESD_SD_SD_jNS0_19identity_decomposerENS1_16block_id_wrapperIjLb1EEEEE10hipError_tT1_PNSt15iterator_traitsISI_E10value_typeET2_T3_PNSJ_ISO_E10value_typeET4_T5_PST_SU_PNS1_23onesweep_lookback_stateEbbT6_jjT7_P12ihipStream_tbENKUlT_T0_SI_SN_E_clIPiSD_S15_SD_EEDaS11_S12_SI_SN_EUlS11_E_NS1_11comp_targetILNS1_3genE8ELNS1_11target_archE1030ELNS1_3gpuE2ELNS1_3repE0EEENS1_47radix_sort_onesweep_sort_config_static_selectorELNS0_4arch9wavefront6targetE1EEEvSI_,comdat
.Lfunc_end848:
	.size	_ZN7rocprim17ROCPRIM_400000_NS6detail17trampoline_kernelINS0_14default_configENS1_35radix_sort_onesweep_config_selectorIiiEEZZNS1_29radix_sort_onesweep_iterationIS3_Lb0EN6thrust23THRUST_200600_302600_NS6detail15normal_iteratorINS8_10device_ptrIiEEEESD_SD_SD_jNS0_19identity_decomposerENS1_16block_id_wrapperIjLb1EEEEE10hipError_tT1_PNSt15iterator_traitsISI_E10value_typeET2_T3_PNSJ_ISO_E10value_typeET4_T5_PST_SU_PNS1_23onesweep_lookback_stateEbbT6_jjT7_P12ihipStream_tbENKUlT_T0_SI_SN_E_clIPiSD_S15_SD_EEDaS11_S12_SI_SN_EUlS11_E_NS1_11comp_targetILNS1_3genE8ELNS1_11target_archE1030ELNS1_3gpuE2ELNS1_3repE0EEENS1_47radix_sort_onesweep_sort_config_static_selectorELNS0_4arch9wavefront6targetE1EEEvSI_, .Lfunc_end848-_ZN7rocprim17ROCPRIM_400000_NS6detail17trampoline_kernelINS0_14default_configENS1_35radix_sort_onesweep_config_selectorIiiEEZZNS1_29radix_sort_onesweep_iterationIS3_Lb0EN6thrust23THRUST_200600_302600_NS6detail15normal_iteratorINS8_10device_ptrIiEEEESD_SD_SD_jNS0_19identity_decomposerENS1_16block_id_wrapperIjLb1EEEEE10hipError_tT1_PNSt15iterator_traitsISI_E10value_typeET2_T3_PNSJ_ISO_E10value_typeET4_T5_PST_SU_PNS1_23onesweep_lookback_stateEbbT6_jjT7_P12ihipStream_tbENKUlT_T0_SI_SN_E_clIPiSD_S15_SD_EEDaS11_S12_SI_SN_EUlS11_E_NS1_11comp_targetILNS1_3genE8ELNS1_11target_archE1030ELNS1_3gpuE2ELNS1_3repE0EEENS1_47radix_sort_onesweep_sort_config_static_selectorELNS0_4arch9wavefront6targetE1EEEvSI_
                                        ; -- End function
	.set _ZN7rocprim17ROCPRIM_400000_NS6detail17trampoline_kernelINS0_14default_configENS1_35radix_sort_onesweep_config_selectorIiiEEZZNS1_29radix_sort_onesweep_iterationIS3_Lb0EN6thrust23THRUST_200600_302600_NS6detail15normal_iteratorINS8_10device_ptrIiEEEESD_SD_SD_jNS0_19identity_decomposerENS1_16block_id_wrapperIjLb1EEEEE10hipError_tT1_PNSt15iterator_traitsISI_E10value_typeET2_T3_PNSJ_ISO_E10value_typeET4_T5_PST_SU_PNS1_23onesweep_lookback_stateEbbT6_jjT7_P12ihipStream_tbENKUlT_T0_SI_SN_E_clIPiSD_S15_SD_EEDaS11_S12_SI_SN_EUlS11_E_NS1_11comp_targetILNS1_3genE8ELNS1_11target_archE1030ELNS1_3gpuE2ELNS1_3repE0EEENS1_47radix_sort_onesweep_sort_config_static_selectorELNS0_4arch9wavefront6targetE1EEEvSI_.num_vgpr, 0
	.set _ZN7rocprim17ROCPRIM_400000_NS6detail17trampoline_kernelINS0_14default_configENS1_35radix_sort_onesweep_config_selectorIiiEEZZNS1_29radix_sort_onesweep_iterationIS3_Lb0EN6thrust23THRUST_200600_302600_NS6detail15normal_iteratorINS8_10device_ptrIiEEEESD_SD_SD_jNS0_19identity_decomposerENS1_16block_id_wrapperIjLb1EEEEE10hipError_tT1_PNSt15iterator_traitsISI_E10value_typeET2_T3_PNSJ_ISO_E10value_typeET4_T5_PST_SU_PNS1_23onesweep_lookback_stateEbbT6_jjT7_P12ihipStream_tbENKUlT_T0_SI_SN_E_clIPiSD_S15_SD_EEDaS11_S12_SI_SN_EUlS11_E_NS1_11comp_targetILNS1_3genE8ELNS1_11target_archE1030ELNS1_3gpuE2ELNS1_3repE0EEENS1_47radix_sort_onesweep_sort_config_static_selectorELNS0_4arch9wavefront6targetE1EEEvSI_.num_agpr, 0
	.set _ZN7rocprim17ROCPRIM_400000_NS6detail17trampoline_kernelINS0_14default_configENS1_35radix_sort_onesweep_config_selectorIiiEEZZNS1_29radix_sort_onesweep_iterationIS3_Lb0EN6thrust23THRUST_200600_302600_NS6detail15normal_iteratorINS8_10device_ptrIiEEEESD_SD_SD_jNS0_19identity_decomposerENS1_16block_id_wrapperIjLb1EEEEE10hipError_tT1_PNSt15iterator_traitsISI_E10value_typeET2_T3_PNSJ_ISO_E10value_typeET4_T5_PST_SU_PNS1_23onesweep_lookback_stateEbbT6_jjT7_P12ihipStream_tbENKUlT_T0_SI_SN_E_clIPiSD_S15_SD_EEDaS11_S12_SI_SN_EUlS11_E_NS1_11comp_targetILNS1_3genE8ELNS1_11target_archE1030ELNS1_3gpuE2ELNS1_3repE0EEENS1_47radix_sort_onesweep_sort_config_static_selectorELNS0_4arch9wavefront6targetE1EEEvSI_.numbered_sgpr, 0
	.set _ZN7rocprim17ROCPRIM_400000_NS6detail17trampoline_kernelINS0_14default_configENS1_35radix_sort_onesweep_config_selectorIiiEEZZNS1_29radix_sort_onesweep_iterationIS3_Lb0EN6thrust23THRUST_200600_302600_NS6detail15normal_iteratorINS8_10device_ptrIiEEEESD_SD_SD_jNS0_19identity_decomposerENS1_16block_id_wrapperIjLb1EEEEE10hipError_tT1_PNSt15iterator_traitsISI_E10value_typeET2_T3_PNSJ_ISO_E10value_typeET4_T5_PST_SU_PNS1_23onesweep_lookback_stateEbbT6_jjT7_P12ihipStream_tbENKUlT_T0_SI_SN_E_clIPiSD_S15_SD_EEDaS11_S12_SI_SN_EUlS11_E_NS1_11comp_targetILNS1_3genE8ELNS1_11target_archE1030ELNS1_3gpuE2ELNS1_3repE0EEENS1_47radix_sort_onesweep_sort_config_static_selectorELNS0_4arch9wavefront6targetE1EEEvSI_.num_named_barrier, 0
	.set _ZN7rocprim17ROCPRIM_400000_NS6detail17trampoline_kernelINS0_14default_configENS1_35radix_sort_onesweep_config_selectorIiiEEZZNS1_29radix_sort_onesweep_iterationIS3_Lb0EN6thrust23THRUST_200600_302600_NS6detail15normal_iteratorINS8_10device_ptrIiEEEESD_SD_SD_jNS0_19identity_decomposerENS1_16block_id_wrapperIjLb1EEEEE10hipError_tT1_PNSt15iterator_traitsISI_E10value_typeET2_T3_PNSJ_ISO_E10value_typeET4_T5_PST_SU_PNS1_23onesweep_lookback_stateEbbT6_jjT7_P12ihipStream_tbENKUlT_T0_SI_SN_E_clIPiSD_S15_SD_EEDaS11_S12_SI_SN_EUlS11_E_NS1_11comp_targetILNS1_3genE8ELNS1_11target_archE1030ELNS1_3gpuE2ELNS1_3repE0EEENS1_47radix_sort_onesweep_sort_config_static_selectorELNS0_4arch9wavefront6targetE1EEEvSI_.private_seg_size, 0
	.set _ZN7rocprim17ROCPRIM_400000_NS6detail17trampoline_kernelINS0_14default_configENS1_35radix_sort_onesweep_config_selectorIiiEEZZNS1_29radix_sort_onesweep_iterationIS3_Lb0EN6thrust23THRUST_200600_302600_NS6detail15normal_iteratorINS8_10device_ptrIiEEEESD_SD_SD_jNS0_19identity_decomposerENS1_16block_id_wrapperIjLb1EEEEE10hipError_tT1_PNSt15iterator_traitsISI_E10value_typeET2_T3_PNSJ_ISO_E10value_typeET4_T5_PST_SU_PNS1_23onesweep_lookback_stateEbbT6_jjT7_P12ihipStream_tbENKUlT_T0_SI_SN_E_clIPiSD_S15_SD_EEDaS11_S12_SI_SN_EUlS11_E_NS1_11comp_targetILNS1_3genE8ELNS1_11target_archE1030ELNS1_3gpuE2ELNS1_3repE0EEENS1_47radix_sort_onesweep_sort_config_static_selectorELNS0_4arch9wavefront6targetE1EEEvSI_.uses_vcc, 0
	.set _ZN7rocprim17ROCPRIM_400000_NS6detail17trampoline_kernelINS0_14default_configENS1_35radix_sort_onesweep_config_selectorIiiEEZZNS1_29radix_sort_onesweep_iterationIS3_Lb0EN6thrust23THRUST_200600_302600_NS6detail15normal_iteratorINS8_10device_ptrIiEEEESD_SD_SD_jNS0_19identity_decomposerENS1_16block_id_wrapperIjLb1EEEEE10hipError_tT1_PNSt15iterator_traitsISI_E10value_typeET2_T3_PNSJ_ISO_E10value_typeET4_T5_PST_SU_PNS1_23onesweep_lookback_stateEbbT6_jjT7_P12ihipStream_tbENKUlT_T0_SI_SN_E_clIPiSD_S15_SD_EEDaS11_S12_SI_SN_EUlS11_E_NS1_11comp_targetILNS1_3genE8ELNS1_11target_archE1030ELNS1_3gpuE2ELNS1_3repE0EEENS1_47radix_sort_onesweep_sort_config_static_selectorELNS0_4arch9wavefront6targetE1EEEvSI_.uses_flat_scratch, 0
	.set _ZN7rocprim17ROCPRIM_400000_NS6detail17trampoline_kernelINS0_14default_configENS1_35radix_sort_onesweep_config_selectorIiiEEZZNS1_29radix_sort_onesweep_iterationIS3_Lb0EN6thrust23THRUST_200600_302600_NS6detail15normal_iteratorINS8_10device_ptrIiEEEESD_SD_SD_jNS0_19identity_decomposerENS1_16block_id_wrapperIjLb1EEEEE10hipError_tT1_PNSt15iterator_traitsISI_E10value_typeET2_T3_PNSJ_ISO_E10value_typeET4_T5_PST_SU_PNS1_23onesweep_lookback_stateEbbT6_jjT7_P12ihipStream_tbENKUlT_T0_SI_SN_E_clIPiSD_S15_SD_EEDaS11_S12_SI_SN_EUlS11_E_NS1_11comp_targetILNS1_3genE8ELNS1_11target_archE1030ELNS1_3gpuE2ELNS1_3repE0EEENS1_47radix_sort_onesweep_sort_config_static_selectorELNS0_4arch9wavefront6targetE1EEEvSI_.has_dyn_sized_stack, 0
	.set _ZN7rocprim17ROCPRIM_400000_NS6detail17trampoline_kernelINS0_14default_configENS1_35radix_sort_onesweep_config_selectorIiiEEZZNS1_29radix_sort_onesweep_iterationIS3_Lb0EN6thrust23THRUST_200600_302600_NS6detail15normal_iteratorINS8_10device_ptrIiEEEESD_SD_SD_jNS0_19identity_decomposerENS1_16block_id_wrapperIjLb1EEEEE10hipError_tT1_PNSt15iterator_traitsISI_E10value_typeET2_T3_PNSJ_ISO_E10value_typeET4_T5_PST_SU_PNS1_23onesweep_lookback_stateEbbT6_jjT7_P12ihipStream_tbENKUlT_T0_SI_SN_E_clIPiSD_S15_SD_EEDaS11_S12_SI_SN_EUlS11_E_NS1_11comp_targetILNS1_3genE8ELNS1_11target_archE1030ELNS1_3gpuE2ELNS1_3repE0EEENS1_47radix_sort_onesweep_sort_config_static_selectorELNS0_4arch9wavefront6targetE1EEEvSI_.has_recursion, 0
	.set _ZN7rocprim17ROCPRIM_400000_NS6detail17trampoline_kernelINS0_14default_configENS1_35radix_sort_onesweep_config_selectorIiiEEZZNS1_29radix_sort_onesweep_iterationIS3_Lb0EN6thrust23THRUST_200600_302600_NS6detail15normal_iteratorINS8_10device_ptrIiEEEESD_SD_SD_jNS0_19identity_decomposerENS1_16block_id_wrapperIjLb1EEEEE10hipError_tT1_PNSt15iterator_traitsISI_E10value_typeET2_T3_PNSJ_ISO_E10value_typeET4_T5_PST_SU_PNS1_23onesweep_lookback_stateEbbT6_jjT7_P12ihipStream_tbENKUlT_T0_SI_SN_E_clIPiSD_S15_SD_EEDaS11_S12_SI_SN_EUlS11_E_NS1_11comp_targetILNS1_3genE8ELNS1_11target_archE1030ELNS1_3gpuE2ELNS1_3repE0EEENS1_47radix_sort_onesweep_sort_config_static_selectorELNS0_4arch9wavefront6targetE1EEEvSI_.has_indirect_call, 0
	.section	.AMDGPU.csdata,"",@progbits
; Kernel info:
; codeLenInByte = 0
; TotalNumSgprs: 6
; NumVgprs: 0
; NumAgprs: 0
; TotalNumVgprs: 0
; ScratchSize: 0
; MemoryBound: 0
; FloatMode: 240
; IeeeMode: 1
; LDSByteSize: 0 bytes/workgroup (compile time only)
; SGPRBlocks: 0
; VGPRBlocks: 0
; NumSGPRsForWavesPerEU: 6
; NumVGPRsForWavesPerEU: 1
; AccumOffset: 4
; Occupancy: 8
; WaveLimiterHint : 0
; COMPUTE_PGM_RSRC2:SCRATCH_EN: 0
; COMPUTE_PGM_RSRC2:USER_SGPR: 2
; COMPUTE_PGM_RSRC2:TRAP_HANDLER: 0
; COMPUTE_PGM_RSRC2:TGID_X_EN: 1
; COMPUTE_PGM_RSRC2:TGID_Y_EN: 0
; COMPUTE_PGM_RSRC2:TGID_Z_EN: 0
; COMPUTE_PGM_RSRC2:TIDIG_COMP_CNT: 0
; COMPUTE_PGM_RSRC3_GFX90A:ACCUM_OFFSET: 0
; COMPUTE_PGM_RSRC3_GFX90A:TG_SPLIT: 0
	.section	.text._ZN7rocprim17ROCPRIM_400000_NS6detail17trampoline_kernelINS0_14default_configENS1_35radix_sort_onesweep_config_selectorIiiEEZZNS1_29radix_sort_onesweep_iterationIS3_Lb0EN6thrust23THRUST_200600_302600_NS6detail15normal_iteratorINS8_10device_ptrIiEEEESD_SD_SD_jNS0_19identity_decomposerENS1_16block_id_wrapperIjLb0EEEEE10hipError_tT1_PNSt15iterator_traitsISI_E10value_typeET2_T3_PNSJ_ISO_E10value_typeET4_T5_PST_SU_PNS1_23onesweep_lookback_stateEbbT6_jjT7_P12ihipStream_tbENKUlT_T0_SI_SN_E_clISD_SD_SD_SD_EEDaS11_S12_SI_SN_EUlS11_E_NS1_11comp_targetILNS1_3genE0ELNS1_11target_archE4294967295ELNS1_3gpuE0ELNS1_3repE0EEENS1_47radix_sort_onesweep_sort_config_static_selectorELNS0_4arch9wavefront6targetE1EEEvSI_,"axG",@progbits,_ZN7rocprim17ROCPRIM_400000_NS6detail17trampoline_kernelINS0_14default_configENS1_35radix_sort_onesweep_config_selectorIiiEEZZNS1_29radix_sort_onesweep_iterationIS3_Lb0EN6thrust23THRUST_200600_302600_NS6detail15normal_iteratorINS8_10device_ptrIiEEEESD_SD_SD_jNS0_19identity_decomposerENS1_16block_id_wrapperIjLb0EEEEE10hipError_tT1_PNSt15iterator_traitsISI_E10value_typeET2_T3_PNSJ_ISO_E10value_typeET4_T5_PST_SU_PNS1_23onesweep_lookback_stateEbbT6_jjT7_P12ihipStream_tbENKUlT_T0_SI_SN_E_clISD_SD_SD_SD_EEDaS11_S12_SI_SN_EUlS11_E_NS1_11comp_targetILNS1_3genE0ELNS1_11target_archE4294967295ELNS1_3gpuE0ELNS1_3repE0EEENS1_47radix_sort_onesweep_sort_config_static_selectorELNS0_4arch9wavefront6targetE1EEEvSI_,comdat
	.protected	_ZN7rocprim17ROCPRIM_400000_NS6detail17trampoline_kernelINS0_14default_configENS1_35radix_sort_onesweep_config_selectorIiiEEZZNS1_29radix_sort_onesweep_iterationIS3_Lb0EN6thrust23THRUST_200600_302600_NS6detail15normal_iteratorINS8_10device_ptrIiEEEESD_SD_SD_jNS0_19identity_decomposerENS1_16block_id_wrapperIjLb0EEEEE10hipError_tT1_PNSt15iterator_traitsISI_E10value_typeET2_T3_PNSJ_ISO_E10value_typeET4_T5_PST_SU_PNS1_23onesweep_lookback_stateEbbT6_jjT7_P12ihipStream_tbENKUlT_T0_SI_SN_E_clISD_SD_SD_SD_EEDaS11_S12_SI_SN_EUlS11_E_NS1_11comp_targetILNS1_3genE0ELNS1_11target_archE4294967295ELNS1_3gpuE0ELNS1_3repE0EEENS1_47radix_sort_onesweep_sort_config_static_selectorELNS0_4arch9wavefront6targetE1EEEvSI_ ; -- Begin function _ZN7rocprim17ROCPRIM_400000_NS6detail17trampoline_kernelINS0_14default_configENS1_35radix_sort_onesweep_config_selectorIiiEEZZNS1_29radix_sort_onesweep_iterationIS3_Lb0EN6thrust23THRUST_200600_302600_NS6detail15normal_iteratorINS8_10device_ptrIiEEEESD_SD_SD_jNS0_19identity_decomposerENS1_16block_id_wrapperIjLb0EEEEE10hipError_tT1_PNSt15iterator_traitsISI_E10value_typeET2_T3_PNSJ_ISO_E10value_typeET4_T5_PST_SU_PNS1_23onesweep_lookback_stateEbbT6_jjT7_P12ihipStream_tbENKUlT_T0_SI_SN_E_clISD_SD_SD_SD_EEDaS11_S12_SI_SN_EUlS11_E_NS1_11comp_targetILNS1_3genE0ELNS1_11target_archE4294967295ELNS1_3gpuE0ELNS1_3repE0EEENS1_47radix_sort_onesweep_sort_config_static_selectorELNS0_4arch9wavefront6targetE1EEEvSI_
	.globl	_ZN7rocprim17ROCPRIM_400000_NS6detail17trampoline_kernelINS0_14default_configENS1_35radix_sort_onesweep_config_selectorIiiEEZZNS1_29radix_sort_onesweep_iterationIS3_Lb0EN6thrust23THRUST_200600_302600_NS6detail15normal_iteratorINS8_10device_ptrIiEEEESD_SD_SD_jNS0_19identity_decomposerENS1_16block_id_wrapperIjLb0EEEEE10hipError_tT1_PNSt15iterator_traitsISI_E10value_typeET2_T3_PNSJ_ISO_E10value_typeET4_T5_PST_SU_PNS1_23onesweep_lookback_stateEbbT6_jjT7_P12ihipStream_tbENKUlT_T0_SI_SN_E_clISD_SD_SD_SD_EEDaS11_S12_SI_SN_EUlS11_E_NS1_11comp_targetILNS1_3genE0ELNS1_11target_archE4294967295ELNS1_3gpuE0ELNS1_3repE0EEENS1_47radix_sort_onesweep_sort_config_static_selectorELNS0_4arch9wavefront6targetE1EEEvSI_
	.p2align	8
	.type	_ZN7rocprim17ROCPRIM_400000_NS6detail17trampoline_kernelINS0_14default_configENS1_35radix_sort_onesweep_config_selectorIiiEEZZNS1_29radix_sort_onesweep_iterationIS3_Lb0EN6thrust23THRUST_200600_302600_NS6detail15normal_iteratorINS8_10device_ptrIiEEEESD_SD_SD_jNS0_19identity_decomposerENS1_16block_id_wrapperIjLb0EEEEE10hipError_tT1_PNSt15iterator_traitsISI_E10value_typeET2_T3_PNSJ_ISO_E10value_typeET4_T5_PST_SU_PNS1_23onesweep_lookback_stateEbbT6_jjT7_P12ihipStream_tbENKUlT_T0_SI_SN_E_clISD_SD_SD_SD_EEDaS11_S12_SI_SN_EUlS11_E_NS1_11comp_targetILNS1_3genE0ELNS1_11target_archE4294967295ELNS1_3gpuE0ELNS1_3repE0EEENS1_47radix_sort_onesweep_sort_config_static_selectorELNS0_4arch9wavefront6targetE1EEEvSI_,@function
_ZN7rocprim17ROCPRIM_400000_NS6detail17trampoline_kernelINS0_14default_configENS1_35radix_sort_onesweep_config_selectorIiiEEZZNS1_29radix_sort_onesweep_iterationIS3_Lb0EN6thrust23THRUST_200600_302600_NS6detail15normal_iteratorINS8_10device_ptrIiEEEESD_SD_SD_jNS0_19identity_decomposerENS1_16block_id_wrapperIjLb0EEEEE10hipError_tT1_PNSt15iterator_traitsISI_E10value_typeET2_T3_PNSJ_ISO_E10value_typeET4_T5_PST_SU_PNS1_23onesweep_lookback_stateEbbT6_jjT7_P12ihipStream_tbENKUlT_T0_SI_SN_E_clISD_SD_SD_SD_EEDaS11_S12_SI_SN_EUlS11_E_NS1_11comp_targetILNS1_3genE0ELNS1_11target_archE4294967295ELNS1_3gpuE0ELNS1_3repE0EEENS1_47radix_sort_onesweep_sort_config_static_selectorELNS0_4arch9wavefront6targetE1EEEvSI_: ; @_ZN7rocprim17ROCPRIM_400000_NS6detail17trampoline_kernelINS0_14default_configENS1_35radix_sort_onesweep_config_selectorIiiEEZZNS1_29radix_sort_onesweep_iterationIS3_Lb0EN6thrust23THRUST_200600_302600_NS6detail15normal_iteratorINS8_10device_ptrIiEEEESD_SD_SD_jNS0_19identity_decomposerENS1_16block_id_wrapperIjLb0EEEEE10hipError_tT1_PNSt15iterator_traitsISI_E10value_typeET2_T3_PNSJ_ISO_E10value_typeET4_T5_PST_SU_PNS1_23onesweep_lookback_stateEbbT6_jjT7_P12ihipStream_tbENKUlT_T0_SI_SN_E_clISD_SD_SD_SD_EEDaS11_S12_SI_SN_EUlS11_E_NS1_11comp_targetILNS1_3genE0ELNS1_11target_archE4294967295ELNS1_3gpuE0ELNS1_3repE0EEENS1_47radix_sort_onesweep_sort_config_static_selectorELNS0_4arch9wavefront6targetE1EEEvSI_
; %bb.0:
	.section	.rodata,"a",@progbits
	.p2align	6, 0x0
	.amdhsa_kernel _ZN7rocprim17ROCPRIM_400000_NS6detail17trampoline_kernelINS0_14default_configENS1_35radix_sort_onesweep_config_selectorIiiEEZZNS1_29radix_sort_onesweep_iterationIS3_Lb0EN6thrust23THRUST_200600_302600_NS6detail15normal_iteratorINS8_10device_ptrIiEEEESD_SD_SD_jNS0_19identity_decomposerENS1_16block_id_wrapperIjLb0EEEEE10hipError_tT1_PNSt15iterator_traitsISI_E10value_typeET2_T3_PNSJ_ISO_E10value_typeET4_T5_PST_SU_PNS1_23onesweep_lookback_stateEbbT6_jjT7_P12ihipStream_tbENKUlT_T0_SI_SN_E_clISD_SD_SD_SD_EEDaS11_S12_SI_SN_EUlS11_E_NS1_11comp_targetILNS1_3genE0ELNS1_11target_archE4294967295ELNS1_3gpuE0ELNS1_3repE0EEENS1_47radix_sort_onesweep_sort_config_static_selectorELNS0_4arch9wavefront6targetE1EEEvSI_
		.amdhsa_group_segment_fixed_size 0
		.amdhsa_private_segment_fixed_size 0
		.amdhsa_kernarg_size 88
		.amdhsa_user_sgpr_count 2
		.amdhsa_user_sgpr_dispatch_ptr 0
		.amdhsa_user_sgpr_queue_ptr 0
		.amdhsa_user_sgpr_kernarg_segment_ptr 1
		.amdhsa_user_sgpr_dispatch_id 0
		.amdhsa_user_sgpr_kernarg_preload_length 0
		.amdhsa_user_sgpr_kernarg_preload_offset 0
		.amdhsa_user_sgpr_private_segment_size 0
		.amdhsa_uses_dynamic_stack 0
		.amdhsa_enable_private_segment 0
		.amdhsa_system_sgpr_workgroup_id_x 1
		.amdhsa_system_sgpr_workgroup_id_y 0
		.amdhsa_system_sgpr_workgroup_id_z 0
		.amdhsa_system_sgpr_workgroup_info 0
		.amdhsa_system_vgpr_workitem_id 0
		.amdhsa_next_free_vgpr 1
		.amdhsa_next_free_sgpr 0
		.amdhsa_accum_offset 4
		.amdhsa_reserve_vcc 0
		.amdhsa_float_round_mode_32 0
		.amdhsa_float_round_mode_16_64 0
		.amdhsa_float_denorm_mode_32 3
		.amdhsa_float_denorm_mode_16_64 3
		.amdhsa_dx10_clamp 1
		.amdhsa_ieee_mode 1
		.amdhsa_fp16_overflow 0
		.amdhsa_tg_split 0
		.amdhsa_exception_fp_ieee_invalid_op 0
		.amdhsa_exception_fp_denorm_src 0
		.amdhsa_exception_fp_ieee_div_zero 0
		.amdhsa_exception_fp_ieee_overflow 0
		.amdhsa_exception_fp_ieee_underflow 0
		.amdhsa_exception_fp_ieee_inexact 0
		.amdhsa_exception_int_div_zero 0
	.end_amdhsa_kernel
	.section	.text._ZN7rocprim17ROCPRIM_400000_NS6detail17trampoline_kernelINS0_14default_configENS1_35radix_sort_onesweep_config_selectorIiiEEZZNS1_29radix_sort_onesweep_iterationIS3_Lb0EN6thrust23THRUST_200600_302600_NS6detail15normal_iteratorINS8_10device_ptrIiEEEESD_SD_SD_jNS0_19identity_decomposerENS1_16block_id_wrapperIjLb0EEEEE10hipError_tT1_PNSt15iterator_traitsISI_E10value_typeET2_T3_PNSJ_ISO_E10value_typeET4_T5_PST_SU_PNS1_23onesweep_lookback_stateEbbT6_jjT7_P12ihipStream_tbENKUlT_T0_SI_SN_E_clISD_SD_SD_SD_EEDaS11_S12_SI_SN_EUlS11_E_NS1_11comp_targetILNS1_3genE0ELNS1_11target_archE4294967295ELNS1_3gpuE0ELNS1_3repE0EEENS1_47radix_sort_onesweep_sort_config_static_selectorELNS0_4arch9wavefront6targetE1EEEvSI_,"axG",@progbits,_ZN7rocprim17ROCPRIM_400000_NS6detail17trampoline_kernelINS0_14default_configENS1_35radix_sort_onesweep_config_selectorIiiEEZZNS1_29radix_sort_onesweep_iterationIS3_Lb0EN6thrust23THRUST_200600_302600_NS6detail15normal_iteratorINS8_10device_ptrIiEEEESD_SD_SD_jNS0_19identity_decomposerENS1_16block_id_wrapperIjLb0EEEEE10hipError_tT1_PNSt15iterator_traitsISI_E10value_typeET2_T3_PNSJ_ISO_E10value_typeET4_T5_PST_SU_PNS1_23onesweep_lookback_stateEbbT6_jjT7_P12ihipStream_tbENKUlT_T0_SI_SN_E_clISD_SD_SD_SD_EEDaS11_S12_SI_SN_EUlS11_E_NS1_11comp_targetILNS1_3genE0ELNS1_11target_archE4294967295ELNS1_3gpuE0ELNS1_3repE0EEENS1_47radix_sort_onesweep_sort_config_static_selectorELNS0_4arch9wavefront6targetE1EEEvSI_,comdat
.Lfunc_end849:
	.size	_ZN7rocprim17ROCPRIM_400000_NS6detail17trampoline_kernelINS0_14default_configENS1_35radix_sort_onesweep_config_selectorIiiEEZZNS1_29radix_sort_onesweep_iterationIS3_Lb0EN6thrust23THRUST_200600_302600_NS6detail15normal_iteratorINS8_10device_ptrIiEEEESD_SD_SD_jNS0_19identity_decomposerENS1_16block_id_wrapperIjLb0EEEEE10hipError_tT1_PNSt15iterator_traitsISI_E10value_typeET2_T3_PNSJ_ISO_E10value_typeET4_T5_PST_SU_PNS1_23onesweep_lookback_stateEbbT6_jjT7_P12ihipStream_tbENKUlT_T0_SI_SN_E_clISD_SD_SD_SD_EEDaS11_S12_SI_SN_EUlS11_E_NS1_11comp_targetILNS1_3genE0ELNS1_11target_archE4294967295ELNS1_3gpuE0ELNS1_3repE0EEENS1_47radix_sort_onesweep_sort_config_static_selectorELNS0_4arch9wavefront6targetE1EEEvSI_, .Lfunc_end849-_ZN7rocprim17ROCPRIM_400000_NS6detail17trampoline_kernelINS0_14default_configENS1_35radix_sort_onesweep_config_selectorIiiEEZZNS1_29radix_sort_onesweep_iterationIS3_Lb0EN6thrust23THRUST_200600_302600_NS6detail15normal_iteratorINS8_10device_ptrIiEEEESD_SD_SD_jNS0_19identity_decomposerENS1_16block_id_wrapperIjLb0EEEEE10hipError_tT1_PNSt15iterator_traitsISI_E10value_typeET2_T3_PNSJ_ISO_E10value_typeET4_T5_PST_SU_PNS1_23onesweep_lookback_stateEbbT6_jjT7_P12ihipStream_tbENKUlT_T0_SI_SN_E_clISD_SD_SD_SD_EEDaS11_S12_SI_SN_EUlS11_E_NS1_11comp_targetILNS1_3genE0ELNS1_11target_archE4294967295ELNS1_3gpuE0ELNS1_3repE0EEENS1_47radix_sort_onesweep_sort_config_static_selectorELNS0_4arch9wavefront6targetE1EEEvSI_
                                        ; -- End function
	.set _ZN7rocprim17ROCPRIM_400000_NS6detail17trampoline_kernelINS0_14default_configENS1_35radix_sort_onesweep_config_selectorIiiEEZZNS1_29radix_sort_onesweep_iterationIS3_Lb0EN6thrust23THRUST_200600_302600_NS6detail15normal_iteratorINS8_10device_ptrIiEEEESD_SD_SD_jNS0_19identity_decomposerENS1_16block_id_wrapperIjLb0EEEEE10hipError_tT1_PNSt15iterator_traitsISI_E10value_typeET2_T3_PNSJ_ISO_E10value_typeET4_T5_PST_SU_PNS1_23onesweep_lookback_stateEbbT6_jjT7_P12ihipStream_tbENKUlT_T0_SI_SN_E_clISD_SD_SD_SD_EEDaS11_S12_SI_SN_EUlS11_E_NS1_11comp_targetILNS1_3genE0ELNS1_11target_archE4294967295ELNS1_3gpuE0ELNS1_3repE0EEENS1_47radix_sort_onesweep_sort_config_static_selectorELNS0_4arch9wavefront6targetE1EEEvSI_.num_vgpr, 0
	.set _ZN7rocprim17ROCPRIM_400000_NS6detail17trampoline_kernelINS0_14default_configENS1_35radix_sort_onesweep_config_selectorIiiEEZZNS1_29radix_sort_onesweep_iterationIS3_Lb0EN6thrust23THRUST_200600_302600_NS6detail15normal_iteratorINS8_10device_ptrIiEEEESD_SD_SD_jNS0_19identity_decomposerENS1_16block_id_wrapperIjLb0EEEEE10hipError_tT1_PNSt15iterator_traitsISI_E10value_typeET2_T3_PNSJ_ISO_E10value_typeET4_T5_PST_SU_PNS1_23onesweep_lookback_stateEbbT6_jjT7_P12ihipStream_tbENKUlT_T0_SI_SN_E_clISD_SD_SD_SD_EEDaS11_S12_SI_SN_EUlS11_E_NS1_11comp_targetILNS1_3genE0ELNS1_11target_archE4294967295ELNS1_3gpuE0ELNS1_3repE0EEENS1_47radix_sort_onesweep_sort_config_static_selectorELNS0_4arch9wavefront6targetE1EEEvSI_.num_agpr, 0
	.set _ZN7rocprim17ROCPRIM_400000_NS6detail17trampoline_kernelINS0_14default_configENS1_35radix_sort_onesweep_config_selectorIiiEEZZNS1_29radix_sort_onesweep_iterationIS3_Lb0EN6thrust23THRUST_200600_302600_NS6detail15normal_iteratorINS8_10device_ptrIiEEEESD_SD_SD_jNS0_19identity_decomposerENS1_16block_id_wrapperIjLb0EEEEE10hipError_tT1_PNSt15iterator_traitsISI_E10value_typeET2_T3_PNSJ_ISO_E10value_typeET4_T5_PST_SU_PNS1_23onesweep_lookback_stateEbbT6_jjT7_P12ihipStream_tbENKUlT_T0_SI_SN_E_clISD_SD_SD_SD_EEDaS11_S12_SI_SN_EUlS11_E_NS1_11comp_targetILNS1_3genE0ELNS1_11target_archE4294967295ELNS1_3gpuE0ELNS1_3repE0EEENS1_47radix_sort_onesweep_sort_config_static_selectorELNS0_4arch9wavefront6targetE1EEEvSI_.numbered_sgpr, 0
	.set _ZN7rocprim17ROCPRIM_400000_NS6detail17trampoline_kernelINS0_14default_configENS1_35radix_sort_onesweep_config_selectorIiiEEZZNS1_29radix_sort_onesweep_iterationIS3_Lb0EN6thrust23THRUST_200600_302600_NS6detail15normal_iteratorINS8_10device_ptrIiEEEESD_SD_SD_jNS0_19identity_decomposerENS1_16block_id_wrapperIjLb0EEEEE10hipError_tT1_PNSt15iterator_traitsISI_E10value_typeET2_T3_PNSJ_ISO_E10value_typeET4_T5_PST_SU_PNS1_23onesweep_lookback_stateEbbT6_jjT7_P12ihipStream_tbENKUlT_T0_SI_SN_E_clISD_SD_SD_SD_EEDaS11_S12_SI_SN_EUlS11_E_NS1_11comp_targetILNS1_3genE0ELNS1_11target_archE4294967295ELNS1_3gpuE0ELNS1_3repE0EEENS1_47radix_sort_onesweep_sort_config_static_selectorELNS0_4arch9wavefront6targetE1EEEvSI_.num_named_barrier, 0
	.set _ZN7rocprim17ROCPRIM_400000_NS6detail17trampoline_kernelINS0_14default_configENS1_35radix_sort_onesweep_config_selectorIiiEEZZNS1_29radix_sort_onesweep_iterationIS3_Lb0EN6thrust23THRUST_200600_302600_NS6detail15normal_iteratorINS8_10device_ptrIiEEEESD_SD_SD_jNS0_19identity_decomposerENS1_16block_id_wrapperIjLb0EEEEE10hipError_tT1_PNSt15iterator_traitsISI_E10value_typeET2_T3_PNSJ_ISO_E10value_typeET4_T5_PST_SU_PNS1_23onesweep_lookback_stateEbbT6_jjT7_P12ihipStream_tbENKUlT_T0_SI_SN_E_clISD_SD_SD_SD_EEDaS11_S12_SI_SN_EUlS11_E_NS1_11comp_targetILNS1_3genE0ELNS1_11target_archE4294967295ELNS1_3gpuE0ELNS1_3repE0EEENS1_47radix_sort_onesweep_sort_config_static_selectorELNS0_4arch9wavefront6targetE1EEEvSI_.private_seg_size, 0
	.set _ZN7rocprim17ROCPRIM_400000_NS6detail17trampoline_kernelINS0_14default_configENS1_35radix_sort_onesweep_config_selectorIiiEEZZNS1_29radix_sort_onesweep_iterationIS3_Lb0EN6thrust23THRUST_200600_302600_NS6detail15normal_iteratorINS8_10device_ptrIiEEEESD_SD_SD_jNS0_19identity_decomposerENS1_16block_id_wrapperIjLb0EEEEE10hipError_tT1_PNSt15iterator_traitsISI_E10value_typeET2_T3_PNSJ_ISO_E10value_typeET4_T5_PST_SU_PNS1_23onesweep_lookback_stateEbbT6_jjT7_P12ihipStream_tbENKUlT_T0_SI_SN_E_clISD_SD_SD_SD_EEDaS11_S12_SI_SN_EUlS11_E_NS1_11comp_targetILNS1_3genE0ELNS1_11target_archE4294967295ELNS1_3gpuE0ELNS1_3repE0EEENS1_47radix_sort_onesweep_sort_config_static_selectorELNS0_4arch9wavefront6targetE1EEEvSI_.uses_vcc, 0
	.set _ZN7rocprim17ROCPRIM_400000_NS6detail17trampoline_kernelINS0_14default_configENS1_35radix_sort_onesweep_config_selectorIiiEEZZNS1_29radix_sort_onesweep_iterationIS3_Lb0EN6thrust23THRUST_200600_302600_NS6detail15normal_iteratorINS8_10device_ptrIiEEEESD_SD_SD_jNS0_19identity_decomposerENS1_16block_id_wrapperIjLb0EEEEE10hipError_tT1_PNSt15iterator_traitsISI_E10value_typeET2_T3_PNSJ_ISO_E10value_typeET4_T5_PST_SU_PNS1_23onesweep_lookback_stateEbbT6_jjT7_P12ihipStream_tbENKUlT_T0_SI_SN_E_clISD_SD_SD_SD_EEDaS11_S12_SI_SN_EUlS11_E_NS1_11comp_targetILNS1_3genE0ELNS1_11target_archE4294967295ELNS1_3gpuE0ELNS1_3repE0EEENS1_47radix_sort_onesweep_sort_config_static_selectorELNS0_4arch9wavefront6targetE1EEEvSI_.uses_flat_scratch, 0
	.set _ZN7rocprim17ROCPRIM_400000_NS6detail17trampoline_kernelINS0_14default_configENS1_35radix_sort_onesweep_config_selectorIiiEEZZNS1_29radix_sort_onesweep_iterationIS3_Lb0EN6thrust23THRUST_200600_302600_NS6detail15normal_iteratorINS8_10device_ptrIiEEEESD_SD_SD_jNS0_19identity_decomposerENS1_16block_id_wrapperIjLb0EEEEE10hipError_tT1_PNSt15iterator_traitsISI_E10value_typeET2_T3_PNSJ_ISO_E10value_typeET4_T5_PST_SU_PNS1_23onesweep_lookback_stateEbbT6_jjT7_P12ihipStream_tbENKUlT_T0_SI_SN_E_clISD_SD_SD_SD_EEDaS11_S12_SI_SN_EUlS11_E_NS1_11comp_targetILNS1_3genE0ELNS1_11target_archE4294967295ELNS1_3gpuE0ELNS1_3repE0EEENS1_47radix_sort_onesweep_sort_config_static_selectorELNS0_4arch9wavefront6targetE1EEEvSI_.has_dyn_sized_stack, 0
	.set _ZN7rocprim17ROCPRIM_400000_NS6detail17trampoline_kernelINS0_14default_configENS1_35radix_sort_onesweep_config_selectorIiiEEZZNS1_29radix_sort_onesweep_iterationIS3_Lb0EN6thrust23THRUST_200600_302600_NS6detail15normal_iteratorINS8_10device_ptrIiEEEESD_SD_SD_jNS0_19identity_decomposerENS1_16block_id_wrapperIjLb0EEEEE10hipError_tT1_PNSt15iterator_traitsISI_E10value_typeET2_T3_PNSJ_ISO_E10value_typeET4_T5_PST_SU_PNS1_23onesweep_lookback_stateEbbT6_jjT7_P12ihipStream_tbENKUlT_T0_SI_SN_E_clISD_SD_SD_SD_EEDaS11_S12_SI_SN_EUlS11_E_NS1_11comp_targetILNS1_3genE0ELNS1_11target_archE4294967295ELNS1_3gpuE0ELNS1_3repE0EEENS1_47radix_sort_onesweep_sort_config_static_selectorELNS0_4arch9wavefront6targetE1EEEvSI_.has_recursion, 0
	.set _ZN7rocprim17ROCPRIM_400000_NS6detail17trampoline_kernelINS0_14default_configENS1_35radix_sort_onesweep_config_selectorIiiEEZZNS1_29radix_sort_onesweep_iterationIS3_Lb0EN6thrust23THRUST_200600_302600_NS6detail15normal_iteratorINS8_10device_ptrIiEEEESD_SD_SD_jNS0_19identity_decomposerENS1_16block_id_wrapperIjLb0EEEEE10hipError_tT1_PNSt15iterator_traitsISI_E10value_typeET2_T3_PNSJ_ISO_E10value_typeET4_T5_PST_SU_PNS1_23onesweep_lookback_stateEbbT6_jjT7_P12ihipStream_tbENKUlT_T0_SI_SN_E_clISD_SD_SD_SD_EEDaS11_S12_SI_SN_EUlS11_E_NS1_11comp_targetILNS1_3genE0ELNS1_11target_archE4294967295ELNS1_3gpuE0ELNS1_3repE0EEENS1_47radix_sort_onesweep_sort_config_static_selectorELNS0_4arch9wavefront6targetE1EEEvSI_.has_indirect_call, 0
	.section	.AMDGPU.csdata,"",@progbits
; Kernel info:
; codeLenInByte = 0
; TotalNumSgprs: 6
; NumVgprs: 0
; NumAgprs: 0
; TotalNumVgprs: 0
; ScratchSize: 0
; MemoryBound: 0
; FloatMode: 240
; IeeeMode: 1
; LDSByteSize: 0 bytes/workgroup (compile time only)
; SGPRBlocks: 0
; VGPRBlocks: 0
; NumSGPRsForWavesPerEU: 6
; NumVGPRsForWavesPerEU: 1
; AccumOffset: 4
; Occupancy: 8
; WaveLimiterHint : 0
; COMPUTE_PGM_RSRC2:SCRATCH_EN: 0
; COMPUTE_PGM_RSRC2:USER_SGPR: 2
; COMPUTE_PGM_RSRC2:TRAP_HANDLER: 0
; COMPUTE_PGM_RSRC2:TGID_X_EN: 1
; COMPUTE_PGM_RSRC2:TGID_Y_EN: 0
; COMPUTE_PGM_RSRC2:TGID_Z_EN: 0
; COMPUTE_PGM_RSRC2:TIDIG_COMP_CNT: 0
; COMPUTE_PGM_RSRC3_GFX90A:ACCUM_OFFSET: 0
; COMPUTE_PGM_RSRC3_GFX90A:TG_SPLIT: 0
	.section	.text._ZN7rocprim17ROCPRIM_400000_NS6detail17trampoline_kernelINS0_14default_configENS1_35radix_sort_onesweep_config_selectorIiiEEZZNS1_29radix_sort_onesweep_iterationIS3_Lb0EN6thrust23THRUST_200600_302600_NS6detail15normal_iteratorINS8_10device_ptrIiEEEESD_SD_SD_jNS0_19identity_decomposerENS1_16block_id_wrapperIjLb0EEEEE10hipError_tT1_PNSt15iterator_traitsISI_E10value_typeET2_T3_PNSJ_ISO_E10value_typeET4_T5_PST_SU_PNS1_23onesweep_lookback_stateEbbT6_jjT7_P12ihipStream_tbENKUlT_T0_SI_SN_E_clISD_SD_SD_SD_EEDaS11_S12_SI_SN_EUlS11_E_NS1_11comp_targetILNS1_3genE6ELNS1_11target_archE950ELNS1_3gpuE13ELNS1_3repE0EEENS1_47radix_sort_onesweep_sort_config_static_selectorELNS0_4arch9wavefront6targetE1EEEvSI_,"axG",@progbits,_ZN7rocprim17ROCPRIM_400000_NS6detail17trampoline_kernelINS0_14default_configENS1_35radix_sort_onesweep_config_selectorIiiEEZZNS1_29radix_sort_onesweep_iterationIS3_Lb0EN6thrust23THRUST_200600_302600_NS6detail15normal_iteratorINS8_10device_ptrIiEEEESD_SD_SD_jNS0_19identity_decomposerENS1_16block_id_wrapperIjLb0EEEEE10hipError_tT1_PNSt15iterator_traitsISI_E10value_typeET2_T3_PNSJ_ISO_E10value_typeET4_T5_PST_SU_PNS1_23onesweep_lookback_stateEbbT6_jjT7_P12ihipStream_tbENKUlT_T0_SI_SN_E_clISD_SD_SD_SD_EEDaS11_S12_SI_SN_EUlS11_E_NS1_11comp_targetILNS1_3genE6ELNS1_11target_archE950ELNS1_3gpuE13ELNS1_3repE0EEENS1_47radix_sort_onesweep_sort_config_static_selectorELNS0_4arch9wavefront6targetE1EEEvSI_,comdat
	.protected	_ZN7rocprim17ROCPRIM_400000_NS6detail17trampoline_kernelINS0_14default_configENS1_35radix_sort_onesweep_config_selectorIiiEEZZNS1_29radix_sort_onesweep_iterationIS3_Lb0EN6thrust23THRUST_200600_302600_NS6detail15normal_iteratorINS8_10device_ptrIiEEEESD_SD_SD_jNS0_19identity_decomposerENS1_16block_id_wrapperIjLb0EEEEE10hipError_tT1_PNSt15iterator_traitsISI_E10value_typeET2_T3_PNSJ_ISO_E10value_typeET4_T5_PST_SU_PNS1_23onesweep_lookback_stateEbbT6_jjT7_P12ihipStream_tbENKUlT_T0_SI_SN_E_clISD_SD_SD_SD_EEDaS11_S12_SI_SN_EUlS11_E_NS1_11comp_targetILNS1_3genE6ELNS1_11target_archE950ELNS1_3gpuE13ELNS1_3repE0EEENS1_47radix_sort_onesweep_sort_config_static_selectorELNS0_4arch9wavefront6targetE1EEEvSI_ ; -- Begin function _ZN7rocprim17ROCPRIM_400000_NS6detail17trampoline_kernelINS0_14default_configENS1_35radix_sort_onesweep_config_selectorIiiEEZZNS1_29radix_sort_onesweep_iterationIS3_Lb0EN6thrust23THRUST_200600_302600_NS6detail15normal_iteratorINS8_10device_ptrIiEEEESD_SD_SD_jNS0_19identity_decomposerENS1_16block_id_wrapperIjLb0EEEEE10hipError_tT1_PNSt15iterator_traitsISI_E10value_typeET2_T3_PNSJ_ISO_E10value_typeET4_T5_PST_SU_PNS1_23onesweep_lookback_stateEbbT6_jjT7_P12ihipStream_tbENKUlT_T0_SI_SN_E_clISD_SD_SD_SD_EEDaS11_S12_SI_SN_EUlS11_E_NS1_11comp_targetILNS1_3genE6ELNS1_11target_archE950ELNS1_3gpuE13ELNS1_3repE0EEENS1_47radix_sort_onesweep_sort_config_static_selectorELNS0_4arch9wavefront6targetE1EEEvSI_
	.globl	_ZN7rocprim17ROCPRIM_400000_NS6detail17trampoline_kernelINS0_14default_configENS1_35radix_sort_onesweep_config_selectorIiiEEZZNS1_29radix_sort_onesweep_iterationIS3_Lb0EN6thrust23THRUST_200600_302600_NS6detail15normal_iteratorINS8_10device_ptrIiEEEESD_SD_SD_jNS0_19identity_decomposerENS1_16block_id_wrapperIjLb0EEEEE10hipError_tT1_PNSt15iterator_traitsISI_E10value_typeET2_T3_PNSJ_ISO_E10value_typeET4_T5_PST_SU_PNS1_23onesweep_lookback_stateEbbT6_jjT7_P12ihipStream_tbENKUlT_T0_SI_SN_E_clISD_SD_SD_SD_EEDaS11_S12_SI_SN_EUlS11_E_NS1_11comp_targetILNS1_3genE6ELNS1_11target_archE950ELNS1_3gpuE13ELNS1_3repE0EEENS1_47radix_sort_onesweep_sort_config_static_selectorELNS0_4arch9wavefront6targetE1EEEvSI_
	.p2align	8
	.type	_ZN7rocprim17ROCPRIM_400000_NS6detail17trampoline_kernelINS0_14default_configENS1_35radix_sort_onesweep_config_selectorIiiEEZZNS1_29radix_sort_onesweep_iterationIS3_Lb0EN6thrust23THRUST_200600_302600_NS6detail15normal_iteratorINS8_10device_ptrIiEEEESD_SD_SD_jNS0_19identity_decomposerENS1_16block_id_wrapperIjLb0EEEEE10hipError_tT1_PNSt15iterator_traitsISI_E10value_typeET2_T3_PNSJ_ISO_E10value_typeET4_T5_PST_SU_PNS1_23onesweep_lookback_stateEbbT6_jjT7_P12ihipStream_tbENKUlT_T0_SI_SN_E_clISD_SD_SD_SD_EEDaS11_S12_SI_SN_EUlS11_E_NS1_11comp_targetILNS1_3genE6ELNS1_11target_archE950ELNS1_3gpuE13ELNS1_3repE0EEENS1_47radix_sort_onesweep_sort_config_static_selectorELNS0_4arch9wavefront6targetE1EEEvSI_,@function
_ZN7rocprim17ROCPRIM_400000_NS6detail17trampoline_kernelINS0_14default_configENS1_35radix_sort_onesweep_config_selectorIiiEEZZNS1_29radix_sort_onesweep_iterationIS3_Lb0EN6thrust23THRUST_200600_302600_NS6detail15normal_iteratorINS8_10device_ptrIiEEEESD_SD_SD_jNS0_19identity_decomposerENS1_16block_id_wrapperIjLb0EEEEE10hipError_tT1_PNSt15iterator_traitsISI_E10value_typeET2_T3_PNSJ_ISO_E10value_typeET4_T5_PST_SU_PNS1_23onesweep_lookback_stateEbbT6_jjT7_P12ihipStream_tbENKUlT_T0_SI_SN_E_clISD_SD_SD_SD_EEDaS11_S12_SI_SN_EUlS11_E_NS1_11comp_targetILNS1_3genE6ELNS1_11target_archE950ELNS1_3gpuE13ELNS1_3repE0EEENS1_47radix_sort_onesweep_sort_config_static_selectorELNS0_4arch9wavefront6targetE1EEEvSI_: ; @_ZN7rocprim17ROCPRIM_400000_NS6detail17trampoline_kernelINS0_14default_configENS1_35radix_sort_onesweep_config_selectorIiiEEZZNS1_29radix_sort_onesweep_iterationIS3_Lb0EN6thrust23THRUST_200600_302600_NS6detail15normal_iteratorINS8_10device_ptrIiEEEESD_SD_SD_jNS0_19identity_decomposerENS1_16block_id_wrapperIjLb0EEEEE10hipError_tT1_PNSt15iterator_traitsISI_E10value_typeET2_T3_PNSJ_ISO_E10value_typeET4_T5_PST_SU_PNS1_23onesweep_lookback_stateEbbT6_jjT7_P12ihipStream_tbENKUlT_T0_SI_SN_E_clISD_SD_SD_SD_EEDaS11_S12_SI_SN_EUlS11_E_NS1_11comp_targetILNS1_3genE6ELNS1_11target_archE950ELNS1_3gpuE13ELNS1_3repE0EEENS1_47radix_sort_onesweep_sort_config_static_selectorELNS0_4arch9wavefront6targetE1EEEvSI_
; %bb.0:
	s_load_dwordx8 s[52:59], s[0:1], 0x0
	s_load_dwordx4 s[64:67], s[0:1], 0x44
	s_load_dwordx4 s[60:63], s[0:1], 0x28
	s_load_dwordx2 s[50:51], s[0:1], 0x38
	s_mov_b64 s[4:5], -1
	v_mbcnt_lo_u32_b32 v1, -1, 0
	s_waitcnt lgkmcnt(0)
	s_cmp_ge_u32 s2, s66
	s_cbranch_scc0 .LBB850_204
; %bb.1:
	s_load_dword s3, s[0:1], 0x20
	s_lshl_b32 s6, s66, 14
	s_lshl_b32 s4, s2, 14
	s_mov_b32 s5, 0
	v_and_b32_e32 v2, 0x3ff, v0
	s_waitcnt lgkmcnt(0)
	s_sub_i32 s3, s3, s6
	s_lshl_b64 s[66:67], s[4:5], 2
	v_mbcnt_hi_u32_b32 v12, -1, v1
	s_add_u32 s4, s52, s66
	v_and_b32_e32 v10, 63, v12
	v_lshlrev_b32_e32 v4, 4, v2
	s_addc_u32 s5, s53, s67
	v_and_b32_e32 v11, 0x3c00, v4
	v_mov_b32_e32 v5, 0
	v_lshlrev_b32_e32 v4, 2, v10
	v_lshl_add_u64 v[8:9], s[4:5], 0, v[4:5]
	v_lshlrev_b32_e32 v6, 2, v11
	v_mov_b32_e32 v7, v5
	v_or_b32_e32 v10, v10, v11
	v_mov_b32_e32 v3, -1
	v_lshl_add_u64 v[8:9], v[8:9], 0, v[6:7]
	v_cmp_gt_u32_e32 vcc, s3, v10
	v_mov_b32_e32 v5, -1
	s_and_saveexec_b64 s[4:5], vcc
	s_cbranch_execz .LBB850_3
; %bb.2:
	global_load_dword v5, v[8:9], off
	s_waitcnt vmcnt(0)
	v_xor_b32_e32 v5, 0x80000000, v5
.LBB850_3:
	s_or_b64 exec, exec, s[4:5]
	v_or_b32_e32 v7, 64, v10
	v_cmp_gt_u32_e64 s[42:43], s3, v7
	s_and_saveexec_b64 s[4:5], s[42:43]
	s_cbranch_execz .LBB850_5
; %bb.4:
	global_load_dword v3, v[8:9], off offset:256
	s_waitcnt vmcnt(0)
	v_xor_b32_e32 v3, 0x80000000, v3
.LBB850_5:
	s_or_b64 exec, exec, s[4:5]
	v_or_b32_e32 v7, 0x80, v10
	v_cmp_gt_u32_e64 s[4:5], s3, v7
	v_mov_b32_e32 v7, -1
	v_mov_b32_e32 v14, -1
	s_and_saveexec_b64 s[6:7], s[4:5]
	s_cbranch_execz .LBB850_7
; %bb.6:
	global_load_dword v11, v[8:9], off offset:512
	s_waitcnt vmcnt(0)
	v_xor_b32_e32 v14, 0x80000000, v11
.LBB850_7:
	s_or_b64 exec, exec, s[6:7]
	v_or_b32_e32 v11, 0xc0, v10
	v_cmp_gt_u32_e64 s[6:7], s3, v11
	s_and_saveexec_b64 s[8:9], s[6:7]
	s_cbranch_execz .LBB850_9
; %bb.8:
	global_load_dword v7, v[8:9], off offset:768
	s_waitcnt vmcnt(0)
	v_xor_b32_e32 v7, 0x80000000, v7
.LBB850_9:
	s_or_b64 exec, exec, s[8:9]
	v_or_b32_e32 v11, 0x100, v10
	v_cmp_gt_u32_e64 s[8:9], s3, v11
	v_mov_b32_e32 v15, -1
	v_mov_b32_e32 v16, -1
	s_and_saveexec_b64 s[10:11], s[8:9]
	s_cbranch_execz .LBB850_11
; %bb.10:
	global_load_dword v11, v[8:9], off offset:1024
	s_waitcnt vmcnt(0)
	v_xor_b32_e32 v16, 0x80000000, v11
.LBB850_11:
	;; [unrolled: 22-line block ×7, first 2 shown]
	s_or_b64 exec, exec, s[30:31]
	v_or_b32_e32 v10, 0x3c0, v10
	v_cmp_gt_u32_e64 s[30:31], s3, v10
	s_and_saveexec_b64 s[34:35], s[30:31]
	s_cbranch_execz .LBB850_33
; %bb.32:
	global_load_dword v8, v[8:9], off offset:3840
	s_waitcnt vmcnt(0)
	v_xor_b32_e32 v25, 0x80000000, v8
.LBB850_33:
	s_or_b64 exec, exec, s[34:35]
	s_load_dword s34, s[0:1], 0x64
	s_load_dword s33, s[0:1], 0x58
	s_add_u32 s35, s0, 0x58
	s_addc_u32 s36, s1, 0
	v_mov_b32_e32 v9, 0
	s_waitcnt lgkmcnt(0)
	s_lshr_b32 s37, s34, 16
	s_cmp_lt_u32 s2, s33
	s_cselect_b32 s34, 12, 18
	s_add_u32 s34, s35, s34
	s_addc_u32 s35, s36, 0
	global_load_ushort v27, v9, s[34:35]
	v_lshrrev_b32_e32 v29, s64, v5
	s_lshl_b32 s34, -1, s65
	v_bfe_u32 v8, v0, 10, 10
	v_bfe_u32 v11, v0, 20, 10
	v_bitop3_b32 v38, v29, s34, v29 bitop3:0x30
	s_movk_i32 s69, 0x44
	v_mad_u32_u24 v40, v11, s37, v8
	v_and_b32_e32 v8, 1, v38
	v_lshlrev_b32_e32 v11, 30, v38
	v_mov_b32_e32 v10, v9
	v_mov_b32_e32 v30, v9
	s_not_b32 s68, s34
	v_mul_lo_u32 v42, v38, s69
	v_lshlrev_b32_e32 v29, 29, v38
	v_lshlrev_b32_e32 v31, 28, v38
	;; [unrolled: 1-line block ×6, first 2 shown]
	v_lshl_add_u64 v[38:39], v[8:9], 0, -1
	v_cmp_ne_u32_e64 s[34:35], 0, v8
	v_not_b32_e32 v8, v11
	v_mov_b32_e32 v28, v9
	v_mov_b32_e32 v32, v9
	v_cmp_gt_i64_e64 s[36:37], 0, v[10:11]
	v_not_b32_e32 v10, v29
	v_cmp_gt_i64_e64 s[40:41], 0, v[30:31]
	v_not_b32_e32 v11, v31
	v_xor_b32_e32 v31, s35, v39
	v_ashrrev_i32_e32 v8, 31, v8
	v_mov_b32_e32 v34, v9
	v_cmp_gt_i64_e64 s[38:39], 0, v[28:29]
	v_cmp_gt_i64_e64 s[44:45], 0, v[32:33]
	v_not_b32_e32 v28, v33
	v_xor_b32_e32 v32, s34, v38
	v_ashrrev_i32_e32 v10, 31, v10
	v_and_b32_e32 v31, exec_hi, v31
	v_xor_b32_e32 v33, s37, v8
	v_cmp_gt_i64_e64 s[46:47], 0, v[34:35]
	v_ashrrev_i32_e32 v11, 31, v11
	v_and_b32_e32 v32, exec_lo, v32
	v_xor_b32_e32 v8, s36, v8
	v_xor_b32_e32 v34, s39, v10
	v_and_b32_e32 v31, v31, v33
	v_mov_b32_e32 v36, v9
	v_not_b32_e32 v29, v35
	v_ashrrev_i32_e32 v28, 31, v28
	v_xor_b32_e32 v10, s38, v10
	v_xor_b32_e32 v35, s41, v11
	v_and_b32_e32 v8, v32, v8
	v_and_b32_e32 v31, v31, v34
	v_cmp_gt_i64_e64 s[48:49], 0, v[36:37]
	v_not_b32_e32 v30, v37
	v_ashrrev_i32_e32 v29, 31, v29
	v_xor_b32_e32 v36, s45, v28
	v_and_b32_e32 v8, v8, v10
	v_and_b32_e32 v10, v31, v35
	v_ashrrev_i32_e32 v30, 31, v30
	v_xor_b32_e32 v11, s40, v11
	v_xor_b32_e32 v37, s47, v29
	v_and_b32_e32 v10, v10, v36
	v_xor_b32_e32 v28, s44, v28
	v_xor_b32_e32 v38, s49, v30
	v_and_b32_e32 v8, v8, v11
	v_and_b32_e32 v10, v10, v37
	;; [unrolled: 1-line block ×4, first 2 shown]
	v_xor_b32_e32 v29, s46, v29
	v_xor_b32_e32 v30, s48, v30
	v_and_b32_e32 v8, v8, v29
	v_and_b32_e32 v8, v8, v30
	v_mul_u32_u24_e32 v13, 20, v2
	ds_write2_b32 v13, v9, v9 offset0:16 offset1:17
	ds_write2_b32 v13, v9, v9 offset0:18 offset1:19
	ds_write_b32 v13, v9 offset:80
	s_waitcnt lgkmcnt(0)
	s_barrier
	s_waitcnt vmcnt(0)
	; wave barrier
	v_mad_u64_u32 v[10:11], s[34:35], v40, v27, v[2:3]
	v_lshrrev_b32_e32 v38, 6, v10
	v_mov_b32_e32 v40, v9
	v_not_b32_e32 v10, v41
	v_cmp_gt_i64_e64 s[34:35], 0, v[40:41]
	v_ashrrev_i32_e32 v10, 31, v10
	v_lshl_add_u32 v31, v38, 2, v42
	v_xor_b32_e32 v11, s35, v10
	v_xor_b32_e32 v10, s34, v10
	v_and_b32_e32 v10, v8, v10
	v_and_b32_e32 v11, v28, v11
	v_mbcnt_lo_u32_b32 v8, v10, 0
	v_mbcnt_hi_u32_b32 v28, v11, v8
	v_cmp_eq_u32_e64 s[34:35], 0, v28
	v_cmp_ne_u64_e64 s[36:37], 0, v[10:11]
	s_and_b64 s[36:37], s[36:37], s[34:35]
	s_and_saveexec_b64 s[34:35], s[36:37]
; %bb.34:
	v_bcnt_u32_b32 v8, v10, 0
	v_bcnt_u32_b32 v8, v11, v8
	ds_write_b32 v31, v8 offset:64
; %bb.35:
	s_or_b64 exec, exec, s[34:35]
	v_lshrrev_b32_e32 v8, s64, v3
	v_and_b32_e32 v29, s68, v8
	v_mul_lo_u32 v8, v29, s69
	v_lshl_add_u32 v33, v38, 2, v8
	v_and_b32_e32 v8, 1, v29
	v_lshl_add_u64 v[10:11], v[8:9], 0, -1
	v_cmp_ne_u32_e64 s[34:35], 0, v8
	; wave barrier
	s_nop 1
	v_xor_b32_e32 v10, s34, v10
	v_xor_b32_e32 v8, s35, v11
	v_and_b32_e32 v30, exec_lo, v10
	v_lshlrev_b32_e32 v11, 30, v29
	v_mov_b32_e32 v10, v9
	v_cmp_gt_i64_e64 s[34:35], 0, v[10:11]
	v_not_b32_e32 v10, v11
	v_ashrrev_i32_e32 v10, 31, v10
	v_and_b32_e32 v8, exec_hi, v8
	v_xor_b32_e32 v11, s35, v10
	v_xor_b32_e32 v10, s34, v10
	v_and_b32_e32 v8, v8, v11
	v_and_b32_e32 v30, v30, v10
	v_lshlrev_b32_e32 v11, 29, v29
	v_mov_b32_e32 v10, v9
	v_cmp_gt_i64_e64 s[34:35], 0, v[10:11]
	v_not_b32_e32 v10, v11
	v_ashrrev_i32_e32 v10, 31, v10
	v_xor_b32_e32 v11, s35, v10
	v_xor_b32_e32 v10, s34, v10
	v_and_b32_e32 v8, v8, v11
	v_and_b32_e32 v30, v30, v10
	v_lshlrev_b32_e32 v11, 28, v29
	v_mov_b32_e32 v10, v9
	v_cmp_gt_i64_e64 s[34:35], 0, v[10:11]
	v_not_b32_e32 v10, v11
	v_ashrrev_i32_e32 v10, 31, v10
	;; [unrolled: 9-line block ×5, first 2 shown]
	v_xor_b32_e32 v11, s35, v10
	v_xor_b32_e32 v10, s34, v10
	v_and_b32_e32 v8, v8, v11
	v_lshlrev_b32_e32 v11, 24, v29
	v_and_b32_e32 v30, v30, v10
	v_mov_b32_e32 v10, v9
	v_not_b32_e32 v9, v11
	v_cmp_gt_i64_e64 s[34:35], 0, v[10:11]
	v_ashrrev_i32_e32 v9, 31, v9
	ds_read_b32 v27, v33 offset:64
	v_xor_b32_e32 v10, s35, v9
	v_xor_b32_e32 v11, s34, v9
	v_and_b32_e32 v9, v8, v10
	v_and_b32_e32 v8, v30, v11
	v_mbcnt_lo_u32_b32 v10, v8, 0
	v_mbcnt_hi_u32_b32 v29, v9, v10
	v_cmp_eq_u32_e64 s[34:35], 0, v29
	v_cmp_ne_u64_e64 s[36:37], 0, v[8:9]
	s_and_b64 s[36:37], s[36:37], s[34:35]
	; wave barrier
	s_and_saveexec_b64 s[34:35], s[36:37]
	s_cbranch_execz .LBB850_37
; %bb.36:
	v_bcnt_u32_b32 v8, v8, 0
	v_bcnt_u32_b32 v8, v9, v8
	s_waitcnt lgkmcnt(0)
	v_add_u32_e32 v8, v27, v8
	ds_write_b32 v33, v8 offset:64
.LBB850_37:
	s_or_b64 exec, exec, s[34:35]
	v_lshrrev_b32_e32 v8, s64, v14
	v_and_b32_e32 v32, s68, v8
	s_movk_i32 s38, 0x44
	v_mul_lo_u32 v8, v32, s38
	v_lshl_add_u32 v36, v38, 2, v8
	v_and_b32_e32 v8, 1, v32
	v_mov_b32_e32 v9, 0
	v_lshl_add_u64 v[10:11], v[8:9], 0, -1
	v_cmp_ne_u32_e64 s[34:35], 0, v8
	; wave barrier
	s_nop 1
	v_xor_b32_e32 v10, s34, v10
	v_xor_b32_e32 v8, s35, v11
	v_and_b32_e32 v34, exec_lo, v10
	v_lshlrev_b32_e32 v11, 30, v32
	v_mov_b32_e32 v10, v9
	v_cmp_gt_i64_e64 s[34:35], 0, v[10:11]
	v_not_b32_e32 v10, v11
	v_ashrrev_i32_e32 v10, 31, v10
	v_and_b32_e32 v8, exec_hi, v8
	v_xor_b32_e32 v11, s35, v10
	v_xor_b32_e32 v10, s34, v10
	v_and_b32_e32 v8, v8, v11
	v_and_b32_e32 v34, v34, v10
	v_lshlrev_b32_e32 v11, 29, v32
	v_mov_b32_e32 v10, v9
	v_cmp_gt_i64_e64 s[34:35], 0, v[10:11]
	v_not_b32_e32 v10, v11
	v_ashrrev_i32_e32 v10, 31, v10
	v_xor_b32_e32 v11, s35, v10
	v_xor_b32_e32 v10, s34, v10
	v_and_b32_e32 v8, v8, v11
	v_and_b32_e32 v34, v34, v10
	v_lshlrev_b32_e32 v11, 28, v32
	v_mov_b32_e32 v10, v9
	v_cmp_gt_i64_e64 s[34:35], 0, v[10:11]
	v_not_b32_e32 v10, v11
	v_ashrrev_i32_e32 v10, 31, v10
	;; [unrolled: 9-line block ×6, first 2 shown]
	v_xor_b32_e32 v11, s35, v10
	v_xor_b32_e32 v10, s34, v10
	ds_read_b32 v30, v36 offset:64
	v_and_b32_e32 v10, v34, v10
	v_and_b32_e32 v11, v8, v11
	v_mbcnt_lo_u32_b32 v8, v10, 0
	v_mbcnt_hi_u32_b32 v32, v11, v8
	v_cmp_eq_u32_e64 s[34:35], 0, v32
	v_cmp_ne_u64_e64 s[36:37], 0, v[10:11]
	s_and_b64 s[36:37], s[36:37], s[34:35]
	; wave barrier
	s_and_saveexec_b64 s[34:35], s[36:37]
	s_cbranch_execz .LBB850_39
; %bb.38:
	v_bcnt_u32_b32 v8, v10, 0
	v_bcnt_u32_b32 v8, v11, v8
	s_waitcnt lgkmcnt(0)
	v_add_u32_e32 v8, v30, v8
	ds_write_b32 v36, v8 offset:64
.LBB850_39:
	s_or_b64 exec, exec, s[34:35]
	v_lshrrev_b32_e32 v8, s64, v7
	v_and_b32_e32 v35, s68, v8
	v_mul_lo_u32 v8, v35, s38
	v_lshl_add_u32 v40, v38, 2, v8
	v_and_b32_e32 v8, 1, v35
	v_lshl_add_u64 v[10:11], v[8:9], 0, -1
	v_cmp_ne_u32_e64 s[34:35], 0, v8
	; wave barrier
	s_nop 1
	v_xor_b32_e32 v10, s34, v10
	v_xor_b32_e32 v8, s35, v11
	v_and_b32_e32 v37, exec_lo, v10
	v_lshlrev_b32_e32 v11, 30, v35
	v_mov_b32_e32 v10, v9
	v_cmp_gt_i64_e64 s[34:35], 0, v[10:11]
	v_not_b32_e32 v10, v11
	v_ashrrev_i32_e32 v10, 31, v10
	v_and_b32_e32 v8, exec_hi, v8
	v_xor_b32_e32 v11, s35, v10
	v_xor_b32_e32 v10, s34, v10
	v_and_b32_e32 v8, v8, v11
	v_and_b32_e32 v37, v37, v10
	v_lshlrev_b32_e32 v11, 29, v35
	v_mov_b32_e32 v10, v9
	v_cmp_gt_i64_e64 s[34:35], 0, v[10:11]
	v_not_b32_e32 v10, v11
	v_ashrrev_i32_e32 v10, 31, v10
	v_xor_b32_e32 v11, s35, v10
	v_xor_b32_e32 v10, s34, v10
	v_and_b32_e32 v8, v8, v11
	v_and_b32_e32 v37, v37, v10
	v_lshlrev_b32_e32 v11, 28, v35
	v_mov_b32_e32 v10, v9
	v_cmp_gt_i64_e64 s[34:35], 0, v[10:11]
	v_not_b32_e32 v10, v11
	v_ashrrev_i32_e32 v10, 31, v10
	;; [unrolled: 9-line block ×5, first 2 shown]
	v_xor_b32_e32 v11, s35, v10
	v_xor_b32_e32 v10, s34, v10
	v_and_b32_e32 v8, v8, v11
	v_lshlrev_b32_e32 v11, 24, v35
	v_and_b32_e32 v37, v37, v10
	v_mov_b32_e32 v10, v9
	v_not_b32_e32 v9, v11
	v_cmp_gt_i64_e64 s[34:35], 0, v[10:11]
	v_ashrrev_i32_e32 v9, 31, v9
	ds_read_b32 v34, v40 offset:64
	v_xor_b32_e32 v10, s35, v9
	v_xor_b32_e32 v11, s34, v9
	v_and_b32_e32 v9, v8, v10
	v_and_b32_e32 v8, v37, v11
	v_mbcnt_lo_u32_b32 v10, v8, 0
	v_mbcnt_hi_u32_b32 v35, v9, v10
	v_cmp_eq_u32_e64 s[34:35], 0, v35
	v_cmp_ne_u64_e64 s[36:37], 0, v[8:9]
	s_and_b64 s[36:37], s[36:37], s[34:35]
	; wave barrier
	s_and_saveexec_b64 s[34:35], s[36:37]
	s_cbranch_execz .LBB850_41
; %bb.40:
	v_bcnt_u32_b32 v8, v8, 0
	v_bcnt_u32_b32 v8, v9, v8
	s_waitcnt lgkmcnt(0)
	v_add_u32_e32 v8, v34, v8
	ds_write_b32 v40, v8 offset:64
.LBB850_41:
	s_or_b64 exec, exec, s[34:35]
	v_lshrrev_b32_e32 v8, s64, v16
	v_and_b32_e32 v39, s68, v8
	v_mul_lo_u32 v8, v39, s38
	v_lshl_add_u32 v43, v38, 2, v8
	v_and_b32_e32 v8, 1, v39
	v_mov_b32_e32 v9, 0
	v_lshl_add_u64 v[10:11], v[8:9], 0, -1
	v_cmp_ne_u32_e64 s[34:35], 0, v8
	; wave barrier
	s_nop 1
	v_xor_b32_e32 v10, s34, v10
	v_xor_b32_e32 v8, s35, v11
	v_and_b32_e32 v41, exec_lo, v10
	v_lshlrev_b32_e32 v11, 30, v39
	v_mov_b32_e32 v10, v9
	v_cmp_gt_i64_e64 s[34:35], 0, v[10:11]
	v_not_b32_e32 v10, v11
	v_ashrrev_i32_e32 v10, 31, v10
	v_and_b32_e32 v8, exec_hi, v8
	v_xor_b32_e32 v11, s35, v10
	v_xor_b32_e32 v10, s34, v10
	v_and_b32_e32 v8, v8, v11
	v_and_b32_e32 v41, v41, v10
	v_lshlrev_b32_e32 v11, 29, v39
	v_mov_b32_e32 v10, v9
	v_cmp_gt_i64_e64 s[34:35], 0, v[10:11]
	v_not_b32_e32 v10, v11
	v_ashrrev_i32_e32 v10, 31, v10
	v_xor_b32_e32 v11, s35, v10
	v_xor_b32_e32 v10, s34, v10
	v_and_b32_e32 v8, v8, v11
	v_and_b32_e32 v41, v41, v10
	v_lshlrev_b32_e32 v11, 28, v39
	v_mov_b32_e32 v10, v9
	v_cmp_gt_i64_e64 s[34:35], 0, v[10:11]
	v_not_b32_e32 v10, v11
	v_ashrrev_i32_e32 v10, 31, v10
	;; [unrolled: 9-line block ×6, first 2 shown]
	v_xor_b32_e32 v11, s35, v10
	v_xor_b32_e32 v10, s34, v10
	ds_read_b32 v37, v43 offset:64
	v_and_b32_e32 v10, v41, v10
	v_and_b32_e32 v11, v8, v11
	v_mbcnt_lo_u32_b32 v8, v10, 0
	v_mbcnt_hi_u32_b32 v39, v11, v8
	v_cmp_eq_u32_e64 s[34:35], 0, v39
	v_cmp_ne_u64_e64 s[36:37], 0, v[10:11]
	s_and_b64 s[36:37], s[36:37], s[34:35]
	; wave barrier
	s_and_saveexec_b64 s[34:35], s[36:37]
	s_cbranch_execz .LBB850_43
; %bb.42:
	v_bcnt_u32_b32 v8, v10, 0
	v_bcnt_u32_b32 v8, v11, v8
	s_waitcnt lgkmcnt(0)
	v_add_u32_e32 v8, v37, v8
	ds_write_b32 v43, v8 offset:64
.LBB850_43:
	s_or_b64 exec, exec, s[34:35]
	v_lshrrev_b32_e32 v8, s64, v15
	v_and_b32_e32 v42, s68, v8
	v_mul_lo_u32 v8, v42, s38
	v_lshl_add_u32 v45, v38, 2, v8
	v_and_b32_e32 v8, 1, v42
	v_lshl_add_u64 v[10:11], v[8:9], 0, -1
	v_cmp_ne_u32_e64 s[34:35], 0, v8
	; wave barrier
	s_nop 1
	v_xor_b32_e32 v10, s34, v10
	v_xor_b32_e32 v8, s35, v11
	v_and_b32_e32 v44, exec_lo, v10
	v_lshlrev_b32_e32 v11, 30, v42
	v_mov_b32_e32 v10, v9
	v_cmp_gt_i64_e64 s[34:35], 0, v[10:11]
	v_not_b32_e32 v10, v11
	v_ashrrev_i32_e32 v10, 31, v10
	v_and_b32_e32 v8, exec_hi, v8
	v_xor_b32_e32 v11, s35, v10
	v_xor_b32_e32 v10, s34, v10
	v_and_b32_e32 v8, v8, v11
	v_and_b32_e32 v44, v44, v10
	v_lshlrev_b32_e32 v11, 29, v42
	v_mov_b32_e32 v10, v9
	v_cmp_gt_i64_e64 s[34:35], 0, v[10:11]
	v_not_b32_e32 v10, v11
	v_ashrrev_i32_e32 v10, 31, v10
	v_xor_b32_e32 v11, s35, v10
	v_xor_b32_e32 v10, s34, v10
	v_and_b32_e32 v8, v8, v11
	v_and_b32_e32 v44, v44, v10
	v_lshlrev_b32_e32 v11, 28, v42
	v_mov_b32_e32 v10, v9
	v_cmp_gt_i64_e64 s[34:35], 0, v[10:11]
	v_not_b32_e32 v10, v11
	v_ashrrev_i32_e32 v10, 31, v10
	;; [unrolled: 9-line block ×5, first 2 shown]
	v_xor_b32_e32 v11, s35, v10
	v_xor_b32_e32 v10, s34, v10
	v_and_b32_e32 v8, v8, v11
	v_lshlrev_b32_e32 v11, 24, v42
	v_and_b32_e32 v44, v44, v10
	v_mov_b32_e32 v10, v9
	v_not_b32_e32 v9, v11
	v_cmp_gt_i64_e64 s[34:35], 0, v[10:11]
	v_ashrrev_i32_e32 v9, 31, v9
	ds_read_b32 v41, v45 offset:64
	v_xor_b32_e32 v10, s35, v9
	v_xor_b32_e32 v11, s34, v9
	v_and_b32_e32 v9, v8, v10
	v_and_b32_e32 v8, v44, v11
	v_mbcnt_lo_u32_b32 v10, v8, 0
	v_mbcnt_hi_u32_b32 v42, v9, v10
	v_cmp_eq_u32_e64 s[34:35], 0, v42
	v_cmp_ne_u64_e64 s[36:37], 0, v[8:9]
	s_and_b64 s[36:37], s[36:37], s[34:35]
	; wave barrier
	s_and_saveexec_b64 s[34:35], s[36:37]
	s_cbranch_execz .LBB850_45
; %bb.44:
	v_bcnt_u32_b32 v8, v8, 0
	v_bcnt_u32_b32 v8, v9, v8
	s_waitcnt lgkmcnt(0)
	v_add_u32_e32 v8, v41, v8
	ds_write_b32 v45, v8 offset:64
.LBB850_45:
	s_or_b64 exec, exec, s[34:35]
	v_lshrrev_b32_e32 v8, s64, v18
	v_and_b32_e32 v46, s68, v8
	v_mul_lo_u32 v8, v46, s38
	v_lshl_add_u32 v48, v38, 2, v8
	v_and_b32_e32 v8, 1, v46
	v_mov_b32_e32 v9, 0
	v_lshl_add_u64 v[10:11], v[8:9], 0, -1
	v_cmp_ne_u32_e64 s[34:35], 0, v8
	; wave barrier
	s_nop 1
	v_xor_b32_e32 v10, s34, v10
	v_xor_b32_e32 v8, s35, v11
	v_and_b32_e32 v47, exec_lo, v10
	v_lshlrev_b32_e32 v11, 30, v46
	v_mov_b32_e32 v10, v9
	v_cmp_gt_i64_e64 s[34:35], 0, v[10:11]
	v_not_b32_e32 v10, v11
	v_ashrrev_i32_e32 v10, 31, v10
	v_and_b32_e32 v8, exec_hi, v8
	v_xor_b32_e32 v11, s35, v10
	v_xor_b32_e32 v10, s34, v10
	v_and_b32_e32 v8, v8, v11
	v_and_b32_e32 v47, v47, v10
	v_lshlrev_b32_e32 v11, 29, v46
	v_mov_b32_e32 v10, v9
	v_cmp_gt_i64_e64 s[34:35], 0, v[10:11]
	v_not_b32_e32 v10, v11
	v_ashrrev_i32_e32 v10, 31, v10
	v_xor_b32_e32 v11, s35, v10
	v_xor_b32_e32 v10, s34, v10
	v_and_b32_e32 v8, v8, v11
	v_and_b32_e32 v47, v47, v10
	v_lshlrev_b32_e32 v11, 28, v46
	v_mov_b32_e32 v10, v9
	v_cmp_gt_i64_e64 s[34:35], 0, v[10:11]
	v_not_b32_e32 v10, v11
	v_ashrrev_i32_e32 v10, 31, v10
	;; [unrolled: 9-line block ×6, first 2 shown]
	v_xor_b32_e32 v11, s35, v10
	v_xor_b32_e32 v10, s34, v10
	ds_read_b32 v44, v48 offset:64
	v_and_b32_e32 v10, v47, v10
	v_and_b32_e32 v11, v8, v11
	v_mbcnt_lo_u32_b32 v8, v10, 0
	v_mbcnt_hi_u32_b32 v46, v11, v8
	v_cmp_eq_u32_e64 s[34:35], 0, v46
	v_cmp_ne_u64_e64 s[36:37], 0, v[10:11]
	s_and_b64 s[36:37], s[36:37], s[34:35]
	; wave barrier
	s_and_saveexec_b64 s[34:35], s[36:37]
	s_cbranch_execz .LBB850_47
; %bb.46:
	v_bcnt_u32_b32 v8, v10, 0
	v_bcnt_u32_b32 v8, v11, v8
	s_waitcnt lgkmcnt(0)
	v_add_u32_e32 v8, v44, v8
	ds_write_b32 v48, v8 offset:64
.LBB850_47:
	s_or_b64 exec, exec, s[34:35]
	v_lshrrev_b32_e32 v8, s64, v17
	v_and_b32_e32 v49, s68, v8
	v_mul_lo_u32 v8, v49, s38
	v_lshl_add_u32 v51, v38, 2, v8
	v_and_b32_e32 v8, 1, v49
	v_lshl_add_u64 v[10:11], v[8:9], 0, -1
	v_cmp_ne_u32_e64 s[34:35], 0, v8
	; wave barrier
	s_nop 1
	v_xor_b32_e32 v10, s34, v10
	v_xor_b32_e32 v8, s35, v11
	v_and_b32_e32 v50, exec_lo, v10
	v_lshlrev_b32_e32 v11, 30, v49
	v_mov_b32_e32 v10, v9
	v_cmp_gt_i64_e64 s[34:35], 0, v[10:11]
	v_not_b32_e32 v10, v11
	v_ashrrev_i32_e32 v10, 31, v10
	v_and_b32_e32 v8, exec_hi, v8
	v_xor_b32_e32 v11, s35, v10
	v_xor_b32_e32 v10, s34, v10
	v_and_b32_e32 v8, v8, v11
	v_and_b32_e32 v50, v50, v10
	v_lshlrev_b32_e32 v11, 29, v49
	v_mov_b32_e32 v10, v9
	v_cmp_gt_i64_e64 s[34:35], 0, v[10:11]
	v_not_b32_e32 v10, v11
	v_ashrrev_i32_e32 v10, 31, v10
	v_xor_b32_e32 v11, s35, v10
	v_xor_b32_e32 v10, s34, v10
	v_and_b32_e32 v8, v8, v11
	v_and_b32_e32 v50, v50, v10
	v_lshlrev_b32_e32 v11, 28, v49
	v_mov_b32_e32 v10, v9
	v_cmp_gt_i64_e64 s[34:35], 0, v[10:11]
	v_not_b32_e32 v10, v11
	v_ashrrev_i32_e32 v10, 31, v10
	;; [unrolled: 9-line block ×5, first 2 shown]
	v_xor_b32_e32 v11, s35, v10
	v_xor_b32_e32 v10, s34, v10
	v_and_b32_e32 v8, v8, v11
	v_lshlrev_b32_e32 v11, 24, v49
	v_and_b32_e32 v50, v50, v10
	v_mov_b32_e32 v10, v9
	v_not_b32_e32 v9, v11
	v_cmp_gt_i64_e64 s[34:35], 0, v[10:11]
	v_ashrrev_i32_e32 v9, 31, v9
	ds_read_b32 v47, v51 offset:64
	v_xor_b32_e32 v10, s35, v9
	v_xor_b32_e32 v11, s34, v9
	v_and_b32_e32 v9, v8, v10
	v_and_b32_e32 v8, v50, v11
	v_mbcnt_lo_u32_b32 v10, v8, 0
	v_mbcnt_hi_u32_b32 v49, v9, v10
	v_cmp_eq_u32_e64 s[34:35], 0, v49
	v_cmp_ne_u64_e64 s[36:37], 0, v[8:9]
	s_and_b64 s[36:37], s[36:37], s[34:35]
	; wave barrier
	s_and_saveexec_b64 s[34:35], s[36:37]
	s_cbranch_execz .LBB850_49
; %bb.48:
	v_bcnt_u32_b32 v8, v8, 0
	v_bcnt_u32_b32 v8, v9, v8
	s_waitcnt lgkmcnt(0)
	v_add_u32_e32 v8, v47, v8
	ds_write_b32 v51, v8 offset:64
.LBB850_49:
	s_or_b64 exec, exec, s[34:35]
	v_lshrrev_b32_e32 v8, s64, v20
	v_and_b32_e32 v52, s68, v8
	v_mul_lo_u32 v8, v52, s38
	v_lshl_add_u32 v54, v38, 2, v8
	v_and_b32_e32 v8, 1, v52
	v_mov_b32_e32 v9, 0
	v_lshl_add_u64 v[10:11], v[8:9], 0, -1
	v_cmp_ne_u32_e64 s[34:35], 0, v8
	; wave barrier
	s_nop 1
	v_xor_b32_e32 v10, s34, v10
	v_xor_b32_e32 v8, s35, v11
	v_and_b32_e32 v53, exec_lo, v10
	v_lshlrev_b32_e32 v11, 30, v52
	v_mov_b32_e32 v10, v9
	v_cmp_gt_i64_e64 s[34:35], 0, v[10:11]
	v_not_b32_e32 v10, v11
	v_ashrrev_i32_e32 v10, 31, v10
	v_and_b32_e32 v8, exec_hi, v8
	v_xor_b32_e32 v11, s35, v10
	v_xor_b32_e32 v10, s34, v10
	v_and_b32_e32 v8, v8, v11
	v_and_b32_e32 v53, v53, v10
	v_lshlrev_b32_e32 v11, 29, v52
	v_mov_b32_e32 v10, v9
	v_cmp_gt_i64_e64 s[34:35], 0, v[10:11]
	v_not_b32_e32 v10, v11
	v_ashrrev_i32_e32 v10, 31, v10
	v_xor_b32_e32 v11, s35, v10
	v_xor_b32_e32 v10, s34, v10
	v_and_b32_e32 v8, v8, v11
	v_and_b32_e32 v53, v53, v10
	v_lshlrev_b32_e32 v11, 28, v52
	v_mov_b32_e32 v10, v9
	v_cmp_gt_i64_e64 s[34:35], 0, v[10:11]
	v_not_b32_e32 v10, v11
	v_ashrrev_i32_e32 v10, 31, v10
	;; [unrolled: 9-line block ×6, first 2 shown]
	v_xor_b32_e32 v11, s35, v10
	v_xor_b32_e32 v10, s34, v10
	ds_read_b32 v50, v54 offset:64
	v_and_b32_e32 v10, v53, v10
	v_and_b32_e32 v11, v8, v11
	v_mbcnt_lo_u32_b32 v8, v10, 0
	v_mbcnt_hi_u32_b32 v52, v11, v8
	v_cmp_eq_u32_e64 s[34:35], 0, v52
	v_cmp_ne_u64_e64 s[36:37], 0, v[10:11]
	s_and_b64 s[36:37], s[36:37], s[34:35]
	; wave barrier
	s_and_saveexec_b64 s[34:35], s[36:37]
	s_cbranch_execz .LBB850_51
; %bb.50:
	v_bcnt_u32_b32 v8, v10, 0
	v_bcnt_u32_b32 v8, v11, v8
	s_waitcnt lgkmcnt(0)
	v_add_u32_e32 v8, v50, v8
	ds_write_b32 v54, v8 offset:64
.LBB850_51:
	s_or_b64 exec, exec, s[34:35]
	v_lshrrev_b32_e32 v8, s64, v19
	v_and_b32_e32 v55, s68, v8
	v_mul_lo_u32 v8, v55, s38
	v_lshl_add_u32 v57, v38, 2, v8
	v_and_b32_e32 v8, 1, v55
	v_lshl_add_u64 v[10:11], v[8:9], 0, -1
	v_cmp_ne_u32_e64 s[34:35], 0, v8
	; wave barrier
	s_nop 1
	v_xor_b32_e32 v10, s34, v10
	v_xor_b32_e32 v8, s35, v11
	v_and_b32_e32 v56, exec_lo, v10
	v_lshlrev_b32_e32 v11, 30, v55
	v_mov_b32_e32 v10, v9
	v_cmp_gt_i64_e64 s[34:35], 0, v[10:11]
	v_not_b32_e32 v10, v11
	v_ashrrev_i32_e32 v10, 31, v10
	v_and_b32_e32 v8, exec_hi, v8
	v_xor_b32_e32 v11, s35, v10
	v_xor_b32_e32 v10, s34, v10
	v_and_b32_e32 v8, v8, v11
	v_and_b32_e32 v56, v56, v10
	v_lshlrev_b32_e32 v11, 29, v55
	v_mov_b32_e32 v10, v9
	v_cmp_gt_i64_e64 s[34:35], 0, v[10:11]
	v_not_b32_e32 v10, v11
	v_ashrrev_i32_e32 v10, 31, v10
	v_xor_b32_e32 v11, s35, v10
	v_xor_b32_e32 v10, s34, v10
	v_and_b32_e32 v8, v8, v11
	v_and_b32_e32 v56, v56, v10
	v_lshlrev_b32_e32 v11, 28, v55
	v_mov_b32_e32 v10, v9
	v_cmp_gt_i64_e64 s[34:35], 0, v[10:11]
	v_not_b32_e32 v10, v11
	v_ashrrev_i32_e32 v10, 31, v10
	;; [unrolled: 9-line block ×5, first 2 shown]
	v_xor_b32_e32 v11, s35, v10
	v_xor_b32_e32 v10, s34, v10
	v_and_b32_e32 v8, v8, v11
	v_lshlrev_b32_e32 v11, 24, v55
	v_and_b32_e32 v56, v56, v10
	v_mov_b32_e32 v10, v9
	v_not_b32_e32 v9, v11
	v_cmp_gt_i64_e64 s[34:35], 0, v[10:11]
	v_ashrrev_i32_e32 v9, 31, v9
	ds_read_b32 v53, v57 offset:64
	v_xor_b32_e32 v10, s35, v9
	v_xor_b32_e32 v11, s34, v9
	v_and_b32_e32 v9, v8, v10
	v_and_b32_e32 v8, v56, v11
	v_mbcnt_lo_u32_b32 v10, v8, 0
	v_mbcnt_hi_u32_b32 v55, v9, v10
	v_cmp_eq_u32_e64 s[34:35], 0, v55
	v_cmp_ne_u64_e64 s[36:37], 0, v[8:9]
	s_and_b64 s[36:37], s[36:37], s[34:35]
	; wave barrier
	s_and_saveexec_b64 s[34:35], s[36:37]
	s_cbranch_execz .LBB850_53
; %bb.52:
	v_bcnt_u32_b32 v8, v8, 0
	v_bcnt_u32_b32 v8, v9, v8
	s_waitcnt lgkmcnt(0)
	v_add_u32_e32 v8, v53, v8
	ds_write_b32 v57, v8 offset:64
.LBB850_53:
	s_or_b64 exec, exec, s[34:35]
	v_lshrrev_b32_e32 v8, s64, v22
	v_and_b32_e32 v58, s68, v8
	v_mul_lo_u32 v8, v58, s38
	v_lshl_add_u32 v60, v38, 2, v8
	v_and_b32_e32 v8, 1, v58
	v_mov_b32_e32 v9, 0
	v_lshl_add_u64 v[10:11], v[8:9], 0, -1
	v_cmp_ne_u32_e64 s[34:35], 0, v8
	; wave barrier
	s_nop 1
	v_xor_b32_e32 v10, s34, v10
	v_xor_b32_e32 v8, s35, v11
	v_and_b32_e32 v59, exec_lo, v10
	v_lshlrev_b32_e32 v11, 30, v58
	v_mov_b32_e32 v10, v9
	v_cmp_gt_i64_e64 s[34:35], 0, v[10:11]
	v_not_b32_e32 v10, v11
	v_ashrrev_i32_e32 v10, 31, v10
	v_and_b32_e32 v8, exec_hi, v8
	v_xor_b32_e32 v11, s35, v10
	v_xor_b32_e32 v10, s34, v10
	v_and_b32_e32 v8, v8, v11
	v_and_b32_e32 v59, v59, v10
	v_lshlrev_b32_e32 v11, 29, v58
	v_mov_b32_e32 v10, v9
	v_cmp_gt_i64_e64 s[34:35], 0, v[10:11]
	v_not_b32_e32 v10, v11
	v_ashrrev_i32_e32 v10, 31, v10
	v_xor_b32_e32 v11, s35, v10
	v_xor_b32_e32 v10, s34, v10
	v_and_b32_e32 v8, v8, v11
	v_and_b32_e32 v59, v59, v10
	v_lshlrev_b32_e32 v11, 28, v58
	v_mov_b32_e32 v10, v9
	v_cmp_gt_i64_e64 s[34:35], 0, v[10:11]
	v_not_b32_e32 v10, v11
	v_ashrrev_i32_e32 v10, 31, v10
	v_xor_b32_e32 v11, s35, v10
	v_xor_b32_e32 v10, s34, v10
	v_and_b32_e32 v8, v8, v11
	v_and_b32_e32 v59, v59, v10
	v_lshlrev_b32_e32 v11, 27, v58
	v_mov_b32_e32 v10, v9
	v_cmp_gt_i64_e64 s[34:35], 0, v[10:11]
	v_not_b32_e32 v10, v11
	v_ashrrev_i32_e32 v10, 31, v10
	v_xor_b32_e32 v11, s35, v10
	v_xor_b32_e32 v10, s34, v10
	v_and_b32_e32 v8, v8, v11
	v_and_b32_e32 v59, v59, v10
	v_lshlrev_b32_e32 v11, 26, v58
	v_mov_b32_e32 v10, v9
	v_cmp_gt_i64_e64 s[34:35], 0, v[10:11]
	v_not_b32_e32 v10, v11
	v_ashrrev_i32_e32 v10, 31, v10
	v_xor_b32_e32 v11, s35, v10
	v_xor_b32_e32 v10, s34, v10
	v_and_b32_e32 v8, v8, v11
	v_and_b32_e32 v59, v59, v10
	v_lshlrev_b32_e32 v11, 25, v58
	v_mov_b32_e32 v10, v9
	v_cmp_gt_i64_e64 s[34:35], 0, v[10:11]
	v_not_b32_e32 v10, v11
	v_ashrrev_i32_e32 v10, 31, v10
	v_xor_b32_e32 v11, s35, v10
	v_xor_b32_e32 v10, s34, v10
	v_and_b32_e32 v8, v8, v11
	v_and_b32_e32 v59, v59, v10
	v_lshlrev_b32_e32 v11, 24, v58
	v_mov_b32_e32 v10, v9
	v_cmp_gt_i64_e64 s[34:35], 0, v[10:11]
	v_not_b32_e32 v10, v11
	v_ashrrev_i32_e32 v10, 31, v10
	v_xor_b32_e32 v11, s35, v10
	v_xor_b32_e32 v10, s34, v10
	ds_read_b32 v56, v60 offset:64
	v_and_b32_e32 v10, v59, v10
	v_and_b32_e32 v11, v8, v11
	v_mbcnt_lo_u32_b32 v8, v10, 0
	v_mbcnt_hi_u32_b32 v58, v11, v8
	v_cmp_eq_u32_e64 s[34:35], 0, v58
	v_cmp_ne_u64_e64 s[36:37], 0, v[10:11]
	s_and_b64 s[36:37], s[36:37], s[34:35]
	; wave barrier
	s_and_saveexec_b64 s[34:35], s[36:37]
	s_cbranch_execz .LBB850_55
; %bb.54:
	v_bcnt_u32_b32 v8, v10, 0
	v_bcnt_u32_b32 v8, v11, v8
	s_waitcnt lgkmcnt(0)
	v_add_u32_e32 v8, v56, v8
	ds_write_b32 v60, v8 offset:64
.LBB850_55:
	s_or_b64 exec, exec, s[34:35]
	v_lshrrev_b32_e32 v8, s64, v21
	v_and_b32_e32 v61, s68, v8
	v_mul_lo_u32 v8, v61, s38
	v_lshl_add_u32 v63, v38, 2, v8
	v_and_b32_e32 v8, 1, v61
	v_lshl_add_u64 v[10:11], v[8:9], 0, -1
	v_cmp_ne_u32_e64 s[34:35], 0, v8
	; wave barrier
	s_nop 1
	v_xor_b32_e32 v10, s34, v10
	v_xor_b32_e32 v8, s35, v11
	v_and_b32_e32 v62, exec_lo, v10
	v_lshlrev_b32_e32 v11, 30, v61
	v_mov_b32_e32 v10, v9
	v_cmp_gt_i64_e64 s[34:35], 0, v[10:11]
	v_not_b32_e32 v10, v11
	v_ashrrev_i32_e32 v10, 31, v10
	v_and_b32_e32 v8, exec_hi, v8
	v_xor_b32_e32 v11, s35, v10
	v_xor_b32_e32 v10, s34, v10
	v_and_b32_e32 v8, v8, v11
	v_and_b32_e32 v62, v62, v10
	v_lshlrev_b32_e32 v11, 29, v61
	v_mov_b32_e32 v10, v9
	v_cmp_gt_i64_e64 s[34:35], 0, v[10:11]
	v_not_b32_e32 v10, v11
	v_ashrrev_i32_e32 v10, 31, v10
	v_xor_b32_e32 v11, s35, v10
	v_xor_b32_e32 v10, s34, v10
	v_and_b32_e32 v8, v8, v11
	v_and_b32_e32 v62, v62, v10
	v_lshlrev_b32_e32 v11, 28, v61
	v_mov_b32_e32 v10, v9
	v_cmp_gt_i64_e64 s[34:35], 0, v[10:11]
	v_not_b32_e32 v10, v11
	v_ashrrev_i32_e32 v10, 31, v10
	;; [unrolled: 9-line block ×5, first 2 shown]
	v_xor_b32_e32 v11, s35, v10
	v_xor_b32_e32 v10, s34, v10
	v_and_b32_e32 v8, v8, v11
	v_lshlrev_b32_e32 v11, 24, v61
	v_and_b32_e32 v62, v62, v10
	v_mov_b32_e32 v10, v9
	v_not_b32_e32 v9, v11
	v_cmp_gt_i64_e64 s[34:35], 0, v[10:11]
	v_ashrrev_i32_e32 v9, 31, v9
	ds_read_b32 v59, v63 offset:64
	v_xor_b32_e32 v10, s35, v9
	v_xor_b32_e32 v11, s34, v9
	v_and_b32_e32 v9, v8, v10
	v_and_b32_e32 v8, v62, v11
	v_mbcnt_lo_u32_b32 v10, v8, 0
	v_mbcnt_hi_u32_b32 v61, v9, v10
	v_cmp_eq_u32_e64 s[34:35], 0, v61
	v_cmp_ne_u64_e64 s[36:37], 0, v[8:9]
	s_and_b64 s[36:37], s[36:37], s[34:35]
	; wave barrier
	s_and_saveexec_b64 s[34:35], s[36:37]
	s_cbranch_execz .LBB850_57
; %bb.56:
	v_bcnt_u32_b32 v8, v8, 0
	v_bcnt_u32_b32 v8, v9, v8
	s_waitcnt lgkmcnt(0)
	v_add_u32_e32 v8, v59, v8
	ds_write_b32 v63, v8 offset:64
.LBB850_57:
	s_or_b64 exec, exec, s[34:35]
	v_lshrrev_b32_e32 v8, s64, v24
	v_and_b32_e32 v64, s68, v8
	v_mul_lo_u32 v8, v64, s38
	v_lshl_add_u32 v66, v38, 2, v8
	v_and_b32_e32 v8, 1, v64
	v_mov_b32_e32 v9, 0
	v_lshl_add_u64 v[10:11], v[8:9], 0, -1
	v_cmp_ne_u32_e64 s[34:35], 0, v8
	; wave barrier
	s_nop 1
	v_xor_b32_e32 v10, s34, v10
	v_xor_b32_e32 v8, s35, v11
	v_and_b32_e32 v65, exec_lo, v10
	v_lshlrev_b32_e32 v11, 30, v64
	v_mov_b32_e32 v10, v9
	v_cmp_gt_i64_e64 s[34:35], 0, v[10:11]
	v_not_b32_e32 v10, v11
	v_ashrrev_i32_e32 v10, 31, v10
	v_and_b32_e32 v8, exec_hi, v8
	v_xor_b32_e32 v11, s35, v10
	v_xor_b32_e32 v10, s34, v10
	v_and_b32_e32 v8, v8, v11
	v_and_b32_e32 v65, v65, v10
	v_lshlrev_b32_e32 v11, 29, v64
	v_mov_b32_e32 v10, v9
	v_cmp_gt_i64_e64 s[34:35], 0, v[10:11]
	v_not_b32_e32 v10, v11
	v_ashrrev_i32_e32 v10, 31, v10
	v_xor_b32_e32 v11, s35, v10
	v_xor_b32_e32 v10, s34, v10
	v_and_b32_e32 v8, v8, v11
	v_and_b32_e32 v65, v65, v10
	v_lshlrev_b32_e32 v11, 28, v64
	v_mov_b32_e32 v10, v9
	v_cmp_gt_i64_e64 s[34:35], 0, v[10:11]
	v_not_b32_e32 v10, v11
	v_ashrrev_i32_e32 v10, 31, v10
	;; [unrolled: 9-line block ×6, first 2 shown]
	v_xor_b32_e32 v11, s35, v10
	v_xor_b32_e32 v10, s34, v10
	ds_read_b32 v62, v66 offset:64
	v_and_b32_e32 v10, v65, v10
	v_and_b32_e32 v11, v8, v11
	v_mbcnt_lo_u32_b32 v8, v10, 0
	v_mbcnt_hi_u32_b32 v64, v11, v8
	v_cmp_eq_u32_e64 s[34:35], 0, v64
	v_cmp_ne_u64_e64 s[36:37], 0, v[10:11]
	s_and_b64 s[36:37], s[36:37], s[34:35]
	; wave barrier
	s_and_saveexec_b64 s[34:35], s[36:37]
	s_cbranch_execz .LBB850_59
; %bb.58:
	v_bcnt_u32_b32 v8, v10, 0
	v_bcnt_u32_b32 v8, v11, v8
	s_waitcnt lgkmcnt(0)
	v_add_u32_e32 v8, v62, v8
	ds_write_b32 v66, v8 offset:64
.LBB850_59:
	s_or_b64 exec, exec, s[34:35]
	v_lshrrev_b32_e32 v8, s64, v23
	v_and_b32_e32 v67, s68, v8
	v_mul_lo_u32 v8, v67, s38
	v_lshl_add_u32 v69, v38, 2, v8
	v_and_b32_e32 v8, 1, v67
	v_lshl_add_u64 v[10:11], v[8:9], 0, -1
	v_cmp_ne_u32_e64 s[34:35], 0, v8
	; wave barrier
	s_nop 1
	v_xor_b32_e32 v10, s34, v10
	v_xor_b32_e32 v8, s35, v11
	v_and_b32_e32 v68, exec_lo, v10
	v_lshlrev_b32_e32 v11, 30, v67
	v_mov_b32_e32 v10, v9
	v_cmp_gt_i64_e64 s[34:35], 0, v[10:11]
	v_not_b32_e32 v10, v11
	v_ashrrev_i32_e32 v10, 31, v10
	v_and_b32_e32 v8, exec_hi, v8
	v_xor_b32_e32 v11, s35, v10
	v_xor_b32_e32 v10, s34, v10
	v_and_b32_e32 v8, v8, v11
	v_and_b32_e32 v68, v68, v10
	v_lshlrev_b32_e32 v11, 29, v67
	v_mov_b32_e32 v10, v9
	v_cmp_gt_i64_e64 s[34:35], 0, v[10:11]
	v_not_b32_e32 v10, v11
	v_ashrrev_i32_e32 v10, 31, v10
	v_xor_b32_e32 v11, s35, v10
	v_xor_b32_e32 v10, s34, v10
	v_and_b32_e32 v8, v8, v11
	v_and_b32_e32 v68, v68, v10
	v_lshlrev_b32_e32 v11, 28, v67
	v_mov_b32_e32 v10, v9
	v_cmp_gt_i64_e64 s[34:35], 0, v[10:11]
	v_not_b32_e32 v10, v11
	v_ashrrev_i32_e32 v10, 31, v10
	;; [unrolled: 9-line block ×5, first 2 shown]
	v_xor_b32_e32 v11, s35, v10
	v_xor_b32_e32 v10, s34, v10
	v_and_b32_e32 v8, v8, v11
	v_lshlrev_b32_e32 v11, 24, v67
	v_and_b32_e32 v68, v68, v10
	v_mov_b32_e32 v10, v9
	v_not_b32_e32 v9, v11
	v_cmp_gt_i64_e64 s[34:35], 0, v[10:11]
	v_ashrrev_i32_e32 v9, 31, v9
	ds_read_b32 v65, v69 offset:64
	v_xor_b32_e32 v10, s35, v9
	v_xor_b32_e32 v11, s34, v9
	v_and_b32_e32 v9, v8, v10
	v_and_b32_e32 v8, v68, v11
	v_mbcnt_lo_u32_b32 v10, v8, 0
	v_mbcnt_hi_u32_b32 v67, v9, v10
	v_cmp_eq_u32_e64 s[34:35], 0, v67
	v_cmp_ne_u64_e64 s[36:37], 0, v[8:9]
	s_and_b64 s[36:37], s[36:37], s[34:35]
	; wave barrier
	s_and_saveexec_b64 s[34:35], s[36:37]
	s_cbranch_execz .LBB850_61
; %bb.60:
	v_bcnt_u32_b32 v8, v8, 0
	v_bcnt_u32_b32 v8, v9, v8
	s_waitcnt lgkmcnt(0)
	v_add_u32_e32 v8, v65, v8
	ds_write_b32 v69, v8 offset:64
.LBB850_61:
	s_or_b64 exec, exec, s[34:35]
	v_lshrrev_b32_e32 v8, s64, v26
	v_and_b32_e32 v70, s68, v8
	v_mul_lo_u32 v8, v70, s38
	v_lshl_add_u32 v72, v38, 2, v8
	v_and_b32_e32 v8, 1, v70
	v_mov_b32_e32 v9, 0
	v_lshl_add_u64 v[10:11], v[8:9], 0, -1
	v_cmp_ne_u32_e64 s[34:35], 0, v8
	; wave barrier
	s_nop 1
	v_xor_b32_e32 v10, s34, v10
	v_xor_b32_e32 v8, s35, v11
	v_and_b32_e32 v71, exec_lo, v10
	v_lshlrev_b32_e32 v11, 30, v70
	v_mov_b32_e32 v10, v9
	v_cmp_gt_i64_e64 s[34:35], 0, v[10:11]
	v_not_b32_e32 v10, v11
	v_ashrrev_i32_e32 v10, 31, v10
	v_and_b32_e32 v8, exec_hi, v8
	v_xor_b32_e32 v11, s35, v10
	v_xor_b32_e32 v10, s34, v10
	v_and_b32_e32 v8, v8, v11
	v_and_b32_e32 v71, v71, v10
	v_lshlrev_b32_e32 v11, 29, v70
	v_mov_b32_e32 v10, v9
	v_cmp_gt_i64_e64 s[34:35], 0, v[10:11]
	v_not_b32_e32 v10, v11
	v_ashrrev_i32_e32 v10, 31, v10
	v_xor_b32_e32 v11, s35, v10
	v_xor_b32_e32 v10, s34, v10
	v_and_b32_e32 v8, v8, v11
	v_and_b32_e32 v71, v71, v10
	v_lshlrev_b32_e32 v11, 28, v70
	v_mov_b32_e32 v10, v9
	v_cmp_gt_i64_e64 s[34:35], 0, v[10:11]
	v_not_b32_e32 v10, v11
	v_ashrrev_i32_e32 v10, 31, v10
	;; [unrolled: 9-line block ×6, first 2 shown]
	v_xor_b32_e32 v11, s35, v10
	v_xor_b32_e32 v10, s34, v10
	ds_read_b32 v68, v72 offset:64
	v_and_b32_e32 v10, v71, v10
	v_and_b32_e32 v11, v8, v11
	v_mbcnt_lo_u32_b32 v8, v10, 0
	v_mbcnt_hi_u32_b32 v70, v11, v8
	v_cmp_eq_u32_e64 s[34:35], 0, v70
	v_cmp_ne_u64_e64 s[36:37], 0, v[10:11]
	s_and_b64 s[36:37], s[36:37], s[34:35]
	; wave barrier
	s_and_saveexec_b64 s[34:35], s[36:37]
	s_cbranch_execz .LBB850_63
; %bb.62:
	v_bcnt_u32_b32 v8, v10, 0
	v_bcnt_u32_b32 v8, v11, v8
	s_waitcnt lgkmcnt(0)
	v_add_u32_e32 v8, v68, v8
	ds_write_b32 v72, v8 offset:64
.LBB850_63:
	s_or_b64 exec, exec, s[34:35]
	v_lshrrev_b32_e32 v8, s64, v25
	v_and_b32_e32 v73, s68, v8
	v_mul_lo_u32 v8, v73, s38
	v_lshl_add_u32 v74, v38, 2, v8
	v_and_b32_e32 v8, 1, v73
	v_lshl_add_u64 v[10:11], v[8:9], 0, -1
	v_cmp_ne_u32_e64 s[34:35], 0, v8
	; wave barrier
	s_nop 1
	v_xor_b32_e32 v10, s34, v10
	v_xor_b32_e32 v8, s35, v11
	v_and_b32_e32 v38, exec_lo, v10
	v_lshlrev_b32_e32 v11, 30, v73
	v_mov_b32_e32 v10, v9
	v_cmp_gt_i64_e64 s[34:35], 0, v[10:11]
	v_not_b32_e32 v10, v11
	v_ashrrev_i32_e32 v10, 31, v10
	v_and_b32_e32 v8, exec_hi, v8
	v_xor_b32_e32 v11, s35, v10
	v_xor_b32_e32 v10, s34, v10
	v_and_b32_e32 v8, v8, v11
	v_and_b32_e32 v38, v38, v10
	v_lshlrev_b32_e32 v11, 29, v73
	v_mov_b32_e32 v10, v9
	v_cmp_gt_i64_e64 s[34:35], 0, v[10:11]
	v_not_b32_e32 v10, v11
	v_ashrrev_i32_e32 v10, 31, v10
	v_xor_b32_e32 v11, s35, v10
	v_xor_b32_e32 v10, s34, v10
	v_and_b32_e32 v8, v8, v11
	v_and_b32_e32 v38, v38, v10
	v_lshlrev_b32_e32 v11, 28, v73
	v_mov_b32_e32 v10, v9
	v_cmp_gt_i64_e64 s[34:35], 0, v[10:11]
	v_not_b32_e32 v10, v11
	v_ashrrev_i32_e32 v10, 31, v10
	;; [unrolled: 9-line block ×5, first 2 shown]
	v_xor_b32_e32 v11, s35, v10
	v_xor_b32_e32 v10, s34, v10
	v_and_b32_e32 v8, v8, v11
	v_lshlrev_b32_e32 v11, 24, v73
	v_and_b32_e32 v38, v38, v10
	v_mov_b32_e32 v10, v9
	v_not_b32_e32 v9, v11
	v_cmp_gt_i64_e64 s[34:35], 0, v[10:11]
	v_ashrrev_i32_e32 v9, 31, v9
	ds_read_b32 v71, v74 offset:64
	v_xor_b32_e32 v10, s35, v9
	v_xor_b32_e32 v11, s34, v9
	v_and_b32_e32 v9, v8, v10
	v_and_b32_e32 v8, v38, v11
	v_mbcnt_lo_u32_b32 v10, v8, 0
	v_mbcnt_hi_u32_b32 v73, v9, v10
	v_cmp_eq_u32_e64 s[34:35], 0, v73
	v_cmp_ne_u64_e64 s[36:37], 0, v[8:9]
	s_and_b64 s[36:37], s[36:37], s[34:35]
	; wave barrier
	s_and_saveexec_b64 s[34:35], s[36:37]
	s_cbranch_execz .LBB850_65
; %bb.64:
	v_bcnt_u32_b32 v8, v8, 0
	v_bcnt_u32_b32 v8, v9, v8
	s_waitcnt lgkmcnt(0)
	v_add_u32_e32 v8, v71, v8
	ds_write_b32 v74, v8 offset:64
.LBB850_65:
	s_or_b64 exec, exec, s[34:35]
	; wave barrier
	s_waitcnt lgkmcnt(0)
	s_barrier
	ds_read2_b32 v[10:11], v13 offset0:16 offset1:17
	ds_read2_b32 v[8:9], v13 offset0:18 offset1:19
	ds_read_b32 v38, v13 offset:80
	v_cmp_lt_u32_e64 s[44:45], 31, v12
	s_waitcnt lgkmcnt(1)
	v_add3_u32 v75, v11, v10, v8
	s_waitcnt lgkmcnt(0)
	v_add3_u32 v38, v75, v9, v38
	v_and_b32_e32 v75, 15, v12
	v_cmp_eq_u32_e64 s[34:35], 0, v75
	v_mov_b32_dpp v76, v38 row_shr:1 row_mask:0xf bank_mask:0xf
	v_cmp_lt_u32_e64 s[36:37], 1, v75
	v_cndmask_b32_e64 v76, v76, 0, s[34:35]
	v_add_u32_e32 v38, v76, v38
	v_cmp_lt_u32_e64 s[38:39], 3, v75
	v_cmp_lt_u32_e64 s[40:41], 7, v75
	v_mov_b32_dpp v76, v38 row_shr:2 row_mask:0xf bank_mask:0xf
	v_cndmask_b32_e64 v76, 0, v76, s[36:37]
	v_add_u32_e32 v38, v38, v76
	s_nop 1
	v_mov_b32_dpp v76, v38 row_shr:4 row_mask:0xf bank_mask:0xf
	v_cndmask_b32_e64 v76, 0, v76, s[38:39]
	v_add_u32_e32 v38, v38, v76
	s_nop 1
	v_mov_b32_dpp v76, v38 row_shr:8 row_mask:0xf bank_mask:0xf
	v_cndmask_b32_e64 v75, 0, v76, s[40:41]
	v_add_u32_e32 v38, v38, v75
	v_bfe_i32 v76, v12, 4, 1
	s_nop 0
	v_mov_b32_dpp v75, v38 row_bcast:15 row_mask:0xf bank_mask:0xf
	v_and_b32_e32 v75, v76, v75
	v_add_u32_e32 v38, v38, v75
	v_lshrrev_b32_e32 v76, 6, v2
	s_nop 0
	v_mov_b32_dpp v75, v38 row_bcast:31 row_mask:0xf bank_mask:0xf
	v_cndmask_b32_e64 v75, 0, v75, s[44:45]
	v_add_u32_e32 v75, v38, v75
	v_and_b32_e32 v38, 63, v2
	v_cmp_eq_u32_e64 s[44:45], 63, v38
	s_and_saveexec_b64 s[46:47], s[44:45]
; %bb.66:
	v_lshlrev_b32_e32 v38, 2, v76
	ds_write_b32 v38, v75
; %bb.67:
	s_or_b64 exec, exec, s[46:47]
	v_cmp_gt_u32_e64 s[44:45], 16, v2
	v_lshlrev_b32_e32 v38, 2, v2
	s_waitcnt lgkmcnt(0)
	s_barrier
	s_and_saveexec_b64 s[46:47], s[44:45]
	s_cbranch_execz .LBB850_69
; %bb.68:
	ds_read_b32 v77, v38
	s_waitcnt lgkmcnt(0)
	s_nop 0
	v_mov_b32_dpp v78, v77 row_shr:1 row_mask:0xf bank_mask:0xf
	v_cndmask_b32_e64 v78, v78, 0, s[34:35]
	v_add_u32_e32 v77, v78, v77
	s_nop 1
	v_mov_b32_dpp v78, v77 row_shr:2 row_mask:0xf bank_mask:0xf
	v_cndmask_b32_e64 v78, 0, v78, s[36:37]
	v_add_u32_e32 v77, v77, v78
	;; [unrolled: 4-line block ×4, first 2 shown]
	ds_write_b32 v38, v77
.LBB850_69:
	s_or_b64 exec, exec, s[46:47]
	v_cmp_lt_u32_e64 s[34:35], 63, v2
	v_mov_b32_e32 v77, 0
	s_waitcnt lgkmcnt(0)
	s_barrier
	s_and_saveexec_b64 s[36:37], s[34:35]
; %bb.70:
	v_lshl_add_u32 v76, v76, 2, -4
	ds_read_b32 v77, v76
; %bb.71:
	s_or_b64 exec, exec, s[36:37]
	v_subrev_co_u32_e64 v76, s[34:35], 1, v12
	v_and_b32_e32 v78, 64, v12
	v_cmp_lt_i32_e64 s[36:37], v76, v78
	s_waitcnt lgkmcnt(0)
	v_add_u32_e32 v75, v77, v75
	s_movk_i32 s38, 0x100
	v_cndmask_b32_e64 v12, v76, v12, s[36:37]
	v_lshlrev_b32_e32 v12, 2, v12
	ds_bpermute_b32 v12, v12, v75
	v_cmp_gt_u32_e64 s[36:37], s38, v2
	s_waitcnt lgkmcnt(0)
	v_cndmask_b32_e64 v12, v12, v77, s[34:35]
	v_cmp_ne_u32_e64 s[34:35], 0, v2
	s_nop 1
	v_cndmask_b32_e64 v12, 0, v12, s[34:35]
	v_add_u32_e32 v10, v12, v10
	v_add_u32_e32 v11, v10, v11
	;; [unrolled: 1-line block ×4, first 2 shown]
	ds_write2_b32 v13, v12, v10 offset0:16 offset1:17
	ds_write2_b32 v13, v11, v8 offset0:18 offset1:19
	ds_write_b32 v13, v9 offset:80
	s_waitcnt lgkmcnt(0)
	s_barrier
	ds_read_b32 v84, v31 offset:64
	ds_read_b32 v75, v33 offset:64
	;; [unrolled: 1-line block ×16, first 2 shown]
	s_movk_i32 s34, 0xff
	v_cmp_lt_u32_e64 s[34:35], s34, v2
                                        ; implicit-def: $vgpr31
                                        ; implicit-def: $vgpr33
	s_and_saveexec_b64 s[40:41], s[36:37]
	s_cbranch_execz .LBB850_75
; %bb.72:
	v_mul_u32_u24_e32 v8, 0x44, v2
	ds_read_b32 v31, v8 offset:64
	v_add_u32_e32 v9, 1, v2
	v_cmp_ne_u32_e64 s[38:39], s38, v9
	v_mov_b32_e32 v8, 0x4000
	s_and_saveexec_b64 s[44:45], s[38:39]
; %bb.73:
	v_mul_u32_u24_e32 v8, 0x44, v9
	ds_read_b32 v8, v8 offset:64
; %bb.74:
	s_or_b64 exec, exec, s[44:45]
	s_waitcnt lgkmcnt(0)
	v_sub_u32_e32 v33, v8, v31
.LBB850_75:
	s_or_b64 exec, exec, s[40:41]
	v_mov_b32_e32 v9, 0
	s_waitcnt lgkmcnt(0)
	s_barrier
	s_and_saveexec_b64 s[38:39], s[36:37]
	s_cbranch_execz .LBB850_85
; %bb.76:
	v_lshl_add_u32 v8, s2, 8, v2
	v_lshl_add_u64 v[10:11], v[8:9], 2, s[50:51]
	v_or_b32_e32 v8, 2.0, v33
	s_mov_b64 s[40:41], 0
	s_brev_b32 s48, -4
	s_mov_b32 s49, s2
	v_mov_b32_e32 v48, 0
	global_store_dword v[10:11], v8, off sc1
                                        ; implicit-def: $sgpr36_sgpr37
	s_branch .LBB850_79
.LBB850_77:                             ;   in Loop: Header=BB850_79 Depth=1
	s_or_b64 exec, exec, s[46:47]
.LBB850_78:                             ;   in Loop: Header=BB850_79 Depth=1
	s_or_b64 exec, exec, s[44:45]
	v_and_b32_e32 v12, 0x3fffffff, v8
	v_add_u32_e32 v48, v12, v48
	v_cmp_gt_i32_e64 s[36:37], -2.0, v8
	s_and_b64 s[44:45], exec, s[36:37]
	s_or_b64 s[40:41], s[44:45], s[40:41]
	s_andn2_b64 exec, exec, s[40:41]
	s_cbranch_execz .LBB850_84
.LBB850_79:                             ; =>This Loop Header: Depth=1
                                        ;     Child Loop BB850_82 Depth 2
	s_or_b64 s[36:37], s[36:37], exec
	s_cmp_eq_u32 s49, 0
	s_cbranch_scc1 .LBB850_83
; %bb.80:                               ;   in Loop: Header=BB850_79 Depth=1
	s_add_i32 s49, s49, -1
	v_lshl_or_b32 v8, s49, 8, v2
	v_lshl_add_u64 v[12:13], v[8:9], 2, s[50:51]
	global_load_dword v8, v[12:13], off sc1
	s_waitcnt vmcnt(0)
	v_cmp_gt_u32_e64 s[36:37], 2.0, v8
	s_and_saveexec_b64 s[44:45], s[36:37]
	s_cbranch_execz .LBB850_78
; %bb.81:                               ;   in Loop: Header=BB850_79 Depth=1
	s_mov_b64 s[46:47], 0
.LBB850_82:                             ;   Parent Loop BB850_79 Depth=1
                                        ; =>  This Inner Loop Header: Depth=2
	global_load_dword v8, v[12:13], off sc1
	s_waitcnt vmcnt(0)
	v_cmp_lt_u32_e64 s[36:37], s48, v8
	s_or_b64 s[46:47], s[36:37], s[46:47]
	s_andn2_b64 exec, exec, s[46:47]
	s_cbranch_execnz .LBB850_82
	s_branch .LBB850_77
.LBB850_83:                             ;   in Loop: Header=BB850_79 Depth=1
                                        ; implicit-def: $sgpr49
	s_and_b64 s[44:45], exec, s[36:37]
	s_or_b64 s[40:41], s[44:45], s[40:41]
	s_andn2_b64 exec, exec, s[40:41]
	s_cbranch_execnz .LBB850_79
.LBB850_84:
	s_or_b64 exec, exec, s[40:41]
	v_add_u32_e32 v8, v48, v33
	v_or_b32_e32 v8, 0x80000000, v8
	global_store_dword v[10:11], v8, off sc1
	global_load_dword v8, v38, s[60:61]
	v_sub_u32_e32 v9, v48, v31
	s_waitcnt vmcnt(0)
	v_add_u32_e32 v8, v9, v8
	ds_write_b32 v38, v8
.LBB850_85:
	s_or_b64 exec, exec, s[38:39]
	v_add_u32_e32 v10, v84, v28
	v_add3_u32 v8, v29, v27, v75
	v_add3_u32 v9, v32, v30, v76
	;; [unrolled: 1-line block ×15, first 2 shown]
	v_mov_b32_e32 v87, 0x400
	s_movk_i32 s40, 0x400
	v_lshl_add_u32 v11, v11, 2, v87
	v_add3_u32 v12, v73, v43, v71
	v_lshl_add_u32 v13, v13, 2, v87
	v_add3_u32 v28, v70, v36, v68
	;; [unrolled: 2-line block ×15, first 2 shown]
	v_lshl_add_u32 v29, v10, 2, v87
	s_mov_b32 s41, 0
	s_mov_b32 s44, 0
	s_movk_i32 s45, 0x1000
	v_mov_b32_e32 v9, 0
	s_movk_i32 s46, 0x800
	s_movk_i32 s47, 0xc00
	v_mov_b32_e32 v58, v2
	s_mov_b32 s48, 0
	s_branch .LBB850_87
.LBB850_86:                             ;   in Loop: Header=BB850_87 Depth=1
	s_or_b64 exec, exec, s[38:39]
	s_addk_i32 s48, 0xc000
	s_add_i32 s41, s41, 16
	s_addk_i32 s44, 0xf000
	s_cmp_eq_u32 s48, 0xffff0000
	v_add_u32_e32 v58, 0x1000, v58
	s_barrier
	s_cbranch_scc1 .LBB850_127
.LBB850_87:                             ; =>This Inner Loop Header: Depth=1
	v_add_u32_e32 v8, s44, v10
	v_cmp_gt_u32_e64 s[36:37], s45, v8
	s_and_saveexec_b64 s[38:39], s[36:37]
; %bb.88:                               ;   in Loop: Header=BB850_87 Depth=1
	v_add_u32_e32 v8, s48, v29
	ds_write_b32 v8, v5
; %bb.89:                               ;   in Loop: Header=BB850_87 Depth=1
	s_or_b64 exec, exec, s[38:39]
	v_add_u32_e32 v8, s44, v27
	v_cmp_gt_u32_e64 s[36:37], s45, v8
	s_and_saveexec_b64 s[38:39], s[36:37]
; %bb.90:                               ;   in Loop: Header=BB850_87 Depth=1
	v_add_u32_e32 v8, s48, v32
	ds_write_b32 v8, v3
; %bb.91:                               ;   in Loop: Header=BB850_87 Depth=1
	s_or_b64 exec, exec, s[38:39]
	;; [unrolled: 8-line block ×6, first 2 shown]
	v_add_u32_e32 v8, s44, v44
	v_cmp_gt_u32_e64 s[36:37], s45, v8
	s_and_saveexec_b64 s[38:39], s[36:37]
; %bb.100:                              ;   in Loop: Header=BB850_87 Depth=1
	v_add_u32_e32 v8, s48, v49
	ds_write_b32 v8, v18
; %bb.101:                              ;   in Loop: Header=BB850_87 Depth=1
	s_or_b64 exec, exec, s[38:39]
	v_add_u32_e32 v8, s44, v47
	v_cmp_gt_u32_e64 s[36:37], s45, v8
	s_and_saveexec_b64 s[38:39], s[36:37]
; %bb.102:                              ;   in Loop: Header=BB850_87 Depth=1
	v_add_u32_e32 v8, s48, v52
	ds_write_b32 v8, v17
; %bb.103:                              ;   in Loop: Header=BB850_87 Depth=1
	s_or_b64 exec, exec, s[38:39]
	;; [unrolled: 8-line block ×10, first 2 shown]
	v_cmp_gt_u32_e64 s[36:37], s3, v58
	s_waitcnt lgkmcnt(0)
	s_barrier
	s_and_saveexec_b64 s[38:39], s[36:37]
	s_cbranch_execz .LBB850_121
; %bb.120:                              ;   in Loop: Header=BB850_87 Depth=1
	ds_read_b32 v8, v38 offset:1024
	s_waitcnt lgkmcnt(0)
	v_lshrrev_b32_e32 v59, s64, v8
	v_and_b32_e32 v59, s68, v59
	v_lshlrev_b32_e32 v60, 2, v59
	ds_read_b32 v60, v60
	v_xor_b32_e32 v62, 0x80000000, v8
	s_waitcnt lgkmcnt(0)
	v_add_u32_e32 v8, v58, v60
	v_lshl_add_u64 v[60:61], v[8:9], 2, s[54:55]
	global_store_dword v[60:61], v62, off
	scratch_store_dword off, v59, s41
.LBB850_121:                            ;   in Loop: Header=BB850_87 Depth=1
	s_or_b64 exec, exec, s[38:39]
	v_add_u32_e32 v8, 0x400, v58
	v_cmp_gt_u32_e64 s[36:37], s3, v8
	s_and_saveexec_b64 s[38:39], s[36:37]
	s_cbranch_execz .LBB850_123
; %bb.122:                              ;   in Loop: Header=BB850_87 Depth=1
	ds_read_b32 v8, v38 offset:5120
	s_add_i32 s36, s41, 4
	s_waitcnt lgkmcnt(0)
	v_lshrrev_b32_e32 v59, s64, v8
	v_and_b32_e32 v59, s68, v59
	v_lshlrev_b32_e32 v60, 2, v59
	ds_read_b32 v60, v60
	v_xor_b32_e32 v62, 0x80000000, v8
	s_waitcnt lgkmcnt(0)
	v_add3_u32 v8, v58, v60, s40
	v_lshl_add_u64 v[60:61], v[8:9], 2, s[54:55]
	global_store_dword v[60:61], v62, off
	scratch_store_dword off, v59, s36
.LBB850_123:                            ;   in Loop: Header=BB850_87 Depth=1
	s_or_b64 exec, exec, s[38:39]
	v_add_u32_e32 v8, 0x800, v58
	v_cmp_gt_u32_e64 s[36:37], s3, v8
	s_and_saveexec_b64 s[38:39], s[36:37]
	s_cbranch_execz .LBB850_125
; %bb.124:                              ;   in Loop: Header=BB850_87 Depth=1
	ds_read_b32 v8, v38 offset:9216
	s_add_i32 s36, s41, 8
	s_waitcnt lgkmcnt(0)
	v_lshrrev_b32_e32 v59, s64, v8
	v_and_b32_e32 v59, s68, v59
	v_lshlrev_b32_e32 v60, 2, v59
	ds_read_b32 v60, v60
	v_xor_b32_e32 v62, 0x80000000, v8
	s_waitcnt lgkmcnt(0)
	v_add3_u32 v8, v58, v60, s46
	v_lshl_add_u64 v[60:61], v[8:9], 2, s[54:55]
	global_store_dword v[60:61], v62, off
	scratch_store_dword off, v59, s36
.LBB850_125:                            ;   in Loop: Header=BB850_87 Depth=1
	s_or_b64 exec, exec, s[38:39]
	v_add_u32_e32 v8, 0xc00, v58
	v_cmp_gt_u32_e64 s[36:37], s3, v8
	s_and_saveexec_b64 s[38:39], s[36:37]
	s_cbranch_execz .LBB850_86
; %bb.126:                              ;   in Loop: Header=BB850_87 Depth=1
	ds_read_b32 v8, v38 offset:13312
	s_add_i32 s36, s41, 12
	s_waitcnt lgkmcnt(0)
	v_lshrrev_b32_e32 v59, s64, v8
	v_and_b32_e32 v59, s68, v59
	v_lshlrev_b32_e32 v60, 2, v59
	ds_read_b32 v60, v60
	v_xor_b32_e32 v62, 0x80000000, v8
	s_waitcnt lgkmcnt(0)
	v_add3_u32 v8, v58, v60, s47
	v_lshl_add_u64 v[60:61], v[8:9], 2, s[54:55]
	global_store_dword v[60:61], v62, off
	scratch_store_dword off, v59, s36
	s_branch .LBB850_86
.LBB850_127:
	s_add_u32 s36, s56, s66
	s_addc_u32 s37, s57, s67
	v_mov_b32_e32 v5, 0
	v_lshl_add_u64 v[8:9], s[36:37], 0, v[4:5]
	v_mov_b32_e32 v7, v5
	v_lshl_add_u64 v[4:5], v[8:9], 0, v[6:7]
                                        ; implicit-def: $vgpr3
	s_and_saveexec_b64 s[36:37], vcc
	s_cbranch_execz .LBB850_143
; %bb.128:
	global_load_dword v3, v[4:5], off
	s_or_b64 exec, exec, s[36:37]
                                        ; implicit-def: $vgpr6
	s_and_saveexec_b64 s[36:37], s[42:43]
	s_cbranch_execnz .LBB850_144
.LBB850_129:
	s_or_b64 exec, exec, s[36:37]
                                        ; implicit-def: $vgpr7
	s_and_saveexec_b64 s[36:37], s[4:5]
	s_cbranch_execz .LBB850_145
.LBB850_130:
	global_load_dword v7, v[4:5], off offset:512
	s_or_b64 exec, exec, s[36:37]
                                        ; implicit-def: $vgpr8
	s_and_saveexec_b64 s[4:5], s[6:7]
	s_cbranch_execnz .LBB850_146
.LBB850_131:
	s_or_b64 exec, exec, s[4:5]
                                        ; implicit-def: $vgpr9
	s_and_saveexec_b64 s[4:5], s[8:9]
	s_cbranch_execz .LBB850_147
.LBB850_132:
	global_load_dword v9, v[4:5], off offset:1024
	s_or_b64 exec, exec, s[4:5]
                                        ; implicit-def: $vgpr14
	s_and_saveexec_b64 s[4:5], s[10:11]
	s_cbranch_execnz .LBB850_148
.LBB850_133:
	s_or_b64 exec, exec, s[4:5]
                                        ; implicit-def: $vgpr15
	s_and_saveexec_b64 s[4:5], s[12:13]
	s_cbranch_execz .LBB850_149
.LBB850_134:
	global_load_dword v15, v[4:5], off offset:1536
	s_or_b64 exec, exec, s[4:5]
                                        ; implicit-def: $vgpr16
	s_and_saveexec_b64 s[4:5], s[14:15]
	s_cbranch_execnz .LBB850_150
.LBB850_135:
	s_or_b64 exec, exec, s[4:5]
                                        ; implicit-def: $vgpr17
	s_and_saveexec_b64 s[4:5], s[16:17]
	s_cbranch_execz .LBB850_151
.LBB850_136:
	global_load_dword v17, v[4:5], off offset:2048
	s_or_b64 exec, exec, s[4:5]
                                        ; implicit-def: $vgpr18
	s_and_saveexec_b64 s[4:5], s[18:19]
	s_cbranch_execnz .LBB850_152
.LBB850_137:
	s_or_b64 exec, exec, s[4:5]
                                        ; implicit-def: $vgpr19
	s_and_saveexec_b64 s[4:5], s[20:21]
	s_cbranch_execz .LBB850_153
.LBB850_138:
	global_load_dword v19, v[4:5], off offset:2560
	s_or_b64 exec, exec, s[4:5]
                                        ; implicit-def: $vgpr20
	s_and_saveexec_b64 s[4:5], s[22:23]
	s_cbranch_execnz .LBB850_154
.LBB850_139:
	s_or_b64 exec, exec, s[4:5]
                                        ; implicit-def: $vgpr21
	s_and_saveexec_b64 s[4:5], s[24:25]
	s_cbranch_execz .LBB850_155
.LBB850_140:
	global_load_dword v21, v[4:5], off offset:3072
	s_or_b64 exec, exec, s[4:5]
                                        ; implicit-def: $vgpr22
	s_and_saveexec_b64 s[4:5], s[26:27]
	s_cbranch_execnz .LBB850_156
.LBB850_141:
	s_or_b64 exec, exec, s[4:5]
                                        ; implicit-def: $vgpr23
	s_and_saveexec_b64 s[4:5], s[28:29]
	s_cbranch_execz .LBB850_157
.LBB850_142:
	global_load_dword v23, v[4:5], off offset:3584
	s_or_b64 exec, exec, s[4:5]
                                        ; implicit-def: $vgpr24
	s_and_saveexec_b64 s[4:5], s[30:31]
	s_cbranch_execnz .LBB850_158
	s_branch .LBB850_159
.LBB850_143:
	s_or_b64 exec, exec, s[36:37]
                                        ; implicit-def: $vgpr6
	s_and_saveexec_b64 s[36:37], s[42:43]
	s_cbranch_execz .LBB850_129
.LBB850_144:
	global_load_dword v6, v[4:5], off offset:256
	s_or_b64 exec, exec, s[36:37]
                                        ; implicit-def: $vgpr7
	s_and_saveexec_b64 s[36:37], s[4:5]
	s_cbranch_execnz .LBB850_130
.LBB850_145:
	s_or_b64 exec, exec, s[36:37]
                                        ; implicit-def: $vgpr8
	s_and_saveexec_b64 s[4:5], s[6:7]
	s_cbranch_execz .LBB850_131
.LBB850_146:
	global_load_dword v8, v[4:5], off offset:768
	s_or_b64 exec, exec, s[4:5]
                                        ; implicit-def: $vgpr9
	s_and_saveexec_b64 s[4:5], s[8:9]
	s_cbranch_execnz .LBB850_132
.LBB850_147:
	s_or_b64 exec, exec, s[4:5]
                                        ; implicit-def: $vgpr14
	s_and_saveexec_b64 s[4:5], s[10:11]
	s_cbranch_execz .LBB850_133
.LBB850_148:
	global_load_dword v14, v[4:5], off offset:1280
	s_or_b64 exec, exec, s[4:5]
                                        ; implicit-def: $vgpr15
	s_and_saveexec_b64 s[4:5], s[12:13]
	s_cbranch_execnz .LBB850_134
.LBB850_149:
	s_or_b64 exec, exec, s[4:5]
                                        ; implicit-def: $vgpr16
	s_and_saveexec_b64 s[4:5], s[14:15]
	s_cbranch_execz .LBB850_135
.LBB850_150:
	global_load_dword v16, v[4:5], off offset:1792
	s_or_b64 exec, exec, s[4:5]
                                        ; implicit-def: $vgpr17
	s_and_saveexec_b64 s[4:5], s[16:17]
	s_cbranch_execnz .LBB850_136
.LBB850_151:
	s_or_b64 exec, exec, s[4:5]
                                        ; implicit-def: $vgpr18
	s_and_saveexec_b64 s[4:5], s[18:19]
	s_cbranch_execz .LBB850_137
.LBB850_152:
	global_load_dword v18, v[4:5], off offset:2304
	s_or_b64 exec, exec, s[4:5]
                                        ; implicit-def: $vgpr19
	s_and_saveexec_b64 s[4:5], s[20:21]
	s_cbranch_execnz .LBB850_138
.LBB850_153:
	s_or_b64 exec, exec, s[4:5]
                                        ; implicit-def: $vgpr20
	s_and_saveexec_b64 s[4:5], s[22:23]
	s_cbranch_execz .LBB850_139
.LBB850_154:
	global_load_dword v20, v[4:5], off offset:2816
	s_or_b64 exec, exec, s[4:5]
                                        ; implicit-def: $vgpr21
	s_and_saveexec_b64 s[4:5], s[24:25]
	s_cbranch_execnz .LBB850_140
.LBB850_155:
	s_or_b64 exec, exec, s[4:5]
                                        ; implicit-def: $vgpr22
	s_and_saveexec_b64 s[4:5], s[26:27]
	s_cbranch_execz .LBB850_141
.LBB850_156:
	global_load_dword v22, v[4:5], off offset:3328
	s_or_b64 exec, exec, s[4:5]
                                        ; implicit-def: $vgpr23
	s_and_saveexec_b64 s[4:5], s[28:29]
	s_cbranch_execnz .LBB850_142
.LBB850_157:
	s_or_b64 exec, exec, s[4:5]
                                        ; implicit-def: $vgpr24
	s_and_saveexec_b64 s[4:5], s[30:31]
	s_cbranch_execz .LBB850_159
.LBB850_158:
	global_load_dword v24, v[4:5], off offset:3840
.LBB850_159:
	s_or_b64 exec, exec, s[4:5]
	s_mov_b32 s6, 0
	s_mov_b32 s7, 0
	s_movk_i32 s8, 0x1000
	v_mov_b32_e32 v5, 0
	s_movk_i32 s9, 0x400
	s_movk_i32 s10, 0x800
	;; [unrolled: 1-line block ×3, first 2 shown]
	s_mov_b32 s12, 0
	s_branch .LBB850_161
.LBB850_160:                            ;   in Loop: Header=BB850_161 Depth=1
	s_or_b64 exec, exec, s[4:5]
	s_addk_i32 s12, 0xc000
	s_addk_i32 s7, 0xf000
	s_add_i32 s6, s6, 16
	s_cmp_eq_u32 s12, 0xffff0000
	v_add_u32_e32 v2, 0x1000, v2
	s_barrier
	s_cbranch_scc1 .LBB850_201
.LBB850_161:                            ; =>This Inner Loop Header: Depth=1
	v_add_u32_e32 v4, s7, v10
	v_cmp_gt_u32_e32 vcc, s8, v4
	s_and_saveexec_b64 s[4:5], vcc
	s_cbranch_execz .LBB850_163
; %bb.162:                              ;   in Loop: Header=BB850_161 Depth=1
	v_add_u32_e32 v4, s12, v29
	s_waitcnt vmcnt(0)
	ds_write_b32 v4, v3
.LBB850_163:                            ;   in Loop: Header=BB850_161 Depth=1
	s_or_b64 exec, exec, s[4:5]
	v_add_u32_e32 v4, s7, v27
	v_cmp_gt_u32_e32 vcc, s8, v4
	s_and_saveexec_b64 s[4:5], vcc
	s_cbranch_execz .LBB850_165
; %bb.164:                              ;   in Loop: Header=BB850_161 Depth=1
	v_add_u32_e32 v4, s12, v32
	s_waitcnt vmcnt(0)
	ds_write_b32 v4, v6
.LBB850_165:                            ;   in Loop: Header=BB850_161 Depth=1
	s_or_b64 exec, exec, s[4:5]
	;; [unrolled: 10-line block ×16, first 2 shown]
	v_cmp_gt_u32_e32 vcc, s3, v2
	s_waitcnt lgkmcnt(0)
	s_barrier
	s_and_saveexec_b64 s[4:5], vcc
	s_cbranch_execz .LBB850_195
; %bb.194:                              ;   in Loop: Header=BB850_161 Depth=1
	scratch_load_dword v4, off, s6
	s_waitcnt vmcnt(0)
	v_lshlrev_b32_e32 v4, 2, v4
	ds_read_b32 v4, v4
	ds_read_b32 v25, v38 offset:1024
	s_waitcnt lgkmcnt(1)
	v_add_u32_e32 v4, v2, v4
	v_lshl_add_u64 v[58:59], v[4:5], 2, s[58:59]
	s_waitcnt lgkmcnt(0)
	global_store_dword v[58:59], v25, off
.LBB850_195:                            ;   in Loop: Header=BB850_161 Depth=1
	s_or_b64 exec, exec, s[4:5]
	v_add_u32_e32 v4, 0x400, v2
	v_cmp_gt_u32_e32 vcc, s3, v4
	s_and_saveexec_b64 s[4:5], vcc
	s_cbranch_execz .LBB850_197
; %bb.196:                              ;   in Loop: Header=BB850_161 Depth=1
	s_add_i32 s13, s6, 4
	scratch_load_dword v4, off, s13
	s_waitcnt vmcnt(0)
	v_lshlrev_b32_e32 v4, 2, v4
	ds_read_b32 v4, v4
	ds_read_b32 v25, v38 offset:5120
	s_waitcnt lgkmcnt(1)
	v_add3_u32 v4, v2, v4, s9
	v_lshl_add_u64 v[58:59], v[4:5], 2, s[58:59]
	s_waitcnt lgkmcnt(0)
	global_store_dword v[58:59], v25, off
.LBB850_197:                            ;   in Loop: Header=BB850_161 Depth=1
	s_or_b64 exec, exec, s[4:5]
	v_add_u32_e32 v4, 0x800, v2
	v_cmp_gt_u32_e32 vcc, s3, v4
	s_and_saveexec_b64 s[4:5], vcc
	s_cbranch_execz .LBB850_199
; %bb.198:                              ;   in Loop: Header=BB850_161 Depth=1
	s_add_i32 s13, s6, 8
	scratch_load_dword v4, off, s13
	s_waitcnt vmcnt(0)
	v_lshlrev_b32_e32 v4, 2, v4
	ds_read_b32 v4, v4
	ds_read_b32 v25, v38 offset:9216
	s_waitcnt lgkmcnt(1)
	v_add3_u32 v4, v2, v4, s10
	v_lshl_add_u64 v[58:59], v[4:5], 2, s[58:59]
	s_waitcnt lgkmcnt(0)
	global_store_dword v[58:59], v25, off
.LBB850_199:                            ;   in Loop: Header=BB850_161 Depth=1
	s_or_b64 exec, exec, s[4:5]
	v_add_u32_e32 v4, 0xc00, v2
	v_cmp_gt_u32_e32 vcc, s3, v4
	s_and_saveexec_b64 s[4:5], vcc
	s_cbranch_execz .LBB850_160
; %bb.200:                              ;   in Loop: Header=BB850_161 Depth=1
	s_add_i32 s13, s6, 12
	scratch_load_dword v4, off, s13
	s_waitcnt vmcnt(0)
	v_lshlrev_b32_e32 v4, 2, v4
	ds_read_b32 v4, v4
	ds_read_b32 v25, v38 offset:13312
	s_waitcnt lgkmcnt(1)
	v_add3_u32 v4, v2, v4, s11
	v_lshl_add_u64 v[58:59], v[4:5], 2, s[58:59]
	s_waitcnt lgkmcnt(0)
	global_store_dword v[58:59], v25, off
	s_branch .LBB850_160
.LBB850_201:
	s_add_i32 s33, s33, -1
	s_cmp_eq_u32 s2, s33
	s_cselect_b64 s[4:5], -1, 0
	s_xor_b64 s[6:7], s[34:35], -1
	s_and_b64 s[6:7], s[6:7], s[4:5]
	s_and_saveexec_b64 s[4:5], s[6:7]
	s_cbranch_execz .LBB850_203
; %bb.202:
	ds_read_b32 v2, v38
	s_waitcnt lgkmcnt(0)
	v_add3_u32 v2, v31, v33, v2
	global_store_dword v38, v2, s[62:63]
.LBB850_203:
	s_or_b64 exec, exec, s[4:5]
	s_mov_b64 s[4:5], 0
.LBB850_204:
	s_and_b64 vcc, exec, s[4:5]
	s_cbranch_vccz .LBB850_327
; %bb.205:
	v_and_b32_e32 v2, 0x3ff, v0
	s_lshl_b32 s4, s2, 14
	s_mov_b32 s5, 0
	s_lshl_b64 s[10:11], s[4:5], 2
	v_mbcnt_hi_u32_b32 v10, -1, v1
	v_lshlrev_b32_e32 v1, 4, v2
	s_add_u32 s4, s52, s10
	s_waitcnt vmcnt(0)
	v_and_b32_e32 v3, 63, v10
	v_and_b32_e32 v6, 0x3c00, v1
	v_mov_b32_e32 v1, 0
	s_addc_u32 s5, s53, s11
	v_lshlrev_b32_e32 v4, 2, v3
	v_mov_b32_e32 v5, v1
	v_lshl_add_u64 v[8:9], s[4:5], 0, v[4:5]
	s_load_dword s3, s[0:1], 0x58
	s_load_dword s4, s[0:1], 0x64
	v_lshlrev_b32_e32 v6, 2, v6
	v_mov_b32_e32 v7, v1
	s_add_u32 s0, s0, 0x58
	v_lshl_add_u64 v[8:9], v[8:9], 0, v[6:7]
	s_addc_u32 s1, s1, 0
	s_waitcnt lgkmcnt(0)
	s_lshr_b32 s4, s4, 16
	global_load_dword v3, v[8:9], off
	s_cmp_lt_u32 s2, s3
	s_cselect_b32 s5, 12, 18
	s_add_u32 s0, s0, s5
	s_addc_u32 s1, s1, 0
	global_load_ushort v13, v1, s[0:1]
	v_mul_u32_u24_e32 v11, 20, v2
	ds_write2_b32 v11, v1, v1 offset0:16 offset1:17
	ds_write2_b32 v11, v1, v1 offset0:18 offset1:19
	ds_write_b32 v11, v1 offset:80
	global_load_dword v5, v[8:9], off offset:256
	global_load_dword v7, v[8:9], off offset:512
	;; [unrolled: 1-line block ×15, first 2 shown]
	v_bfe_u32 v14, v0, 10, 10
	v_bfe_u32 v0, v0, 20, 10
	v_mad_u32_u24 v8, v0, s4, v14
	s_lshl_b32 s0, -1, s65
	v_mov_b32_e32 v16, v1
	s_not_b32 s14, s0
	v_mov_b32_e32 v20, v1
	v_mov_b32_e32 v26, v1
	s_movk_i32 s8, 0x44
	s_waitcnt lgkmcnt(0)
	s_barrier
	s_waitcnt vmcnt(16)
	; wave barrier
	v_xor_b32_e32 v3, 0x80000000, v3
	v_lshrrev_b32_e32 v0, s64, v3
	v_bitop3_b32 v14, v0, s0, v0 bitop3:0x30
	v_and_b32_e32 v0, 1, v14
	v_lshlrev_b32_e32 v17, 30, v14
	v_lshlrev_b32_e32 v21, 29, v14
	s_waitcnt vmcnt(15)
	v_mad_u64_u32 v[8:9], s[0:1], v8, v13, v[2:3]
	v_lshl_add_u64 v[32:33], v[0:1], 0, -1
	v_cmp_ne_u32_e32 vcc, 0, v0
	v_not_b32_e32 v0, v17
	v_lshlrev_b32_e32 v27, 28, v14
	v_cmp_gt_i64_e64 s[0:1], 0, v[16:17]
	v_not_b32_e32 v9, v21
	v_lshrrev_b32_e32 v28, 6, v8
	v_xor_b32_e32 v8, vcc_hi, v33
	v_xor_b32_e32 v16, vcc_lo, v32
	v_ashrrev_i32_e32 v0, 31, v0
	v_cmp_gt_i64_e64 s[4:5], 0, v[20:21]
	v_not_b32_e32 v13, v27
	v_ashrrev_i32_e32 v9, 31, v9
	v_and_b32_e32 v8, exec_hi, v8
	v_and_b32_e32 v16, exec_lo, v16
	v_xor_b32_e32 v17, s1, v0
	v_xor_b32_e32 v0, s0, v0
	v_cmp_gt_i64_e64 s[6:7], 0, v[26:27]
	v_ashrrev_i32_e32 v13, 31, v13
	v_xor_b32_e32 v20, s5, v9
	v_xor_b32_e32 v9, s4, v9
	v_and_b32_e32 v8, v8, v17
	v_and_b32_e32 v0, v16, v0
	v_xor_b32_e32 v21, s7, v13
	v_and_b32_e32 v8, v8, v20
	v_and_b32_e32 v0, v0, v9
	;; [unrolled: 3-line block ×3, first 2 shown]
	v_lshlrev_b32_e32 v9, 27, v14
	v_mov_b32_e32 v8, v1
	v_cmp_gt_i64_e32 vcc, 0, v[8:9]
	v_not_b32_e32 v8, v9
	v_ashrrev_i32_e32 v8, 31, v8
	v_xor_b32_e32 v9, vcc_hi, v8
	v_xor_b32_e32 v8, vcc_lo, v8
	v_and_b32_e32 v13, v13, v9
	v_and_b32_e32 v0, v0, v8
	v_lshlrev_b32_e32 v9, 26, v14
	v_mov_b32_e32 v8, v1
	v_cmp_gt_i64_e32 vcc, 0, v[8:9]
	v_not_b32_e32 v8, v9
	v_ashrrev_i32_e32 v8, 31, v8
	v_xor_b32_e32 v9, vcc_hi, v8
	v_xor_b32_e32 v8, vcc_lo, v8
	v_and_b32_e32 v13, v13, v9
	v_and_b32_e32 v0, v0, v8
	;; [unrolled: 9-line block ×4, first 2 shown]
	v_mbcnt_lo_u32_b32 v0, v8, 0
	v_mul_lo_u32 v18, v14, s8
	v_mbcnt_hi_u32_b32 v14, v9, v0
	v_cmp_eq_u32_e32 vcc, 0, v14
	v_cmp_ne_u64_e64 s[0:1], 0, v[8:9]
	v_lshl_add_u32 v18, v28, 2, v18
	s_and_b64 s[4:5], s[0:1], vcc
	s_and_saveexec_b64 s[0:1], s[4:5]
; %bb.206:
	v_bcnt_u32_b32 v0, v8, 0
	v_bcnt_u32_b32 v0, v9, v0
	ds_write_b32 v18, v0 offset:64
; %bb.207:
	s_or_b64 exec, exec, s[0:1]
	s_waitcnt vmcnt(14)
	v_xor_b32_e32 v5, 0x80000000, v5
	v_lshrrev_b32_e32 v0, s64, v5
	v_and_b32_e32 v16, s14, v0
	v_mul_lo_u32 v0, v16, s8
	v_lshl_add_u32 v21, v28, 2, v0
	v_and_b32_e32 v0, 1, v16
	v_lshl_add_u64 v[8:9], v[0:1], 0, -1
	v_cmp_ne_u32_e32 vcc, 0, v0
	; wave barrier
	s_nop 1
	v_xor_b32_e32 v8, vcc_lo, v8
	v_xor_b32_e32 v0, vcc_hi, v9
	v_and_b32_e32 v17, exec_lo, v8
	v_lshlrev_b32_e32 v9, 30, v16
	v_mov_b32_e32 v8, v1
	v_cmp_gt_i64_e32 vcc, 0, v[8:9]
	v_not_b32_e32 v8, v9
	v_ashrrev_i32_e32 v8, 31, v8
	v_and_b32_e32 v0, exec_hi, v0
	v_xor_b32_e32 v9, vcc_hi, v8
	v_xor_b32_e32 v8, vcc_lo, v8
	v_and_b32_e32 v0, v0, v9
	v_and_b32_e32 v17, v17, v8
	v_lshlrev_b32_e32 v9, 29, v16
	v_mov_b32_e32 v8, v1
	v_cmp_gt_i64_e32 vcc, 0, v[8:9]
	v_not_b32_e32 v8, v9
	v_ashrrev_i32_e32 v8, 31, v8
	v_xor_b32_e32 v9, vcc_hi, v8
	v_xor_b32_e32 v8, vcc_lo, v8
	v_and_b32_e32 v0, v0, v9
	v_and_b32_e32 v17, v17, v8
	v_lshlrev_b32_e32 v9, 28, v16
	v_mov_b32_e32 v8, v1
	v_cmp_gt_i64_e32 vcc, 0, v[8:9]
	v_not_b32_e32 v8, v9
	v_ashrrev_i32_e32 v8, 31, v8
	;; [unrolled: 9-line block ×5, first 2 shown]
	v_xor_b32_e32 v9, vcc_hi, v8
	v_xor_b32_e32 v8, vcc_lo, v8
	v_and_b32_e32 v0, v0, v9
	v_lshlrev_b32_e32 v9, 24, v16
	v_and_b32_e32 v17, v17, v8
	v_mov_b32_e32 v8, v1
	v_not_b32_e32 v1, v9
	v_cmp_gt_i64_e32 vcc, 0, v[8:9]
	v_ashrrev_i32_e32 v1, 31, v1
	ds_read_b32 v13, v21 offset:64
	v_xor_b32_e32 v8, vcc_hi, v1
	v_xor_b32_e32 v9, vcc_lo, v1
	v_and_b32_e32 v1, v0, v8
	v_and_b32_e32 v0, v17, v9
	v_mbcnt_lo_u32_b32 v8, v0, 0
	v_mbcnt_hi_u32_b32 v16, v1, v8
	v_cmp_eq_u32_e32 vcc, 0, v16
	v_cmp_ne_u64_e64 s[0:1], 0, v[0:1]
	s_and_b64 s[4:5], s[0:1], vcc
	; wave barrier
	s_and_saveexec_b64 s[0:1], s[4:5]
	s_cbranch_execz .LBB850_209
; %bb.208:
	v_bcnt_u32_b32 v0, v0, 0
	v_bcnt_u32_b32 v0, v1, v0
	s_waitcnt lgkmcnt(0)
	v_add_u32_e32 v0, v13, v0
	ds_write_b32 v21, v0 offset:64
.LBB850_209:
	s_or_b64 exec, exec, s[0:1]
	s_waitcnt vmcnt(13)
	v_xor_b32_e32 v7, 0x80000000, v7
	v_lshrrev_b32_e32 v0, s64, v7
	v_and_b32_e32 v20, s14, v0
	s_movk_i32 s4, 0x44
	v_mul_lo_u32 v0, v20, s4
	v_lshl_add_u32 v26, v28, 2, v0
	v_and_b32_e32 v0, 1, v20
	v_mov_b32_e32 v1, 0
	v_lshl_add_u64 v[8:9], v[0:1], 0, -1
	v_cmp_ne_u32_e32 vcc, 0, v0
	; wave barrier
	s_nop 1
	v_xor_b32_e32 v8, vcc_lo, v8
	v_xor_b32_e32 v0, vcc_hi, v9
	v_and_b32_e32 v22, exec_lo, v8
	v_lshlrev_b32_e32 v9, 30, v20
	v_mov_b32_e32 v8, v1
	v_cmp_gt_i64_e32 vcc, 0, v[8:9]
	v_not_b32_e32 v8, v9
	v_ashrrev_i32_e32 v8, 31, v8
	v_and_b32_e32 v0, exec_hi, v0
	v_xor_b32_e32 v9, vcc_hi, v8
	v_xor_b32_e32 v8, vcc_lo, v8
	v_and_b32_e32 v0, v0, v9
	v_and_b32_e32 v22, v22, v8
	v_lshlrev_b32_e32 v9, 29, v20
	v_mov_b32_e32 v8, v1
	v_cmp_gt_i64_e32 vcc, 0, v[8:9]
	v_not_b32_e32 v8, v9
	v_ashrrev_i32_e32 v8, 31, v8
	v_xor_b32_e32 v9, vcc_hi, v8
	v_xor_b32_e32 v8, vcc_lo, v8
	v_and_b32_e32 v0, v0, v9
	v_and_b32_e32 v22, v22, v8
	v_lshlrev_b32_e32 v9, 28, v20
	v_mov_b32_e32 v8, v1
	v_cmp_gt_i64_e32 vcc, 0, v[8:9]
	v_not_b32_e32 v8, v9
	v_ashrrev_i32_e32 v8, 31, v8
	;; [unrolled: 9-line block ×6, first 2 shown]
	v_xor_b32_e32 v9, vcc_hi, v8
	v_xor_b32_e32 v8, vcc_lo, v8
	ds_read_b32 v17, v26 offset:64
	v_and_b32_e32 v8, v22, v8
	v_and_b32_e32 v9, v0, v9
	v_mbcnt_lo_u32_b32 v0, v8, 0
	v_mbcnt_hi_u32_b32 v20, v9, v0
	v_cmp_eq_u32_e32 vcc, 0, v20
	v_cmp_ne_u64_e64 s[0:1], 0, v[8:9]
	s_and_b64 s[6:7], s[0:1], vcc
	; wave barrier
	s_and_saveexec_b64 s[0:1], s[6:7]
	s_cbranch_execz .LBB850_211
; %bb.210:
	v_bcnt_u32_b32 v0, v8, 0
	v_bcnt_u32_b32 v0, v9, v0
	s_waitcnt lgkmcnt(0)
	v_add_u32_e32 v0, v17, v0
	ds_write_b32 v26, v0 offset:64
.LBB850_211:
	s_or_b64 exec, exec, s[0:1]
	s_waitcnt vmcnt(12)
	v_xor_b32_e32 v12, 0x80000000, v12
	v_lshrrev_b32_e32 v0, s64, v12
	v_and_b32_e32 v24, s14, v0
	v_mul_lo_u32 v0, v24, s4
	v_lshl_add_u32 v32, v28, 2, v0
	v_and_b32_e32 v0, 1, v24
	v_lshl_add_u64 v[8:9], v[0:1], 0, -1
	v_cmp_ne_u32_e32 vcc, 0, v0
	; wave barrier
	s_nop 1
	v_xor_b32_e32 v8, vcc_lo, v8
	v_xor_b32_e32 v0, vcc_hi, v9
	v_and_b32_e32 v27, exec_lo, v8
	v_lshlrev_b32_e32 v9, 30, v24
	v_mov_b32_e32 v8, v1
	v_cmp_gt_i64_e32 vcc, 0, v[8:9]
	v_not_b32_e32 v8, v9
	v_ashrrev_i32_e32 v8, 31, v8
	v_and_b32_e32 v0, exec_hi, v0
	v_xor_b32_e32 v9, vcc_hi, v8
	v_xor_b32_e32 v8, vcc_lo, v8
	v_and_b32_e32 v0, v0, v9
	v_and_b32_e32 v27, v27, v8
	v_lshlrev_b32_e32 v9, 29, v24
	v_mov_b32_e32 v8, v1
	v_cmp_gt_i64_e32 vcc, 0, v[8:9]
	v_not_b32_e32 v8, v9
	v_ashrrev_i32_e32 v8, 31, v8
	v_xor_b32_e32 v9, vcc_hi, v8
	v_xor_b32_e32 v8, vcc_lo, v8
	v_and_b32_e32 v0, v0, v9
	v_and_b32_e32 v27, v27, v8
	v_lshlrev_b32_e32 v9, 28, v24
	v_mov_b32_e32 v8, v1
	v_cmp_gt_i64_e32 vcc, 0, v[8:9]
	v_not_b32_e32 v8, v9
	v_ashrrev_i32_e32 v8, 31, v8
	;; [unrolled: 9-line block ×5, first 2 shown]
	v_xor_b32_e32 v9, vcc_hi, v8
	v_xor_b32_e32 v8, vcc_lo, v8
	v_and_b32_e32 v0, v0, v9
	v_lshlrev_b32_e32 v9, 24, v24
	v_and_b32_e32 v27, v27, v8
	v_mov_b32_e32 v8, v1
	v_not_b32_e32 v1, v9
	v_cmp_gt_i64_e32 vcc, 0, v[8:9]
	v_ashrrev_i32_e32 v1, 31, v1
	ds_read_b32 v22, v32 offset:64
	v_xor_b32_e32 v8, vcc_hi, v1
	v_xor_b32_e32 v9, vcc_lo, v1
	v_and_b32_e32 v1, v0, v8
	v_and_b32_e32 v0, v27, v9
	v_mbcnt_lo_u32_b32 v8, v0, 0
	v_mbcnt_hi_u32_b32 v24, v1, v8
	v_cmp_eq_u32_e32 vcc, 0, v24
	v_cmp_ne_u64_e64 s[0:1], 0, v[0:1]
	s_and_b64 s[4:5], s[0:1], vcc
	; wave barrier
	s_and_saveexec_b64 s[0:1], s[4:5]
	s_cbranch_execz .LBB850_213
; %bb.212:
	v_bcnt_u32_b32 v0, v0, 0
	v_bcnt_u32_b32 v0, v1, v0
	s_waitcnt lgkmcnt(0)
	v_add_u32_e32 v0, v22, v0
	ds_write_b32 v32, v0 offset:64
.LBB850_213:
	s_or_b64 exec, exec, s[0:1]
	s_waitcnt vmcnt(11)
	v_xor_b32_e32 v15, 0x80000000, v15
	v_lshrrev_b32_e32 v0, s64, v15
	v_and_b32_e32 v30, s14, v0
	s_movk_i32 s4, 0x44
	v_mul_lo_u32 v0, v30, s4
	v_lshl_add_u32 v37, v28, 2, v0
	v_and_b32_e32 v0, 1, v30
	v_mov_b32_e32 v1, 0
	v_lshl_add_u64 v[8:9], v[0:1], 0, -1
	v_cmp_ne_u32_e32 vcc, 0, v0
	; wave barrier
	s_nop 1
	v_xor_b32_e32 v8, vcc_lo, v8
	v_xor_b32_e32 v0, vcc_hi, v9
	v_and_b32_e32 v33, exec_lo, v8
	v_lshlrev_b32_e32 v9, 30, v30
	v_mov_b32_e32 v8, v1
	v_cmp_gt_i64_e32 vcc, 0, v[8:9]
	v_not_b32_e32 v8, v9
	v_ashrrev_i32_e32 v8, 31, v8
	v_and_b32_e32 v0, exec_hi, v0
	v_xor_b32_e32 v9, vcc_hi, v8
	v_xor_b32_e32 v8, vcc_lo, v8
	v_and_b32_e32 v0, v0, v9
	v_and_b32_e32 v33, v33, v8
	v_lshlrev_b32_e32 v9, 29, v30
	v_mov_b32_e32 v8, v1
	v_cmp_gt_i64_e32 vcc, 0, v[8:9]
	v_not_b32_e32 v8, v9
	v_ashrrev_i32_e32 v8, 31, v8
	v_xor_b32_e32 v9, vcc_hi, v8
	v_xor_b32_e32 v8, vcc_lo, v8
	v_and_b32_e32 v0, v0, v9
	v_and_b32_e32 v33, v33, v8
	v_lshlrev_b32_e32 v9, 28, v30
	v_mov_b32_e32 v8, v1
	v_cmp_gt_i64_e32 vcc, 0, v[8:9]
	v_not_b32_e32 v8, v9
	v_ashrrev_i32_e32 v8, 31, v8
	;; [unrolled: 9-line block ×6, first 2 shown]
	v_xor_b32_e32 v9, vcc_hi, v8
	v_xor_b32_e32 v8, vcc_lo, v8
	ds_read_b32 v27, v37 offset:64
	v_and_b32_e32 v8, v33, v8
	v_and_b32_e32 v9, v0, v9
	v_mbcnt_lo_u32_b32 v0, v8, 0
	v_mbcnt_hi_u32_b32 v30, v9, v0
	v_cmp_eq_u32_e32 vcc, 0, v30
	v_cmp_ne_u64_e64 s[0:1], 0, v[8:9]
	s_and_b64 s[6:7], s[0:1], vcc
	; wave barrier
	s_and_saveexec_b64 s[0:1], s[6:7]
	s_cbranch_execz .LBB850_215
; %bb.214:
	v_bcnt_u32_b32 v0, v8, 0
	v_bcnt_u32_b32 v0, v9, v0
	s_waitcnt lgkmcnt(0)
	v_add_u32_e32 v0, v27, v0
	ds_write_b32 v37, v0 offset:64
.LBB850_215:
	s_or_b64 exec, exec, s[0:1]
	s_waitcnt vmcnt(10)
	v_xor_b32_e32 v19, 0x80000000, v19
	v_lshrrev_b32_e32 v0, s64, v19
	v_and_b32_e32 v35, s14, v0
	v_mul_lo_u32 v0, v35, s4
	v_lshl_add_u32 v41, v28, 2, v0
	v_and_b32_e32 v0, 1, v35
	v_lshl_add_u64 v[8:9], v[0:1], 0, -1
	v_cmp_ne_u32_e32 vcc, 0, v0
	; wave barrier
	s_nop 1
	v_xor_b32_e32 v8, vcc_lo, v8
	v_xor_b32_e32 v0, vcc_hi, v9
	v_and_b32_e32 v38, exec_lo, v8
	v_lshlrev_b32_e32 v9, 30, v35
	v_mov_b32_e32 v8, v1
	v_cmp_gt_i64_e32 vcc, 0, v[8:9]
	v_not_b32_e32 v8, v9
	v_ashrrev_i32_e32 v8, 31, v8
	v_and_b32_e32 v0, exec_hi, v0
	v_xor_b32_e32 v9, vcc_hi, v8
	v_xor_b32_e32 v8, vcc_lo, v8
	v_and_b32_e32 v0, v0, v9
	v_and_b32_e32 v38, v38, v8
	v_lshlrev_b32_e32 v9, 29, v35
	v_mov_b32_e32 v8, v1
	v_cmp_gt_i64_e32 vcc, 0, v[8:9]
	v_not_b32_e32 v8, v9
	v_ashrrev_i32_e32 v8, 31, v8
	v_xor_b32_e32 v9, vcc_hi, v8
	v_xor_b32_e32 v8, vcc_lo, v8
	v_and_b32_e32 v0, v0, v9
	v_and_b32_e32 v38, v38, v8
	v_lshlrev_b32_e32 v9, 28, v35
	v_mov_b32_e32 v8, v1
	v_cmp_gt_i64_e32 vcc, 0, v[8:9]
	v_not_b32_e32 v8, v9
	v_ashrrev_i32_e32 v8, 31, v8
	;; [unrolled: 9-line block ×5, first 2 shown]
	v_xor_b32_e32 v9, vcc_hi, v8
	v_xor_b32_e32 v8, vcc_lo, v8
	v_and_b32_e32 v0, v0, v9
	v_lshlrev_b32_e32 v9, 24, v35
	v_and_b32_e32 v38, v38, v8
	v_mov_b32_e32 v8, v1
	v_not_b32_e32 v1, v9
	v_cmp_gt_i64_e32 vcc, 0, v[8:9]
	v_ashrrev_i32_e32 v1, 31, v1
	ds_read_b32 v33, v41 offset:64
	v_xor_b32_e32 v8, vcc_hi, v1
	v_xor_b32_e32 v9, vcc_lo, v1
	v_and_b32_e32 v1, v0, v8
	v_and_b32_e32 v0, v38, v9
	v_mbcnt_lo_u32_b32 v8, v0, 0
	v_mbcnt_hi_u32_b32 v35, v1, v8
	v_cmp_eq_u32_e32 vcc, 0, v35
	v_cmp_ne_u64_e64 s[0:1], 0, v[0:1]
	s_and_b64 s[4:5], s[0:1], vcc
	; wave barrier
	s_and_saveexec_b64 s[0:1], s[4:5]
	s_cbranch_execz .LBB850_217
; %bb.216:
	v_bcnt_u32_b32 v0, v0, 0
	v_bcnt_u32_b32 v0, v1, v0
	s_waitcnt lgkmcnt(0)
	v_add_u32_e32 v0, v33, v0
	ds_write_b32 v41, v0 offset:64
.LBB850_217:
	s_or_b64 exec, exec, s[0:1]
	s_waitcnt vmcnt(9)
	v_xor_b32_e32 v23, 0x80000000, v23
	v_lshrrev_b32_e32 v0, s64, v23
	v_and_b32_e32 v42, s14, v0
	s_movk_i32 s4, 0x44
	v_mul_lo_u32 v0, v42, s4
	v_lshl_add_u32 v46, v28, 2, v0
	v_and_b32_e32 v0, 1, v42
	v_mov_b32_e32 v1, 0
	v_lshl_add_u64 v[8:9], v[0:1], 0, -1
	v_cmp_ne_u32_e32 vcc, 0, v0
	; wave barrier
	s_nop 1
	v_xor_b32_e32 v8, vcc_lo, v8
	v_xor_b32_e32 v0, vcc_hi, v9
	v_and_b32_e32 v43, exec_lo, v8
	v_lshlrev_b32_e32 v9, 30, v42
	v_mov_b32_e32 v8, v1
	v_cmp_gt_i64_e32 vcc, 0, v[8:9]
	v_not_b32_e32 v8, v9
	v_ashrrev_i32_e32 v8, 31, v8
	v_and_b32_e32 v0, exec_hi, v0
	v_xor_b32_e32 v9, vcc_hi, v8
	v_xor_b32_e32 v8, vcc_lo, v8
	v_and_b32_e32 v0, v0, v9
	v_and_b32_e32 v43, v43, v8
	v_lshlrev_b32_e32 v9, 29, v42
	v_mov_b32_e32 v8, v1
	v_cmp_gt_i64_e32 vcc, 0, v[8:9]
	v_not_b32_e32 v8, v9
	v_ashrrev_i32_e32 v8, 31, v8
	v_xor_b32_e32 v9, vcc_hi, v8
	v_xor_b32_e32 v8, vcc_lo, v8
	v_and_b32_e32 v0, v0, v9
	v_and_b32_e32 v43, v43, v8
	v_lshlrev_b32_e32 v9, 28, v42
	v_mov_b32_e32 v8, v1
	v_cmp_gt_i64_e32 vcc, 0, v[8:9]
	v_not_b32_e32 v8, v9
	v_ashrrev_i32_e32 v8, 31, v8
	;; [unrolled: 9-line block ×6, first 2 shown]
	v_xor_b32_e32 v9, vcc_hi, v8
	v_xor_b32_e32 v8, vcc_lo, v8
	ds_read_b32 v38, v46 offset:64
	v_and_b32_e32 v8, v43, v8
	v_and_b32_e32 v9, v0, v9
	v_mbcnt_lo_u32_b32 v0, v8, 0
	v_mbcnt_hi_u32_b32 v42, v9, v0
	v_cmp_eq_u32_e32 vcc, 0, v42
	v_cmp_ne_u64_e64 s[0:1], 0, v[8:9]
	s_and_b64 s[6:7], s[0:1], vcc
	; wave barrier
	s_and_saveexec_b64 s[0:1], s[6:7]
	s_cbranch_execz .LBB850_219
; %bb.218:
	v_bcnt_u32_b32 v0, v8, 0
	v_bcnt_u32_b32 v0, v9, v0
	s_waitcnt lgkmcnt(0)
	v_add_u32_e32 v0, v38, v0
	ds_write_b32 v46, v0 offset:64
.LBB850_219:
	s_or_b64 exec, exec, s[0:1]
	s_waitcnt vmcnt(8)
	v_xor_b32_e32 v29, 0x80000000, v29
	v_lshrrev_b32_e32 v0, s64, v29
	v_and_b32_e32 v47, s14, v0
	v_mul_lo_u32 v0, v47, s4
	v_lshl_add_u32 v49, v28, 2, v0
	v_and_b32_e32 v0, 1, v47
	v_lshl_add_u64 v[8:9], v[0:1], 0, -1
	v_cmp_ne_u32_e32 vcc, 0, v0
	; wave barrier
	s_nop 1
	v_xor_b32_e32 v8, vcc_lo, v8
	v_xor_b32_e32 v0, vcc_hi, v9
	v_and_b32_e32 v48, exec_lo, v8
	v_lshlrev_b32_e32 v9, 30, v47
	v_mov_b32_e32 v8, v1
	v_cmp_gt_i64_e32 vcc, 0, v[8:9]
	v_not_b32_e32 v8, v9
	v_ashrrev_i32_e32 v8, 31, v8
	v_and_b32_e32 v0, exec_hi, v0
	v_xor_b32_e32 v9, vcc_hi, v8
	v_xor_b32_e32 v8, vcc_lo, v8
	v_and_b32_e32 v0, v0, v9
	v_and_b32_e32 v48, v48, v8
	v_lshlrev_b32_e32 v9, 29, v47
	v_mov_b32_e32 v8, v1
	v_cmp_gt_i64_e32 vcc, 0, v[8:9]
	v_not_b32_e32 v8, v9
	v_ashrrev_i32_e32 v8, 31, v8
	v_xor_b32_e32 v9, vcc_hi, v8
	v_xor_b32_e32 v8, vcc_lo, v8
	v_and_b32_e32 v0, v0, v9
	v_and_b32_e32 v48, v48, v8
	v_lshlrev_b32_e32 v9, 28, v47
	v_mov_b32_e32 v8, v1
	v_cmp_gt_i64_e32 vcc, 0, v[8:9]
	v_not_b32_e32 v8, v9
	v_ashrrev_i32_e32 v8, 31, v8
	;; [unrolled: 9-line block ×5, first 2 shown]
	v_xor_b32_e32 v9, vcc_hi, v8
	v_xor_b32_e32 v8, vcc_lo, v8
	v_and_b32_e32 v0, v0, v9
	v_lshlrev_b32_e32 v9, 24, v47
	v_and_b32_e32 v48, v48, v8
	v_mov_b32_e32 v8, v1
	v_not_b32_e32 v1, v9
	v_cmp_gt_i64_e32 vcc, 0, v[8:9]
	v_ashrrev_i32_e32 v1, 31, v1
	ds_read_b32 v43, v49 offset:64
	v_xor_b32_e32 v8, vcc_hi, v1
	v_xor_b32_e32 v9, vcc_lo, v1
	v_and_b32_e32 v1, v0, v8
	v_and_b32_e32 v0, v48, v9
	v_mbcnt_lo_u32_b32 v8, v0, 0
	v_mbcnt_hi_u32_b32 v47, v1, v8
	v_cmp_eq_u32_e32 vcc, 0, v47
	v_cmp_ne_u64_e64 s[0:1], 0, v[0:1]
	s_and_b64 s[4:5], s[0:1], vcc
	; wave barrier
	s_and_saveexec_b64 s[0:1], s[4:5]
	s_cbranch_execz .LBB850_221
; %bb.220:
	v_bcnt_u32_b32 v0, v0, 0
	v_bcnt_u32_b32 v0, v1, v0
	s_waitcnt lgkmcnt(0)
	v_add_u32_e32 v0, v43, v0
	ds_write_b32 v49, v0 offset:64
.LBB850_221:
	s_or_b64 exec, exec, s[0:1]
	s_waitcnt vmcnt(7)
	v_xor_b32_e32 v34, 0x80000000, v34
	v_lshrrev_b32_e32 v0, s64, v34
	v_and_b32_e32 v50, s14, v0
	s_movk_i32 s4, 0x44
	v_mul_lo_u32 v0, v50, s4
	v_lshl_add_u32 v52, v28, 2, v0
	v_and_b32_e32 v0, 1, v50
	v_mov_b32_e32 v1, 0
	v_lshl_add_u64 v[8:9], v[0:1], 0, -1
	v_cmp_ne_u32_e32 vcc, 0, v0
	; wave barrier
	s_nop 1
	v_xor_b32_e32 v8, vcc_lo, v8
	v_xor_b32_e32 v0, vcc_hi, v9
	v_and_b32_e32 v51, exec_lo, v8
	v_lshlrev_b32_e32 v9, 30, v50
	v_mov_b32_e32 v8, v1
	v_cmp_gt_i64_e32 vcc, 0, v[8:9]
	v_not_b32_e32 v8, v9
	v_ashrrev_i32_e32 v8, 31, v8
	v_and_b32_e32 v0, exec_hi, v0
	v_xor_b32_e32 v9, vcc_hi, v8
	v_xor_b32_e32 v8, vcc_lo, v8
	v_and_b32_e32 v0, v0, v9
	v_and_b32_e32 v51, v51, v8
	v_lshlrev_b32_e32 v9, 29, v50
	v_mov_b32_e32 v8, v1
	v_cmp_gt_i64_e32 vcc, 0, v[8:9]
	v_not_b32_e32 v8, v9
	v_ashrrev_i32_e32 v8, 31, v8
	v_xor_b32_e32 v9, vcc_hi, v8
	v_xor_b32_e32 v8, vcc_lo, v8
	v_and_b32_e32 v0, v0, v9
	v_and_b32_e32 v51, v51, v8
	v_lshlrev_b32_e32 v9, 28, v50
	v_mov_b32_e32 v8, v1
	v_cmp_gt_i64_e32 vcc, 0, v[8:9]
	v_not_b32_e32 v8, v9
	v_ashrrev_i32_e32 v8, 31, v8
	;; [unrolled: 9-line block ×6, first 2 shown]
	v_xor_b32_e32 v9, vcc_hi, v8
	v_xor_b32_e32 v8, vcc_lo, v8
	ds_read_b32 v48, v52 offset:64
	v_and_b32_e32 v8, v51, v8
	v_and_b32_e32 v9, v0, v9
	v_mbcnt_lo_u32_b32 v0, v8, 0
	v_mbcnt_hi_u32_b32 v50, v9, v0
	v_cmp_eq_u32_e32 vcc, 0, v50
	v_cmp_ne_u64_e64 s[0:1], 0, v[8:9]
	s_and_b64 s[6:7], s[0:1], vcc
	; wave barrier
	s_and_saveexec_b64 s[0:1], s[6:7]
	s_cbranch_execz .LBB850_223
; %bb.222:
	v_bcnt_u32_b32 v0, v8, 0
	v_bcnt_u32_b32 v0, v9, v0
	s_waitcnt lgkmcnt(0)
	v_add_u32_e32 v0, v48, v0
	ds_write_b32 v52, v0 offset:64
.LBB850_223:
	s_or_b64 exec, exec, s[0:1]
	s_waitcnt vmcnt(6)
	v_xor_b32_e32 v39, 0x80000000, v39
	v_lshrrev_b32_e32 v0, s64, v39
	v_and_b32_e32 v53, s14, v0
	v_mul_lo_u32 v0, v53, s4
	v_lshl_add_u32 v55, v28, 2, v0
	v_and_b32_e32 v0, 1, v53
	v_lshl_add_u64 v[8:9], v[0:1], 0, -1
	v_cmp_ne_u32_e32 vcc, 0, v0
	; wave barrier
	s_nop 1
	v_xor_b32_e32 v8, vcc_lo, v8
	v_xor_b32_e32 v0, vcc_hi, v9
	v_and_b32_e32 v54, exec_lo, v8
	v_lshlrev_b32_e32 v9, 30, v53
	v_mov_b32_e32 v8, v1
	v_cmp_gt_i64_e32 vcc, 0, v[8:9]
	v_not_b32_e32 v8, v9
	v_ashrrev_i32_e32 v8, 31, v8
	v_and_b32_e32 v0, exec_hi, v0
	v_xor_b32_e32 v9, vcc_hi, v8
	v_xor_b32_e32 v8, vcc_lo, v8
	v_and_b32_e32 v0, v0, v9
	v_and_b32_e32 v54, v54, v8
	v_lshlrev_b32_e32 v9, 29, v53
	v_mov_b32_e32 v8, v1
	v_cmp_gt_i64_e32 vcc, 0, v[8:9]
	v_not_b32_e32 v8, v9
	v_ashrrev_i32_e32 v8, 31, v8
	v_xor_b32_e32 v9, vcc_hi, v8
	v_xor_b32_e32 v8, vcc_lo, v8
	v_and_b32_e32 v0, v0, v9
	v_and_b32_e32 v54, v54, v8
	v_lshlrev_b32_e32 v9, 28, v53
	v_mov_b32_e32 v8, v1
	v_cmp_gt_i64_e32 vcc, 0, v[8:9]
	v_not_b32_e32 v8, v9
	v_ashrrev_i32_e32 v8, 31, v8
	;; [unrolled: 9-line block ×5, first 2 shown]
	v_xor_b32_e32 v9, vcc_hi, v8
	v_xor_b32_e32 v8, vcc_lo, v8
	v_and_b32_e32 v0, v0, v9
	v_lshlrev_b32_e32 v9, 24, v53
	v_and_b32_e32 v54, v54, v8
	v_mov_b32_e32 v8, v1
	v_not_b32_e32 v1, v9
	v_cmp_gt_i64_e32 vcc, 0, v[8:9]
	v_ashrrev_i32_e32 v1, 31, v1
	ds_read_b32 v51, v55 offset:64
	v_xor_b32_e32 v8, vcc_hi, v1
	v_xor_b32_e32 v9, vcc_lo, v1
	v_and_b32_e32 v1, v0, v8
	v_and_b32_e32 v0, v54, v9
	v_mbcnt_lo_u32_b32 v8, v0, 0
	v_mbcnt_hi_u32_b32 v53, v1, v8
	v_cmp_eq_u32_e32 vcc, 0, v53
	v_cmp_ne_u64_e64 s[0:1], 0, v[0:1]
	s_and_b64 s[4:5], s[0:1], vcc
	; wave barrier
	s_and_saveexec_b64 s[0:1], s[4:5]
	s_cbranch_execz .LBB850_225
; %bb.224:
	v_bcnt_u32_b32 v0, v0, 0
	v_bcnt_u32_b32 v0, v1, v0
	s_waitcnt lgkmcnt(0)
	v_add_u32_e32 v0, v51, v0
	ds_write_b32 v55, v0 offset:64
.LBB850_225:
	s_or_b64 exec, exec, s[0:1]
	s_waitcnt vmcnt(5)
	v_xor_b32_e32 v44, 0x80000000, v44
	v_lshrrev_b32_e32 v0, s64, v44
	v_and_b32_e32 v56, s14, v0
	s_movk_i32 s4, 0x44
	v_mul_lo_u32 v0, v56, s4
	v_lshl_add_u32 v58, v28, 2, v0
	v_and_b32_e32 v0, 1, v56
	v_mov_b32_e32 v1, 0
	v_lshl_add_u64 v[8:9], v[0:1], 0, -1
	v_cmp_ne_u32_e32 vcc, 0, v0
	; wave barrier
	s_nop 1
	v_xor_b32_e32 v8, vcc_lo, v8
	v_xor_b32_e32 v0, vcc_hi, v9
	v_and_b32_e32 v57, exec_lo, v8
	v_lshlrev_b32_e32 v9, 30, v56
	v_mov_b32_e32 v8, v1
	v_cmp_gt_i64_e32 vcc, 0, v[8:9]
	v_not_b32_e32 v8, v9
	v_ashrrev_i32_e32 v8, 31, v8
	v_and_b32_e32 v0, exec_hi, v0
	v_xor_b32_e32 v9, vcc_hi, v8
	v_xor_b32_e32 v8, vcc_lo, v8
	v_and_b32_e32 v0, v0, v9
	v_and_b32_e32 v57, v57, v8
	v_lshlrev_b32_e32 v9, 29, v56
	v_mov_b32_e32 v8, v1
	v_cmp_gt_i64_e32 vcc, 0, v[8:9]
	v_not_b32_e32 v8, v9
	v_ashrrev_i32_e32 v8, 31, v8
	v_xor_b32_e32 v9, vcc_hi, v8
	v_xor_b32_e32 v8, vcc_lo, v8
	v_and_b32_e32 v0, v0, v9
	v_and_b32_e32 v57, v57, v8
	v_lshlrev_b32_e32 v9, 28, v56
	v_mov_b32_e32 v8, v1
	v_cmp_gt_i64_e32 vcc, 0, v[8:9]
	v_not_b32_e32 v8, v9
	v_ashrrev_i32_e32 v8, 31, v8
	;; [unrolled: 9-line block ×6, first 2 shown]
	v_xor_b32_e32 v9, vcc_hi, v8
	v_xor_b32_e32 v8, vcc_lo, v8
	ds_read_b32 v54, v58 offset:64
	v_and_b32_e32 v8, v57, v8
	v_and_b32_e32 v9, v0, v9
	v_mbcnt_lo_u32_b32 v0, v8, 0
	v_mbcnt_hi_u32_b32 v56, v9, v0
	v_cmp_eq_u32_e32 vcc, 0, v56
	v_cmp_ne_u64_e64 s[0:1], 0, v[8:9]
	s_and_b64 s[6:7], s[0:1], vcc
	; wave barrier
	s_and_saveexec_b64 s[0:1], s[6:7]
	s_cbranch_execz .LBB850_227
; %bb.226:
	v_bcnt_u32_b32 v0, v8, 0
	v_bcnt_u32_b32 v0, v9, v0
	s_waitcnt lgkmcnt(0)
	v_add_u32_e32 v0, v54, v0
	ds_write_b32 v58, v0 offset:64
.LBB850_227:
	s_or_b64 exec, exec, s[0:1]
	s_waitcnt vmcnt(4)
	v_xor_b32_e32 v45, 0x80000000, v45
	v_lshrrev_b32_e32 v0, s64, v45
	v_and_b32_e32 v59, s14, v0
	v_mul_lo_u32 v0, v59, s4
	v_lshl_add_u32 v62, v28, 2, v0
	v_and_b32_e32 v0, 1, v59
	v_lshl_add_u64 v[8:9], v[0:1], 0, -1
	v_cmp_ne_u32_e32 vcc, 0, v0
	; wave barrier
	s_nop 1
	v_xor_b32_e32 v8, vcc_lo, v8
	v_xor_b32_e32 v0, vcc_hi, v9
	v_and_b32_e32 v60, exec_lo, v8
	v_lshlrev_b32_e32 v9, 30, v59
	v_mov_b32_e32 v8, v1
	v_cmp_gt_i64_e32 vcc, 0, v[8:9]
	v_not_b32_e32 v8, v9
	v_ashrrev_i32_e32 v8, 31, v8
	v_and_b32_e32 v0, exec_hi, v0
	v_xor_b32_e32 v9, vcc_hi, v8
	v_xor_b32_e32 v8, vcc_lo, v8
	v_and_b32_e32 v0, v0, v9
	v_and_b32_e32 v60, v60, v8
	v_lshlrev_b32_e32 v9, 29, v59
	v_mov_b32_e32 v8, v1
	v_cmp_gt_i64_e32 vcc, 0, v[8:9]
	v_not_b32_e32 v8, v9
	v_ashrrev_i32_e32 v8, 31, v8
	v_xor_b32_e32 v9, vcc_hi, v8
	v_xor_b32_e32 v8, vcc_lo, v8
	v_and_b32_e32 v0, v0, v9
	v_and_b32_e32 v60, v60, v8
	v_lshlrev_b32_e32 v9, 28, v59
	v_mov_b32_e32 v8, v1
	v_cmp_gt_i64_e32 vcc, 0, v[8:9]
	v_not_b32_e32 v8, v9
	v_ashrrev_i32_e32 v8, 31, v8
	;; [unrolled: 9-line block ×5, first 2 shown]
	v_xor_b32_e32 v9, vcc_hi, v8
	v_xor_b32_e32 v8, vcc_lo, v8
	v_and_b32_e32 v0, v0, v9
	v_lshlrev_b32_e32 v9, 24, v59
	v_and_b32_e32 v60, v60, v8
	v_mov_b32_e32 v8, v1
	v_not_b32_e32 v1, v9
	v_cmp_gt_i64_e32 vcc, 0, v[8:9]
	v_ashrrev_i32_e32 v1, 31, v1
	ds_read_b32 v57, v62 offset:64
	v_xor_b32_e32 v8, vcc_hi, v1
	v_xor_b32_e32 v9, vcc_lo, v1
	v_and_b32_e32 v1, v0, v8
	v_and_b32_e32 v0, v60, v9
	v_mbcnt_lo_u32_b32 v8, v0, 0
	v_mbcnt_hi_u32_b32 v59, v1, v8
	v_cmp_eq_u32_e32 vcc, 0, v59
	v_cmp_ne_u64_e64 s[0:1], 0, v[0:1]
	s_and_b64 s[4:5], s[0:1], vcc
	; wave barrier
	s_and_saveexec_b64 s[0:1], s[4:5]
	s_cbranch_execz .LBB850_229
; %bb.228:
	v_bcnt_u32_b32 v0, v0, 0
	v_bcnt_u32_b32 v0, v1, v0
	s_waitcnt lgkmcnt(0)
	v_add_u32_e32 v0, v57, v0
	ds_write_b32 v62, v0 offset:64
.LBB850_229:
	s_or_b64 exec, exec, s[0:1]
	s_waitcnt vmcnt(3)
	v_xor_b32_e32 v40, 0x80000000, v40
	v_lshrrev_b32_e32 v0, s64, v40
	v_and_b32_e32 v61, s14, v0
	s_movk_i32 s4, 0x44
	v_mul_lo_u32 v0, v61, s4
	v_lshl_add_u32 v65, v28, 2, v0
	v_and_b32_e32 v0, 1, v61
	v_mov_b32_e32 v1, 0
	v_lshl_add_u64 v[8:9], v[0:1], 0, -1
	v_cmp_ne_u32_e32 vcc, 0, v0
	; wave barrier
	s_nop 1
	v_xor_b32_e32 v8, vcc_lo, v8
	v_xor_b32_e32 v0, vcc_hi, v9
	v_and_b32_e32 v63, exec_lo, v8
	v_lshlrev_b32_e32 v9, 30, v61
	v_mov_b32_e32 v8, v1
	v_cmp_gt_i64_e32 vcc, 0, v[8:9]
	v_not_b32_e32 v8, v9
	v_ashrrev_i32_e32 v8, 31, v8
	v_and_b32_e32 v0, exec_hi, v0
	v_xor_b32_e32 v9, vcc_hi, v8
	v_xor_b32_e32 v8, vcc_lo, v8
	v_and_b32_e32 v0, v0, v9
	v_and_b32_e32 v63, v63, v8
	v_lshlrev_b32_e32 v9, 29, v61
	v_mov_b32_e32 v8, v1
	v_cmp_gt_i64_e32 vcc, 0, v[8:9]
	v_not_b32_e32 v8, v9
	v_ashrrev_i32_e32 v8, 31, v8
	v_xor_b32_e32 v9, vcc_hi, v8
	v_xor_b32_e32 v8, vcc_lo, v8
	v_and_b32_e32 v0, v0, v9
	v_and_b32_e32 v63, v63, v8
	v_lshlrev_b32_e32 v9, 28, v61
	v_mov_b32_e32 v8, v1
	v_cmp_gt_i64_e32 vcc, 0, v[8:9]
	v_not_b32_e32 v8, v9
	v_ashrrev_i32_e32 v8, 31, v8
	;; [unrolled: 9-line block ×6, first 2 shown]
	v_xor_b32_e32 v9, vcc_hi, v8
	v_xor_b32_e32 v8, vcc_lo, v8
	ds_read_b32 v60, v65 offset:64
	v_and_b32_e32 v8, v63, v8
	v_and_b32_e32 v9, v0, v9
	v_mbcnt_lo_u32_b32 v0, v8, 0
	v_mbcnt_hi_u32_b32 v63, v9, v0
	v_cmp_eq_u32_e32 vcc, 0, v63
	v_cmp_ne_u64_e64 s[0:1], 0, v[8:9]
	s_and_b64 s[6:7], s[0:1], vcc
	; wave barrier
	s_and_saveexec_b64 s[0:1], s[6:7]
	s_cbranch_execz .LBB850_231
; %bb.230:
	v_bcnt_u32_b32 v0, v8, 0
	v_bcnt_u32_b32 v0, v9, v0
	s_waitcnt lgkmcnt(0)
	v_add_u32_e32 v0, v60, v0
	ds_write_b32 v65, v0 offset:64
.LBB850_231:
	s_or_b64 exec, exec, s[0:1]
	s_waitcnt vmcnt(2)
	v_xor_b32_e32 v36, 0x80000000, v36
	v_lshrrev_b32_e32 v0, s64, v36
	v_and_b32_e32 v61, s14, v0
	v_mul_lo_u32 v0, v61, s4
	v_lshl_add_u32 v68, v28, 2, v0
	v_and_b32_e32 v0, 1, v61
	v_lshl_add_u64 v[8:9], v[0:1], 0, -1
	v_cmp_ne_u32_e32 vcc, 0, v0
	; wave barrier
	s_nop 1
	v_xor_b32_e32 v8, vcc_lo, v8
	v_xor_b32_e32 v0, vcc_hi, v9
	v_and_b32_e32 v66, exec_lo, v8
	v_lshlrev_b32_e32 v9, 30, v61
	v_mov_b32_e32 v8, v1
	v_cmp_gt_i64_e32 vcc, 0, v[8:9]
	v_not_b32_e32 v8, v9
	v_ashrrev_i32_e32 v8, 31, v8
	v_and_b32_e32 v0, exec_hi, v0
	v_xor_b32_e32 v9, vcc_hi, v8
	v_xor_b32_e32 v8, vcc_lo, v8
	v_and_b32_e32 v0, v0, v9
	v_and_b32_e32 v66, v66, v8
	v_lshlrev_b32_e32 v9, 29, v61
	v_mov_b32_e32 v8, v1
	v_cmp_gt_i64_e32 vcc, 0, v[8:9]
	v_not_b32_e32 v8, v9
	v_ashrrev_i32_e32 v8, 31, v8
	v_xor_b32_e32 v9, vcc_hi, v8
	v_xor_b32_e32 v8, vcc_lo, v8
	v_and_b32_e32 v0, v0, v9
	v_and_b32_e32 v66, v66, v8
	v_lshlrev_b32_e32 v9, 28, v61
	v_mov_b32_e32 v8, v1
	v_cmp_gt_i64_e32 vcc, 0, v[8:9]
	v_not_b32_e32 v8, v9
	v_ashrrev_i32_e32 v8, 31, v8
	;; [unrolled: 9-line block ×5, first 2 shown]
	v_xor_b32_e32 v9, vcc_hi, v8
	v_xor_b32_e32 v8, vcc_lo, v8
	v_and_b32_e32 v0, v0, v9
	v_lshlrev_b32_e32 v9, 24, v61
	v_and_b32_e32 v66, v66, v8
	v_mov_b32_e32 v8, v1
	v_not_b32_e32 v1, v9
	v_cmp_gt_i64_e32 vcc, 0, v[8:9]
	v_ashrrev_i32_e32 v1, 31, v1
	ds_read_b32 v64, v68 offset:64
	v_xor_b32_e32 v8, vcc_hi, v1
	v_xor_b32_e32 v9, vcc_lo, v1
	v_and_b32_e32 v1, v0, v8
	v_and_b32_e32 v0, v66, v9
	v_mbcnt_lo_u32_b32 v8, v0, 0
	v_mbcnt_hi_u32_b32 v66, v1, v8
	v_cmp_eq_u32_e32 vcc, 0, v66
	v_cmp_ne_u64_e64 s[0:1], 0, v[0:1]
	s_and_b64 s[4:5], s[0:1], vcc
	; wave barrier
	s_and_saveexec_b64 s[0:1], s[4:5]
	s_cbranch_execz .LBB850_233
; %bb.232:
	v_bcnt_u32_b32 v0, v0, 0
	v_bcnt_u32_b32 v0, v1, v0
	s_waitcnt lgkmcnt(0)
	v_add_u32_e32 v0, v64, v0
	ds_write_b32 v68, v0 offset:64
.LBB850_233:
	s_or_b64 exec, exec, s[0:1]
	s_waitcnt vmcnt(1)
	v_xor_b32_e32 v31, 0x80000000, v31
	v_lshrrev_b32_e32 v0, s64, v31
	v_and_b32_e32 v61, s14, v0
	s_movk_i32 s4, 0x44
	v_mul_lo_u32 v0, v61, s4
	v_lshl_add_u32 v70, v28, 2, v0
	v_and_b32_e32 v0, 1, v61
	v_mov_b32_e32 v1, 0
	v_lshl_add_u64 v[8:9], v[0:1], 0, -1
	v_cmp_ne_u32_e32 vcc, 0, v0
	; wave barrier
	s_nop 1
	v_xor_b32_e32 v8, vcc_lo, v8
	v_xor_b32_e32 v0, vcc_hi, v9
	v_and_b32_e32 v69, exec_lo, v8
	v_lshlrev_b32_e32 v9, 30, v61
	v_mov_b32_e32 v8, v1
	v_cmp_gt_i64_e32 vcc, 0, v[8:9]
	v_not_b32_e32 v8, v9
	v_ashrrev_i32_e32 v8, 31, v8
	v_and_b32_e32 v0, exec_hi, v0
	v_xor_b32_e32 v9, vcc_hi, v8
	v_xor_b32_e32 v8, vcc_lo, v8
	v_and_b32_e32 v0, v0, v9
	v_and_b32_e32 v69, v69, v8
	v_lshlrev_b32_e32 v9, 29, v61
	v_mov_b32_e32 v8, v1
	v_cmp_gt_i64_e32 vcc, 0, v[8:9]
	v_not_b32_e32 v8, v9
	v_ashrrev_i32_e32 v8, 31, v8
	v_xor_b32_e32 v9, vcc_hi, v8
	v_xor_b32_e32 v8, vcc_lo, v8
	v_and_b32_e32 v0, v0, v9
	v_and_b32_e32 v69, v69, v8
	v_lshlrev_b32_e32 v9, 28, v61
	v_mov_b32_e32 v8, v1
	v_cmp_gt_i64_e32 vcc, 0, v[8:9]
	v_not_b32_e32 v8, v9
	v_ashrrev_i32_e32 v8, 31, v8
	;; [unrolled: 9-line block ×6, first 2 shown]
	v_xor_b32_e32 v9, vcc_hi, v8
	v_xor_b32_e32 v8, vcc_lo, v8
	ds_read_b32 v67, v70 offset:64
	v_and_b32_e32 v8, v69, v8
	v_and_b32_e32 v9, v0, v9
	v_mbcnt_lo_u32_b32 v0, v8, 0
	v_mbcnt_hi_u32_b32 v69, v9, v0
	v_cmp_eq_u32_e32 vcc, 0, v69
	v_cmp_ne_u64_e64 s[0:1], 0, v[8:9]
	s_and_b64 s[6:7], s[0:1], vcc
	; wave barrier
	s_and_saveexec_b64 s[0:1], s[6:7]
	s_cbranch_execz .LBB850_235
; %bb.234:
	v_bcnt_u32_b32 v0, v8, 0
	v_bcnt_u32_b32 v0, v9, v0
	s_waitcnt lgkmcnt(0)
	v_add_u32_e32 v0, v67, v0
	ds_write_b32 v70, v0 offset:64
.LBB850_235:
	s_or_b64 exec, exec, s[0:1]
	s_waitcnt vmcnt(0)
	v_xor_b32_e32 v61, 0x80000000, v25
	v_lshrrev_b32_e32 v0, s64, v61
	v_and_b32_e32 v25, s14, v0
	v_mul_lo_u32 v0, v25, s4
	v_lshl_add_u32 v72, v28, 2, v0
	v_and_b32_e32 v0, 1, v25
	v_lshl_add_u64 v[8:9], v[0:1], 0, -1
	v_cmp_ne_u32_e32 vcc, 0, v0
	; wave barrier
	s_nop 1
	v_xor_b32_e32 v8, vcc_lo, v8
	v_xor_b32_e32 v0, vcc_hi, v9
	v_and_b32_e32 v71, exec_lo, v8
	v_lshlrev_b32_e32 v9, 30, v25
	v_mov_b32_e32 v8, v1
	v_cmp_gt_i64_e32 vcc, 0, v[8:9]
	v_not_b32_e32 v8, v9
	v_ashrrev_i32_e32 v8, 31, v8
	v_and_b32_e32 v0, exec_hi, v0
	v_xor_b32_e32 v9, vcc_hi, v8
	v_xor_b32_e32 v8, vcc_lo, v8
	v_and_b32_e32 v0, v0, v9
	v_and_b32_e32 v71, v71, v8
	v_lshlrev_b32_e32 v9, 29, v25
	v_mov_b32_e32 v8, v1
	v_cmp_gt_i64_e32 vcc, 0, v[8:9]
	v_not_b32_e32 v8, v9
	v_ashrrev_i32_e32 v8, 31, v8
	v_xor_b32_e32 v9, vcc_hi, v8
	v_xor_b32_e32 v8, vcc_lo, v8
	v_and_b32_e32 v0, v0, v9
	v_and_b32_e32 v71, v71, v8
	v_lshlrev_b32_e32 v9, 28, v25
	v_mov_b32_e32 v8, v1
	v_cmp_gt_i64_e32 vcc, 0, v[8:9]
	v_not_b32_e32 v8, v9
	v_ashrrev_i32_e32 v8, 31, v8
	;; [unrolled: 9-line block ×5, first 2 shown]
	v_xor_b32_e32 v9, vcc_hi, v8
	v_xor_b32_e32 v8, vcc_lo, v8
	v_and_b32_e32 v0, v0, v9
	v_lshlrev_b32_e32 v9, 24, v25
	v_and_b32_e32 v71, v71, v8
	v_mov_b32_e32 v8, v1
	v_not_b32_e32 v1, v9
	v_cmp_gt_i64_e32 vcc, 0, v[8:9]
	v_ashrrev_i32_e32 v1, 31, v1
	ds_read_b32 v28, v72 offset:64
	v_xor_b32_e32 v8, vcc_hi, v1
	v_xor_b32_e32 v9, vcc_lo, v1
	v_and_b32_e32 v1, v0, v8
	v_and_b32_e32 v0, v71, v9
	v_mbcnt_lo_u32_b32 v8, v0, 0
	v_mbcnt_hi_u32_b32 v71, v1, v8
	v_cmp_eq_u32_e32 vcc, 0, v71
	v_cmp_ne_u64_e64 s[0:1], 0, v[0:1]
	s_and_b64 s[4:5], s[0:1], vcc
	; wave barrier
	s_and_saveexec_b64 s[0:1], s[4:5]
	s_cbranch_execz .LBB850_237
; %bb.236:
	v_bcnt_u32_b32 v0, v0, 0
	v_bcnt_u32_b32 v0, v1, v0
	s_waitcnt lgkmcnt(0)
	v_add_u32_e32 v0, v28, v0
	ds_write_b32 v72, v0 offset:64
.LBB850_237:
	s_or_b64 exec, exec, s[0:1]
	; wave barrier
	s_waitcnt lgkmcnt(0)
	s_barrier
	ds_read2_b32 v[8:9], v11 offset0:16 offset1:17
	ds_read2_b32 v[0:1], v11 offset0:18 offset1:19
	ds_read_b32 v25, v11 offset:80
	v_cmp_lt_u32_e64 s[8:9], 31, v10
	s_waitcnt lgkmcnt(1)
	v_add3_u32 v73, v9, v8, v0
	s_waitcnt lgkmcnt(0)
	v_add3_u32 v25, v73, v1, v25
	v_and_b32_e32 v73, 15, v10
	v_cmp_eq_u32_e32 vcc, 0, v73
	v_mov_b32_dpp v74, v25 row_shr:1 row_mask:0xf bank_mask:0xf
	v_cmp_lt_u32_e64 s[0:1], 1, v73
	v_cndmask_b32_e64 v74, v74, 0, vcc
	v_add_u32_e32 v25, v74, v25
	v_cmp_lt_u32_e64 s[6:7], 3, v73
	v_cmp_lt_u32_e64 s[4:5], 7, v73
	v_mov_b32_dpp v74, v25 row_shr:2 row_mask:0xf bank_mask:0xf
	v_cndmask_b32_e64 v74, 0, v74, s[0:1]
	v_add_u32_e32 v25, v25, v74
	s_nop 1
	v_mov_b32_dpp v74, v25 row_shr:4 row_mask:0xf bank_mask:0xf
	v_cndmask_b32_e64 v74, 0, v74, s[6:7]
	v_add_u32_e32 v25, v25, v74
	s_nop 1
	v_mov_b32_dpp v74, v25 row_shr:8 row_mask:0xf bank_mask:0xf
	v_cndmask_b32_e64 v73, 0, v74, s[4:5]
	v_add_u32_e32 v25, v25, v73
	v_bfe_i32 v74, v10, 4, 1
	s_nop 0
	v_mov_b32_dpp v73, v25 row_bcast:15 row_mask:0xf bank_mask:0xf
	v_and_b32_e32 v73, v74, v73
	v_add_u32_e32 v25, v25, v73
	v_lshrrev_b32_e32 v74, 6, v2
	s_nop 0
	v_mov_b32_dpp v73, v25 row_bcast:31 row_mask:0xf bank_mask:0xf
	v_cndmask_b32_e64 v73, 0, v73, s[8:9]
	v_add_u32_e32 v73, v25, v73
	v_and_b32_e32 v25, 63, v2
	v_cmp_eq_u32_e64 s[8:9], 63, v25
	s_and_saveexec_b64 s[12:13], s[8:9]
; %bb.238:
	v_lshlrev_b32_e32 v25, 2, v74
	ds_write_b32 v25, v73
; %bb.239:
	s_or_b64 exec, exec, s[12:13]
	v_cmp_gt_u32_e64 s[8:9], 16, v2
	v_lshlrev_b32_e32 v25, 2, v2
	s_waitcnt lgkmcnt(0)
	s_barrier
	s_and_saveexec_b64 s[12:13], s[8:9]
	s_cbranch_execz .LBB850_241
; %bb.240:
	ds_read_b32 v75, v25
	s_waitcnt lgkmcnt(0)
	s_nop 0
	v_mov_b32_dpp v76, v75 row_shr:1 row_mask:0xf bank_mask:0xf
	v_cndmask_b32_e64 v76, v76, 0, vcc
	v_add_u32_e32 v75, v76, v75
	s_nop 1
	v_mov_b32_dpp v76, v75 row_shr:2 row_mask:0xf bank_mask:0xf
	v_cndmask_b32_e64 v76, 0, v76, s[0:1]
	v_add_u32_e32 v75, v75, v76
	s_nop 1
	v_mov_b32_dpp v76, v75 row_shr:4 row_mask:0xf bank_mask:0xf
	v_cndmask_b32_e64 v76, 0, v76, s[6:7]
	;; [unrolled: 4-line block ×3, first 2 shown]
	v_add_u32_e32 v75, v75, v76
	ds_write_b32 v25, v75
.LBB850_241:
	s_or_b64 exec, exec, s[12:13]
	v_cmp_lt_u32_e32 vcc, 63, v2
	v_mov_b32_e32 v75, 0
	s_waitcnt lgkmcnt(0)
	s_barrier
	s_and_saveexec_b64 s[0:1], vcc
; %bb.242:
	v_lshl_add_u32 v74, v74, 2, -4
	ds_read_b32 v75, v74
; %bb.243:
	s_or_b64 exec, exec, s[0:1]
	v_subrev_co_u32_e32 v74, vcc, 1, v10
	v_and_b32_e32 v76, 64, v10
	v_cmp_lt_i32_e64 s[0:1], v74, v76
	s_waitcnt lgkmcnt(0)
	v_add_u32_e32 v73, v75, v73
	s_movk_i32 s4, 0x100
	v_cndmask_b32_e64 v10, v74, v10, s[0:1]
	v_lshlrev_b32_e32 v10, 2, v10
	ds_bpermute_b32 v10, v10, v73
	s_movk_i32 s0, 0xff
	s_waitcnt lgkmcnt(0)
	v_cndmask_b32_e32 v10, v10, v75, vcc
	v_cmp_ne_u32_e32 vcc, 0, v2
	s_nop 1
	v_cndmask_b32_e32 v10, 0, v10, vcc
	v_add_u32_e32 v8, v10, v8
	v_add_u32_e32 v9, v8, v9
	;; [unrolled: 1-line block ×4, first 2 shown]
	ds_write2_b32 v11, v10, v8 offset0:16 offset1:17
	ds_write2_b32 v11, v9, v0 offset0:18 offset1:19
	ds_write_b32 v11, v1 offset:80
	s_waitcnt lgkmcnt(0)
	s_barrier
	ds_read_b32 v81, v18 offset:64
	ds_read_b32 v73, v21 offset:64
	ds_read_b32 v74, v26 offset:64
	ds_read_b32 v75, v32 offset:64
	ds_read_b32 v76, v37 offset:64
	ds_read_b32 v77, v41 offset:64
	ds_read_b32 v78, v46 offset:64
	ds_read_b32 v79, v49 offset:64
	ds_read_b32 v80, v52 offset:64
	ds_read_b32 v55, v55 offset:64
	ds_read_b32 v52, v58 offset:64
	ds_read_b32 v46, v62 offset:64
	ds_read_b32 v37, v65 offset:64
	ds_read_b32 v32, v68 offset:64
	ds_read_b32 v26, v70 offset:64
	ds_read_b32 v41, v72 offset:64
	v_cmp_lt_u32_e32 vcc, s0, v2
	v_cmp_gt_u32_e64 s[0:1], s4, v2
                                        ; implicit-def: $vgpr18
                                        ; implicit-def: $vgpr21
	s_and_saveexec_b64 s[6:7], s[0:1]
	s_cbranch_execz .LBB850_247
; %bb.244:
	v_mul_u32_u24_e32 v0, 0x44, v2
	ds_read_b32 v18, v0 offset:64
	v_add_u32_e32 v1, 1, v2
	v_cmp_ne_u32_e64 s[4:5], s4, v1
	v_mov_b32_e32 v0, 0x4000
	s_and_saveexec_b64 s[8:9], s[4:5]
; %bb.245:
	v_mul_u32_u24_e32 v0, 0x44, v1
	ds_read_b32 v0, v0 offset:64
; %bb.246:
	s_or_b64 exec, exec, s[8:9]
	s_waitcnt lgkmcnt(0)
	v_sub_u32_e32 v21, v0, v18
.LBB850_247:
	s_or_b64 exec, exec, s[6:7]
	v_mov_b32_e32 v1, 0
	s_waitcnt lgkmcnt(0)
	s_barrier
	s_and_saveexec_b64 s[4:5], s[0:1]
	s_cbranch_execz .LBB850_257
; %bb.248:
	v_lshl_add_u32 v0, s2, 8, v2
	v_lshl_add_u64 v[8:9], v[0:1], 2, s[50:51]
	v_or_b32_e32 v0, 2.0, v21
	s_mov_b64 s[6:7], 0
	s_brev_b32 s15, -4
	s_mov_b32 s16, s2
	v_mov_b32_e32 v49, 0
	global_store_dword v[8:9], v0, off sc1
                                        ; implicit-def: $sgpr0_sgpr1
	s_branch .LBB850_251
.LBB850_249:                            ;   in Loop: Header=BB850_251 Depth=1
	s_or_b64 exec, exec, s[12:13]
.LBB850_250:                            ;   in Loop: Header=BB850_251 Depth=1
	s_or_b64 exec, exec, s[8:9]
	v_and_b32_e32 v10, 0x3fffffff, v0
	v_add_u32_e32 v49, v10, v49
	v_cmp_gt_i32_e64 s[0:1], -2.0, v0
	s_and_b64 s[8:9], exec, s[0:1]
	s_or_b64 s[6:7], s[8:9], s[6:7]
	s_andn2_b64 exec, exec, s[6:7]
	s_cbranch_execz .LBB850_256
.LBB850_251:                            ; =>This Loop Header: Depth=1
                                        ;     Child Loop BB850_254 Depth 2
	s_or_b64 s[0:1], s[0:1], exec
	s_cmp_eq_u32 s16, 0
	s_cbranch_scc1 .LBB850_255
; %bb.252:                              ;   in Loop: Header=BB850_251 Depth=1
	s_add_i32 s16, s16, -1
	v_lshl_or_b32 v0, s16, 8, v2
	v_lshl_add_u64 v[10:11], v[0:1], 2, s[50:51]
	global_load_dword v0, v[10:11], off sc1
	s_waitcnt vmcnt(0)
	v_cmp_gt_u32_e64 s[0:1], 2.0, v0
	s_and_saveexec_b64 s[8:9], s[0:1]
	s_cbranch_execz .LBB850_250
; %bb.253:                              ;   in Loop: Header=BB850_251 Depth=1
	s_mov_b64 s[12:13], 0
.LBB850_254:                            ;   Parent Loop BB850_251 Depth=1
                                        ; =>  This Inner Loop Header: Depth=2
	global_load_dword v0, v[10:11], off sc1
	s_waitcnt vmcnt(0)
	v_cmp_lt_u32_e64 s[0:1], s15, v0
	s_or_b64 s[12:13], s[0:1], s[12:13]
	s_andn2_b64 exec, exec, s[12:13]
	s_cbranch_execnz .LBB850_254
	s_branch .LBB850_249
.LBB850_255:                            ;   in Loop: Header=BB850_251 Depth=1
                                        ; implicit-def: $sgpr16
	s_and_b64 s[8:9], exec, s[0:1]
	s_or_b64 s[6:7], s[8:9], s[6:7]
	s_andn2_b64 exec, exec, s[6:7]
	s_cbranch_execnz .LBB850_251
.LBB850_256:
	s_or_b64 exec, exec, s[6:7]
	v_add_u32_e32 v0, v49, v21
	v_or_b32_e32 v0, 0x80000000, v0
	global_store_dword v[8:9], v0, off sc1
	global_load_dword v0, v25, s[60:61]
	v_sub_u32_e32 v1, v49, v18
	s_waitcnt vmcnt(0)
	v_add_u32_e32 v0, v1, v0
	ds_write_b32 v25, v0
.LBB850_257:
	s_or_b64 exec, exec, s[4:5]
	v_add_u32_e32 v8, v81, v14
	v_add3_u32 v0, v16, v13, v73
	v_add3_u32 v1, v20, v17, v74
	;; [unrolled: 1-line block ×15, first 2 shown]
	v_mov_b32_e32 v85, 0x400
	s_mov_b32 s6, s64
	s_mov_b32 s7, s14
	s_movk_i32 s8, 0x400
	v_lshl_add_u32 v9, v9, 2, v85
	v_add3_u32 v10, v71, v41, v28
	v_lshl_add_u32 v11, v11, 2, v85
	v_add3_u32 v14, v69, v26, v67
	;; [unrolled: 2-line block ×15, first 2 shown]
	v_lshl_add_u32 v16, v8, 2, v85
	s_mov_b32 s9, 0
	s_mov_b32 s12, 0
	s_movk_i32 s13, 0x1000
	v_mov_b32_e32 v1, 0
	s_movk_i32 s15, 0x800
	s_movk_i32 s16, 0xc00
	v_mov_b32_e32 v55, v2
	s_mov_b32 s17, 0
	s_branch .LBB850_259
.LBB850_258:                            ;   in Loop: Header=BB850_259 Depth=1
	s_or_b64 exec, exec, s[4:5]
	s_waitcnt lgkmcnt(0)
	s_barrier
	ds_read2st64_b32 v[56:57], v25 offset0:4 offset1:20
	ds_read2st64_b32 v[62:63], v25 offset0:36 offset1:52
	s_addk_i32 s17, 0xc000
	s_addk_i32 s12, 0xf000
	s_waitcnt lgkmcnt(1)
	v_xor_b32_e32 v60, 0x80000000, v56
	v_lshrrev_b32_e32 v56, s64, v56
	v_lshrrev_b32_e32 v0, s6, v57
	v_and_b32_e32 v56, s14, v56
	v_xor_b32_e32 v66, 0x80000000, v57
	v_and_b32_e32 v57, s7, v0
	v_lshlrev_b32_e32 v0, 2, v56
	ds_read_b32 v0, v0
	s_waitcnt lgkmcnt(1)
	v_lshrrev_b32_e32 v58, s6, v63
	v_lshrrev_b32_e32 v65, s64, v62
	v_and_b32_e32 v59, s7, v58
	v_lshlrev_b32_e32 v64, 2, v57
	v_and_b32_e32 v58, s14, v65
	v_lshlrev_b32_e32 v67, 2, v59
	v_lshlrev_b32_e32 v65, 2, v58
	ds_read_b32 v68, v64
	ds_read_b32 v69, v65
	;; [unrolled: 1-line block ×3, first 2 shown]
	s_waitcnt lgkmcnt(3)
	v_add_u32_e32 v0, v55, v0
	v_lshl_add_u64 v[64:65], v[0:1], 2, s[54:55]
	s_waitcnt lgkmcnt(2)
	v_add3_u32 v0, v55, v68, s8
	global_store_dword v[64:65], v60, off
	v_lshl_add_u64 v[64:65], v[0:1], 2, s[54:55]
	s_waitcnt lgkmcnt(1)
	v_add3_u32 v0, v55, v69, s15
	global_store_dword v[64:65], v66, off
	v_xor_b32_e32 v60, 0x80000000, v62
	v_xor_b32_e32 v64, 0x80000000, v63
	v_lshl_add_u64 v[62:63], v[0:1], 2, s[54:55]
	s_waitcnt lgkmcnt(0)
	v_add3_u32 v0, v55, v67, s16
	global_store_dword v[62:63], v60, off
	v_lshl_add_u64 v[62:63], v[0:1], 2, s[54:55]
	global_store_dword v[62:63], v64, off
	scratch_store_dwordx4 off, v[56:59], s9
	s_add_i32 s9, s9, 16
	s_cmp_eq_u32 s17, 0xffff0000
	v_add_u32_e32 v55, 0x1000, v55
	s_barrier
	s_cbranch_scc1 .LBB850_291
.LBB850_259:                            ; =>This Inner Loop Header: Depth=1
	v_add_u32_e32 v0, s12, v8
	v_cmp_gt_u32_e64 s[0:1], s13, v0
	s_and_saveexec_b64 s[4:5], s[0:1]
; %bb.260:                              ;   in Loop: Header=BB850_259 Depth=1
	v_add_u32_e32 v0, s17, v16
	ds_write_b32 v0, v3
; %bb.261:                              ;   in Loop: Header=BB850_259 Depth=1
	s_or_b64 exec, exec, s[4:5]
	v_add_u32_e32 v0, s12, v13
	v_cmp_gt_u32_e64 s[0:1], s13, v0
	s_and_saveexec_b64 s[4:5], s[0:1]
; %bb.262:                              ;   in Loop: Header=BB850_259 Depth=1
	v_add_u32_e32 v0, s17, v20
	ds_write_b32 v0, v5
; %bb.263:                              ;   in Loop: Header=BB850_259 Depth=1
	s_or_b64 exec, exec, s[4:5]
	;; [unrolled: 8-line block ×15, first 2 shown]
	v_add_u32_e32 v0, s12, v10
	v_cmp_gt_u32_e64 s[0:1], s13, v0
	s_and_saveexec_b64 s[4:5], s[0:1]
	s_cbranch_execz .LBB850_258
; %bb.290:                              ;   in Loop: Header=BB850_259 Depth=1
	v_add_u32_e32 v0, s17, v9
	ds_write_b32 v0, v61
	s_branch .LBB850_258
.LBB850_291:
	s_add_u32 s0, s56, s10
	s_addc_u32 s1, s57, s11
	v_mov_b32_e32 v5, 0
	v_lshl_add_u64 v[0:1], s[0:1], 0, v[4:5]
	v_mov_b32_e32 v7, v5
	v_lshl_add_u64 v[44:45], v[0:1], 0, v[6:7]
	global_load_dword v0, v[44:45], off
	global_load_dword v1, v[44:45], off offset:256
	global_load_dword v3, v[44:45], off offset:512
	global_load_dword v6, v[44:45], off offset:768
	global_load_dword v7, v[44:45], off offset:1024
	global_load_dword v12, v[44:45], off offset:1280
	global_load_dword v15, v[44:45], off offset:1536
	global_load_dword v19, v[44:45], off offset:1792
	global_load_dword v23, v[44:45], off offset:2048
	global_load_dword v29, v[44:45], off offset:2304
	global_load_dword v31, v[44:45], off offset:2560
	global_load_dword v34, v[44:45], off offset:2816
	global_load_dword v36, v[44:45], off offset:3072
	global_load_dword v39, v[44:45], off offset:3328
	global_load_dword v40, v[44:45], off offset:3584
	s_nop 0
	global_load_dword v44, v[44:45], off offset:3840
	s_mov_b32 s6, 0
	s_mov_b32 s7, 0
	s_movk_i32 s8, 0x1000
	s_movk_i32 s9, 0x400
	;; [unrolled: 1-line block ×4, first 2 shown]
	s_mov_b32 s12, 0
	s_branch .LBB850_293
.LBB850_292:                            ;   in Loop: Header=BB850_293 Depth=1
	s_or_b64 exec, exec, s[4:5]
	s_waitcnt lgkmcnt(0)
	s_barrier
	scratch_load_dwordx4 v[56:59], off, s6
	ds_read2st64_b32 v[60:61], v25 offset0:4 offset1:20
	ds_read2st64_b32 v[62:63], v25 offset0:36 offset1:52
	s_addk_i32 s12, 0xc000
	s_addk_i32 s7, 0xf000
	s_add_i32 s6, s6, 16
	s_cmp_eq_u32 s12, 0xffff0000
	s_waitcnt vmcnt(0)
	v_lshlrev_b32_e32 v4, 2, v56
	ds_read_b32 v4, v4
	v_lshlrev_b32_e32 v45, 2, v57
	v_lshlrev_b32_e32 v55, 2, v58
	;; [unrolled: 1-line block ×3, first 2 shown]
	ds_read_b32 v45, v45
	ds_read_b32 v55, v55
	;; [unrolled: 1-line block ×3, first 2 shown]
	s_waitcnt lgkmcnt(3)
	v_add_u32_e32 v4, v2, v4
	v_lshl_add_u64 v[56:57], v[4:5], 2, s[58:59]
	s_waitcnt lgkmcnt(2)
	v_add3_u32 v4, v2, v45, s9
	global_store_dword v[56:57], v60, off
	v_lshl_add_u64 v[56:57], v[4:5], 2, s[58:59]
	s_waitcnt lgkmcnt(1)
	v_add3_u32 v4, v2, v55, s10
	global_store_dword v[56:57], v61, off
	;; [unrolled: 4-line block ×3, first 2 shown]
	v_lshl_add_u64 v[56:57], v[4:5], 2, s[58:59]
	v_add_u32_e32 v2, 0x1000, v2
	global_store_dword v[56:57], v63, off
	s_barrier
	s_cbranch_scc1 .LBB850_325
.LBB850_293:                            ; =>This Inner Loop Header: Depth=1
	v_add_u32_e32 v4, s7, v8
	v_cmp_gt_u32_e64 s[0:1], s8, v4
	s_and_saveexec_b64 s[4:5], s[0:1]
	s_cbranch_execz .LBB850_295
; %bb.294:                              ;   in Loop: Header=BB850_293 Depth=1
	v_add_u32_e32 v4, s12, v16
	s_waitcnt vmcnt(15)
	ds_write_b32 v4, v0
.LBB850_295:                            ;   in Loop: Header=BB850_293 Depth=1
	s_or_b64 exec, exec, s[4:5]
	v_add_u32_e32 v4, s7, v13
	v_cmp_gt_u32_e64 s[0:1], s8, v4
	s_and_saveexec_b64 s[4:5], s[0:1]
	s_cbranch_execz .LBB850_297
; %bb.296:                              ;   in Loop: Header=BB850_293 Depth=1
	v_add_u32_e32 v4, s12, v20
	s_waitcnt vmcnt(14)
	ds_write_b32 v4, v1
.LBB850_297:                            ;   in Loop: Header=BB850_293 Depth=1
	s_or_b64 exec, exec, s[4:5]
	v_add_u32_e32 v4, s7, v17
	v_cmp_gt_u32_e64 s[0:1], s8, v4
	s_and_saveexec_b64 s[4:5], s[0:1]
	s_cbranch_execz .LBB850_299
; %bb.298:                              ;   in Loop: Header=BB850_293 Depth=1
	v_add_u32_e32 v4, s12, v24
	s_waitcnt vmcnt(13)
	ds_write_b32 v4, v3
.LBB850_299:                            ;   in Loop: Header=BB850_293 Depth=1
	s_or_b64 exec, exec, s[4:5]
	v_add_u32_e32 v4, s7, v22
	v_cmp_gt_u32_e64 s[0:1], s8, v4
	s_and_saveexec_b64 s[4:5], s[0:1]
	s_cbranch_execz .LBB850_301
; %bb.300:                              ;   in Loop: Header=BB850_293 Depth=1
	v_add_u32_e32 v4, s12, v30
	s_waitcnt vmcnt(12)
	ds_write_b32 v4, v6
.LBB850_301:                            ;   in Loop: Header=BB850_293 Depth=1
	s_or_b64 exec, exec, s[4:5]
	v_add_u32_e32 v4, s7, v27
	v_cmp_gt_u32_e64 s[0:1], s8, v4
	s_and_saveexec_b64 s[4:5], s[0:1]
	s_cbranch_execz .LBB850_303
; %bb.302:                              ;   in Loop: Header=BB850_293 Depth=1
	v_add_u32_e32 v4, s12, v35
	s_waitcnt vmcnt(11)
	ds_write_b32 v4, v7
.LBB850_303:                            ;   in Loop: Header=BB850_293 Depth=1
	s_or_b64 exec, exec, s[4:5]
	v_add_u32_e32 v4, s7, v33
	v_cmp_gt_u32_e64 s[0:1], s8, v4
	s_and_saveexec_b64 s[4:5], s[0:1]
	s_cbranch_execz .LBB850_305
; %bb.304:                              ;   in Loop: Header=BB850_293 Depth=1
	v_add_u32_e32 v4, s12, v42
	s_waitcnt vmcnt(10)
	ds_write_b32 v4, v12
.LBB850_305:                            ;   in Loop: Header=BB850_293 Depth=1
	s_or_b64 exec, exec, s[4:5]
	v_add_u32_e32 v4, s7, v38
	v_cmp_gt_u32_e64 s[0:1], s8, v4
	s_and_saveexec_b64 s[4:5], s[0:1]
	s_cbranch_execz .LBB850_307
; %bb.306:                              ;   in Loop: Header=BB850_293 Depth=1
	v_add_u32_e32 v4, s12, v47
	s_waitcnt vmcnt(9)
	ds_write_b32 v4, v15
.LBB850_307:                            ;   in Loop: Header=BB850_293 Depth=1
	s_or_b64 exec, exec, s[4:5]
	v_add_u32_e32 v4, s7, v43
	v_cmp_gt_u32_e64 s[0:1], s8, v4
	s_and_saveexec_b64 s[4:5], s[0:1]
	s_cbranch_execz .LBB850_309
; %bb.308:                              ;   in Loop: Header=BB850_293 Depth=1
	v_add_u32_e32 v4, s12, v50
	s_waitcnt vmcnt(8)
	ds_write_b32 v4, v19
.LBB850_309:                            ;   in Loop: Header=BB850_293 Depth=1
	s_or_b64 exec, exec, s[4:5]
	v_add_u32_e32 v4, s7, v48
	v_cmp_gt_u32_e64 s[0:1], s8, v4
	s_and_saveexec_b64 s[4:5], s[0:1]
	s_cbranch_execz .LBB850_311
; %bb.310:                              ;   in Loop: Header=BB850_293 Depth=1
	v_add_u32_e32 v4, s12, v53
	s_waitcnt vmcnt(7)
	ds_write_b32 v4, v23
.LBB850_311:                            ;   in Loop: Header=BB850_293 Depth=1
	s_or_b64 exec, exec, s[4:5]
	v_add_u32_e32 v4, s7, v51
	v_cmp_gt_u32_e64 s[0:1], s8, v4
	s_and_saveexec_b64 s[4:5], s[0:1]
	s_cbranch_execz .LBB850_313
; %bb.312:                              ;   in Loop: Header=BB850_293 Depth=1
	v_add_u32_e32 v4, s12, v54
	s_waitcnt vmcnt(6)
	ds_write_b32 v4, v29
.LBB850_313:                            ;   in Loop: Header=BB850_293 Depth=1
	s_or_b64 exec, exec, s[4:5]
	v_add_u32_e32 v4, s7, v52
	v_cmp_gt_u32_e64 s[0:1], s8, v4
	s_and_saveexec_b64 s[4:5], s[0:1]
	s_cbranch_execz .LBB850_315
; %bb.314:                              ;   in Loop: Header=BB850_293 Depth=1
	v_add_u32_e32 v4, s12, v49
	s_waitcnt vmcnt(5)
	ds_write_b32 v4, v31
.LBB850_315:                            ;   in Loop: Header=BB850_293 Depth=1
	s_or_b64 exec, exec, s[4:5]
	v_add_u32_e32 v4, s7, v46
	v_cmp_gt_u32_e64 s[0:1], s8, v4
	s_and_saveexec_b64 s[4:5], s[0:1]
	s_cbranch_execz .LBB850_317
; %bb.316:                              ;   in Loop: Header=BB850_293 Depth=1
	v_add_u32_e32 v4, s12, v41
	s_waitcnt vmcnt(4)
	ds_write_b32 v4, v34
.LBB850_317:                            ;   in Loop: Header=BB850_293 Depth=1
	s_or_b64 exec, exec, s[4:5]
	v_add_u32_e32 v4, s7, v37
	v_cmp_gt_u32_e64 s[0:1], s8, v4
	s_and_saveexec_b64 s[4:5], s[0:1]
	s_cbranch_execz .LBB850_319
; %bb.318:                              ;   in Loop: Header=BB850_293 Depth=1
	v_add_u32_e32 v4, s12, v32
	s_waitcnt vmcnt(3)
	ds_write_b32 v4, v36
.LBB850_319:                            ;   in Loop: Header=BB850_293 Depth=1
	s_or_b64 exec, exec, s[4:5]
	v_add_u32_e32 v4, s7, v28
	v_cmp_gt_u32_e64 s[0:1], s8, v4
	s_and_saveexec_b64 s[4:5], s[0:1]
	s_cbranch_execz .LBB850_321
; %bb.320:                              ;   in Loop: Header=BB850_293 Depth=1
	v_add_u32_e32 v4, s12, v26
	s_waitcnt vmcnt(2)
	ds_write_b32 v4, v39
.LBB850_321:                            ;   in Loop: Header=BB850_293 Depth=1
	s_or_b64 exec, exec, s[4:5]
	v_add_u32_e32 v4, s7, v14
	v_cmp_gt_u32_e64 s[0:1], s8, v4
	s_and_saveexec_b64 s[4:5], s[0:1]
	s_cbranch_execz .LBB850_323
; %bb.322:                              ;   in Loop: Header=BB850_293 Depth=1
	v_add_u32_e32 v4, s12, v11
	s_waitcnt vmcnt(1)
	ds_write_b32 v4, v40
.LBB850_323:                            ;   in Loop: Header=BB850_293 Depth=1
	s_or_b64 exec, exec, s[4:5]
	v_add_u32_e32 v4, s7, v10
	v_cmp_gt_u32_e64 s[0:1], s8, v4
	s_and_saveexec_b64 s[4:5], s[0:1]
	s_cbranch_execz .LBB850_292
; %bb.324:                              ;   in Loop: Header=BB850_293 Depth=1
	v_add_u32_e32 v4, s12, v9
	s_waitcnt vmcnt(0)
	ds_write_b32 v4, v44
	s_branch .LBB850_292
.LBB850_325:
	s_add_i32 s3, s3, -1
	s_cmp_eq_u32 s2, s3
	s_cselect_b64 s[0:1], -1, 0
	s_xor_b64 s[2:3], vcc, -1
	s_and_b64 s[0:1], s[2:3], s[0:1]
	s_and_saveexec_b64 s[2:3], s[0:1]
	s_cbranch_execz .LBB850_327
; %bb.326:
	ds_read_b32 v0, v25
	s_waitcnt lgkmcnt(0)
	v_add3_u32 v0, v18, v21, v0
	global_store_dword v25, v0, s[62:63]
.LBB850_327:
	s_endpgm
	.section	.rodata,"a",@progbits
	.p2align	6, 0x0
	.amdhsa_kernel _ZN7rocprim17ROCPRIM_400000_NS6detail17trampoline_kernelINS0_14default_configENS1_35radix_sort_onesweep_config_selectorIiiEEZZNS1_29radix_sort_onesweep_iterationIS3_Lb0EN6thrust23THRUST_200600_302600_NS6detail15normal_iteratorINS8_10device_ptrIiEEEESD_SD_SD_jNS0_19identity_decomposerENS1_16block_id_wrapperIjLb0EEEEE10hipError_tT1_PNSt15iterator_traitsISI_E10value_typeET2_T3_PNSJ_ISO_E10value_typeET4_T5_PST_SU_PNS1_23onesweep_lookback_stateEbbT6_jjT7_P12ihipStream_tbENKUlT_T0_SI_SN_E_clISD_SD_SD_SD_EEDaS11_S12_SI_SN_EUlS11_E_NS1_11comp_targetILNS1_3genE6ELNS1_11target_archE950ELNS1_3gpuE13ELNS1_3repE0EEENS1_47radix_sort_onesweep_sort_config_static_selectorELNS0_4arch9wavefront6targetE1EEEvSI_
		.amdhsa_group_segment_fixed_size 20552
		.amdhsa_private_segment_fixed_size 80
		.amdhsa_kernarg_size 344
		.amdhsa_user_sgpr_count 2
		.amdhsa_user_sgpr_dispatch_ptr 0
		.amdhsa_user_sgpr_queue_ptr 0
		.amdhsa_user_sgpr_kernarg_segment_ptr 1
		.amdhsa_user_sgpr_dispatch_id 0
		.amdhsa_user_sgpr_kernarg_preload_length 0
		.amdhsa_user_sgpr_kernarg_preload_offset 0
		.amdhsa_user_sgpr_private_segment_size 0
		.amdhsa_uses_dynamic_stack 0
		.amdhsa_enable_private_segment 1
		.amdhsa_system_sgpr_workgroup_id_x 1
		.amdhsa_system_sgpr_workgroup_id_y 0
		.amdhsa_system_sgpr_workgroup_id_z 0
		.amdhsa_system_sgpr_workgroup_info 0
		.amdhsa_system_vgpr_workitem_id 2
		.amdhsa_next_free_vgpr 88
		.amdhsa_next_free_sgpr 70
		.amdhsa_accum_offset 88
		.amdhsa_reserve_vcc 1
		.amdhsa_float_round_mode_32 0
		.amdhsa_float_round_mode_16_64 0
		.amdhsa_float_denorm_mode_32 3
		.amdhsa_float_denorm_mode_16_64 3
		.amdhsa_dx10_clamp 1
		.amdhsa_ieee_mode 1
		.amdhsa_fp16_overflow 0
		.amdhsa_tg_split 0
		.amdhsa_exception_fp_ieee_invalid_op 0
		.amdhsa_exception_fp_denorm_src 0
		.amdhsa_exception_fp_ieee_div_zero 0
		.amdhsa_exception_fp_ieee_overflow 0
		.amdhsa_exception_fp_ieee_underflow 0
		.amdhsa_exception_fp_ieee_inexact 0
		.amdhsa_exception_int_div_zero 0
	.end_amdhsa_kernel
	.section	.text._ZN7rocprim17ROCPRIM_400000_NS6detail17trampoline_kernelINS0_14default_configENS1_35radix_sort_onesweep_config_selectorIiiEEZZNS1_29radix_sort_onesweep_iterationIS3_Lb0EN6thrust23THRUST_200600_302600_NS6detail15normal_iteratorINS8_10device_ptrIiEEEESD_SD_SD_jNS0_19identity_decomposerENS1_16block_id_wrapperIjLb0EEEEE10hipError_tT1_PNSt15iterator_traitsISI_E10value_typeET2_T3_PNSJ_ISO_E10value_typeET4_T5_PST_SU_PNS1_23onesweep_lookback_stateEbbT6_jjT7_P12ihipStream_tbENKUlT_T0_SI_SN_E_clISD_SD_SD_SD_EEDaS11_S12_SI_SN_EUlS11_E_NS1_11comp_targetILNS1_3genE6ELNS1_11target_archE950ELNS1_3gpuE13ELNS1_3repE0EEENS1_47radix_sort_onesweep_sort_config_static_selectorELNS0_4arch9wavefront6targetE1EEEvSI_,"axG",@progbits,_ZN7rocprim17ROCPRIM_400000_NS6detail17trampoline_kernelINS0_14default_configENS1_35radix_sort_onesweep_config_selectorIiiEEZZNS1_29radix_sort_onesweep_iterationIS3_Lb0EN6thrust23THRUST_200600_302600_NS6detail15normal_iteratorINS8_10device_ptrIiEEEESD_SD_SD_jNS0_19identity_decomposerENS1_16block_id_wrapperIjLb0EEEEE10hipError_tT1_PNSt15iterator_traitsISI_E10value_typeET2_T3_PNSJ_ISO_E10value_typeET4_T5_PST_SU_PNS1_23onesweep_lookback_stateEbbT6_jjT7_P12ihipStream_tbENKUlT_T0_SI_SN_E_clISD_SD_SD_SD_EEDaS11_S12_SI_SN_EUlS11_E_NS1_11comp_targetILNS1_3genE6ELNS1_11target_archE950ELNS1_3gpuE13ELNS1_3repE0EEENS1_47radix_sort_onesweep_sort_config_static_selectorELNS0_4arch9wavefront6targetE1EEEvSI_,comdat
.Lfunc_end850:
	.size	_ZN7rocprim17ROCPRIM_400000_NS6detail17trampoline_kernelINS0_14default_configENS1_35radix_sort_onesweep_config_selectorIiiEEZZNS1_29radix_sort_onesweep_iterationIS3_Lb0EN6thrust23THRUST_200600_302600_NS6detail15normal_iteratorINS8_10device_ptrIiEEEESD_SD_SD_jNS0_19identity_decomposerENS1_16block_id_wrapperIjLb0EEEEE10hipError_tT1_PNSt15iterator_traitsISI_E10value_typeET2_T3_PNSJ_ISO_E10value_typeET4_T5_PST_SU_PNS1_23onesweep_lookback_stateEbbT6_jjT7_P12ihipStream_tbENKUlT_T0_SI_SN_E_clISD_SD_SD_SD_EEDaS11_S12_SI_SN_EUlS11_E_NS1_11comp_targetILNS1_3genE6ELNS1_11target_archE950ELNS1_3gpuE13ELNS1_3repE0EEENS1_47radix_sort_onesweep_sort_config_static_selectorELNS0_4arch9wavefront6targetE1EEEvSI_, .Lfunc_end850-_ZN7rocprim17ROCPRIM_400000_NS6detail17trampoline_kernelINS0_14default_configENS1_35radix_sort_onesweep_config_selectorIiiEEZZNS1_29radix_sort_onesweep_iterationIS3_Lb0EN6thrust23THRUST_200600_302600_NS6detail15normal_iteratorINS8_10device_ptrIiEEEESD_SD_SD_jNS0_19identity_decomposerENS1_16block_id_wrapperIjLb0EEEEE10hipError_tT1_PNSt15iterator_traitsISI_E10value_typeET2_T3_PNSJ_ISO_E10value_typeET4_T5_PST_SU_PNS1_23onesweep_lookback_stateEbbT6_jjT7_P12ihipStream_tbENKUlT_T0_SI_SN_E_clISD_SD_SD_SD_EEDaS11_S12_SI_SN_EUlS11_E_NS1_11comp_targetILNS1_3genE6ELNS1_11target_archE950ELNS1_3gpuE13ELNS1_3repE0EEENS1_47radix_sort_onesweep_sort_config_static_selectorELNS0_4arch9wavefront6targetE1EEEvSI_
                                        ; -- End function
	.set _ZN7rocprim17ROCPRIM_400000_NS6detail17trampoline_kernelINS0_14default_configENS1_35radix_sort_onesweep_config_selectorIiiEEZZNS1_29radix_sort_onesweep_iterationIS3_Lb0EN6thrust23THRUST_200600_302600_NS6detail15normal_iteratorINS8_10device_ptrIiEEEESD_SD_SD_jNS0_19identity_decomposerENS1_16block_id_wrapperIjLb0EEEEE10hipError_tT1_PNSt15iterator_traitsISI_E10value_typeET2_T3_PNSJ_ISO_E10value_typeET4_T5_PST_SU_PNS1_23onesweep_lookback_stateEbbT6_jjT7_P12ihipStream_tbENKUlT_T0_SI_SN_E_clISD_SD_SD_SD_EEDaS11_S12_SI_SN_EUlS11_E_NS1_11comp_targetILNS1_3genE6ELNS1_11target_archE950ELNS1_3gpuE13ELNS1_3repE0EEENS1_47radix_sort_onesweep_sort_config_static_selectorELNS0_4arch9wavefront6targetE1EEEvSI_.num_vgpr, 88
	.set _ZN7rocprim17ROCPRIM_400000_NS6detail17trampoline_kernelINS0_14default_configENS1_35radix_sort_onesweep_config_selectorIiiEEZZNS1_29radix_sort_onesweep_iterationIS3_Lb0EN6thrust23THRUST_200600_302600_NS6detail15normal_iteratorINS8_10device_ptrIiEEEESD_SD_SD_jNS0_19identity_decomposerENS1_16block_id_wrapperIjLb0EEEEE10hipError_tT1_PNSt15iterator_traitsISI_E10value_typeET2_T3_PNSJ_ISO_E10value_typeET4_T5_PST_SU_PNS1_23onesweep_lookback_stateEbbT6_jjT7_P12ihipStream_tbENKUlT_T0_SI_SN_E_clISD_SD_SD_SD_EEDaS11_S12_SI_SN_EUlS11_E_NS1_11comp_targetILNS1_3genE6ELNS1_11target_archE950ELNS1_3gpuE13ELNS1_3repE0EEENS1_47radix_sort_onesweep_sort_config_static_selectorELNS0_4arch9wavefront6targetE1EEEvSI_.num_agpr, 0
	.set _ZN7rocprim17ROCPRIM_400000_NS6detail17trampoline_kernelINS0_14default_configENS1_35radix_sort_onesweep_config_selectorIiiEEZZNS1_29radix_sort_onesweep_iterationIS3_Lb0EN6thrust23THRUST_200600_302600_NS6detail15normal_iteratorINS8_10device_ptrIiEEEESD_SD_SD_jNS0_19identity_decomposerENS1_16block_id_wrapperIjLb0EEEEE10hipError_tT1_PNSt15iterator_traitsISI_E10value_typeET2_T3_PNSJ_ISO_E10value_typeET4_T5_PST_SU_PNS1_23onesweep_lookback_stateEbbT6_jjT7_P12ihipStream_tbENKUlT_T0_SI_SN_E_clISD_SD_SD_SD_EEDaS11_S12_SI_SN_EUlS11_E_NS1_11comp_targetILNS1_3genE6ELNS1_11target_archE950ELNS1_3gpuE13ELNS1_3repE0EEENS1_47radix_sort_onesweep_sort_config_static_selectorELNS0_4arch9wavefront6targetE1EEEvSI_.numbered_sgpr, 70
	.set _ZN7rocprim17ROCPRIM_400000_NS6detail17trampoline_kernelINS0_14default_configENS1_35radix_sort_onesweep_config_selectorIiiEEZZNS1_29radix_sort_onesweep_iterationIS3_Lb0EN6thrust23THRUST_200600_302600_NS6detail15normal_iteratorINS8_10device_ptrIiEEEESD_SD_SD_jNS0_19identity_decomposerENS1_16block_id_wrapperIjLb0EEEEE10hipError_tT1_PNSt15iterator_traitsISI_E10value_typeET2_T3_PNSJ_ISO_E10value_typeET4_T5_PST_SU_PNS1_23onesweep_lookback_stateEbbT6_jjT7_P12ihipStream_tbENKUlT_T0_SI_SN_E_clISD_SD_SD_SD_EEDaS11_S12_SI_SN_EUlS11_E_NS1_11comp_targetILNS1_3genE6ELNS1_11target_archE950ELNS1_3gpuE13ELNS1_3repE0EEENS1_47radix_sort_onesweep_sort_config_static_selectorELNS0_4arch9wavefront6targetE1EEEvSI_.num_named_barrier, 0
	.set _ZN7rocprim17ROCPRIM_400000_NS6detail17trampoline_kernelINS0_14default_configENS1_35radix_sort_onesweep_config_selectorIiiEEZZNS1_29radix_sort_onesweep_iterationIS3_Lb0EN6thrust23THRUST_200600_302600_NS6detail15normal_iteratorINS8_10device_ptrIiEEEESD_SD_SD_jNS0_19identity_decomposerENS1_16block_id_wrapperIjLb0EEEEE10hipError_tT1_PNSt15iterator_traitsISI_E10value_typeET2_T3_PNSJ_ISO_E10value_typeET4_T5_PST_SU_PNS1_23onesweep_lookback_stateEbbT6_jjT7_P12ihipStream_tbENKUlT_T0_SI_SN_E_clISD_SD_SD_SD_EEDaS11_S12_SI_SN_EUlS11_E_NS1_11comp_targetILNS1_3genE6ELNS1_11target_archE950ELNS1_3gpuE13ELNS1_3repE0EEENS1_47radix_sort_onesweep_sort_config_static_selectorELNS0_4arch9wavefront6targetE1EEEvSI_.private_seg_size, 80
	.set _ZN7rocprim17ROCPRIM_400000_NS6detail17trampoline_kernelINS0_14default_configENS1_35radix_sort_onesweep_config_selectorIiiEEZZNS1_29radix_sort_onesweep_iterationIS3_Lb0EN6thrust23THRUST_200600_302600_NS6detail15normal_iteratorINS8_10device_ptrIiEEEESD_SD_SD_jNS0_19identity_decomposerENS1_16block_id_wrapperIjLb0EEEEE10hipError_tT1_PNSt15iterator_traitsISI_E10value_typeET2_T3_PNSJ_ISO_E10value_typeET4_T5_PST_SU_PNS1_23onesweep_lookback_stateEbbT6_jjT7_P12ihipStream_tbENKUlT_T0_SI_SN_E_clISD_SD_SD_SD_EEDaS11_S12_SI_SN_EUlS11_E_NS1_11comp_targetILNS1_3genE6ELNS1_11target_archE950ELNS1_3gpuE13ELNS1_3repE0EEENS1_47radix_sort_onesweep_sort_config_static_selectorELNS0_4arch9wavefront6targetE1EEEvSI_.uses_vcc, 1
	.set _ZN7rocprim17ROCPRIM_400000_NS6detail17trampoline_kernelINS0_14default_configENS1_35radix_sort_onesweep_config_selectorIiiEEZZNS1_29radix_sort_onesweep_iterationIS3_Lb0EN6thrust23THRUST_200600_302600_NS6detail15normal_iteratorINS8_10device_ptrIiEEEESD_SD_SD_jNS0_19identity_decomposerENS1_16block_id_wrapperIjLb0EEEEE10hipError_tT1_PNSt15iterator_traitsISI_E10value_typeET2_T3_PNSJ_ISO_E10value_typeET4_T5_PST_SU_PNS1_23onesweep_lookback_stateEbbT6_jjT7_P12ihipStream_tbENKUlT_T0_SI_SN_E_clISD_SD_SD_SD_EEDaS11_S12_SI_SN_EUlS11_E_NS1_11comp_targetILNS1_3genE6ELNS1_11target_archE950ELNS1_3gpuE13ELNS1_3repE0EEENS1_47radix_sort_onesweep_sort_config_static_selectorELNS0_4arch9wavefront6targetE1EEEvSI_.uses_flat_scratch, 0
	.set _ZN7rocprim17ROCPRIM_400000_NS6detail17trampoline_kernelINS0_14default_configENS1_35radix_sort_onesweep_config_selectorIiiEEZZNS1_29radix_sort_onesweep_iterationIS3_Lb0EN6thrust23THRUST_200600_302600_NS6detail15normal_iteratorINS8_10device_ptrIiEEEESD_SD_SD_jNS0_19identity_decomposerENS1_16block_id_wrapperIjLb0EEEEE10hipError_tT1_PNSt15iterator_traitsISI_E10value_typeET2_T3_PNSJ_ISO_E10value_typeET4_T5_PST_SU_PNS1_23onesweep_lookback_stateEbbT6_jjT7_P12ihipStream_tbENKUlT_T0_SI_SN_E_clISD_SD_SD_SD_EEDaS11_S12_SI_SN_EUlS11_E_NS1_11comp_targetILNS1_3genE6ELNS1_11target_archE950ELNS1_3gpuE13ELNS1_3repE0EEENS1_47radix_sort_onesweep_sort_config_static_selectorELNS0_4arch9wavefront6targetE1EEEvSI_.has_dyn_sized_stack, 0
	.set _ZN7rocprim17ROCPRIM_400000_NS6detail17trampoline_kernelINS0_14default_configENS1_35radix_sort_onesweep_config_selectorIiiEEZZNS1_29radix_sort_onesweep_iterationIS3_Lb0EN6thrust23THRUST_200600_302600_NS6detail15normal_iteratorINS8_10device_ptrIiEEEESD_SD_SD_jNS0_19identity_decomposerENS1_16block_id_wrapperIjLb0EEEEE10hipError_tT1_PNSt15iterator_traitsISI_E10value_typeET2_T3_PNSJ_ISO_E10value_typeET4_T5_PST_SU_PNS1_23onesweep_lookback_stateEbbT6_jjT7_P12ihipStream_tbENKUlT_T0_SI_SN_E_clISD_SD_SD_SD_EEDaS11_S12_SI_SN_EUlS11_E_NS1_11comp_targetILNS1_3genE6ELNS1_11target_archE950ELNS1_3gpuE13ELNS1_3repE0EEENS1_47radix_sort_onesweep_sort_config_static_selectorELNS0_4arch9wavefront6targetE1EEEvSI_.has_recursion, 0
	.set _ZN7rocprim17ROCPRIM_400000_NS6detail17trampoline_kernelINS0_14default_configENS1_35radix_sort_onesweep_config_selectorIiiEEZZNS1_29radix_sort_onesweep_iterationIS3_Lb0EN6thrust23THRUST_200600_302600_NS6detail15normal_iteratorINS8_10device_ptrIiEEEESD_SD_SD_jNS0_19identity_decomposerENS1_16block_id_wrapperIjLb0EEEEE10hipError_tT1_PNSt15iterator_traitsISI_E10value_typeET2_T3_PNSJ_ISO_E10value_typeET4_T5_PST_SU_PNS1_23onesweep_lookback_stateEbbT6_jjT7_P12ihipStream_tbENKUlT_T0_SI_SN_E_clISD_SD_SD_SD_EEDaS11_S12_SI_SN_EUlS11_E_NS1_11comp_targetILNS1_3genE6ELNS1_11target_archE950ELNS1_3gpuE13ELNS1_3repE0EEENS1_47radix_sort_onesweep_sort_config_static_selectorELNS0_4arch9wavefront6targetE1EEEvSI_.has_indirect_call, 0
	.section	.AMDGPU.csdata,"",@progbits
; Kernel info:
; codeLenInByte = 22584
; TotalNumSgprs: 76
; NumVgprs: 88
; NumAgprs: 0
; TotalNumVgprs: 88
; ScratchSize: 80
; MemoryBound: 0
; FloatMode: 240
; IeeeMode: 1
; LDSByteSize: 20552 bytes/workgroup (compile time only)
; SGPRBlocks: 9
; VGPRBlocks: 10
; NumSGPRsForWavesPerEU: 76
; NumVGPRsForWavesPerEU: 88
; AccumOffset: 88
; Occupancy: 5
; WaveLimiterHint : 1
; COMPUTE_PGM_RSRC2:SCRATCH_EN: 1
; COMPUTE_PGM_RSRC2:USER_SGPR: 2
; COMPUTE_PGM_RSRC2:TRAP_HANDLER: 0
; COMPUTE_PGM_RSRC2:TGID_X_EN: 1
; COMPUTE_PGM_RSRC2:TGID_Y_EN: 0
; COMPUTE_PGM_RSRC2:TGID_Z_EN: 0
; COMPUTE_PGM_RSRC2:TIDIG_COMP_CNT: 2
; COMPUTE_PGM_RSRC3_GFX90A:ACCUM_OFFSET: 21
; COMPUTE_PGM_RSRC3_GFX90A:TG_SPLIT: 0
	.section	.text._ZN7rocprim17ROCPRIM_400000_NS6detail17trampoline_kernelINS0_14default_configENS1_35radix_sort_onesweep_config_selectorIiiEEZZNS1_29radix_sort_onesweep_iterationIS3_Lb0EN6thrust23THRUST_200600_302600_NS6detail15normal_iteratorINS8_10device_ptrIiEEEESD_SD_SD_jNS0_19identity_decomposerENS1_16block_id_wrapperIjLb0EEEEE10hipError_tT1_PNSt15iterator_traitsISI_E10value_typeET2_T3_PNSJ_ISO_E10value_typeET4_T5_PST_SU_PNS1_23onesweep_lookback_stateEbbT6_jjT7_P12ihipStream_tbENKUlT_T0_SI_SN_E_clISD_SD_SD_SD_EEDaS11_S12_SI_SN_EUlS11_E_NS1_11comp_targetILNS1_3genE5ELNS1_11target_archE942ELNS1_3gpuE9ELNS1_3repE0EEENS1_47radix_sort_onesweep_sort_config_static_selectorELNS0_4arch9wavefront6targetE1EEEvSI_,"axG",@progbits,_ZN7rocprim17ROCPRIM_400000_NS6detail17trampoline_kernelINS0_14default_configENS1_35radix_sort_onesweep_config_selectorIiiEEZZNS1_29radix_sort_onesweep_iterationIS3_Lb0EN6thrust23THRUST_200600_302600_NS6detail15normal_iteratorINS8_10device_ptrIiEEEESD_SD_SD_jNS0_19identity_decomposerENS1_16block_id_wrapperIjLb0EEEEE10hipError_tT1_PNSt15iterator_traitsISI_E10value_typeET2_T3_PNSJ_ISO_E10value_typeET4_T5_PST_SU_PNS1_23onesweep_lookback_stateEbbT6_jjT7_P12ihipStream_tbENKUlT_T0_SI_SN_E_clISD_SD_SD_SD_EEDaS11_S12_SI_SN_EUlS11_E_NS1_11comp_targetILNS1_3genE5ELNS1_11target_archE942ELNS1_3gpuE9ELNS1_3repE0EEENS1_47radix_sort_onesweep_sort_config_static_selectorELNS0_4arch9wavefront6targetE1EEEvSI_,comdat
	.protected	_ZN7rocprim17ROCPRIM_400000_NS6detail17trampoline_kernelINS0_14default_configENS1_35radix_sort_onesweep_config_selectorIiiEEZZNS1_29radix_sort_onesweep_iterationIS3_Lb0EN6thrust23THRUST_200600_302600_NS6detail15normal_iteratorINS8_10device_ptrIiEEEESD_SD_SD_jNS0_19identity_decomposerENS1_16block_id_wrapperIjLb0EEEEE10hipError_tT1_PNSt15iterator_traitsISI_E10value_typeET2_T3_PNSJ_ISO_E10value_typeET4_T5_PST_SU_PNS1_23onesweep_lookback_stateEbbT6_jjT7_P12ihipStream_tbENKUlT_T0_SI_SN_E_clISD_SD_SD_SD_EEDaS11_S12_SI_SN_EUlS11_E_NS1_11comp_targetILNS1_3genE5ELNS1_11target_archE942ELNS1_3gpuE9ELNS1_3repE0EEENS1_47radix_sort_onesweep_sort_config_static_selectorELNS0_4arch9wavefront6targetE1EEEvSI_ ; -- Begin function _ZN7rocprim17ROCPRIM_400000_NS6detail17trampoline_kernelINS0_14default_configENS1_35radix_sort_onesweep_config_selectorIiiEEZZNS1_29radix_sort_onesweep_iterationIS3_Lb0EN6thrust23THRUST_200600_302600_NS6detail15normal_iteratorINS8_10device_ptrIiEEEESD_SD_SD_jNS0_19identity_decomposerENS1_16block_id_wrapperIjLb0EEEEE10hipError_tT1_PNSt15iterator_traitsISI_E10value_typeET2_T3_PNSJ_ISO_E10value_typeET4_T5_PST_SU_PNS1_23onesweep_lookback_stateEbbT6_jjT7_P12ihipStream_tbENKUlT_T0_SI_SN_E_clISD_SD_SD_SD_EEDaS11_S12_SI_SN_EUlS11_E_NS1_11comp_targetILNS1_3genE5ELNS1_11target_archE942ELNS1_3gpuE9ELNS1_3repE0EEENS1_47radix_sort_onesweep_sort_config_static_selectorELNS0_4arch9wavefront6targetE1EEEvSI_
	.globl	_ZN7rocprim17ROCPRIM_400000_NS6detail17trampoline_kernelINS0_14default_configENS1_35radix_sort_onesweep_config_selectorIiiEEZZNS1_29radix_sort_onesweep_iterationIS3_Lb0EN6thrust23THRUST_200600_302600_NS6detail15normal_iteratorINS8_10device_ptrIiEEEESD_SD_SD_jNS0_19identity_decomposerENS1_16block_id_wrapperIjLb0EEEEE10hipError_tT1_PNSt15iterator_traitsISI_E10value_typeET2_T3_PNSJ_ISO_E10value_typeET4_T5_PST_SU_PNS1_23onesweep_lookback_stateEbbT6_jjT7_P12ihipStream_tbENKUlT_T0_SI_SN_E_clISD_SD_SD_SD_EEDaS11_S12_SI_SN_EUlS11_E_NS1_11comp_targetILNS1_3genE5ELNS1_11target_archE942ELNS1_3gpuE9ELNS1_3repE0EEENS1_47radix_sort_onesweep_sort_config_static_selectorELNS0_4arch9wavefront6targetE1EEEvSI_
	.p2align	8
	.type	_ZN7rocprim17ROCPRIM_400000_NS6detail17trampoline_kernelINS0_14default_configENS1_35radix_sort_onesweep_config_selectorIiiEEZZNS1_29radix_sort_onesweep_iterationIS3_Lb0EN6thrust23THRUST_200600_302600_NS6detail15normal_iteratorINS8_10device_ptrIiEEEESD_SD_SD_jNS0_19identity_decomposerENS1_16block_id_wrapperIjLb0EEEEE10hipError_tT1_PNSt15iterator_traitsISI_E10value_typeET2_T3_PNSJ_ISO_E10value_typeET4_T5_PST_SU_PNS1_23onesweep_lookback_stateEbbT6_jjT7_P12ihipStream_tbENKUlT_T0_SI_SN_E_clISD_SD_SD_SD_EEDaS11_S12_SI_SN_EUlS11_E_NS1_11comp_targetILNS1_3genE5ELNS1_11target_archE942ELNS1_3gpuE9ELNS1_3repE0EEENS1_47radix_sort_onesweep_sort_config_static_selectorELNS0_4arch9wavefront6targetE1EEEvSI_,@function
_ZN7rocprim17ROCPRIM_400000_NS6detail17trampoline_kernelINS0_14default_configENS1_35radix_sort_onesweep_config_selectorIiiEEZZNS1_29radix_sort_onesweep_iterationIS3_Lb0EN6thrust23THRUST_200600_302600_NS6detail15normal_iteratorINS8_10device_ptrIiEEEESD_SD_SD_jNS0_19identity_decomposerENS1_16block_id_wrapperIjLb0EEEEE10hipError_tT1_PNSt15iterator_traitsISI_E10value_typeET2_T3_PNSJ_ISO_E10value_typeET4_T5_PST_SU_PNS1_23onesweep_lookback_stateEbbT6_jjT7_P12ihipStream_tbENKUlT_T0_SI_SN_E_clISD_SD_SD_SD_EEDaS11_S12_SI_SN_EUlS11_E_NS1_11comp_targetILNS1_3genE5ELNS1_11target_archE942ELNS1_3gpuE9ELNS1_3repE0EEENS1_47radix_sort_onesweep_sort_config_static_selectorELNS0_4arch9wavefront6targetE1EEEvSI_: ; @_ZN7rocprim17ROCPRIM_400000_NS6detail17trampoline_kernelINS0_14default_configENS1_35radix_sort_onesweep_config_selectorIiiEEZZNS1_29radix_sort_onesweep_iterationIS3_Lb0EN6thrust23THRUST_200600_302600_NS6detail15normal_iteratorINS8_10device_ptrIiEEEESD_SD_SD_jNS0_19identity_decomposerENS1_16block_id_wrapperIjLb0EEEEE10hipError_tT1_PNSt15iterator_traitsISI_E10value_typeET2_T3_PNSJ_ISO_E10value_typeET4_T5_PST_SU_PNS1_23onesweep_lookback_stateEbbT6_jjT7_P12ihipStream_tbENKUlT_T0_SI_SN_E_clISD_SD_SD_SD_EEDaS11_S12_SI_SN_EUlS11_E_NS1_11comp_targetILNS1_3genE5ELNS1_11target_archE942ELNS1_3gpuE9ELNS1_3repE0EEENS1_47radix_sort_onesweep_sort_config_static_selectorELNS0_4arch9wavefront6targetE1EEEvSI_
; %bb.0:
	.section	.rodata,"a",@progbits
	.p2align	6, 0x0
	.amdhsa_kernel _ZN7rocprim17ROCPRIM_400000_NS6detail17trampoline_kernelINS0_14default_configENS1_35radix_sort_onesweep_config_selectorIiiEEZZNS1_29radix_sort_onesweep_iterationIS3_Lb0EN6thrust23THRUST_200600_302600_NS6detail15normal_iteratorINS8_10device_ptrIiEEEESD_SD_SD_jNS0_19identity_decomposerENS1_16block_id_wrapperIjLb0EEEEE10hipError_tT1_PNSt15iterator_traitsISI_E10value_typeET2_T3_PNSJ_ISO_E10value_typeET4_T5_PST_SU_PNS1_23onesweep_lookback_stateEbbT6_jjT7_P12ihipStream_tbENKUlT_T0_SI_SN_E_clISD_SD_SD_SD_EEDaS11_S12_SI_SN_EUlS11_E_NS1_11comp_targetILNS1_3genE5ELNS1_11target_archE942ELNS1_3gpuE9ELNS1_3repE0EEENS1_47radix_sort_onesweep_sort_config_static_selectorELNS0_4arch9wavefront6targetE1EEEvSI_
		.amdhsa_group_segment_fixed_size 0
		.amdhsa_private_segment_fixed_size 0
		.amdhsa_kernarg_size 88
		.amdhsa_user_sgpr_count 2
		.amdhsa_user_sgpr_dispatch_ptr 0
		.amdhsa_user_sgpr_queue_ptr 0
		.amdhsa_user_sgpr_kernarg_segment_ptr 1
		.amdhsa_user_sgpr_dispatch_id 0
		.amdhsa_user_sgpr_kernarg_preload_length 0
		.amdhsa_user_sgpr_kernarg_preload_offset 0
		.amdhsa_user_sgpr_private_segment_size 0
		.amdhsa_uses_dynamic_stack 0
		.amdhsa_enable_private_segment 0
		.amdhsa_system_sgpr_workgroup_id_x 1
		.amdhsa_system_sgpr_workgroup_id_y 0
		.amdhsa_system_sgpr_workgroup_id_z 0
		.amdhsa_system_sgpr_workgroup_info 0
		.amdhsa_system_vgpr_workitem_id 0
		.amdhsa_next_free_vgpr 1
		.amdhsa_next_free_sgpr 0
		.amdhsa_accum_offset 4
		.amdhsa_reserve_vcc 0
		.amdhsa_float_round_mode_32 0
		.amdhsa_float_round_mode_16_64 0
		.amdhsa_float_denorm_mode_32 3
		.amdhsa_float_denorm_mode_16_64 3
		.amdhsa_dx10_clamp 1
		.amdhsa_ieee_mode 1
		.amdhsa_fp16_overflow 0
		.amdhsa_tg_split 0
		.amdhsa_exception_fp_ieee_invalid_op 0
		.amdhsa_exception_fp_denorm_src 0
		.amdhsa_exception_fp_ieee_div_zero 0
		.amdhsa_exception_fp_ieee_overflow 0
		.amdhsa_exception_fp_ieee_underflow 0
		.amdhsa_exception_fp_ieee_inexact 0
		.amdhsa_exception_int_div_zero 0
	.end_amdhsa_kernel
	.section	.text._ZN7rocprim17ROCPRIM_400000_NS6detail17trampoline_kernelINS0_14default_configENS1_35radix_sort_onesweep_config_selectorIiiEEZZNS1_29radix_sort_onesweep_iterationIS3_Lb0EN6thrust23THRUST_200600_302600_NS6detail15normal_iteratorINS8_10device_ptrIiEEEESD_SD_SD_jNS0_19identity_decomposerENS1_16block_id_wrapperIjLb0EEEEE10hipError_tT1_PNSt15iterator_traitsISI_E10value_typeET2_T3_PNSJ_ISO_E10value_typeET4_T5_PST_SU_PNS1_23onesweep_lookback_stateEbbT6_jjT7_P12ihipStream_tbENKUlT_T0_SI_SN_E_clISD_SD_SD_SD_EEDaS11_S12_SI_SN_EUlS11_E_NS1_11comp_targetILNS1_3genE5ELNS1_11target_archE942ELNS1_3gpuE9ELNS1_3repE0EEENS1_47radix_sort_onesweep_sort_config_static_selectorELNS0_4arch9wavefront6targetE1EEEvSI_,"axG",@progbits,_ZN7rocprim17ROCPRIM_400000_NS6detail17trampoline_kernelINS0_14default_configENS1_35radix_sort_onesweep_config_selectorIiiEEZZNS1_29radix_sort_onesweep_iterationIS3_Lb0EN6thrust23THRUST_200600_302600_NS6detail15normal_iteratorINS8_10device_ptrIiEEEESD_SD_SD_jNS0_19identity_decomposerENS1_16block_id_wrapperIjLb0EEEEE10hipError_tT1_PNSt15iterator_traitsISI_E10value_typeET2_T3_PNSJ_ISO_E10value_typeET4_T5_PST_SU_PNS1_23onesweep_lookback_stateEbbT6_jjT7_P12ihipStream_tbENKUlT_T0_SI_SN_E_clISD_SD_SD_SD_EEDaS11_S12_SI_SN_EUlS11_E_NS1_11comp_targetILNS1_3genE5ELNS1_11target_archE942ELNS1_3gpuE9ELNS1_3repE0EEENS1_47radix_sort_onesweep_sort_config_static_selectorELNS0_4arch9wavefront6targetE1EEEvSI_,comdat
.Lfunc_end851:
	.size	_ZN7rocprim17ROCPRIM_400000_NS6detail17trampoline_kernelINS0_14default_configENS1_35radix_sort_onesweep_config_selectorIiiEEZZNS1_29radix_sort_onesweep_iterationIS3_Lb0EN6thrust23THRUST_200600_302600_NS6detail15normal_iteratorINS8_10device_ptrIiEEEESD_SD_SD_jNS0_19identity_decomposerENS1_16block_id_wrapperIjLb0EEEEE10hipError_tT1_PNSt15iterator_traitsISI_E10value_typeET2_T3_PNSJ_ISO_E10value_typeET4_T5_PST_SU_PNS1_23onesweep_lookback_stateEbbT6_jjT7_P12ihipStream_tbENKUlT_T0_SI_SN_E_clISD_SD_SD_SD_EEDaS11_S12_SI_SN_EUlS11_E_NS1_11comp_targetILNS1_3genE5ELNS1_11target_archE942ELNS1_3gpuE9ELNS1_3repE0EEENS1_47radix_sort_onesweep_sort_config_static_selectorELNS0_4arch9wavefront6targetE1EEEvSI_, .Lfunc_end851-_ZN7rocprim17ROCPRIM_400000_NS6detail17trampoline_kernelINS0_14default_configENS1_35radix_sort_onesweep_config_selectorIiiEEZZNS1_29radix_sort_onesweep_iterationIS3_Lb0EN6thrust23THRUST_200600_302600_NS6detail15normal_iteratorINS8_10device_ptrIiEEEESD_SD_SD_jNS0_19identity_decomposerENS1_16block_id_wrapperIjLb0EEEEE10hipError_tT1_PNSt15iterator_traitsISI_E10value_typeET2_T3_PNSJ_ISO_E10value_typeET4_T5_PST_SU_PNS1_23onesweep_lookback_stateEbbT6_jjT7_P12ihipStream_tbENKUlT_T0_SI_SN_E_clISD_SD_SD_SD_EEDaS11_S12_SI_SN_EUlS11_E_NS1_11comp_targetILNS1_3genE5ELNS1_11target_archE942ELNS1_3gpuE9ELNS1_3repE0EEENS1_47radix_sort_onesweep_sort_config_static_selectorELNS0_4arch9wavefront6targetE1EEEvSI_
                                        ; -- End function
	.set _ZN7rocprim17ROCPRIM_400000_NS6detail17trampoline_kernelINS0_14default_configENS1_35radix_sort_onesweep_config_selectorIiiEEZZNS1_29radix_sort_onesweep_iterationIS3_Lb0EN6thrust23THRUST_200600_302600_NS6detail15normal_iteratorINS8_10device_ptrIiEEEESD_SD_SD_jNS0_19identity_decomposerENS1_16block_id_wrapperIjLb0EEEEE10hipError_tT1_PNSt15iterator_traitsISI_E10value_typeET2_T3_PNSJ_ISO_E10value_typeET4_T5_PST_SU_PNS1_23onesweep_lookback_stateEbbT6_jjT7_P12ihipStream_tbENKUlT_T0_SI_SN_E_clISD_SD_SD_SD_EEDaS11_S12_SI_SN_EUlS11_E_NS1_11comp_targetILNS1_3genE5ELNS1_11target_archE942ELNS1_3gpuE9ELNS1_3repE0EEENS1_47radix_sort_onesweep_sort_config_static_selectorELNS0_4arch9wavefront6targetE1EEEvSI_.num_vgpr, 0
	.set _ZN7rocprim17ROCPRIM_400000_NS6detail17trampoline_kernelINS0_14default_configENS1_35radix_sort_onesweep_config_selectorIiiEEZZNS1_29radix_sort_onesweep_iterationIS3_Lb0EN6thrust23THRUST_200600_302600_NS6detail15normal_iteratorINS8_10device_ptrIiEEEESD_SD_SD_jNS0_19identity_decomposerENS1_16block_id_wrapperIjLb0EEEEE10hipError_tT1_PNSt15iterator_traitsISI_E10value_typeET2_T3_PNSJ_ISO_E10value_typeET4_T5_PST_SU_PNS1_23onesweep_lookback_stateEbbT6_jjT7_P12ihipStream_tbENKUlT_T0_SI_SN_E_clISD_SD_SD_SD_EEDaS11_S12_SI_SN_EUlS11_E_NS1_11comp_targetILNS1_3genE5ELNS1_11target_archE942ELNS1_3gpuE9ELNS1_3repE0EEENS1_47radix_sort_onesweep_sort_config_static_selectorELNS0_4arch9wavefront6targetE1EEEvSI_.num_agpr, 0
	.set _ZN7rocprim17ROCPRIM_400000_NS6detail17trampoline_kernelINS0_14default_configENS1_35radix_sort_onesweep_config_selectorIiiEEZZNS1_29radix_sort_onesweep_iterationIS3_Lb0EN6thrust23THRUST_200600_302600_NS6detail15normal_iteratorINS8_10device_ptrIiEEEESD_SD_SD_jNS0_19identity_decomposerENS1_16block_id_wrapperIjLb0EEEEE10hipError_tT1_PNSt15iterator_traitsISI_E10value_typeET2_T3_PNSJ_ISO_E10value_typeET4_T5_PST_SU_PNS1_23onesweep_lookback_stateEbbT6_jjT7_P12ihipStream_tbENKUlT_T0_SI_SN_E_clISD_SD_SD_SD_EEDaS11_S12_SI_SN_EUlS11_E_NS1_11comp_targetILNS1_3genE5ELNS1_11target_archE942ELNS1_3gpuE9ELNS1_3repE0EEENS1_47radix_sort_onesweep_sort_config_static_selectorELNS0_4arch9wavefront6targetE1EEEvSI_.numbered_sgpr, 0
	.set _ZN7rocprim17ROCPRIM_400000_NS6detail17trampoline_kernelINS0_14default_configENS1_35radix_sort_onesweep_config_selectorIiiEEZZNS1_29radix_sort_onesweep_iterationIS3_Lb0EN6thrust23THRUST_200600_302600_NS6detail15normal_iteratorINS8_10device_ptrIiEEEESD_SD_SD_jNS0_19identity_decomposerENS1_16block_id_wrapperIjLb0EEEEE10hipError_tT1_PNSt15iterator_traitsISI_E10value_typeET2_T3_PNSJ_ISO_E10value_typeET4_T5_PST_SU_PNS1_23onesweep_lookback_stateEbbT6_jjT7_P12ihipStream_tbENKUlT_T0_SI_SN_E_clISD_SD_SD_SD_EEDaS11_S12_SI_SN_EUlS11_E_NS1_11comp_targetILNS1_3genE5ELNS1_11target_archE942ELNS1_3gpuE9ELNS1_3repE0EEENS1_47radix_sort_onesweep_sort_config_static_selectorELNS0_4arch9wavefront6targetE1EEEvSI_.num_named_barrier, 0
	.set _ZN7rocprim17ROCPRIM_400000_NS6detail17trampoline_kernelINS0_14default_configENS1_35radix_sort_onesweep_config_selectorIiiEEZZNS1_29radix_sort_onesweep_iterationIS3_Lb0EN6thrust23THRUST_200600_302600_NS6detail15normal_iteratorINS8_10device_ptrIiEEEESD_SD_SD_jNS0_19identity_decomposerENS1_16block_id_wrapperIjLb0EEEEE10hipError_tT1_PNSt15iterator_traitsISI_E10value_typeET2_T3_PNSJ_ISO_E10value_typeET4_T5_PST_SU_PNS1_23onesweep_lookback_stateEbbT6_jjT7_P12ihipStream_tbENKUlT_T0_SI_SN_E_clISD_SD_SD_SD_EEDaS11_S12_SI_SN_EUlS11_E_NS1_11comp_targetILNS1_3genE5ELNS1_11target_archE942ELNS1_3gpuE9ELNS1_3repE0EEENS1_47radix_sort_onesweep_sort_config_static_selectorELNS0_4arch9wavefront6targetE1EEEvSI_.private_seg_size, 0
	.set _ZN7rocprim17ROCPRIM_400000_NS6detail17trampoline_kernelINS0_14default_configENS1_35radix_sort_onesweep_config_selectorIiiEEZZNS1_29radix_sort_onesweep_iterationIS3_Lb0EN6thrust23THRUST_200600_302600_NS6detail15normal_iteratorINS8_10device_ptrIiEEEESD_SD_SD_jNS0_19identity_decomposerENS1_16block_id_wrapperIjLb0EEEEE10hipError_tT1_PNSt15iterator_traitsISI_E10value_typeET2_T3_PNSJ_ISO_E10value_typeET4_T5_PST_SU_PNS1_23onesweep_lookback_stateEbbT6_jjT7_P12ihipStream_tbENKUlT_T0_SI_SN_E_clISD_SD_SD_SD_EEDaS11_S12_SI_SN_EUlS11_E_NS1_11comp_targetILNS1_3genE5ELNS1_11target_archE942ELNS1_3gpuE9ELNS1_3repE0EEENS1_47radix_sort_onesweep_sort_config_static_selectorELNS0_4arch9wavefront6targetE1EEEvSI_.uses_vcc, 0
	.set _ZN7rocprim17ROCPRIM_400000_NS6detail17trampoline_kernelINS0_14default_configENS1_35radix_sort_onesweep_config_selectorIiiEEZZNS1_29radix_sort_onesweep_iterationIS3_Lb0EN6thrust23THRUST_200600_302600_NS6detail15normal_iteratorINS8_10device_ptrIiEEEESD_SD_SD_jNS0_19identity_decomposerENS1_16block_id_wrapperIjLb0EEEEE10hipError_tT1_PNSt15iterator_traitsISI_E10value_typeET2_T3_PNSJ_ISO_E10value_typeET4_T5_PST_SU_PNS1_23onesweep_lookback_stateEbbT6_jjT7_P12ihipStream_tbENKUlT_T0_SI_SN_E_clISD_SD_SD_SD_EEDaS11_S12_SI_SN_EUlS11_E_NS1_11comp_targetILNS1_3genE5ELNS1_11target_archE942ELNS1_3gpuE9ELNS1_3repE0EEENS1_47radix_sort_onesweep_sort_config_static_selectorELNS0_4arch9wavefront6targetE1EEEvSI_.uses_flat_scratch, 0
	.set _ZN7rocprim17ROCPRIM_400000_NS6detail17trampoline_kernelINS0_14default_configENS1_35radix_sort_onesweep_config_selectorIiiEEZZNS1_29radix_sort_onesweep_iterationIS3_Lb0EN6thrust23THRUST_200600_302600_NS6detail15normal_iteratorINS8_10device_ptrIiEEEESD_SD_SD_jNS0_19identity_decomposerENS1_16block_id_wrapperIjLb0EEEEE10hipError_tT1_PNSt15iterator_traitsISI_E10value_typeET2_T3_PNSJ_ISO_E10value_typeET4_T5_PST_SU_PNS1_23onesweep_lookback_stateEbbT6_jjT7_P12ihipStream_tbENKUlT_T0_SI_SN_E_clISD_SD_SD_SD_EEDaS11_S12_SI_SN_EUlS11_E_NS1_11comp_targetILNS1_3genE5ELNS1_11target_archE942ELNS1_3gpuE9ELNS1_3repE0EEENS1_47radix_sort_onesweep_sort_config_static_selectorELNS0_4arch9wavefront6targetE1EEEvSI_.has_dyn_sized_stack, 0
	.set _ZN7rocprim17ROCPRIM_400000_NS6detail17trampoline_kernelINS0_14default_configENS1_35radix_sort_onesweep_config_selectorIiiEEZZNS1_29radix_sort_onesweep_iterationIS3_Lb0EN6thrust23THRUST_200600_302600_NS6detail15normal_iteratorINS8_10device_ptrIiEEEESD_SD_SD_jNS0_19identity_decomposerENS1_16block_id_wrapperIjLb0EEEEE10hipError_tT1_PNSt15iterator_traitsISI_E10value_typeET2_T3_PNSJ_ISO_E10value_typeET4_T5_PST_SU_PNS1_23onesweep_lookback_stateEbbT6_jjT7_P12ihipStream_tbENKUlT_T0_SI_SN_E_clISD_SD_SD_SD_EEDaS11_S12_SI_SN_EUlS11_E_NS1_11comp_targetILNS1_3genE5ELNS1_11target_archE942ELNS1_3gpuE9ELNS1_3repE0EEENS1_47radix_sort_onesweep_sort_config_static_selectorELNS0_4arch9wavefront6targetE1EEEvSI_.has_recursion, 0
	.set _ZN7rocprim17ROCPRIM_400000_NS6detail17trampoline_kernelINS0_14default_configENS1_35radix_sort_onesweep_config_selectorIiiEEZZNS1_29radix_sort_onesweep_iterationIS3_Lb0EN6thrust23THRUST_200600_302600_NS6detail15normal_iteratorINS8_10device_ptrIiEEEESD_SD_SD_jNS0_19identity_decomposerENS1_16block_id_wrapperIjLb0EEEEE10hipError_tT1_PNSt15iterator_traitsISI_E10value_typeET2_T3_PNSJ_ISO_E10value_typeET4_T5_PST_SU_PNS1_23onesweep_lookback_stateEbbT6_jjT7_P12ihipStream_tbENKUlT_T0_SI_SN_E_clISD_SD_SD_SD_EEDaS11_S12_SI_SN_EUlS11_E_NS1_11comp_targetILNS1_3genE5ELNS1_11target_archE942ELNS1_3gpuE9ELNS1_3repE0EEENS1_47radix_sort_onesweep_sort_config_static_selectorELNS0_4arch9wavefront6targetE1EEEvSI_.has_indirect_call, 0
	.section	.AMDGPU.csdata,"",@progbits
; Kernel info:
; codeLenInByte = 0
; TotalNumSgprs: 6
; NumVgprs: 0
; NumAgprs: 0
; TotalNumVgprs: 0
; ScratchSize: 0
; MemoryBound: 0
; FloatMode: 240
; IeeeMode: 1
; LDSByteSize: 0 bytes/workgroup (compile time only)
; SGPRBlocks: 0
; VGPRBlocks: 0
; NumSGPRsForWavesPerEU: 6
; NumVGPRsForWavesPerEU: 1
; AccumOffset: 4
; Occupancy: 8
; WaveLimiterHint : 0
; COMPUTE_PGM_RSRC2:SCRATCH_EN: 0
; COMPUTE_PGM_RSRC2:USER_SGPR: 2
; COMPUTE_PGM_RSRC2:TRAP_HANDLER: 0
; COMPUTE_PGM_RSRC2:TGID_X_EN: 1
; COMPUTE_PGM_RSRC2:TGID_Y_EN: 0
; COMPUTE_PGM_RSRC2:TGID_Z_EN: 0
; COMPUTE_PGM_RSRC2:TIDIG_COMP_CNT: 0
; COMPUTE_PGM_RSRC3_GFX90A:ACCUM_OFFSET: 0
; COMPUTE_PGM_RSRC3_GFX90A:TG_SPLIT: 0
	.section	.text._ZN7rocprim17ROCPRIM_400000_NS6detail17trampoline_kernelINS0_14default_configENS1_35radix_sort_onesweep_config_selectorIiiEEZZNS1_29radix_sort_onesweep_iterationIS3_Lb0EN6thrust23THRUST_200600_302600_NS6detail15normal_iteratorINS8_10device_ptrIiEEEESD_SD_SD_jNS0_19identity_decomposerENS1_16block_id_wrapperIjLb0EEEEE10hipError_tT1_PNSt15iterator_traitsISI_E10value_typeET2_T3_PNSJ_ISO_E10value_typeET4_T5_PST_SU_PNS1_23onesweep_lookback_stateEbbT6_jjT7_P12ihipStream_tbENKUlT_T0_SI_SN_E_clISD_SD_SD_SD_EEDaS11_S12_SI_SN_EUlS11_E_NS1_11comp_targetILNS1_3genE2ELNS1_11target_archE906ELNS1_3gpuE6ELNS1_3repE0EEENS1_47radix_sort_onesweep_sort_config_static_selectorELNS0_4arch9wavefront6targetE1EEEvSI_,"axG",@progbits,_ZN7rocprim17ROCPRIM_400000_NS6detail17trampoline_kernelINS0_14default_configENS1_35radix_sort_onesweep_config_selectorIiiEEZZNS1_29radix_sort_onesweep_iterationIS3_Lb0EN6thrust23THRUST_200600_302600_NS6detail15normal_iteratorINS8_10device_ptrIiEEEESD_SD_SD_jNS0_19identity_decomposerENS1_16block_id_wrapperIjLb0EEEEE10hipError_tT1_PNSt15iterator_traitsISI_E10value_typeET2_T3_PNSJ_ISO_E10value_typeET4_T5_PST_SU_PNS1_23onesweep_lookback_stateEbbT6_jjT7_P12ihipStream_tbENKUlT_T0_SI_SN_E_clISD_SD_SD_SD_EEDaS11_S12_SI_SN_EUlS11_E_NS1_11comp_targetILNS1_3genE2ELNS1_11target_archE906ELNS1_3gpuE6ELNS1_3repE0EEENS1_47radix_sort_onesweep_sort_config_static_selectorELNS0_4arch9wavefront6targetE1EEEvSI_,comdat
	.protected	_ZN7rocprim17ROCPRIM_400000_NS6detail17trampoline_kernelINS0_14default_configENS1_35radix_sort_onesweep_config_selectorIiiEEZZNS1_29radix_sort_onesweep_iterationIS3_Lb0EN6thrust23THRUST_200600_302600_NS6detail15normal_iteratorINS8_10device_ptrIiEEEESD_SD_SD_jNS0_19identity_decomposerENS1_16block_id_wrapperIjLb0EEEEE10hipError_tT1_PNSt15iterator_traitsISI_E10value_typeET2_T3_PNSJ_ISO_E10value_typeET4_T5_PST_SU_PNS1_23onesweep_lookback_stateEbbT6_jjT7_P12ihipStream_tbENKUlT_T0_SI_SN_E_clISD_SD_SD_SD_EEDaS11_S12_SI_SN_EUlS11_E_NS1_11comp_targetILNS1_3genE2ELNS1_11target_archE906ELNS1_3gpuE6ELNS1_3repE0EEENS1_47radix_sort_onesweep_sort_config_static_selectorELNS0_4arch9wavefront6targetE1EEEvSI_ ; -- Begin function _ZN7rocprim17ROCPRIM_400000_NS6detail17trampoline_kernelINS0_14default_configENS1_35radix_sort_onesweep_config_selectorIiiEEZZNS1_29radix_sort_onesweep_iterationIS3_Lb0EN6thrust23THRUST_200600_302600_NS6detail15normal_iteratorINS8_10device_ptrIiEEEESD_SD_SD_jNS0_19identity_decomposerENS1_16block_id_wrapperIjLb0EEEEE10hipError_tT1_PNSt15iterator_traitsISI_E10value_typeET2_T3_PNSJ_ISO_E10value_typeET4_T5_PST_SU_PNS1_23onesweep_lookback_stateEbbT6_jjT7_P12ihipStream_tbENKUlT_T0_SI_SN_E_clISD_SD_SD_SD_EEDaS11_S12_SI_SN_EUlS11_E_NS1_11comp_targetILNS1_3genE2ELNS1_11target_archE906ELNS1_3gpuE6ELNS1_3repE0EEENS1_47radix_sort_onesweep_sort_config_static_selectorELNS0_4arch9wavefront6targetE1EEEvSI_
	.globl	_ZN7rocprim17ROCPRIM_400000_NS6detail17trampoline_kernelINS0_14default_configENS1_35radix_sort_onesweep_config_selectorIiiEEZZNS1_29radix_sort_onesweep_iterationIS3_Lb0EN6thrust23THRUST_200600_302600_NS6detail15normal_iteratorINS8_10device_ptrIiEEEESD_SD_SD_jNS0_19identity_decomposerENS1_16block_id_wrapperIjLb0EEEEE10hipError_tT1_PNSt15iterator_traitsISI_E10value_typeET2_T3_PNSJ_ISO_E10value_typeET4_T5_PST_SU_PNS1_23onesweep_lookback_stateEbbT6_jjT7_P12ihipStream_tbENKUlT_T0_SI_SN_E_clISD_SD_SD_SD_EEDaS11_S12_SI_SN_EUlS11_E_NS1_11comp_targetILNS1_3genE2ELNS1_11target_archE906ELNS1_3gpuE6ELNS1_3repE0EEENS1_47radix_sort_onesweep_sort_config_static_selectorELNS0_4arch9wavefront6targetE1EEEvSI_
	.p2align	8
	.type	_ZN7rocprim17ROCPRIM_400000_NS6detail17trampoline_kernelINS0_14default_configENS1_35radix_sort_onesweep_config_selectorIiiEEZZNS1_29radix_sort_onesweep_iterationIS3_Lb0EN6thrust23THRUST_200600_302600_NS6detail15normal_iteratorINS8_10device_ptrIiEEEESD_SD_SD_jNS0_19identity_decomposerENS1_16block_id_wrapperIjLb0EEEEE10hipError_tT1_PNSt15iterator_traitsISI_E10value_typeET2_T3_PNSJ_ISO_E10value_typeET4_T5_PST_SU_PNS1_23onesweep_lookback_stateEbbT6_jjT7_P12ihipStream_tbENKUlT_T0_SI_SN_E_clISD_SD_SD_SD_EEDaS11_S12_SI_SN_EUlS11_E_NS1_11comp_targetILNS1_3genE2ELNS1_11target_archE906ELNS1_3gpuE6ELNS1_3repE0EEENS1_47radix_sort_onesweep_sort_config_static_selectorELNS0_4arch9wavefront6targetE1EEEvSI_,@function
_ZN7rocprim17ROCPRIM_400000_NS6detail17trampoline_kernelINS0_14default_configENS1_35radix_sort_onesweep_config_selectorIiiEEZZNS1_29radix_sort_onesweep_iterationIS3_Lb0EN6thrust23THRUST_200600_302600_NS6detail15normal_iteratorINS8_10device_ptrIiEEEESD_SD_SD_jNS0_19identity_decomposerENS1_16block_id_wrapperIjLb0EEEEE10hipError_tT1_PNSt15iterator_traitsISI_E10value_typeET2_T3_PNSJ_ISO_E10value_typeET4_T5_PST_SU_PNS1_23onesweep_lookback_stateEbbT6_jjT7_P12ihipStream_tbENKUlT_T0_SI_SN_E_clISD_SD_SD_SD_EEDaS11_S12_SI_SN_EUlS11_E_NS1_11comp_targetILNS1_3genE2ELNS1_11target_archE906ELNS1_3gpuE6ELNS1_3repE0EEENS1_47radix_sort_onesweep_sort_config_static_selectorELNS0_4arch9wavefront6targetE1EEEvSI_: ; @_ZN7rocprim17ROCPRIM_400000_NS6detail17trampoline_kernelINS0_14default_configENS1_35radix_sort_onesweep_config_selectorIiiEEZZNS1_29radix_sort_onesweep_iterationIS3_Lb0EN6thrust23THRUST_200600_302600_NS6detail15normal_iteratorINS8_10device_ptrIiEEEESD_SD_SD_jNS0_19identity_decomposerENS1_16block_id_wrapperIjLb0EEEEE10hipError_tT1_PNSt15iterator_traitsISI_E10value_typeET2_T3_PNSJ_ISO_E10value_typeET4_T5_PST_SU_PNS1_23onesweep_lookback_stateEbbT6_jjT7_P12ihipStream_tbENKUlT_T0_SI_SN_E_clISD_SD_SD_SD_EEDaS11_S12_SI_SN_EUlS11_E_NS1_11comp_targetILNS1_3genE2ELNS1_11target_archE906ELNS1_3gpuE6ELNS1_3repE0EEENS1_47radix_sort_onesweep_sort_config_static_selectorELNS0_4arch9wavefront6targetE1EEEvSI_
; %bb.0:
	.section	.rodata,"a",@progbits
	.p2align	6, 0x0
	.amdhsa_kernel _ZN7rocprim17ROCPRIM_400000_NS6detail17trampoline_kernelINS0_14default_configENS1_35radix_sort_onesweep_config_selectorIiiEEZZNS1_29radix_sort_onesweep_iterationIS3_Lb0EN6thrust23THRUST_200600_302600_NS6detail15normal_iteratorINS8_10device_ptrIiEEEESD_SD_SD_jNS0_19identity_decomposerENS1_16block_id_wrapperIjLb0EEEEE10hipError_tT1_PNSt15iterator_traitsISI_E10value_typeET2_T3_PNSJ_ISO_E10value_typeET4_T5_PST_SU_PNS1_23onesweep_lookback_stateEbbT6_jjT7_P12ihipStream_tbENKUlT_T0_SI_SN_E_clISD_SD_SD_SD_EEDaS11_S12_SI_SN_EUlS11_E_NS1_11comp_targetILNS1_3genE2ELNS1_11target_archE906ELNS1_3gpuE6ELNS1_3repE0EEENS1_47radix_sort_onesweep_sort_config_static_selectorELNS0_4arch9wavefront6targetE1EEEvSI_
		.amdhsa_group_segment_fixed_size 0
		.amdhsa_private_segment_fixed_size 0
		.amdhsa_kernarg_size 88
		.amdhsa_user_sgpr_count 2
		.amdhsa_user_sgpr_dispatch_ptr 0
		.amdhsa_user_sgpr_queue_ptr 0
		.amdhsa_user_sgpr_kernarg_segment_ptr 1
		.amdhsa_user_sgpr_dispatch_id 0
		.amdhsa_user_sgpr_kernarg_preload_length 0
		.amdhsa_user_sgpr_kernarg_preload_offset 0
		.amdhsa_user_sgpr_private_segment_size 0
		.amdhsa_uses_dynamic_stack 0
		.amdhsa_enable_private_segment 0
		.amdhsa_system_sgpr_workgroup_id_x 1
		.amdhsa_system_sgpr_workgroup_id_y 0
		.amdhsa_system_sgpr_workgroup_id_z 0
		.amdhsa_system_sgpr_workgroup_info 0
		.amdhsa_system_vgpr_workitem_id 0
		.amdhsa_next_free_vgpr 1
		.amdhsa_next_free_sgpr 0
		.amdhsa_accum_offset 4
		.amdhsa_reserve_vcc 0
		.amdhsa_float_round_mode_32 0
		.amdhsa_float_round_mode_16_64 0
		.amdhsa_float_denorm_mode_32 3
		.amdhsa_float_denorm_mode_16_64 3
		.amdhsa_dx10_clamp 1
		.amdhsa_ieee_mode 1
		.amdhsa_fp16_overflow 0
		.amdhsa_tg_split 0
		.amdhsa_exception_fp_ieee_invalid_op 0
		.amdhsa_exception_fp_denorm_src 0
		.amdhsa_exception_fp_ieee_div_zero 0
		.amdhsa_exception_fp_ieee_overflow 0
		.amdhsa_exception_fp_ieee_underflow 0
		.amdhsa_exception_fp_ieee_inexact 0
		.amdhsa_exception_int_div_zero 0
	.end_amdhsa_kernel
	.section	.text._ZN7rocprim17ROCPRIM_400000_NS6detail17trampoline_kernelINS0_14default_configENS1_35radix_sort_onesweep_config_selectorIiiEEZZNS1_29radix_sort_onesweep_iterationIS3_Lb0EN6thrust23THRUST_200600_302600_NS6detail15normal_iteratorINS8_10device_ptrIiEEEESD_SD_SD_jNS0_19identity_decomposerENS1_16block_id_wrapperIjLb0EEEEE10hipError_tT1_PNSt15iterator_traitsISI_E10value_typeET2_T3_PNSJ_ISO_E10value_typeET4_T5_PST_SU_PNS1_23onesweep_lookback_stateEbbT6_jjT7_P12ihipStream_tbENKUlT_T0_SI_SN_E_clISD_SD_SD_SD_EEDaS11_S12_SI_SN_EUlS11_E_NS1_11comp_targetILNS1_3genE2ELNS1_11target_archE906ELNS1_3gpuE6ELNS1_3repE0EEENS1_47radix_sort_onesweep_sort_config_static_selectorELNS0_4arch9wavefront6targetE1EEEvSI_,"axG",@progbits,_ZN7rocprim17ROCPRIM_400000_NS6detail17trampoline_kernelINS0_14default_configENS1_35radix_sort_onesweep_config_selectorIiiEEZZNS1_29radix_sort_onesweep_iterationIS3_Lb0EN6thrust23THRUST_200600_302600_NS6detail15normal_iteratorINS8_10device_ptrIiEEEESD_SD_SD_jNS0_19identity_decomposerENS1_16block_id_wrapperIjLb0EEEEE10hipError_tT1_PNSt15iterator_traitsISI_E10value_typeET2_T3_PNSJ_ISO_E10value_typeET4_T5_PST_SU_PNS1_23onesweep_lookback_stateEbbT6_jjT7_P12ihipStream_tbENKUlT_T0_SI_SN_E_clISD_SD_SD_SD_EEDaS11_S12_SI_SN_EUlS11_E_NS1_11comp_targetILNS1_3genE2ELNS1_11target_archE906ELNS1_3gpuE6ELNS1_3repE0EEENS1_47radix_sort_onesweep_sort_config_static_selectorELNS0_4arch9wavefront6targetE1EEEvSI_,comdat
.Lfunc_end852:
	.size	_ZN7rocprim17ROCPRIM_400000_NS6detail17trampoline_kernelINS0_14default_configENS1_35radix_sort_onesweep_config_selectorIiiEEZZNS1_29radix_sort_onesweep_iterationIS3_Lb0EN6thrust23THRUST_200600_302600_NS6detail15normal_iteratorINS8_10device_ptrIiEEEESD_SD_SD_jNS0_19identity_decomposerENS1_16block_id_wrapperIjLb0EEEEE10hipError_tT1_PNSt15iterator_traitsISI_E10value_typeET2_T3_PNSJ_ISO_E10value_typeET4_T5_PST_SU_PNS1_23onesweep_lookback_stateEbbT6_jjT7_P12ihipStream_tbENKUlT_T0_SI_SN_E_clISD_SD_SD_SD_EEDaS11_S12_SI_SN_EUlS11_E_NS1_11comp_targetILNS1_3genE2ELNS1_11target_archE906ELNS1_3gpuE6ELNS1_3repE0EEENS1_47radix_sort_onesweep_sort_config_static_selectorELNS0_4arch9wavefront6targetE1EEEvSI_, .Lfunc_end852-_ZN7rocprim17ROCPRIM_400000_NS6detail17trampoline_kernelINS0_14default_configENS1_35radix_sort_onesweep_config_selectorIiiEEZZNS1_29radix_sort_onesweep_iterationIS3_Lb0EN6thrust23THRUST_200600_302600_NS6detail15normal_iteratorINS8_10device_ptrIiEEEESD_SD_SD_jNS0_19identity_decomposerENS1_16block_id_wrapperIjLb0EEEEE10hipError_tT1_PNSt15iterator_traitsISI_E10value_typeET2_T3_PNSJ_ISO_E10value_typeET4_T5_PST_SU_PNS1_23onesweep_lookback_stateEbbT6_jjT7_P12ihipStream_tbENKUlT_T0_SI_SN_E_clISD_SD_SD_SD_EEDaS11_S12_SI_SN_EUlS11_E_NS1_11comp_targetILNS1_3genE2ELNS1_11target_archE906ELNS1_3gpuE6ELNS1_3repE0EEENS1_47radix_sort_onesweep_sort_config_static_selectorELNS0_4arch9wavefront6targetE1EEEvSI_
                                        ; -- End function
	.set _ZN7rocprim17ROCPRIM_400000_NS6detail17trampoline_kernelINS0_14default_configENS1_35radix_sort_onesweep_config_selectorIiiEEZZNS1_29radix_sort_onesweep_iterationIS3_Lb0EN6thrust23THRUST_200600_302600_NS6detail15normal_iteratorINS8_10device_ptrIiEEEESD_SD_SD_jNS0_19identity_decomposerENS1_16block_id_wrapperIjLb0EEEEE10hipError_tT1_PNSt15iterator_traitsISI_E10value_typeET2_T3_PNSJ_ISO_E10value_typeET4_T5_PST_SU_PNS1_23onesweep_lookback_stateEbbT6_jjT7_P12ihipStream_tbENKUlT_T0_SI_SN_E_clISD_SD_SD_SD_EEDaS11_S12_SI_SN_EUlS11_E_NS1_11comp_targetILNS1_3genE2ELNS1_11target_archE906ELNS1_3gpuE6ELNS1_3repE0EEENS1_47radix_sort_onesweep_sort_config_static_selectorELNS0_4arch9wavefront6targetE1EEEvSI_.num_vgpr, 0
	.set _ZN7rocprim17ROCPRIM_400000_NS6detail17trampoline_kernelINS0_14default_configENS1_35radix_sort_onesweep_config_selectorIiiEEZZNS1_29radix_sort_onesweep_iterationIS3_Lb0EN6thrust23THRUST_200600_302600_NS6detail15normal_iteratorINS8_10device_ptrIiEEEESD_SD_SD_jNS0_19identity_decomposerENS1_16block_id_wrapperIjLb0EEEEE10hipError_tT1_PNSt15iterator_traitsISI_E10value_typeET2_T3_PNSJ_ISO_E10value_typeET4_T5_PST_SU_PNS1_23onesweep_lookback_stateEbbT6_jjT7_P12ihipStream_tbENKUlT_T0_SI_SN_E_clISD_SD_SD_SD_EEDaS11_S12_SI_SN_EUlS11_E_NS1_11comp_targetILNS1_3genE2ELNS1_11target_archE906ELNS1_3gpuE6ELNS1_3repE0EEENS1_47radix_sort_onesweep_sort_config_static_selectorELNS0_4arch9wavefront6targetE1EEEvSI_.num_agpr, 0
	.set _ZN7rocprim17ROCPRIM_400000_NS6detail17trampoline_kernelINS0_14default_configENS1_35radix_sort_onesweep_config_selectorIiiEEZZNS1_29radix_sort_onesweep_iterationIS3_Lb0EN6thrust23THRUST_200600_302600_NS6detail15normal_iteratorINS8_10device_ptrIiEEEESD_SD_SD_jNS0_19identity_decomposerENS1_16block_id_wrapperIjLb0EEEEE10hipError_tT1_PNSt15iterator_traitsISI_E10value_typeET2_T3_PNSJ_ISO_E10value_typeET4_T5_PST_SU_PNS1_23onesweep_lookback_stateEbbT6_jjT7_P12ihipStream_tbENKUlT_T0_SI_SN_E_clISD_SD_SD_SD_EEDaS11_S12_SI_SN_EUlS11_E_NS1_11comp_targetILNS1_3genE2ELNS1_11target_archE906ELNS1_3gpuE6ELNS1_3repE0EEENS1_47radix_sort_onesweep_sort_config_static_selectorELNS0_4arch9wavefront6targetE1EEEvSI_.numbered_sgpr, 0
	.set _ZN7rocprim17ROCPRIM_400000_NS6detail17trampoline_kernelINS0_14default_configENS1_35radix_sort_onesweep_config_selectorIiiEEZZNS1_29radix_sort_onesweep_iterationIS3_Lb0EN6thrust23THRUST_200600_302600_NS6detail15normal_iteratorINS8_10device_ptrIiEEEESD_SD_SD_jNS0_19identity_decomposerENS1_16block_id_wrapperIjLb0EEEEE10hipError_tT1_PNSt15iterator_traitsISI_E10value_typeET2_T3_PNSJ_ISO_E10value_typeET4_T5_PST_SU_PNS1_23onesweep_lookback_stateEbbT6_jjT7_P12ihipStream_tbENKUlT_T0_SI_SN_E_clISD_SD_SD_SD_EEDaS11_S12_SI_SN_EUlS11_E_NS1_11comp_targetILNS1_3genE2ELNS1_11target_archE906ELNS1_3gpuE6ELNS1_3repE0EEENS1_47radix_sort_onesweep_sort_config_static_selectorELNS0_4arch9wavefront6targetE1EEEvSI_.num_named_barrier, 0
	.set _ZN7rocprim17ROCPRIM_400000_NS6detail17trampoline_kernelINS0_14default_configENS1_35radix_sort_onesweep_config_selectorIiiEEZZNS1_29radix_sort_onesweep_iterationIS3_Lb0EN6thrust23THRUST_200600_302600_NS6detail15normal_iteratorINS8_10device_ptrIiEEEESD_SD_SD_jNS0_19identity_decomposerENS1_16block_id_wrapperIjLb0EEEEE10hipError_tT1_PNSt15iterator_traitsISI_E10value_typeET2_T3_PNSJ_ISO_E10value_typeET4_T5_PST_SU_PNS1_23onesweep_lookback_stateEbbT6_jjT7_P12ihipStream_tbENKUlT_T0_SI_SN_E_clISD_SD_SD_SD_EEDaS11_S12_SI_SN_EUlS11_E_NS1_11comp_targetILNS1_3genE2ELNS1_11target_archE906ELNS1_3gpuE6ELNS1_3repE0EEENS1_47radix_sort_onesweep_sort_config_static_selectorELNS0_4arch9wavefront6targetE1EEEvSI_.private_seg_size, 0
	.set _ZN7rocprim17ROCPRIM_400000_NS6detail17trampoline_kernelINS0_14default_configENS1_35radix_sort_onesweep_config_selectorIiiEEZZNS1_29radix_sort_onesweep_iterationIS3_Lb0EN6thrust23THRUST_200600_302600_NS6detail15normal_iteratorINS8_10device_ptrIiEEEESD_SD_SD_jNS0_19identity_decomposerENS1_16block_id_wrapperIjLb0EEEEE10hipError_tT1_PNSt15iterator_traitsISI_E10value_typeET2_T3_PNSJ_ISO_E10value_typeET4_T5_PST_SU_PNS1_23onesweep_lookback_stateEbbT6_jjT7_P12ihipStream_tbENKUlT_T0_SI_SN_E_clISD_SD_SD_SD_EEDaS11_S12_SI_SN_EUlS11_E_NS1_11comp_targetILNS1_3genE2ELNS1_11target_archE906ELNS1_3gpuE6ELNS1_3repE0EEENS1_47radix_sort_onesweep_sort_config_static_selectorELNS0_4arch9wavefront6targetE1EEEvSI_.uses_vcc, 0
	.set _ZN7rocprim17ROCPRIM_400000_NS6detail17trampoline_kernelINS0_14default_configENS1_35radix_sort_onesweep_config_selectorIiiEEZZNS1_29radix_sort_onesweep_iterationIS3_Lb0EN6thrust23THRUST_200600_302600_NS6detail15normal_iteratorINS8_10device_ptrIiEEEESD_SD_SD_jNS0_19identity_decomposerENS1_16block_id_wrapperIjLb0EEEEE10hipError_tT1_PNSt15iterator_traitsISI_E10value_typeET2_T3_PNSJ_ISO_E10value_typeET4_T5_PST_SU_PNS1_23onesweep_lookback_stateEbbT6_jjT7_P12ihipStream_tbENKUlT_T0_SI_SN_E_clISD_SD_SD_SD_EEDaS11_S12_SI_SN_EUlS11_E_NS1_11comp_targetILNS1_3genE2ELNS1_11target_archE906ELNS1_3gpuE6ELNS1_3repE0EEENS1_47radix_sort_onesweep_sort_config_static_selectorELNS0_4arch9wavefront6targetE1EEEvSI_.uses_flat_scratch, 0
	.set _ZN7rocprim17ROCPRIM_400000_NS6detail17trampoline_kernelINS0_14default_configENS1_35radix_sort_onesweep_config_selectorIiiEEZZNS1_29radix_sort_onesweep_iterationIS3_Lb0EN6thrust23THRUST_200600_302600_NS6detail15normal_iteratorINS8_10device_ptrIiEEEESD_SD_SD_jNS0_19identity_decomposerENS1_16block_id_wrapperIjLb0EEEEE10hipError_tT1_PNSt15iterator_traitsISI_E10value_typeET2_T3_PNSJ_ISO_E10value_typeET4_T5_PST_SU_PNS1_23onesweep_lookback_stateEbbT6_jjT7_P12ihipStream_tbENKUlT_T0_SI_SN_E_clISD_SD_SD_SD_EEDaS11_S12_SI_SN_EUlS11_E_NS1_11comp_targetILNS1_3genE2ELNS1_11target_archE906ELNS1_3gpuE6ELNS1_3repE0EEENS1_47radix_sort_onesweep_sort_config_static_selectorELNS0_4arch9wavefront6targetE1EEEvSI_.has_dyn_sized_stack, 0
	.set _ZN7rocprim17ROCPRIM_400000_NS6detail17trampoline_kernelINS0_14default_configENS1_35radix_sort_onesweep_config_selectorIiiEEZZNS1_29radix_sort_onesweep_iterationIS3_Lb0EN6thrust23THRUST_200600_302600_NS6detail15normal_iteratorINS8_10device_ptrIiEEEESD_SD_SD_jNS0_19identity_decomposerENS1_16block_id_wrapperIjLb0EEEEE10hipError_tT1_PNSt15iterator_traitsISI_E10value_typeET2_T3_PNSJ_ISO_E10value_typeET4_T5_PST_SU_PNS1_23onesweep_lookback_stateEbbT6_jjT7_P12ihipStream_tbENKUlT_T0_SI_SN_E_clISD_SD_SD_SD_EEDaS11_S12_SI_SN_EUlS11_E_NS1_11comp_targetILNS1_3genE2ELNS1_11target_archE906ELNS1_3gpuE6ELNS1_3repE0EEENS1_47radix_sort_onesweep_sort_config_static_selectorELNS0_4arch9wavefront6targetE1EEEvSI_.has_recursion, 0
	.set _ZN7rocprim17ROCPRIM_400000_NS6detail17trampoline_kernelINS0_14default_configENS1_35radix_sort_onesweep_config_selectorIiiEEZZNS1_29radix_sort_onesweep_iterationIS3_Lb0EN6thrust23THRUST_200600_302600_NS6detail15normal_iteratorINS8_10device_ptrIiEEEESD_SD_SD_jNS0_19identity_decomposerENS1_16block_id_wrapperIjLb0EEEEE10hipError_tT1_PNSt15iterator_traitsISI_E10value_typeET2_T3_PNSJ_ISO_E10value_typeET4_T5_PST_SU_PNS1_23onesweep_lookback_stateEbbT6_jjT7_P12ihipStream_tbENKUlT_T0_SI_SN_E_clISD_SD_SD_SD_EEDaS11_S12_SI_SN_EUlS11_E_NS1_11comp_targetILNS1_3genE2ELNS1_11target_archE906ELNS1_3gpuE6ELNS1_3repE0EEENS1_47radix_sort_onesweep_sort_config_static_selectorELNS0_4arch9wavefront6targetE1EEEvSI_.has_indirect_call, 0
	.section	.AMDGPU.csdata,"",@progbits
; Kernel info:
; codeLenInByte = 0
; TotalNumSgprs: 6
; NumVgprs: 0
; NumAgprs: 0
; TotalNumVgprs: 0
; ScratchSize: 0
; MemoryBound: 0
; FloatMode: 240
; IeeeMode: 1
; LDSByteSize: 0 bytes/workgroup (compile time only)
; SGPRBlocks: 0
; VGPRBlocks: 0
; NumSGPRsForWavesPerEU: 6
; NumVGPRsForWavesPerEU: 1
; AccumOffset: 4
; Occupancy: 8
; WaveLimiterHint : 0
; COMPUTE_PGM_RSRC2:SCRATCH_EN: 0
; COMPUTE_PGM_RSRC2:USER_SGPR: 2
; COMPUTE_PGM_RSRC2:TRAP_HANDLER: 0
; COMPUTE_PGM_RSRC2:TGID_X_EN: 1
; COMPUTE_PGM_RSRC2:TGID_Y_EN: 0
; COMPUTE_PGM_RSRC2:TGID_Z_EN: 0
; COMPUTE_PGM_RSRC2:TIDIG_COMP_CNT: 0
; COMPUTE_PGM_RSRC3_GFX90A:ACCUM_OFFSET: 0
; COMPUTE_PGM_RSRC3_GFX90A:TG_SPLIT: 0
	.section	.text._ZN7rocprim17ROCPRIM_400000_NS6detail17trampoline_kernelINS0_14default_configENS1_35radix_sort_onesweep_config_selectorIiiEEZZNS1_29radix_sort_onesweep_iterationIS3_Lb0EN6thrust23THRUST_200600_302600_NS6detail15normal_iteratorINS8_10device_ptrIiEEEESD_SD_SD_jNS0_19identity_decomposerENS1_16block_id_wrapperIjLb0EEEEE10hipError_tT1_PNSt15iterator_traitsISI_E10value_typeET2_T3_PNSJ_ISO_E10value_typeET4_T5_PST_SU_PNS1_23onesweep_lookback_stateEbbT6_jjT7_P12ihipStream_tbENKUlT_T0_SI_SN_E_clISD_SD_SD_SD_EEDaS11_S12_SI_SN_EUlS11_E_NS1_11comp_targetILNS1_3genE4ELNS1_11target_archE910ELNS1_3gpuE8ELNS1_3repE0EEENS1_47radix_sort_onesweep_sort_config_static_selectorELNS0_4arch9wavefront6targetE1EEEvSI_,"axG",@progbits,_ZN7rocprim17ROCPRIM_400000_NS6detail17trampoline_kernelINS0_14default_configENS1_35radix_sort_onesweep_config_selectorIiiEEZZNS1_29radix_sort_onesweep_iterationIS3_Lb0EN6thrust23THRUST_200600_302600_NS6detail15normal_iteratorINS8_10device_ptrIiEEEESD_SD_SD_jNS0_19identity_decomposerENS1_16block_id_wrapperIjLb0EEEEE10hipError_tT1_PNSt15iterator_traitsISI_E10value_typeET2_T3_PNSJ_ISO_E10value_typeET4_T5_PST_SU_PNS1_23onesweep_lookback_stateEbbT6_jjT7_P12ihipStream_tbENKUlT_T0_SI_SN_E_clISD_SD_SD_SD_EEDaS11_S12_SI_SN_EUlS11_E_NS1_11comp_targetILNS1_3genE4ELNS1_11target_archE910ELNS1_3gpuE8ELNS1_3repE0EEENS1_47radix_sort_onesweep_sort_config_static_selectorELNS0_4arch9wavefront6targetE1EEEvSI_,comdat
	.protected	_ZN7rocprim17ROCPRIM_400000_NS6detail17trampoline_kernelINS0_14default_configENS1_35radix_sort_onesweep_config_selectorIiiEEZZNS1_29radix_sort_onesweep_iterationIS3_Lb0EN6thrust23THRUST_200600_302600_NS6detail15normal_iteratorINS8_10device_ptrIiEEEESD_SD_SD_jNS0_19identity_decomposerENS1_16block_id_wrapperIjLb0EEEEE10hipError_tT1_PNSt15iterator_traitsISI_E10value_typeET2_T3_PNSJ_ISO_E10value_typeET4_T5_PST_SU_PNS1_23onesweep_lookback_stateEbbT6_jjT7_P12ihipStream_tbENKUlT_T0_SI_SN_E_clISD_SD_SD_SD_EEDaS11_S12_SI_SN_EUlS11_E_NS1_11comp_targetILNS1_3genE4ELNS1_11target_archE910ELNS1_3gpuE8ELNS1_3repE0EEENS1_47radix_sort_onesweep_sort_config_static_selectorELNS0_4arch9wavefront6targetE1EEEvSI_ ; -- Begin function _ZN7rocprim17ROCPRIM_400000_NS6detail17trampoline_kernelINS0_14default_configENS1_35radix_sort_onesweep_config_selectorIiiEEZZNS1_29radix_sort_onesweep_iterationIS3_Lb0EN6thrust23THRUST_200600_302600_NS6detail15normal_iteratorINS8_10device_ptrIiEEEESD_SD_SD_jNS0_19identity_decomposerENS1_16block_id_wrapperIjLb0EEEEE10hipError_tT1_PNSt15iterator_traitsISI_E10value_typeET2_T3_PNSJ_ISO_E10value_typeET4_T5_PST_SU_PNS1_23onesweep_lookback_stateEbbT6_jjT7_P12ihipStream_tbENKUlT_T0_SI_SN_E_clISD_SD_SD_SD_EEDaS11_S12_SI_SN_EUlS11_E_NS1_11comp_targetILNS1_3genE4ELNS1_11target_archE910ELNS1_3gpuE8ELNS1_3repE0EEENS1_47radix_sort_onesweep_sort_config_static_selectorELNS0_4arch9wavefront6targetE1EEEvSI_
	.globl	_ZN7rocprim17ROCPRIM_400000_NS6detail17trampoline_kernelINS0_14default_configENS1_35radix_sort_onesweep_config_selectorIiiEEZZNS1_29radix_sort_onesweep_iterationIS3_Lb0EN6thrust23THRUST_200600_302600_NS6detail15normal_iteratorINS8_10device_ptrIiEEEESD_SD_SD_jNS0_19identity_decomposerENS1_16block_id_wrapperIjLb0EEEEE10hipError_tT1_PNSt15iterator_traitsISI_E10value_typeET2_T3_PNSJ_ISO_E10value_typeET4_T5_PST_SU_PNS1_23onesweep_lookback_stateEbbT6_jjT7_P12ihipStream_tbENKUlT_T0_SI_SN_E_clISD_SD_SD_SD_EEDaS11_S12_SI_SN_EUlS11_E_NS1_11comp_targetILNS1_3genE4ELNS1_11target_archE910ELNS1_3gpuE8ELNS1_3repE0EEENS1_47radix_sort_onesweep_sort_config_static_selectorELNS0_4arch9wavefront6targetE1EEEvSI_
	.p2align	8
	.type	_ZN7rocprim17ROCPRIM_400000_NS6detail17trampoline_kernelINS0_14default_configENS1_35radix_sort_onesweep_config_selectorIiiEEZZNS1_29radix_sort_onesweep_iterationIS3_Lb0EN6thrust23THRUST_200600_302600_NS6detail15normal_iteratorINS8_10device_ptrIiEEEESD_SD_SD_jNS0_19identity_decomposerENS1_16block_id_wrapperIjLb0EEEEE10hipError_tT1_PNSt15iterator_traitsISI_E10value_typeET2_T3_PNSJ_ISO_E10value_typeET4_T5_PST_SU_PNS1_23onesweep_lookback_stateEbbT6_jjT7_P12ihipStream_tbENKUlT_T0_SI_SN_E_clISD_SD_SD_SD_EEDaS11_S12_SI_SN_EUlS11_E_NS1_11comp_targetILNS1_3genE4ELNS1_11target_archE910ELNS1_3gpuE8ELNS1_3repE0EEENS1_47radix_sort_onesweep_sort_config_static_selectorELNS0_4arch9wavefront6targetE1EEEvSI_,@function
_ZN7rocprim17ROCPRIM_400000_NS6detail17trampoline_kernelINS0_14default_configENS1_35radix_sort_onesweep_config_selectorIiiEEZZNS1_29radix_sort_onesweep_iterationIS3_Lb0EN6thrust23THRUST_200600_302600_NS6detail15normal_iteratorINS8_10device_ptrIiEEEESD_SD_SD_jNS0_19identity_decomposerENS1_16block_id_wrapperIjLb0EEEEE10hipError_tT1_PNSt15iterator_traitsISI_E10value_typeET2_T3_PNSJ_ISO_E10value_typeET4_T5_PST_SU_PNS1_23onesweep_lookback_stateEbbT6_jjT7_P12ihipStream_tbENKUlT_T0_SI_SN_E_clISD_SD_SD_SD_EEDaS11_S12_SI_SN_EUlS11_E_NS1_11comp_targetILNS1_3genE4ELNS1_11target_archE910ELNS1_3gpuE8ELNS1_3repE0EEENS1_47radix_sort_onesweep_sort_config_static_selectorELNS0_4arch9wavefront6targetE1EEEvSI_: ; @_ZN7rocprim17ROCPRIM_400000_NS6detail17trampoline_kernelINS0_14default_configENS1_35radix_sort_onesweep_config_selectorIiiEEZZNS1_29radix_sort_onesweep_iterationIS3_Lb0EN6thrust23THRUST_200600_302600_NS6detail15normal_iteratorINS8_10device_ptrIiEEEESD_SD_SD_jNS0_19identity_decomposerENS1_16block_id_wrapperIjLb0EEEEE10hipError_tT1_PNSt15iterator_traitsISI_E10value_typeET2_T3_PNSJ_ISO_E10value_typeET4_T5_PST_SU_PNS1_23onesweep_lookback_stateEbbT6_jjT7_P12ihipStream_tbENKUlT_T0_SI_SN_E_clISD_SD_SD_SD_EEDaS11_S12_SI_SN_EUlS11_E_NS1_11comp_targetILNS1_3genE4ELNS1_11target_archE910ELNS1_3gpuE8ELNS1_3repE0EEENS1_47radix_sort_onesweep_sort_config_static_selectorELNS0_4arch9wavefront6targetE1EEEvSI_
; %bb.0:
	.section	.rodata,"a",@progbits
	.p2align	6, 0x0
	.amdhsa_kernel _ZN7rocprim17ROCPRIM_400000_NS6detail17trampoline_kernelINS0_14default_configENS1_35radix_sort_onesweep_config_selectorIiiEEZZNS1_29radix_sort_onesweep_iterationIS3_Lb0EN6thrust23THRUST_200600_302600_NS6detail15normal_iteratorINS8_10device_ptrIiEEEESD_SD_SD_jNS0_19identity_decomposerENS1_16block_id_wrapperIjLb0EEEEE10hipError_tT1_PNSt15iterator_traitsISI_E10value_typeET2_T3_PNSJ_ISO_E10value_typeET4_T5_PST_SU_PNS1_23onesweep_lookback_stateEbbT6_jjT7_P12ihipStream_tbENKUlT_T0_SI_SN_E_clISD_SD_SD_SD_EEDaS11_S12_SI_SN_EUlS11_E_NS1_11comp_targetILNS1_3genE4ELNS1_11target_archE910ELNS1_3gpuE8ELNS1_3repE0EEENS1_47radix_sort_onesweep_sort_config_static_selectorELNS0_4arch9wavefront6targetE1EEEvSI_
		.amdhsa_group_segment_fixed_size 0
		.amdhsa_private_segment_fixed_size 0
		.amdhsa_kernarg_size 88
		.amdhsa_user_sgpr_count 2
		.amdhsa_user_sgpr_dispatch_ptr 0
		.amdhsa_user_sgpr_queue_ptr 0
		.amdhsa_user_sgpr_kernarg_segment_ptr 1
		.amdhsa_user_sgpr_dispatch_id 0
		.amdhsa_user_sgpr_kernarg_preload_length 0
		.amdhsa_user_sgpr_kernarg_preload_offset 0
		.amdhsa_user_sgpr_private_segment_size 0
		.amdhsa_uses_dynamic_stack 0
		.amdhsa_enable_private_segment 0
		.amdhsa_system_sgpr_workgroup_id_x 1
		.amdhsa_system_sgpr_workgroup_id_y 0
		.amdhsa_system_sgpr_workgroup_id_z 0
		.amdhsa_system_sgpr_workgroup_info 0
		.amdhsa_system_vgpr_workitem_id 0
		.amdhsa_next_free_vgpr 1
		.amdhsa_next_free_sgpr 0
		.amdhsa_accum_offset 4
		.amdhsa_reserve_vcc 0
		.amdhsa_float_round_mode_32 0
		.amdhsa_float_round_mode_16_64 0
		.amdhsa_float_denorm_mode_32 3
		.amdhsa_float_denorm_mode_16_64 3
		.amdhsa_dx10_clamp 1
		.amdhsa_ieee_mode 1
		.amdhsa_fp16_overflow 0
		.amdhsa_tg_split 0
		.amdhsa_exception_fp_ieee_invalid_op 0
		.amdhsa_exception_fp_denorm_src 0
		.amdhsa_exception_fp_ieee_div_zero 0
		.amdhsa_exception_fp_ieee_overflow 0
		.amdhsa_exception_fp_ieee_underflow 0
		.amdhsa_exception_fp_ieee_inexact 0
		.amdhsa_exception_int_div_zero 0
	.end_amdhsa_kernel
	.section	.text._ZN7rocprim17ROCPRIM_400000_NS6detail17trampoline_kernelINS0_14default_configENS1_35radix_sort_onesweep_config_selectorIiiEEZZNS1_29radix_sort_onesweep_iterationIS3_Lb0EN6thrust23THRUST_200600_302600_NS6detail15normal_iteratorINS8_10device_ptrIiEEEESD_SD_SD_jNS0_19identity_decomposerENS1_16block_id_wrapperIjLb0EEEEE10hipError_tT1_PNSt15iterator_traitsISI_E10value_typeET2_T3_PNSJ_ISO_E10value_typeET4_T5_PST_SU_PNS1_23onesweep_lookback_stateEbbT6_jjT7_P12ihipStream_tbENKUlT_T0_SI_SN_E_clISD_SD_SD_SD_EEDaS11_S12_SI_SN_EUlS11_E_NS1_11comp_targetILNS1_3genE4ELNS1_11target_archE910ELNS1_3gpuE8ELNS1_3repE0EEENS1_47radix_sort_onesweep_sort_config_static_selectorELNS0_4arch9wavefront6targetE1EEEvSI_,"axG",@progbits,_ZN7rocprim17ROCPRIM_400000_NS6detail17trampoline_kernelINS0_14default_configENS1_35radix_sort_onesweep_config_selectorIiiEEZZNS1_29radix_sort_onesweep_iterationIS3_Lb0EN6thrust23THRUST_200600_302600_NS6detail15normal_iteratorINS8_10device_ptrIiEEEESD_SD_SD_jNS0_19identity_decomposerENS1_16block_id_wrapperIjLb0EEEEE10hipError_tT1_PNSt15iterator_traitsISI_E10value_typeET2_T3_PNSJ_ISO_E10value_typeET4_T5_PST_SU_PNS1_23onesweep_lookback_stateEbbT6_jjT7_P12ihipStream_tbENKUlT_T0_SI_SN_E_clISD_SD_SD_SD_EEDaS11_S12_SI_SN_EUlS11_E_NS1_11comp_targetILNS1_3genE4ELNS1_11target_archE910ELNS1_3gpuE8ELNS1_3repE0EEENS1_47radix_sort_onesweep_sort_config_static_selectorELNS0_4arch9wavefront6targetE1EEEvSI_,comdat
.Lfunc_end853:
	.size	_ZN7rocprim17ROCPRIM_400000_NS6detail17trampoline_kernelINS0_14default_configENS1_35radix_sort_onesweep_config_selectorIiiEEZZNS1_29radix_sort_onesweep_iterationIS3_Lb0EN6thrust23THRUST_200600_302600_NS6detail15normal_iteratorINS8_10device_ptrIiEEEESD_SD_SD_jNS0_19identity_decomposerENS1_16block_id_wrapperIjLb0EEEEE10hipError_tT1_PNSt15iterator_traitsISI_E10value_typeET2_T3_PNSJ_ISO_E10value_typeET4_T5_PST_SU_PNS1_23onesweep_lookback_stateEbbT6_jjT7_P12ihipStream_tbENKUlT_T0_SI_SN_E_clISD_SD_SD_SD_EEDaS11_S12_SI_SN_EUlS11_E_NS1_11comp_targetILNS1_3genE4ELNS1_11target_archE910ELNS1_3gpuE8ELNS1_3repE0EEENS1_47radix_sort_onesweep_sort_config_static_selectorELNS0_4arch9wavefront6targetE1EEEvSI_, .Lfunc_end853-_ZN7rocprim17ROCPRIM_400000_NS6detail17trampoline_kernelINS0_14default_configENS1_35radix_sort_onesweep_config_selectorIiiEEZZNS1_29radix_sort_onesweep_iterationIS3_Lb0EN6thrust23THRUST_200600_302600_NS6detail15normal_iteratorINS8_10device_ptrIiEEEESD_SD_SD_jNS0_19identity_decomposerENS1_16block_id_wrapperIjLb0EEEEE10hipError_tT1_PNSt15iterator_traitsISI_E10value_typeET2_T3_PNSJ_ISO_E10value_typeET4_T5_PST_SU_PNS1_23onesweep_lookback_stateEbbT6_jjT7_P12ihipStream_tbENKUlT_T0_SI_SN_E_clISD_SD_SD_SD_EEDaS11_S12_SI_SN_EUlS11_E_NS1_11comp_targetILNS1_3genE4ELNS1_11target_archE910ELNS1_3gpuE8ELNS1_3repE0EEENS1_47radix_sort_onesweep_sort_config_static_selectorELNS0_4arch9wavefront6targetE1EEEvSI_
                                        ; -- End function
	.set _ZN7rocprim17ROCPRIM_400000_NS6detail17trampoline_kernelINS0_14default_configENS1_35radix_sort_onesweep_config_selectorIiiEEZZNS1_29radix_sort_onesweep_iterationIS3_Lb0EN6thrust23THRUST_200600_302600_NS6detail15normal_iteratorINS8_10device_ptrIiEEEESD_SD_SD_jNS0_19identity_decomposerENS1_16block_id_wrapperIjLb0EEEEE10hipError_tT1_PNSt15iterator_traitsISI_E10value_typeET2_T3_PNSJ_ISO_E10value_typeET4_T5_PST_SU_PNS1_23onesweep_lookback_stateEbbT6_jjT7_P12ihipStream_tbENKUlT_T0_SI_SN_E_clISD_SD_SD_SD_EEDaS11_S12_SI_SN_EUlS11_E_NS1_11comp_targetILNS1_3genE4ELNS1_11target_archE910ELNS1_3gpuE8ELNS1_3repE0EEENS1_47radix_sort_onesweep_sort_config_static_selectorELNS0_4arch9wavefront6targetE1EEEvSI_.num_vgpr, 0
	.set _ZN7rocprim17ROCPRIM_400000_NS6detail17trampoline_kernelINS0_14default_configENS1_35radix_sort_onesweep_config_selectorIiiEEZZNS1_29radix_sort_onesweep_iterationIS3_Lb0EN6thrust23THRUST_200600_302600_NS6detail15normal_iteratorINS8_10device_ptrIiEEEESD_SD_SD_jNS0_19identity_decomposerENS1_16block_id_wrapperIjLb0EEEEE10hipError_tT1_PNSt15iterator_traitsISI_E10value_typeET2_T3_PNSJ_ISO_E10value_typeET4_T5_PST_SU_PNS1_23onesweep_lookback_stateEbbT6_jjT7_P12ihipStream_tbENKUlT_T0_SI_SN_E_clISD_SD_SD_SD_EEDaS11_S12_SI_SN_EUlS11_E_NS1_11comp_targetILNS1_3genE4ELNS1_11target_archE910ELNS1_3gpuE8ELNS1_3repE0EEENS1_47radix_sort_onesweep_sort_config_static_selectorELNS0_4arch9wavefront6targetE1EEEvSI_.num_agpr, 0
	.set _ZN7rocprim17ROCPRIM_400000_NS6detail17trampoline_kernelINS0_14default_configENS1_35radix_sort_onesweep_config_selectorIiiEEZZNS1_29radix_sort_onesweep_iterationIS3_Lb0EN6thrust23THRUST_200600_302600_NS6detail15normal_iteratorINS8_10device_ptrIiEEEESD_SD_SD_jNS0_19identity_decomposerENS1_16block_id_wrapperIjLb0EEEEE10hipError_tT1_PNSt15iterator_traitsISI_E10value_typeET2_T3_PNSJ_ISO_E10value_typeET4_T5_PST_SU_PNS1_23onesweep_lookback_stateEbbT6_jjT7_P12ihipStream_tbENKUlT_T0_SI_SN_E_clISD_SD_SD_SD_EEDaS11_S12_SI_SN_EUlS11_E_NS1_11comp_targetILNS1_3genE4ELNS1_11target_archE910ELNS1_3gpuE8ELNS1_3repE0EEENS1_47radix_sort_onesweep_sort_config_static_selectorELNS0_4arch9wavefront6targetE1EEEvSI_.numbered_sgpr, 0
	.set _ZN7rocprim17ROCPRIM_400000_NS6detail17trampoline_kernelINS0_14default_configENS1_35radix_sort_onesweep_config_selectorIiiEEZZNS1_29radix_sort_onesweep_iterationIS3_Lb0EN6thrust23THRUST_200600_302600_NS6detail15normal_iteratorINS8_10device_ptrIiEEEESD_SD_SD_jNS0_19identity_decomposerENS1_16block_id_wrapperIjLb0EEEEE10hipError_tT1_PNSt15iterator_traitsISI_E10value_typeET2_T3_PNSJ_ISO_E10value_typeET4_T5_PST_SU_PNS1_23onesweep_lookback_stateEbbT6_jjT7_P12ihipStream_tbENKUlT_T0_SI_SN_E_clISD_SD_SD_SD_EEDaS11_S12_SI_SN_EUlS11_E_NS1_11comp_targetILNS1_3genE4ELNS1_11target_archE910ELNS1_3gpuE8ELNS1_3repE0EEENS1_47radix_sort_onesweep_sort_config_static_selectorELNS0_4arch9wavefront6targetE1EEEvSI_.num_named_barrier, 0
	.set _ZN7rocprim17ROCPRIM_400000_NS6detail17trampoline_kernelINS0_14default_configENS1_35radix_sort_onesweep_config_selectorIiiEEZZNS1_29radix_sort_onesweep_iterationIS3_Lb0EN6thrust23THRUST_200600_302600_NS6detail15normal_iteratorINS8_10device_ptrIiEEEESD_SD_SD_jNS0_19identity_decomposerENS1_16block_id_wrapperIjLb0EEEEE10hipError_tT1_PNSt15iterator_traitsISI_E10value_typeET2_T3_PNSJ_ISO_E10value_typeET4_T5_PST_SU_PNS1_23onesweep_lookback_stateEbbT6_jjT7_P12ihipStream_tbENKUlT_T0_SI_SN_E_clISD_SD_SD_SD_EEDaS11_S12_SI_SN_EUlS11_E_NS1_11comp_targetILNS1_3genE4ELNS1_11target_archE910ELNS1_3gpuE8ELNS1_3repE0EEENS1_47radix_sort_onesweep_sort_config_static_selectorELNS0_4arch9wavefront6targetE1EEEvSI_.private_seg_size, 0
	.set _ZN7rocprim17ROCPRIM_400000_NS6detail17trampoline_kernelINS0_14default_configENS1_35radix_sort_onesweep_config_selectorIiiEEZZNS1_29radix_sort_onesweep_iterationIS3_Lb0EN6thrust23THRUST_200600_302600_NS6detail15normal_iteratorINS8_10device_ptrIiEEEESD_SD_SD_jNS0_19identity_decomposerENS1_16block_id_wrapperIjLb0EEEEE10hipError_tT1_PNSt15iterator_traitsISI_E10value_typeET2_T3_PNSJ_ISO_E10value_typeET4_T5_PST_SU_PNS1_23onesweep_lookback_stateEbbT6_jjT7_P12ihipStream_tbENKUlT_T0_SI_SN_E_clISD_SD_SD_SD_EEDaS11_S12_SI_SN_EUlS11_E_NS1_11comp_targetILNS1_3genE4ELNS1_11target_archE910ELNS1_3gpuE8ELNS1_3repE0EEENS1_47radix_sort_onesweep_sort_config_static_selectorELNS0_4arch9wavefront6targetE1EEEvSI_.uses_vcc, 0
	.set _ZN7rocprim17ROCPRIM_400000_NS6detail17trampoline_kernelINS0_14default_configENS1_35radix_sort_onesweep_config_selectorIiiEEZZNS1_29radix_sort_onesweep_iterationIS3_Lb0EN6thrust23THRUST_200600_302600_NS6detail15normal_iteratorINS8_10device_ptrIiEEEESD_SD_SD_jNS0_19identity_decomposerENS1_16block_id_wrapperIjLb0EEEEE10hipError_tT1_PNSt15iterator_traitsISI_E10value_typeET2_T3_PNSJ_ISO_E10value_typeET4_T5_PST_SU_PNS1_23onesweep_lookback_stateEbbT6_jjT7_P12ihipStream_tbENKUlT_T0_SI_SN_E_clISD_SD_SD_SD_EEDaS11_S12_SI_SN_EUlS11_E_NS1_11comp_targetILNS1_3genE4ELNS1_11target_archE910ELNS1_3gpuE8ELNS1_3repE0EEENS1_47radix_sort_onesweep_sort_config_static_selectorELNS0_4arch9wavefront6targetE1EEEvSI_.uses_flat_scratch, 0
	.set _ZN7rocprim17ROCPRIM_400000_NS6detail17trampoline_kernelINS0_14default_configENS1_35radix_sort_onesweep_config_selectorIiiEEZZNS1_29radix_sort_onesweep_iterationIS3_Lb0EN6thrust23THRUST_200600_302600_NS6detail15normal_iteratorINS8_10device_ptrIiEEEESD_SD_SD_jNS0_19identity_decomposerENS1_16block_id_wrapperIjLb0EEEEE10hipError_tT1_PNSt15iterator_traitsISI_E10value_typeET2_T3_PNSJ_ISO_E10value_typeET4_T5_PST_SU_PNS1_23onesweep_lookback_stateEbbT6_jjT7_P12ihipStream_tbENKUlT_T0_SI_SN_E_clISD_SD_SD_SD_EEDaS11_S12_SI_SN_EUlS11_E_NS1_11comp_targetILNS1_3genE4ELNS1_11target_archE910ELNS1_3gpuE8ELNS1_3repE0EEENS1_47radix_sort_onesweep_sort_config_static_selectorELNS0_4arch9wavefront6targetE1EEEvSI_.has_dyn_sized_stack, 0
	.set _ZN7rocprim17ROCPRIM_400000_NS6detail17trampoline_kernelINS0_14default_configENS1_35radix_sort_onesweep_config_selectorIiiEEZZNS1_29radix_sort_onesweep_iterationIS3_Lb0EN6thrust23THRUST_200600_302600_NS6detail15normal_iteratorINS8_10device_ptrIiEEEESD_SD_SD_jNS0_19identity_decomposerENS1_16block_id_wrapperIjLb0EEEEE10hipError_tT1_PNSt15iterator_traitsISI_E10value_typeET2_T3_PNSJ_ISO_E10value_typeET4_T5_PST_SU_PNS1_23onesweep_lookback_stateEbbT6_jjT7_P12ihipStream_tbENKUlT_T0_SI_SN_E_clISD_SD_SD_SD_EEDaS11_S12_SI_SN_EUlS11_E_NS1_11comp_targetILNS1_3genE4ELNS1_11target_archE910ELNS1_3gpuE8ELNS1_3repE0EEENS1_47radix_sort_onesweep_sort_config_static_selectorELNS0_4arch9wavefront6targetE1EEEvSI_.has_recursion, 0
	.set _ZN7rocprim17ROCPRIM_400000_NS6detail17trampoline_kernelINS0_14default_configENS1_35radix_sort_onesweep_config_selectorIiiEEZZNS1_29radix_sort_onesweep_iterationIS3_Lb0EN6thrust23THRUST_200600_302600_NS6detail15normal_iteratorINS8_10device_ptrIiEEEESD_SD_SD_jNS0_19identity_decomposerENS1_16block_id_wrapperIjLb0EEEEE10hipError_tT1_PNSt15iterator_traitsISI_E10value_typeET2_T3_PNSJ_ISO_E10value_typeET4_T5_PST_SU_PNS1_23onesweep_lookback_stateEbbT6_jjT7_P12ihipStream_tbENKUlT_T0_SI_SN_E_clISD_SD_SD_SD_EEDaS11_S12_SI_SN_EUlS11_E_NS1_11comp_targetILNS1_3genE4ELNS1_11target_archE910ELNS1_3gpuE8ELNS1_3repE0EEENS1_47radix_sort_onesweep_sort_config_static_selectorELNS0_4arch9wavefront6targetE1EEEvSI_.has_indirect_call, 0
	.section	.AMDGPU.csdata,"",@progbits
; Kernel info:
; codeLenInByte = 0
; TotalNumSgprs: 6
; NumVgprs: 0
; NumAgprs: 0
; TotalNumVgprs: 0
; ScratchSize: 0
; MemoryBound: 0
; FloatMode: 240
; IeeeMode: 1
; LDSByteSize: 0 bytes/workgroup (compile time only)
; SGPRBlocks: 0
; VGPRBlocks: 0
; NumSGPRsForWavesPerEU: 6
; NumVGPRsForWavesPerEU: 1
; AccumOffset: 4
; Occupancy: 8
; WaveLimiterHint : 0
; COMPUTE_PGM_RSRC2:SCRATCH_EN: 0
; COMPUTE_PGM_RSRC2:USER_SGPR: 2
; COMPUTE_PGM_RSRC2:TRAP_HANDLER: 0
; COMPUTE_PGM_RSRC2:TGID_X_EN: 1
; COMPUTE_PGM_RSRC2:TGID_Y_EN: 0
; COMPUTE_PGM_RSRC2:TGID_Z_EN: 0
; COMPUTE_PGM_RSRC2:TIDIG_COMP_CNT: 0
; COMPUTE_PGM_RSRC3_GFX90A:ACCUM_OFFSET: 0
; COMPUTE_PGM_RSRC3_GFX90A:TG_SPLIT: 0
	.section	.text._ZN7rocprim17ROCPRIM_400000_NS6detail17trampoline_kernelINS0_14default_configENS1_35radix_sort_onesweep_config_selectorIiiEEZZNS1_29radix_sort_onesweep_iterationIS3_Lb0EN6thrust23THRUST_200600_302600_NS6detail15normal_iteratorINS8_10device_ptrIiEEEESD_SD_SD_jNS0_19identity_decomposerENS1_16block_id_wrapperIjLb0EEEEE10hipError_tT1_PNSt15iterator_traitsISI_E10value_typeET2_T3_PNSJ_ISO_E10value_typeET4_T5_PST_SU_PNS1_23onesweep_lookback_stateEbbT6_jjT7_P12ihipStream_tbENKUlT_T0_SI_SN_E_clISD_SD_SD_SD_EEDaS11_S12_SI_SN_EUlS11_E_NS1_11comp_targetILNS1_3genE3ELNS1_11target_archE908ELNS1_3gpuE7ELNS1_3repE0EEENS1_47radix_sort_onesweep_sort_config_static_selectorELNS0_4arch9wavefront6targetE1EEEvSI_,"axG",@progbits,_ZN7rocprim17ROCPRIM_400000_NS6detail17trampoline_kernelINS0_14default_configENS1_35radix_sort_onesweep_config_selectorIiiEEZZNS1_29radix_sort_onesweep_iterationIS3_Lb0EN6thrust23THRUST_200600_302600_NS6detail15normal_iteratorINS8_10device_ptrIiEEEESD_SD_SD_jNS0_19identity_decomposerENS1_16block_id_wrapperIjLb0EEEEE10hipError_tT1_PNSt15iterator_traitsISI_E10value_typeET2_T3_PNSJ_ISO_E10value_typeET4_T5_PST_SU_PNS1_23onesweep_lookback_stateEbbT6_jjT7_P12ihipStream_tbENKUlT_T0_SI_SN_E_clISD_SD_SD_SD_EEDaS11_S12_SI_SN_EUlS11_E_NS1_11comp_targetILNS1_3genE3ELNS1_11target_archE908ELNS1_3gpuE7ELNS1_3repE0EEENS1_47radix_sort_onesweep_sort_config_static_selectorELNS0_4arch9wavefront6targetE1EEEvSI_,comdat
	.protected	_ZN7rocprim17ROCPRIM_400000_NS6detail17trampoline_kernelINS0_14default_configENS1_35radix_sort_onesweep_config_selectorIiiEEZZNS1_29radix_sort_onesweep_iterationIS3_Lb0EN6thrust23THRUST_200600_302600_NS6detail15normal_iteratorINS8_10device_ptrIiEEEESD_SD_SD_jNS0_19identity_decomposerENS1_16block_id_wrapperIjLb0EEEEE10hipError_tT1_PNSt15iterator_traitsISI_E10value_typeET2_T3_PNSJ_ISO_E10value_typeET4_T5_PST_SU_PNS1_23onesweep_lookback_stateEbbT6_jjT7_P12ihipStream_tbENKUlT_T0_SI_SN_E_clISD_SD_SD_SD_EEDaS11_S12_SI_SN_EUlS11_E_NS1_11comp_targetILNS1_3genE3ELNS1_11target_archE908ELNS1_3gpuE7ELNS1_3repE0EEENS1_47radix_sort_onesweep_sort_config_static_selectorELNS0_4arch9wavefront6targetE1EEEvSI_ ; -- Begin function _ZN7rocprim17ROCPRIM_400000_NS6detail17trampoline_kernelINS0_14default_configENS1_35radix_sort_onesweep_config_selectorIiiEEZZNS1_29radix_sort_onesweep_iterationIS3_Lb0EN6thrust23THRUST_200600_302600_NS6detail15normal_iteratorINS8_10device_ptrIiEEEESD_SD_SD_jNS0_19identity_decomposerENS1_16block_id_wrapperIjLb0EEEEE10hipError_tT1_PNSt15iterator_traitsISI_E10value_typeET2_T3_PNSJ_ISO_E10value_typeET4_T5_PST_SU_PNS1_23onesweep_lookback_stateEbbT6_jjT7_P12ihipStream_tbENKUlT_T0_SI_SN_E_clISD_SD_SD_SD_EEDaS11_S12_SI_SN_EUlS11_E_NS1_11comp_targetILNS1_3genE3ELNS1_11target_archE908ELNS1_3gpuE7ELNS1_3repE0EEENS1_47radix_sort_onesweep_sort_config_static_selectorELNS0_4arch9wavefront6targetE1EEEvSI_
	.globl	_ZN7rocprim17ROCPRIM_400000_NS6detail17trampoline_kernelINS0_14default_configENS1_35radix_sort_onesweep_config_selectorIiiEEZZNS1_29radix_sort_onesweep_iterationIS3_Lb0EN6thrust23THRUST_200600_302600_NS6detail15normal_iteratorINS8_10device_ptrIiEEEESD_SD_SD_jNS0_19identity_decomposerENS1_16block_id_wrapperIjLb0EEEEE10hipError_tT1_PNSt15iterator_traitsISI_E10value_typeET2_T3_PNSJ_ISO_E10value_typeET4_T5_PST_SU_PNS1_23onesweep_lookback_stateEbbT6_jjT7_P12ihipStream_tbENKUlT_T0_SI_SN_E_clISD_SD_SD_SD_EEDaS11_S12_SI_SN_EUlS11_E_NS1_11comp_targetILNS1_3genE3ELNS1_11target_archE908ELNS1_3gpuE7ELNS1_3repE0EEENS1_47radix_sort_onesweep_sort_config_static_selectorELNS0_4arch9wavefront6targetE1EEEvSI_
	.p2align	8
	.type	_ZN7rocprim17ROCPRIM_400000_NS6detail17trampoline_kernelINS0_14default_configENS1_35radix_sort_onesweep_config_selectorIiiEEZZNS1_29radix_sort_onesweep_iterationIS3_Lb0EN6thrust23THRUST_200600_302600_NS6detail15normal_iteratorINS8_10device_ptrIiEEEESD_SD_SD_jNS0_19identity_decomposerENS1_16block_id_wrapperIjLb0EEEEE10hipError_tT1_PNSt15iterator_traitsISI_E10value_typeET2_T3_PNSJ_ISO_E10value_typeET4_T5_PST_SU_PNS1_23onesweep_lookback_stateEbbT6_jjT7_P12ihipStream_tbENKUlT_T0_SI_SN_E_clISD_SD_SD_SD_EEDaS11_S12_SI_SN_EUlS11_E_NS1_11comp_targetILNS1_3genE3ELNS1_11target_archE908ELNS1_3gpuE7ELNS1_3repE0EEENS1_47radix_sort_onesweep_sort_config_static_selectorELNS0_4arch9wavefront6targetE1EEEvSI_,@function
_ZN7rocprim17ROCPRIM_400000_NS6detail17trampoline_kernelINS0_14default_configENS1_35radix_sort_onesweep_config_selectorIiiEEZZNS1_29radix_sort_onesweep_iterationIS3_Lb0EN6thrust23THRUST_200600_302600_NS6detail15normal_iteratorINS8_10device_ptrIiEEEESD_SD_SD_jNS0_19identity_decomposerENS1_16block_id_wrapperIjLb0EEEEE10hipError_tT1_PNSt15iterator_traitsISI_E10value_typeET2_T3_PNSJ_ISO_E10value_typeET4_T5_PST_SU_PNS1_23onesweep_lookback_stateEbbT6_jjT7_P12ihipStream_tbENKUlT_T0_SI_SN_E_clISD_SD_SD_SD_EEDaS11_S12_SI_SN_EUlS11_E_NS1_11comp_targetILNS1_3genE3ELNS1_11target_archE908ELNS1_3gpuE7ELNS1_3repE0EEENS1_47radix_sort_onesweep_sort_config_static_selectorELNS0_4arch9wavefront6targetE1EEEvSI_: ; @_ZN7rocprim17ROCPRIM_400000_NS6detail17trampoline_kernelINS0_14default_configENS1_35radix_sort_onesweep_config_selectorIiiEEZZNS1_29radix_sort_onesweep_iterationIS3_Lb0EN6thrust23THRUST_200600_302600_NS6detail15normal_iteratorINS8_10device_ptrIiEEEESD_SD_SD_jNS0_19identity_decomposerENS1_16block_id_wrapperIjLb0EEEEE10hipError_tT1_PNSt15iterator_traitsISI_E10value_typeET2_T3_PNSJ_ISO_E10value_typeET4_T5_PST_SU_PNS1_23onesweep_lookback_stateEbbT6_jjT7_P12ihipStream_tbENKUlT_T0_SI_SN_E_clISD_SD_SD_SD_EEDaS11_S12_SI_SN_EUlS11_E_NS1_11comp_targetILNS1_3genE3ELNS1_11target_archE908ELNS1_3gpuE7ELNS1_3repE0EEENS1_47radix_sort_onesweep_sort_config_static_selectorELNS0_4arch9wavefront6targetE1EEEvSI_
; %bb.0:
	.section	.rodata,"a",@progbits
	.p2align	6, 0x0
	.amdhsa_kernel _ZN7rocprim17ROCPRIM_400000_NS6detail17trampoline_kernelINS0_14default_configENS1_35radix_sort_onesweep_config_selectorIiiEEZZNS1_29radix_sort_onesweep_iterationIS3_Lb0EN6thrust23THRUST_200600_302600_NS6detail15normal_iteratorINS8_10device_ptrIiEEEESD_SD_SD_jNS0_19identity_decomposerENS1_16block_id_wrapperIjLb0EEEEE10hipError_tT1_PNSt15iterator_traitsISI_E10value_typeET2_T3_PNSJ_ISO_E10value_typeET4_T5_PST_SU_PNS1_23onesweep_lookback_stateEbbT6_jjT7_P12ihipStream_tbENKUlT_T0_SI_SN_E_clISD_SD_SD_SD_EEDaS11_S12_SI_SN_EUlS11_E_NS1_11comp_targetILNS1_3genE3ELNS1_11target_archE908ELNS1_3gpuE7ELNS1_3repE0EEENS1_47radix_sort_onesweep_sort_config_static_selectorELNS0_4arch9wavefront6targetE1EEEvSI_
		.amdhsa_group_segment_fixed_size 0
		.amdhsa_private_segment_fixed_size 0
		.amdhsa_kernarg_size 88
		.amdhsa_user_sgpr_count 2
		.amdhsa_user_sgpr_dispatch_ptr 0
		.amdhsa_user_sgpr_queue_ptr 0
		.amdhsa_user_sgpr_kernarg_segment_ptr 1
		.amdhsa_user_sgpr_dispatch_id 0
		.amdhsa_user_sgpr_kernarg_preload_length 0
		.amdhsa_user_sgpr_kernarg_preload_offset 0
		.amdhsa_user_sgpr_private_segment_size 0
		.amdhsa_uses_dynamic_stack 0
		.amdhsa_enable_private_segment 0
		.amdhsa_system_sgpr_workgroup_id_x 1
		.amdhsa_system_sgpr_workgroup_id_y 0
		.amdhsa_system_sgpr_workgroup_id_z 0
		.amdhsa_system_sgpr_workgroup_info 0
		.amdhsa_system_vgpr_workitem_id 0
		.amdhsa_next_free_vgpr 1
		.amdhsa_next_free_sgpr 0
		.amdhsa_accum_offset 4
		.amdhsa_reserve_vcc 0
		.amdhsa_float_round_mode_32 0
		.amdhsa_float_round_mode_16_64 0
		.amdhsa_float_denorm_mode_32 3
		.amdhsa_float_denorm_mode_16_64 3
		.amdhsa_dx10_clamp 1
		.amdhsa_ieee_mode 1
		.amdhsa_fp16_overflow 0
		.amdhsa_tg_split 0
		.amdhsa_exception_fp_ieee_invalid_op 0
		.amdhsa_exception_fp_denorm_src 0
		.amdhsa_exception_fp_ieee_div_zero 0
		.amdhsa_exception_fp_ieee_overflow 0
		.amdhsa_exception_fp_ieee_underflow 0
		.amdhsa_exception_fp_ieee_inexact 0
		.amdhsa_exception_int_div_zero 0
	.end_amdhsa_kernel
	.section	.text._ZN7rocprim17ROCPRIM_400000_NS6detail17trampoline_kernelINS0_14default_configENS1_35radix_sort_onesweep_config_selectorIiiEEZZNS1_29radix_sort_onesweep_iterationIS3_Lb0EN6thrust23THRUST_200600_302600_NS6detail15normal_iteratorINS8_10device_ptrIiEEEESD_SD_SD_jNS0_19identity_decomposerENS1_16block_id_wrapperIjLb0EEEEE10hipError_tT1_PNSt15iterator_traitsISI_E10value_typeET2_T3_PNSJ_ISO_E10value_typeET4_T5_PST_SU_PNS1_23onesweep_lookback_stateEbbT6_jjT7_P12ihipStream_tbENKUlT_T0_SI_SN_E_clISD_SD_SD_SD_EEDaS11_S12_SI_SN_EUlS11_E_NS1_11comp_targetILNS1_3genE3ELNS1_11target_archE908ELNS1_3gpuE7ELNS1_3repE0EEENS1_47radix_sort_onesweep_sort_config_static_selectorELNS0_4arch9wavefront6targetE1EEEvSI_,"axG",@progbits,_ZN7rocprim17ROCPRIM_400000_NS6detail17trampoline_kernelINS0_14default_configENS1_35radix_sort_onesweep_config_selectorIiiEEZZNS1_29radix_sort_onesweep_iterationIS3_Lb0EN6thrust23THRUST_200600_302600_NS6detail15normal_iteratorINS8_10device_ptrIiEEEESD_SD_SD_jNS0_19identity_decomposerENS1_16block_id_wrapperIjLb0EEEEE10hipError_tT1_PNSt15iterator_traitsISI_E10value_typeET2_T3_PNSJ_ISO_E10value_typeET4_T5_PST_SU_PNS1_23onesweep_lookback_stateEbbT6_jjT7_P12ihipStream_tbENKUlT_T0_SI_SN_E_clISD_SD_SD_SD_EEDaS11_S12_SI_SN_EUlS11_E_NS1_11comp_targetILNS1_3genE3ELNS1_11target_archE908ELNS1_3gpuE7ELNS1_3repE0EEENS1_47radix_sort_onesweep_sort_config_static_selectorELNS0_4arch9wavefront6targetE1EEEvSI_,comdat
.Lfunc_end854:
	.size	_ZN7rocprim17ROCPRIM_400000_NS6detail17trampoline_kernelINS0_14default_configENS1_35radix_sort_onesweep_config_selectorIiiEEZZNS1_29radix_sort_onesweep_iterationIS3_Lb0EN6thrust23THRUST_200600_302600_NS6detail15normal_iteratorINS8_10device_ptrIiEEEESD_SD_SD_jNS0_19identity_decomposerENS1_16block_id_wrapperIjLb0EEEEE10hipError_tT1_PNSt15iterator_traitsISI_E10value_typeET2_T3_PNSJ_ISO_E10value_typeET4_T5_PST_SU_PNS1_23onesweep_lookback_stateEbbT6_jjT7_P12ihipStream_tbENKUlT_T0_SI_SN_E_clISD_SD_SD_SD_EEDaS11_S12_SI_SN_EUlS11_E_NS1_11comp_targetILNS1_3genE3ELNS1_11target_archE908ELNS1_3gpuE7ELNS1_3repE0EEENS1_47radix_sort_onesweep_sort_config_static_selectorELNS0_4arch9wavefront6targetE1EEEvSI_, .Lfunc_end854-_ZN7rocprim17ROCPRIM_400000_NS6detail17trampoline_kernelINS0_14default_configENS1_35radix_sort_onesweep_config_selectorIiiEEZZNS1_29radix_sort_onesweep_iterationIS3_Lb0EN6thrust23THRUST_200600_302600_NS6detail15normal_iteratorINS8_10device_ptrIiEEEESD_SD_SD_jNS0_19identity_decomposerENS1_16block_id_wrapperIjLb0EEEEE10hipError_tT1_PNSt15iterator_traitsISI_E10value_typeET2_T3_PNSJ_ISO_E10value_typeET4_T5_PST_SU_PNS1_23onesweep_lookback_stateEbbT6_jjT7_P12ihipStream_tbENKUlT_T0_SI_SN_E_clISD_SD_SD_SD_EEDaS11_S12_SI_SN_EUlS11_E_NS1_11comp_targetILNS1_3genE3ELNS1_11target_archE908ELNS1_3gpuE7ELNS1_3repE0EEENS1_47radix_sort_onesweep_sort_config_static_selectorELNS0_4arch9wavefront6targetE1EEEvSI_
                                        ; -- End function
	.set _ZN7rocprim17ROCPRIM_400000_NS6detail17trampoline_kernelINS0_14default_configENS1_35radix_sort_onesweep_config_selectorIiiEEZZNS1_29radix_sort_onesweep_iterationIS3_Lb0EN6thrust23THRUST_200600_302600_NS6detail15normal_iteratorINS8_10device_ptrIiEEEESD_SD_SD_jNS0_19identity_decomposerENS1_16block_id_wrapperIjLb0EEEEE10hipError_tT1_PNSt15iterator_traitsISI_E10value_typeET2_T3_PNSJ_ISO_E10value_typeET4_T5_PST_SU_PNS1_23onesweep_lookback_stateEbbT6_jjT7_P12ihipStream_tbENKUlT_T0_SI_SN_E_clISD_SD_SD_SD_EEDaS11_S12_SI_SN_EUlS11_E_NS1_11comp_targetILNS1_3genE3ELNS1_11target_archE908ELNS1_3gpuE7ELNS1_3repE0EEENS1_47radix_sort_onesweep_sort_config_static_selectorELNS0_4arch9wavefront6targetE1EEEvSI_.num_vgpr, 0
	.set _ZN7rocprim17ROCPRIM_400000_NS6detail17trampoline_kernelINS0_14default_configENS1_35radix_sort_onesweep_config_selectorIiiEEZZNS1_29radix_sort_onesweep_iterationIS3_Lb0EN6thrust23THRUST_200600_302600_NS6detail15normal_iteratorINS8_10device_ptrIiEEEESD_SD_SD_jNS0_19identity_decomposerENS1_16block_id_wrapperIjLb0EEEEE10hipError_tT1_PNSt15iterator_traitsISI_E10value_typeET2_T3_PNSJ_ISO_E10value_typeET4_T5_PST_SU_PNS1_23onesweep_lookback_stateEbbT6_jjT7_P12ihipStream_tbENKUlT_T0_SI_SN_E_clISD_SD_SD_SD_EEDaS11_S12_SI_SN_EUlS11_E_NS1_11comp_targetILNS1_3genE3ELNS1_11target_archE908ELNS1_3gpuE7ELNS1_3repE0EEENS1_47radix_sort_onesweep_sort_config_static_selectorELNS0_4arch9wavefront6targetE1EEEvSI_.num_agpr, 0
	.set _ZN7rocprim17ROCPRIM_400000_NS6detail17trampoline_kernelINS0_14default_configENS1_35radix_sort_onesweep_config_selectorIiiEEZZNS1_29radix_sort_onesweep_iterationIS3_Lb0EN6thrust23THRUST_200600_302600_NS6detail15normal_iteratorINS8_10device_ptrIiEEEESD_SD_SD_jNS0_19identity_decomposerENS1_16block_id_wrapperIjLb0EEEEE10hipError_tT1_PNSt15iterator_traitsISI_E10value_typeET2_T3_PNSJ_ISO_E10value_typeET4_T5_PST_SU_PNS1_23onesweep_lookback_stateEbbT6_jjT7_P12ihipStream_tbENKUlT_T0_SI_SN_E_clISD_SD_SD_SD_EEDaS11_S12_SI_SN_EUlS11_E_NS1_11comp_targetILNS1_3genE3ELNS1_11target_archE908ELNS1_3gpuE7ELNS1_3repE0EEENS1_47radix_sort_onesweep_sort_config_static_selectorELNS0_4arch9wavefront6targetE1EEEvSI_.numbered_sgpr, 0
	.set _ZN7rocprim17ROCPRIM_400000_NS6detail17trampoline_kernelINS0_14default_configENS1_35radix_sort_onesweep_config_selectorIiiEEZZNS1_29radix_sort_onesweep_iterationIS3_Lb0EN6thrust23THRUST_200600_302600_NS6detail15normal_iteratorINS8_10device_ptrIiEEEESD_SD_SD_jNS0_19identity_decomposerENS1_16block_id_wrapperIjLb0EEEEE10hipError_tT1_PNSt15iterator_traitsISI_E10value_typeET2_T3_PNSJ_ISO_E10value_typeET4_T5_PST_SU_PNS1_23onesweep_lookback_stateEbbT6_jjT7_P12ihipStream_tbENKUlT_T0_SI_SN_E_clISD_SD_SD_SD_EEDaS11_S12_SI_SN_EUlS11_E_NS1_11comp_targetILNS1_3genE3ELNS1_11target_archE908ELNS1_3gpuE7ELNS1_3repE0EEENS1_47radix_sort_onesweep_sort_config_static_selectorELNS0_4arch9wavefront6targetE1EEEvSI_.num_named_barrier, 0
	.set _ZN7rocprim17ROCPRIM_400000_NS6detail17trampoline_kernelINS0_14default_configENS1_35radix_sort_onesweep_config_selectorIiiEEZZNS1_29radix_sort_onesweep_iterationIS3_Lb0EN6thrust23THRUST_200600_302600_NS6detail15normal_iteratorINS8_10device_ptrIiEEEESD_SD_SD_jNS0_19identity_decomposerENS1_16block_id_wrapperIjLb0EEEEE10hipError_tT1_PNSt15iterator_traitsISI_E10value_typeET2_T3_PNSJ_ISO_E10value_typeET4_T5_PST_SU_PNS1_23onesweep_lookback_stateEbbT6_jjT7_P12ihipStream_tbENKUlT_T0_SI_SN_E_clISD_SD_SD_SD_EEDaS11_S12_SI_SN_EUlS11_E_NS1_11comp_targetILNS1_3genE3ELNS1_11target_archE908ELNS1_3gpuE7ELNS1_3repE0EEENS1_47radix_sort_onesweep_sort_config_static_selectorELNS0_4arch9wavefront6targetE1EEEvSI_.private_seg_size, 0
	.set _ZN7rocprim17ROCPRIM_400000_NS6detail17trampoline_kernelINS0_14default_configENS1_35radix_sort_onesweep_config_selectorIiiEEZZNS1_29radix_sort_onesweep_iterationIS3_Lb0EN6thrust23THRUST_200600_302600_NS6detail15normal_iteratorINS8_10device_ptrIiEEEESD_SD_SD_jNS0_19identity_decomposerENS1_16block_id_wrapperIjLb0EEEEE10hipError_tT1_PNSt15iterator_traitsISI_E10value_typeET2_T3_PNSJ_ISO_E10value_typeET4_T5_PST_SU_PNS1_23onesweep_lookback_stateEbbT6_jjT7_P12ihipStream_tbENKUlT_T0_SI_SN_E_clISD_SD_SD_SD_EEDaS11_S12_SI_SN_EUlS11_E_NS1_11comp_targetILNS1_3genE3ELNS1_11target_archE908ELNS1_3gpuE7ELNS1_3repE0EEENS1_47radix_sort_onesweep_sort_config_static_selectorELNS0_4arch9wavefront6targetE1EEEvSI_.uses_vcc, 0
	.set _ZN7rocprim17ROCPRIM_400000_NS6detail17trampoline_kernelINS0_14default_configENS1_35radix_sort_onesweep_config_selectorIiiEEZZNS1_29radix_sort_onesweep_iterationIS3_Lb0EN6thrust23THRUST_200600_302600_NS6detail15normal_iteratorINS8_10device_ptrIiEEEESD_SD_SD_jNS0_19identity_decomposerENS1_16block_id_wrapperIjLb0EEEEE10hipError_tT1_PNSt15iterator_traitsISI_E10value_typeET2_T3_PNSJ_ISO_E10value_typeET4_T5_PST_SU_PNS1_23onesweep_lookback_stateEbbT6_jjT7_P12ihipStream_tbENKUlT_T0_SI_SN_E_clISD_SD_SD_SD_EEDaS11_S12_SI_SN_EUlS11_E_NS1_11comp_targetILNS1_3genE3ELNS1_11target_archE908ELNS1_3gpuE7ELNS1_3repE0EEENS1_47radix_sort_onesweep_sort_config_static_selectorELNS0_4arch9wavefront6targetE1EEEvSI_.uses_flat_scratch, 0
	.set _ZN7rocprim17ROCPRIM_400000_NS6detail17trampoline_kernelINS0_14default_configENS1_35radix_sort_onesweep_config_selectorIiiEEZZNS1_29radix_sort_onesweep_iterationIS3_Lb0EN6thrust23THRUST_200600_302600_NS6detail15normal_iteratorINS8_10device_ptrIiEEEESD_SD_SD_jNS0_19identity_decomposerENS1_16block_id_wrapperIjLb0EEEEE10hipError_tT1_PNSt15iterator_traitsISI_E10value_typeET2_T3_PNSJ_ISO_E10value_typeET4_T5_PST_SU_PNS1_23onesweep_lookback_stateEbbT6_jjT7_P12ihipStream_tbENKUlT_T0_SI_SN_E_clISD_SD_SD_SD_EEDaS11_S12_SI_SN_EUlS11_E_NS1_11comp_targetILNS1_3genE3ELNS1_11target_archE908ELNS1_3gpuE7ELNS1_3repE0EEENS1_47radix_sort_onesweep_sort_config_static_selectorELNS0_4arch9wavefront6targetE1EEEvSI_.has_dyn_sized_stack, 0
	.set _ZN7rocprim17ROCPRIM_400000_NS6detail17trampoline_kernelINS0_14default_configENS1_35radix_sort_onesweep_config_selectorIiiEEZZNS1_29radix_sort_onesweep_iterationIS3_Lb0EN6thrust23THRUST_200600_302600_NS6detail15normal_iteratorINS8_10device_ptrIiEEEESD_SD_SD_jNS0_19identity_decomposerENS1_16block_id_wrapperIjLb0EEEEE10hipError_tT1_PNSt15iterator_traitsISI_E10value_typeET2_T3_PNSJ_ISO_E10value_typeET4_T5_PST_SU_PNS1_23onesweep_lookback_stateEbbT6_jjT7_P12ihipStream_tbENKUlT_T0_SI_SN_E_clISD_SD_SD_SD_EEDaS11_S12_SI_SN_EUlS11_E_NS1_11comp_targetILNS1_3genE3ELNS1_11target_archE908ELNS1_3gpuE7ELNS1_3repE0EEENS1_47radix_sort_onesweep_sort_config_static_selectorELNS0_4arch9wavefront6targetE1EEEvSI_.has_recursion, 0
	.set _ZN7rocprim17ROCPRIM_400000_NS6detail17trampoline_kernelINS0_14default_configENS1_35radix_sort_onesweep_config_selectorIiiEEZZNS1_29radix_sort_onesweep_iterationIS3_Lb0EN6thrust23THRUST_200600_302600_NS6detail15normal_iteratorINS8_10device_ptrIiEEEESD_SD_SD_jNS0_19identity_decomposerENS1_16block_id_wrapperIjLb0EEEEE10hipError_tT1_PNSt15iterator_traitsISI_E10value_typeET2_T3_PNSJ_ISO_E10value_typeET4_T5_PST_SU_PNS1_23onesweep_lookback_stateEbbT6_jjT7_P12ihipStream_tbENKUlT_T0_SI_SN_E_clISD_SD_SD_SD_EEDaS11_S12_SI_SN_EUlS11_E_NS1_11comp_targetILNS1_3genE3ELNS1_11target_archE908ELNS1_3gpuE7ELNS1_3repE0EEENS1_47radix_sort_onesweep_sort_config_static_selectorELNS0_4arch9wavefront6targetE1EEEvSI_.has_indirect_call, 0
	.section	.AMDGPU.csdata,"",@progbits
; Kernel info:
; codeLenInByte = 0
; TotalNumSgprs: 6
; NumVgprs: 0
; NumAgprs: 0
; TotalNumVgprs: 0
; ScratchSize: 0
; MemoryBound: 0
; FloatMode: 240
; IeeeMode: 1
; LDSByteSize: 0 bytes/workgroup (compile time only)
; SGPRBlocks: 0
; VGPRBlocks: 0
; NumSGPRsForWavesPerEU: 6
; NumVGPRsForWavesPerEU: 1
; AccumOffset: 4
; Occupancy: 8
; WaveLimiterHint : 0
; COMPUTE_PGM_RSRC2:SCRATCH_EN: 0
; COMPUTE_PGM_RSRC2:USER_SGPR: 2
; COMPUTE_PGM_RSRC2:TRAP_HANDLER: 0
; COMPUTE_PGM_RSRC2:TGID_X_EN: 1
; COMPUTE_PGM_RSRC2:TGID_Y_EN: 0
; COMPUTE_PGM_RSRC2:TGID_Z_EN: 0
; COMPUTE_PGM_RSRC2:TIDIG_COMP_CNT: 0
; COMPUTE_PGM_RSRC3_GFX90A:ACCUM_OFFSET: 0
; COMPUTE_PGM_RSRC3_GFX90A:TG_SPLIT: 0
	.section	.text._ZN7rocprim17ROCPRIM_400000_NS6detail17trampoline_kernelINS0_14default_configENS1_35radix_sort_onesweep_config_selectorIiiEEZZNS1_29radix_sort_onesweep_iterationIS3_Lb0EN6thrust23THRUST_200600_302600_NS6detail15normal_iteratorINS8_10device_ptrIiEEEESD_SD_SD_jNS0_19identity_decomposerENS1_16block_id_wrapperIjLb0EEEEE10hipError_tT1_PNSt15iterator_traitsISI_E10value_typeET2_T3_PNSJ_ISO_E10value_typeET4_T5_PST_SU_PNS1_23onesweep_lookback_stateEbbT6_jjT7_P12ihipStream_tbENKUlT_T0_SI_SN_E_clISD_SD_SD_SD_EEDaS11_S12_SI_SN_EUlS11_E_NS1_11comp_targetILNS1_3genE10ELNS1_11target_archE1201ELNS1_3gpuE5ELNS1_3repE0EEENS1_47radix_sort_onesweep_sort_config_static_selectorELNS0_4arch9wavefront6targetE1EEEvSI_,"axG",@progbits,_ZN7rocprim17ROCPRIM_400000_NS6detail17trampoline_kernelINS0_14default_configENS1_35radix_sort_onesweep_config_selectorIiiEEZZNS1_29radix_sort_onesweep_iterationIS3_Lb0EN6thrust23THRUST_200600_302600_NS6detail15normal_iteratorINS8_10device_ptrIiEEEESD_SD_SD_jNS0_19identity_decomposerENS1_16block_id_wrapperIjLb0EEEEE10hipError_tT1_PNSt15iterator_traitsISI_E10value_typeET2_T3_PNSJ_ISO_E10value_typeET4_T5_PST_SU_PNS1_23onesweep_lookback_stateEbbT6_jjT7_P12ihipStream_tbENKUlT_T0_SI_SN_E_clISD_SD_SD_SD_EEDaS11_S12_SI_SN_EUlS11_E_NS1_11comp_targetILNS1_3genE10ELNS1_11target_archE1201ELNS1_3gpuE5ELNS1_3repE0EEENS1_47radix_sort_onesweep_sort_config_static_selectorELNS0_4arch9wavefront6targetE1EEEvSI_,comdat
	.protected	_ZN7rocprim17ROCPRIM_400000_NS6detail17trampoline_kernelINS0_14default_configENS1_35radix_sort_onesweep_config_selectorIiiEEZZNS1_29radix_sort_onesweep_iterationIS3_Lb0EN6thrust23THRUST_200600_302600_NS6detail15normal_iteratorINS8_10device_ptrIiEEEESD_SD_SD_jNS0_19identity_decomposerENS1_16block_id_wrapperIjLb0EEEEE10hipError_tT1_PNSt15iterator_traitsISI_E10value_typeET2_T3_PNSJ_ISO_E10value_typeET4_T5_PST_SU_PNS1_23onesweep_lookback_stateEbbT6_jjT7_P12ihipStream_tbENKUlT_T0_SI_SN_E_clISD_SD_SD_SD_EEDaS11_S12_SI_SN_EUlS11_E_NS1_11comp_targetILNS1_3genE10ELNS1_11target_archE1201ELNS1_3gpuE5ELNS1_3repE0EEENS1_47radix_sort_onesweep_sort_config_static_selectorELNS0_4arch9wavefront6targetE1EEEvSI_ ; -- Begin function _ZN7rocprim17ROCPRIM_400000_NS6detail17trampoline_kernelINS0_14default_configENS1_35radix_sort_onesweep_config_selectorIiiEEZZNS1_29radix_sort_onesweep_iterationIS3_Lb0EN6thrust23THRUST_200600_302600_NS6detail15normal_iteratorINS8_10device_ptrIiEEEESD_SD_SD_jNS0_19identity_decomposerENS1_16block_id_wrapperIjLb0EEEEE10hipError_tT1_PNSt15iterator_traitsISI_E10value_typeET2_T3_PNSJ_ISO_E10value_typeET4_T5_PST_SU_PNS1_23onesweep_lookback_stateEbbT6_jjT7_P12ihipStream_tbENKUlT_T0_SI_SN_E_clISD_SD_SD_SD_EEDaS11_S12_SI_SN_EUlS11_E_NS1_11comp_targetILNS1_3genE10ELNS1_11target_archE1201ELNS1_3gpuE5ELNS1_3repE0EEENS1_47radix_sort_onesweep_sort_config_static_selectorELNS0_4arch9wavefront6targetE1EEEvSI_
	.globl	_ZN7rocprim17ROCPRIM_400000_NS6detail17trampoline_kernelINS0_14default_configENS1_35radix_sort_onesweep_config_selectorIiiEEZZNS1_29radix_sort_onesweep_iterationIS3_Lb0EN6thrust23THRUST_200600_302600_NS6detail15normal_iteratorINS8_10device_ptrIiEEEESD_SD_SD_jNS0_19identity_decomposerENS1_16block_id_wrapperIjLb0EEEEE10hipError_tT1_PNSt15iterator_traitsISI_E10value_typeET2_T3_PNSJ_ISO_E10value_typeET4_T5_PST_SU_PNS1_23onesweep_lookback_stateEbbT6_jjT7_P12ihipStream_tbENKUlT_T0_SI_SN_E_clISD_SD_SD_SD_EEDaS11_S12_SI_SN_EUlS11_E_NS1_11comp_targetILNS1_3genE10ELNS1_11target_archE1201ELNS1_3gpuE5ELNS1_3repE0EEENS1_47radix_sort_onesweep_sort_config_static_selectorELNS0_4arch9wavefront6targetE1EEEvSI_
	.p2align	8
	.type	_ZN7rocprim17ROCPRIM_400000_NS6detail17trampoline_kernelINS0_14default_configENS1_35radix_sort_onesweep_config_selectorIiiEEZZNS1_29radix_sort_onesweep_iterationIS3_Lb0EN6thrust23THRUST_200600_302600_NS6detail15normal_iteratorINS8_10device_ptrIiEEEESD_SD_SD_jNS0_19identity_decomposerENS1_16block_id_wrapperIjLb0EEEEE10hipError_tT1_PNSt15iterator_traitsISI_E10value_typeET2_T3_PNSJ_ISO_E10value_typeET4_T5_PST_SU_PNS1_23onesweep_lookback_stateEbbT6_jjT7_P12ihipStream_tbENKUlT_T0_SI_SN_E_clISD_SD_SD_SD_EEDaS11_S12_SI_SN_EUlS11_E_NS1_11comp_targetILNS1_3genE10ELNS1_11target_archE1201ELNS1_3gpuE5ELNS1_3repE0EEENS1_47radix_sort_onesweep_sort_config_static_selectorELNS0_4arch9wavefront6targetE1EEEvSI_,@function
_ZN7rocprim17ROCPRIM_400000_NS6detail17trampoline_kernelINS0_14default_configENS1_35radix_sort_onesweep_config_selectorIiiEEZZNS1_29radix_sort_onesweep_iterationIS3_Lb0EN6thrust23THRUST_200600_302600_NS6detail15normal_iteratorINS8_10device_ptrIiEEEESD_SD_SD_jNS0_19identity_decomposerENS1_16block_id_wrapperIjLb0EEEEE10hipError_tT1_PNSt15iterator_traitsISI_E10value_typeET2_T3_PNSJ_ISO_E10value_typeET4_T5_PST_SU_PNS1_23onesweep_lookback_stateEbbT6_jjT7_P12ihipStream_tbENKUlT_T0_SI_SN_E_clISD_SD_SD_SD_EEDaS11_S12_SI_SN_EUlS11_E_NS1_11comp_targetILNS1_3genE10ELNS1_11target_archE1201ELNS1_3gpuE5ELNS1_3repE0EEENS1_47radix_sort_onesweep_sort_config_static_selectorELNS0_4arch9wavefront6targetE1EEEvSI_: ; @_ZN7rocprim17ROCPRIM_400000_NS6detail17trampoline_kernelINS0_14default_configENS1_35radix_sort_onesweep_config_selectorIiiEEZZNS1_29radix_sort_onesweep_iterationIS3_Lb0EN6thrust23THRUST_200600_302600_NS6detail15normal_iteratorINS8_10device_ptrIiEEEESD_SD_SD_jNS0_19identity_decomposerENS1_16block_id_wrapperIjLb0EEEEE10hipError_tT1_PNSt15iterator_traitsISI_E10value_typeET2_T3_PNSJ_ISO_E10value_typeET4_T5_PST_SU_PNS1_23onesweep_lookback_stateEbbT6_jjT7_P12ihipStream_tbENKUlT_T0_SI_SN_E_clISD_SD_SD_SD_EEDaS11_S12_SI_SN_EUlS11_E_NS1_11comp_targetILNS1_3genE10ELNS1_11target_archE1201ELNS1_3gpuE5ELNS1_3repE0EEENS1_47radix_sort_onesweep_sort_config_static_selectorELNS0_4arch9wavefront6targetE1EEEvSI_
; %bb.0:
	.section	.rodata,"a",@progbits
	.p2align	6, 0x0
	.amdhsa_kernel _ZN7rocprim17ROCPRIM_400000_NS6detail17trampoline_kernelINS0_14default_configENS1_35radix_sort_onesweep_config_selectorIiiEEZZNS1_29radix_sort_onesweep_iterationIS3_Lb0EN6thrust23THRUST_200600_302600_NS6detail15normal_iteratorINS8_10device_ptrIiEEEESD_SD_SD_jNS0_19identity_decomposerENS1_16block_id_wrapperIjLb0EEEEE10hipError_tT1_PNSt15iterator_traitsISI_E10value_typeET2_T3_PNSJ_ISO_E10value_typeET4_T5_PST_SU_PNS1_23onesweep_lookback_stateEbbT6_jjT7_P12ihipStream_tbENKUlT_T0_SI_SN_E_clISD_SD_SD_SD_EEDaS11_S12_SI_SN_EUlS11_E_NS1_11comp_targetILNS1_3genE10ELNS1_11target_archE1201ELNS1_3gpuE5ELNS1_3repE0EEENS1_47radix_sort_onesweep_sort_config_static_selectorELNS0_4arch9wavefront6targetE1EEEvSI_
		.amdhsa_group_segment_fixed_size 0
		.amdhsa_private_segment_fixed_size 0
		.amdhsa_kernarg_size 88
		.amdhsa_user_sgpr_count 2
		.amdhsa_user_sgpr_dispatch_ptr 0
		.amdhsa_user_sgpr_queue_ptr 0
		.amdhsa_user_sgpr_kernarg_segment_ptr 1
		.amdhsa_user_sgpr_dispatch_id 0
		.amdhsa_user_sgpr_kernarg_preload_length 0
		.amdhsa_user_sgpr_kernarg_preload_offset 0
		.amdhsa_user_sgpr_private_segment_size 0
		.amdhsa_uses_dynamic_stack 0
		.amdhsa_enable_private_segment 0
		.amdhsa_system_sgpr_workgroup_id_x 1
		.amdhsa_system_sgpr_workgroup_id_y 0
		.amdhsa_system_sgpr_workgroup_id_z 0
		.amdhsa_system_sgpr_workgroup_info 0
		.amdhsa_system_vgpr_workitem_id 0
		.amdhsa_next_free_vgpr 1
		.amdhsa_next_free_sgpr 0
		.amdhsa_accum_offset 4
		.amdhsa_reserve_vcc 0
		.amdhsa_float_round_mode_32 0
		.amdhsa_float_round_mode_16_64 0
		.amdhsa_float_denorm_mode_32 3
		.amdhsa_float_denorm_mode_16_64 3
		.amdhsa_dx10_clamp 1
		.amdhsa_ieee_mode 1
		.amdhsa_fp16_overflow 0
		.amdhsa_tg_split 0
		.amdhsa_exception_fp_ieee_invalid_op 0
		.amdhsa_exception_fp_denorm_src 0
		.amdhsa_exception_fp_ieee_div_zero 0
		.amdhsa_exception_fp_ieee_overflow 0
		.amdhsa_exception_fp_ieee_underflow 0
		.amdhsa_exception_fp_ieee_inexact 0
		.amdhsa_exception_int_div_zero 0
	.end_amdhsa_kernel
	.section	.text._ZN7rocprim17ROCPRIM_400000_NS6detail17trampoline_kernelINS0_14default_configENS1_35radix_sort_onesweep_config_selectorIiiEEZZNS1_29radix_sort_onesweep_iterationIS3_Lb0EN6thrust23THRUST_200600_302600_NS6detail15normal_iteratorINS8_10device_ptrIiEEEESD_SD_SD_jNS0_19identity_decomposerENS1_16block_id_wrapperIjLb0EEEEE10hipError_tT1_PNSt15iterator_traitsISI_E10value_typeET2_T3_PNSJ_ISO_E10value_typeET4_T5_PST_SU_PNS1_23onesweep_lookback_stateEbbT6_jjT7_P12ihipStream_tbENKUlT_T0_SI_SN_E_clISD_SD_SD_SD_EEDaS11_S12_SI_SN_EUlS11_E_NS1_11comp_targetILNS1_3genE10ELNS1_11target_archE1201ELNS1_3gpuE5ELNS1_3repE0EEENS1_47radix_sort_onesweep_sort_config_static_selectorELNS0_4arch9wavefront6targetE1EEEvSI_,"axG",@progbits,_ZN7rocprim17ROCPRIM_400000_NS6detail17trampoline_kernelINS0_14default_configENS1_35radix_sort_onesweep_config_selectorIiiEEZZNS1_29radix_sort_onesweep_iterationIS3_Lb0EN6thrust23THRUST_200600_302600_NS6detail15normal_iteratorINS8_10device_ptrIiEEEESD_SD_SD_jNS0_19identity_decomposerENS1_16block_id_wrapperIjLb0EEEEE10hipError_tT1_PNSt15iterator_traitsISI_E10value_typeET2_T3_PNSJ_ISO_E10value_typeET4_T5_PST_SU_PNS1_23onesweep_lookback_stateEbbT6_jjT7_P12ihipStream_tbENKUlT_T0_SI_SN_E_clISD_SD_SD_SD_EEDaS11_S12_SI_SN_EUlS11_E_NS1_11comp_targetILNS1_3genE10ELNS1_11target_archE1201ELNS1_3gpuE5ELNS1_3repE0EEENS1_47radix_sort_onesweep_sort_config_static_selectorELNS0_4arch9wavefront6targetE1EEEvSI_,comdat
.Lfunc_end855:
	.size	_ZN7rocprim17ROCPRIM_400000_NS6detail17trampoline_kernelINS0_14default_configENS1_35radix_sort_onesweep_config_selectorIiiEEZZNS1_29radix_sort_onesweep_iterationIS3_Lb0EN6thrust23THRUST_200600_302600_NS6detail15normal_iteratorINS8_10device_ptrIiEEEESD_SD_SD_jNS0_19identity_decomposerENS1_16block_id_wrapperIjLb0EEEEE10hipError_tT1_PNSt15iterator_traitsISI_E10value_typeET2_T3_PNSJ_ISO_E10value_typeET4_T5_PST_SU_PNS1_23onesweep_lookback_stateEbbT6_jjT7_P12ihipStream_tbENKUlT_T0_SI_SN_E_clISD_SD_SD_SD_EEDaS11_S12_SI_SN_EUlS11_E_NS1_11comp_targetILNS1_3genE10ELNS1_11target_archE1201ELNS1_3gpuE5ELNS1_3repE0EEENS1_47radix_sort_onesweep_sort_config_static_selectorELNS0_4arch9wavefront6targetE1EEEvSI_, .Lfunc_end855-_ZN7rocprim17ROCPRIM_400000_NS6detail17trampoline_kernelINS0_14default_configENS1_35radix_sort_onesweep_config_selectorIiiEEZZNS1_29radix_sort_onesweep_iterationIS3_Lb0EN6thrust23THRUST_200600_302600_NS6detail15normal_iteratorINS8_10device_ptrIiEEEESD_SD_SD_jNS0_19identity_decomposerENS1_16block_id_wrapperIjLb0EEEEE10hipError_tT1_PNSt15iterator_traitsISI_E10value_typeET2_T3_PNSJ_ISO_E10value_typeET4_T5_PST_SU_PNS1_23onesweep_lookback_stateEbbT6_jjT7_P12ihipStream_tbENKUlT_T0_SI_SN_E_clISD_SD_SD_SD_EEDaS11_S12_SI_SN_EUlS11_E_NS1_11comp_targetILNS1_3genE10ELNS1_11target_archE1201ELNS1_3gpuE5ELNS1_3repE0EEENS1_47radix_sort_onesweep_sort_config_static_selectorELNS0_4arch9wavefront6targetE1EEEvSI_
                                        ; -- End function
	.set _ZN7rocprim17ROCPRIM_400000_NS6detail17trampoline_kernelINS0_14default_configENS1_35radix_sort_onesweep_config_selectorIiiEEZZNS1_29radix_sort_onesweep_iterationIS3_Lb0EN6thrust23THRUST_200600_302600_NS6detail15normal_iteratorINS8_10device_ptrIiEEEESD_SD_SD_jNS0_19identity_decomposerENS1_16block_id_wrapperIjLb0EEEEE10hipError_tT1_PNSt15iterator_traitsISI_E10value_typeET2_T3_PNSJ_ISO_E10value_typeET4_T5_PST_SU_PNS1_23onesweep_lookback_stateEbbT6_jjT7_P12ihipStream_tbENKUlT_T0_SI_SN_E_clISD_SD_SD_SD_EEDaS11_S12_SI_SN_EUlS11_E_NS1_11comp_targetILNS1_3genE10ELNS1_11target_archE1201ELNS1_3gpuE5ELNS1_3repE0EEENS1_47radix_sort_onesweep_sort_config_static_selectorELNS0_4arch9wavefront6targetE1EEEvSI_.num_vgpr, 0
	.set _ZN7rocprim17ROCPRIM_400000_NS6detail17trampoline_kernelINS0_14default_configENS1_35radix_sort_onesweep_config_selectorIiiEEZZNS1_29radix_sort_onesweep_iterationIS3_Lb0EN6thrust23THRUST_200600_302600_NS6detail15normal_iteratorINS8_10device_ptrIiEEEESD_SD_SD_jNS0_19identity_decomposerENS1_16block_id_wrapperIjLb0EEEEE10hipError_tT1_PNSt15iterator_traitsISI_E10value_typeET2_T3_PNSJ_ISO_E10value_typeET4_T5_PST_SU_PNS1_23onesweep_lookback_stateEbbT6_jjT7_P12ihipStream_tbENKUlT_T0_SI_SN_E_clISD_SD_SD_SD_EEDaS11_S12_SI_SN_EUlS11_E_NS1_11comp_targetILNS1_3genE10ELNS1_11target_archE1201ELNS1_3gpuE5ELNS1_3repE0EEENS1_47radix_sort_onesweep_sort_config_static_selectorELNS0_4arch9wavefront6targetE1EEEvSI_.num_agpr, 0
	.set _ZN7rocprim17ROCPRIM_400000_NS6detail17trampoline_kernelINS0_14default_configENS1_35radix_sort_onesweep_config_selectorIiiEEZZNS1_29radix_sort_onesweep_iterationIS3_Lb0EN6thrust23THRUST_200600_302600_NS6detail15normal_iteratorINS8_10device_ptrIiEEEESD_SD_SD_jNS0_19identity_decomposerENS1_16block_id_wrapperIjLb0EEEEE10hipError_tT1_PNSt15iterator_traitsISI_E10value_typeET2_T3_PNSJ_ISO_E10value_typeET4_T5_PST_SU_PNS1_23onesweep_lookback_stateEbbT6_jjT7_P12ihipStream_tbENKUlT_T0_SI_SN_E_clISD_SD_SD_SD_EEDaS11_S12_SI_SN_EUlS11_E_NS1_11comp_targetILNS1_3genE10ELNS1_11target_archE1201ELNS1_3gpuE5ELNS1_3repE0EEENS1_47radix_sort_onesweep_sort_config_static_selectorELNS0_4arch9wavefront6targetE1EEEvSI_.numbered_sgpr, 0
	.set _ZN7rocprim17ROCPRIM_400000_NS6detail17trampoline_kernelINS0_14default_configENS1_35radix_sort_onesweep_config_selectorIiiEEZZNS1_29radix_sort_onesweep_iterationIS3_Lb0EN6thrust23THRUST_200600_302600_NS6detail15normal_iteratorINS8_10device_ptrIiEEEESD_SD_SD_jNS0_19identity_decomposerENS1_16block_id_wrapperIjLb0EEEEE10hipError_tT1_PNSt15iterator_traitsISI_E10value_typeET2_T3_PNSJ_ISO_E10value_typeET4_T5_PST_SU_PNS1_23onesweep_lookback_stateEbbT6_jjT7_P12ihipStream_tbENKUlT_T0_SI_SN_E_clISD_SD_SD_SD_EEDaS11_S12_SI_SN_EUlS11_E_NS1_11comp_targetILNS1_3genE10ELNS1_11target_archE1201ELNS1_3gpuE5ELNS1_3repE0EEENS1_47radix_sort_onesweep_sort_config_static_selectorELNS0_4arch9wavefront6targetE1EEEvSI_.num_named_barrier, 0
	.set _ZN7rocprim17ROCPRIM_400000_NS6detail17trampoline_kernelINS0_14default_configENS1_35radix_sort_onesweep_config_selectorIiiEEZZNS1_29radix_sort_onesweep_iterationIS3_Lb0EN6thrust23THRUST_200600_302600_NS6detail15normal_iteratorINS8_10device_ptrIiEEEESD_SD_SD_jNS0_19identity_decomposerENS1_16block_id_wrapperIjLb0EEEEE10hipError_tT1_PNSt15iterator_traitsISI_E10value_typeET2_T3_PNSJ_ISO_E10value_typeET4_T5_PST_SU_PNS1_23onesweep_lookback_stateEbbT6_jjT7_P12ihipStream_tbENKUlT_T0_SI_SN_E_clISD_SD_SD_SD_EEDaS11_S12_SI_SN_EUlS11_E_NS1_11comp_targetILNS1_3genE10ELNS1_11target_archE1201ELNS1_3gpuE5ELNS1_3repE0EEENS1_47radix_sort_onesweep_sort_config_static_selectorELNS0_4arch9wavefront6targetE1EEEvSI_.private_seg_size, 0
	.set _ZN7rocprim17ROCPRIM_400000_NS6detail17trampoline_kernelINS0_14default_configENS1_35radix_sort_onesweep_config_selectorIiiEEZZNS1_29radix_sort_onesweep_iterationIS3_Lb0EN6thrust23THRUST_200600_302600_NS6detail15normal_iteratorINS8_10device_ptrIiEEEESD_SD_SD_jNS0_19identity_decomposerENS1_16block_id_wrapperIjLb0EEEEE10hipError_tT1_PNSt15iterator_traitsISI_E10value_typeET2_T3_PNSJ_ISO_E10value_typeET4_T5_PST_SU_PNS1_23onesweep_lookback_stateEbbT6_jjT7_P12ihipStream_tbENKUlT_T0_SI_SN_E_clISD_SD_SD_SD_EEDaS11_S12_SI_SN_EUlS11_E_NS1_11comp_targetILNS1_3genE10ELNS1_11target_archE1201ELNS1_3gpuE5ELNS1_3repE0EEENS1_47radix_sort_onesweep_sort_config_static_selectorELNS0_4arch9wavefront6targetE1EEEvSI_.uses_vcc, 0
	.set _ZN7rocprim17ROCPRIM_400000_NS6detail17trampoline_kernelINS0_14default_configENS1_35radix_sort_onesweep_config_selectorIiiEEZZNS1_29radix_sort_onesweep_iterationIS3_Lb0EN6thrust23THRUST_200600_302600_NS6detail15normal_iteratorINS8_10device_ptrIiEEEESD_SD_SD_jNS0_19identity_decomposerENS1_16block_id_wrapperIjLb0EEEEE10hipError_tT1_PNSt15iterator_traitsISI_E10value_typeET2_T3_PNSJ_ISO_E10value_typeET4_T5_PST_SU_PNS1_23onesweep_lookback_stateEbbT6_jjT7_P12ihipStream_tbENKUlT_T0_SI_SN_E_clISD_SD_SD_SD_EEDaS11_S12_SI_SN_EUlS11_E_NS1_11comp_targetILNS1_3genE10ELNS1_11target_archE1201ELNS1_3gpuE5ELNS1_3repE0EEENS1_47radix_sort_onesweep_sort_config_static_selectorELNS0_4arch9wavefront6targetE1EEEvSI_.uses_flat_scratch, 0
	.set _ZN7rocprim17ROCPRIM_400000_NS6detail17trampoline_kernelINS0_14default_configENS1_35radix_sort_onesweep_config_selectorIiiEEZZNS1_29radix_sort_onesweep_iterationIS3_Lb0EN6thrust23THRUST_200600_302600_NS6detail15normal_iteratorINS8_10device_ptrIiEEEESD_SD_SD_jNS0_19identity_decomposerENS1_16block_id_wrapperIjLb0EEEEE10hipError_tT1_PNSt15iterator_traitsISI_E10value_typeET2_T3_PNSJ_ISO_E10value_typeET4_T5_PST_SU_PNS1_23onesweep_lookback_stateEbbT6_jjT7_P12ihipStream_tbENKUlT_T0_SI_SN_E_clISD_SD_SD_SD_EEDaS11_S12_SI_SN_EUlS11_E_NS1_11comp_targetILNS1_3genE10ELNS1_11target_archE1201ELNS1_3gpuE5ELNS1_3repE0EEENS1_47radix_sort_onesweep_sort_config_static_selectorELNS0_4arch9wavefront6targetE1EEEvSI_.has_dyn_sized_stack, 0
	.set _ZN7rocprim17ROCPRIM_400000_NS6detail17trampoline_kernelINS0_14default_configENS1_35radix_sort_onesweep_config_selectorIiiEEZZNS1_29radix_sort_onesweep_iterationIS3_Lb0EN6thrust23THRUST_200600_302600_NS6detail15normal_iteratorINS8_10device_ptrIiEEEESD_SD_SD_jNS0_19identity_decomposerENS1_16block_id_wrapperIjLb0EEEEE10hipError_tT1_PNSt15iterator_traitsISI_E10value_typeET2_T3_PNSJ_ISO_E10value_typeET4_T5_PST_SU_PNS1_23onesweep_lookback_stateEbbT6_jjT7_P12ihipStream_tbENKUlT_T0_SI_SN_E_clISD_SD_SD_SD_EEDaS11_S12_SI_SN_EUlS11_E_NS1_11comp_targetILNS1_3genE10ELNS1_11target_archE1201ELNS1_3gpuE5ELNS1_3repE0EEENS1_47radix_sort_onesweep_sort_config_static_selectorELNS0_4arch9wavefront6targetE1EEEvSI_.has_recursion, 0
	.set _ZN7rocprim17ROCPRIM_400000_NS6detail17trampoline_kernelINS0_14default_configENS1_35radix_sort_onesweep_config_selectorIiiEEZZNS1_29radix_sort_onesweep_iterationIS3_Lb0EN6thrust23THRUST_200600_302600_NS6detail15normal_iteratorINS8_10device_ptrIiEEEESD_SD_SD_jNS0_19identity_decomposerENS1_16block_id_wrapperIjLb0EEEEE10hipError_tT1_PNSt15iterator_traitsISI_E10value_typeET2_T3_PNSJ_ISO_E10value_typeET4_T5_PST_SU_PNS1_23onesweep_lookback_stateEbbT6_jjT7_P12ihipStream_tbENKUlT_T0_SI_SN_E_clISD_SD_SD_SD_EEDaS11_S12_SI_SN_EUlS11_E_NS1_11comp_targetILNS1_3genE10ELNS1_11target_archE1201ELNS1_3gpuE5ELNS1_3repE0EEENS1_47radix_sort_onesweep_sort_config_static_selectorELNS0_4arch9wavefront6targetE1EEEvSI_.has_indirect_call, 0
	.section	.AMDGPU.csdata,"",@progbits
; Kernel info:
; codeLenInByte = 0
; TotalNumSgprs: 6
; NumVgprs: 0
; NumAgprs: 0
; TotalNumVgprs: 0
; ScratchSize: 0
; MemoryBound: 0
; FloatMode: 240
; IeeeMode: 1
; LDSByteSize: 0 bytes/workgroup (compile time only)
; SGPRBlocks: 0
; VGPRBlocks: 0
; NumSGPRsForWavesPerEU: 6
; NumVGPRsForWavesPerEU: 1
; AccumOffset: 4
; Occupancy: 8
; WaveLimiterHint : 0
; COMPUTE_PGM_RSRC2:SCRATCH_EN: 0
; COMPUTE_PGM_RSRC2:USER_SGPR: 2
; COMPUTE_PGM_RSRC2:TRAP_HANDLER: 0
; COMPUTE_PGM_RSRC2:TGID_X_EN: 1
; COMPUTE_PGM_RSRC2:TGID_Y_EN: 0
; COMPUTE_PGM_RSRC2:TGID_Z_EN: 0
; COMPUTE_PGM_RSRC2:TIDIG_COMP_CNT: 0
; COMPUTE_PGM_RSRC3_GFX90A:ACCUM_OFFSET: 0
; COMPUTE_PGM_RSRC3_GFX90A:TG_SPLIT: 0
	.section	.text._ZN7rocprim17ROCPRIM_400000_NS6detail17trampoline_kernelINS0_14default_configENS1_35radix_sort_onesweep_config_selectorIiiEEZZNS1_29radix_sort_onesweep_iterationIS3_Lb0EN6thrust23THRUST_200600_302600_NS6detail15normal_iteratorINS8_10device_ptrIiEEEESD_SD_SD_jNS0_19identity_decomposerENS1_16block_id_wrapperIjLb0EEEEE10hipError_tT1_PNSt15iterator_traitsISI_E10value_typeET2_T3_PNSJ_ISO_E10value_typeET4_T5_PST_SU_PNS1_23onesweep_lookback_stateEbbT6_jjT7_P12ihipStream_tbENKUlT_T0_SI_SN_E_clISD_SD_SD_SD_EEDaS11_S12_SI_SN_EUlS11_E_NS1_11comp_targetILNS1_3genE9ELNS1_11target_archE1100ELNS1_3gpuE3ELNS1_3repE0EEENS1_47radix_sort_onesweep_sort_config_static_selectorELNS0_4arch9wavefront6targetE1EEEvSI_,"axG",@progbits,_ZN7rocprim17ROCPRIM_400000_NS6detail17trampoline_kernelINS0_14default_configENS1_35radix_sort_onesweep_config_selectorIiiEEZZNS1_29radix_sort_onesweep_iterationIS3_Lb0EN6thrust23THRUST_200600_302600_NS6detail15normal_iteratorINS8_10device_ptrIiEEEESD_SD_SD_jNS0_19identity_decomposerENS1_16block_id_wrapperIjLb0EEEEE10hipError_tT1_PNSt15iterator_traitsISI_E10value_typeET2_T3_PNSJ_ISO_E10value_typeET4_T5_PST_SU_PNS1_23onesweep_lookback_stateEbbT6_jjT7_P12ihipStream_tbENKUlT_T0_SI_SN_E_clISD_SD_SD_SD_EEDaS11_S12_SI_SN_EUlS11_E_NS1_11comp_targetILNS1_3genE9ELNS1_11target_archE1100ELNS1_3gpuE3ELNS1_3repE0EEENS1_47radix_sort_onesweep_sort_config_static_selectorELNS0_4arch9wavefront6targetE1EEEvSI_,comdat
	.protected	_ZN7rocprim17ROCPRIM_400000_NS6detail17trampoline_kernelINS0_14default_configENS1_35radix_sort_onesweep_config_selectorIiiEEZZNS1_29radix_sort_onesweep_iterationIS3_Lb0EN6thrust23THRUST_200600_302600_NS6detail15normal_iteratorINS8_10device_ptrIiEEEESD_SD_SD_jNS0_19identity_decomposerENS1_16block_id_wrapperIjLb0EEEEE10hipError_tT1_PNSt15iterator_traitsISI_E10value_typeET2_T3_PNSJ_ISO_E10value_typeET4_T5_PST_SU_PNS1_23onesweep_lookback_stateEbbT6_jjT7_P12ihipStream_tbENKUlT_T0_SI_SN_E_clISD_SD_SD_SD_EEDaS11_S12_SI_SN_EUlS11_E_NS1_11comp_targetILNS1_3genE9ELNS1_11target_archE1100ELNS1_3gpuE3ELNS1_3repE0EEENS1_47radix_sort_onesweep_sort_config_static_selectorELNS0_4arch9wavefront6targetE1EEEvSI_ ; -- Begin function _ZN7rocprim17ROCPRIM_400000_NS6detail17trampoline_kernelINS0_14default_configENS1_35radix_sort_onesweep_config_selectorIiiEEZZNS1_29radix_sort_onesweep_iterationIS3_Lb0EN6thrust23THRUST_200600_302600_NS6detail15normal_iteratorINS8_10device_ptrIiEEEESD_SD_SD_jNS0_19identity_decomposerENS1_16block_id_wrapperIjLb0EEEEE10hipError_tT1_PNSt15iterator_traitsISI_E10value_typeET2_T3_PNSJ_ISO_E10value_typeET4_T5_PST_SU_PNS1_23onesweep_lookback_stateEbbT6_jjT7_P12ihipStream_tbENKUlT_T0_SI_SN_E_clISD_SD_SD_SD_EEDaS11_S12_SI_SN_EUlS11_E_NS1_11comp_targetILNS1_3genE9ELNS1_11target_archE1100ELNS1_3gpuE3ELNS1_3repE0EEENS1_47radix_sort_onesweep_sort_config_static_selectorELNS0_4arch9wavefront6targetE1EEEvSI_
	.globl	_ZN7rocprim17ROCPRIM_400000_NS6detail17trampoline_kernelINS0_14default_configENS1_35radix_sort_onesweep_config_selectorIiiEEZZNS1_29radix_sort_onesweep_iterationIS3_Lb0EN6thrust23THRUST_200600_302600_NS6detail15normal_iteratorINS8_10device_ptrIiEEEESD_SD_SD_jNS0_19identity_decomposerENS1_16block_id_wrapperIjLb0EEEEE10hipError_tT1_PNSt15iterator_traitsISI_E10value_typeET2_T3_PNSJ_ISO_E10value_typeET4_T5_PST_SU_PNS1_23onesweep_lookback_stateEbbT6_jjT7_P12ihipStream_tbENKUlT_T0_SI_SN_E_clISD_SD_SD_SD_EEDaS11_S12_SI_SN_EUlS11_E_NS1_11comp_targetILNS1_3genE9ELNS1_11target_archE1100ELNS1_3gpuE3ELNS1_3repE0EEENS1_47radix_sort_onesweep_sort_config_static_selectorELNS0_4arch9wavefront6targetE1EEEvSI_
	.p2align	8
	.type	_ZN7rocprim17ROCPRIM_400000_NS6detail17trampoline_kernelINS0_14default_configENS1_35radix_sort_onesweep_config_selectorIiiEEZZNS1_29radix_sort_onesweep_iterationIS3_Lb0EN6thrust23THRUST_200600_302600_NS6detail15normal_iteratorINS8_10device_ptrIiEEEESD_SD_SD_jNS0_19identity_decomposerENS1_16block_id_wrapperIjLb0EEEEE10hipError_tT1_PNSt15iterator_traitsISI_E10value_typeET2_T3_PNSJ_ISO_E10value_typeET4_T5_PST_SU_PNS1_23onesweep_lookback_stateEbbT6_jjT7_P12ihipStream_tbENKUlT_T0_SI_SN_E_clISD_SD_SD_SD_EEDaS11_S12_SI_SN_EUlS11_E_NS1_11comp_targetILNS1_3genE9ELNS1_11target_archE1100ELNS1_3gpuE3ELNS1_3repE0EEENS1_47radix_sort_onesweep_sort_config_static_selectorELNS0_4arch9wavefront6targetE1EEEvSI_,@function
_ZN7rocprim17ROCPRIM_400000_NS6detail17trampoline_kernelINS0_14default_configENS1_35radix_sort_onesweep_config_selectorIiiEEZZNS1_29radix_sort_onesweep_iterationIS3_Lb0EN6thrust23THRUST_200600_302600_NS6detail15normal_iteratorINS8_10device_ptrIiEEEESD_SD_SD_jNS0_19identity_decomposerENS1_16block_id_wrapperIjLb0EEEEE10hipError_tT1_PNSt15iterator_traitsISI_E10value_typeET2_T3_PNSJ_ISO_E10value_typeET4_T5_PST_SU_PNS1_23onesweep_lookback_stateEbbT6_jjT7_P12ihipStream_tbENKUlT_T0_SI_SN_E_clISD_SD_SD_SD_EEDaS11_S12_SI_SN_EUlS11_E_NS1_11comp_targetILNS1_3genE9ELNS1_11target_archE1100ELNS1_3gpuE3ELNS1_3repE0EEENS1_47radix_sort_onesweep_sort_config_static_selectorELNS0_4arch9wavefront6targetE1EEEvSI_: ; @_ZN7rocprim17ROCPRIM_400000_NS6detail17trampoline_kernelINS0_14default_configENS1_35radix_sort_onesweep_config_selectorIiiEEZZNS1_29radix_sort_onesweep_iterationIS3_Lb0EN6thrust23THRUST_200600_302600_NS6detail15normal_iteratorINS8_10device_ptrIiEEEESD_SD_SD_jNS0_19identity_decomposerENS1_16block_id_wrapperIjLb0EEEEE10hipError_tT1_PNSt15iterator_traitsISI_E10value_typeET2_T3_PNSJ_ISO_E10value_typeET4_T5_PST_SU_PNS1_23onesweep_lookback_stateEbbT6_jjT7_P12ihipStream_tbENKUlT_T0_SI_SN_E_clISD_SD_SD_SD_EEDaS11_S12_SI_SN_EUlS11_E_NS1_11comp_targetILNS1_3genE9ELNS1_11target_archE1100ELNS1_3gpuE3ELNS1_3repE0EEENS1_47radix_sort_onesweep_sort_config_static_selectorELNS0_4arch9wavefront6targetE1EEEvSI_
; %bb.0:
	.section	.rodata,"a",@progbits
	.p2align	6, 0x0
	.amdhsa_kernel _ZN7rocprim17ROCPRIM_400000_NS6detail17trampoline_kernelINS0_14default_configENS1_35radix_sort_onesweep_config_selectorIiiEEZZNS1_29radix_sort_onesweep_iterationIS3_Lb0EN6thrust23THRUST_200600_302600_NS6detail15normal_iteratorINS8_10device_ptrIiEEEESD_SD_SD_jNS0_19identity_decomposerENS1_16block_id_wrapperIjLb0EEEEE10hipError_tT1_PNSt15iterator_traitsISI_E10value_typeET2_T3_PNSJ_ISO_E10value_typeET4_T5_PST_SU_PNS1_23onesweep_lookback_stateEbbT6_jjT7_P12ihipStream_tbENKUlT_T0_SI_SN_E_clISD_SD_SD_SD_EEDaS11_S12_SI_SN_EUlS11_E_NS1_11comp_targetILNS1_3genE9ELNS1_11target_archE1100ELNS1_3gpuE3ELNS1_3repE0EEENS1_47radix_sort_onesweep_sort_config_static_selectorELNS0_4arch9wavefront6targetE1EEEvSI_
		.amdhsa_group_segment_fixed_size 0
		.amdhsa_private_segment_fixed_size 0
		.amdhsa_kernarg_size 88
		.amdhsa_user_sgpr_count 2
		.amdhsa_user_sgpr_dispatch_ptr 0
		.amdhsa_user_sgpr_queue_ptr 0
		.amdhsa_user_sgpr_kernarg_segment_ptr 1
		.amdhsa_user_sgpr_dispatch_id 0
		.amdhsa_user_sgpr_kernarg_preload_length 0
		.amdhsa_user_sgpr_kernarg_preload_offset 0
		.amdhsa_user_sgpr_private_segment_size 0
		.amdhsa_uses_dynamic_stack 0
		.amdhsa_enable_private_segment 0
		.amdhsa_system_sgpr_workgroup_id_x 1
		.amdhsa_system_sgpr_workgroup_id_y 0
		.amdhsa_system_sgpr_workgroup_id_z 0
		.amdhsa_system_sgpr_workgroup_info 0
		.amdhsa_system_vgpr_workitem_id 0
		.amdhsa_next_free_vgpr 1
		.amdhsa_next_free_sgpr 0
		.amdhsa_accum_offset 4
		.amdhsa_reserve_vcc 0
		.amdhsa_float_round_mode_32 0
		.amdhsa_float_round_mode_16_64 0
		.amdhsa_float_denorm_mode_32 3
		.amdhsa_float_denorm_mode_16_64 3
		.amdhsa_dx10_clamp 1
		.amdhsa_ieee_mode 1
		.amdhsa_fp16_overflow 0
		.amdhsa_tg_split 0
		.amdhsa_exception_fp_ieee_invalid_op 0
		.amdhsa_exception_fp_denorm_src 0
		.amdhsa_exception_fp_ieee_div_zero 0
		.amdhsa_exception_fp_ieee_overflow 0
		.amdhsa_exception_fp_ieee_underflow 0
		.amdhsa_exception_fp_ieee_inexact 0
		.amdhsa_exception_int_div_zero 0
	.end_amdhsa_kernel
	.section	.text._ZN7rocprim17ROCPRIM_400000_NS6detail17trampoline_kernelINS0_14default_configENS1_35radix_sort_onesweep_config_selectorIiiEEZZNS1_29radix_sort_onesweep_iterationIS3_Lb0EN6thrust23THRUST_200600_302600_NS6detail15normal_iteratorINS8_10device_ptrIiEEEESD_SD_SD_jNS0_19identity_decomposerENS1_16block_id_wrapperIjLb0EEEEE10hipError_tT1_PNSt15iterator_traitsISI_E10value_typeET2_T3_PNSJ_ISO_E10value_typeET4_T5_PST_SU_PNS1_23onesweep_lookback_stateEbbT6_jjT7_P12ihipStream_tbENKUlT_T0_SI_SN_E_clISD_SD_SD_SD_EEDaS11_S12_SI_SN_EUlS11_E_NS1_11comp_targetILNS1_3genE9ELNS1_11target_archE1100ELNS1_3gpuE3ELNS1_3repE0EEENS1_47radix_sort_onesweep_sort_config_static_selectorELNS0_4arch9wavefront6targetE1EEEvSI_,"axG",@progbits,_ZN7rocprim17ROCPRIM_400000_NS6detail17trampoline_kernelINS0_14default_configENS1_35radix_sort_onesweep_config_selectorIiiEEZZNS1_29radix_sort_onesweep_iterationIS3_Lb0EN6thrust23THRUST_200600_302600_NS6detail15normal_iteratorINS8_10device_ptrIiEEEESD_SD_SD_jNS0_19identity_decomposerENS1_16block_id_wrapperIjLb0EEEEE10hipError_tT1_PNSt15iterator_traitsISI_E10value_typeET2_T3_PNSJ_ISO_E10value_typeET4_T5_PST_SU_PNS1_23onesweep_lookback_stateEbbT6_jjT7_P12ihipStream_tbENKUlT_T0_SI_SN_E_clISD_SD_SD_SD_EEDaS11_S12_SI_SN_EUlS11_E_NS1_11comp_targetILNS1_3genE9ELNS1_11target_archE1100ELNS1_3gpuE3ELNS1_3repE0EEENS1_47radix_sort_onesweep_sort_config_static_selectorELNS0_4arch9wavefront6targetE1EEEvSI_,comdat
.Lfunc_end856:
	.size	_ZN7rocprim17ROCPRIM_400000_NS6detail17trampoline_kernelINS0_14default_configENS1_35radix_sort_onesweep_config_selectorIiiEEZZNS1_29radix_sort_onesweep_iterationIS3_Lb0EN6thrust23THRUST_200600_302600_NS6detail15normal_iteratorINS8_10device_ptrIiEEEESD_SD_SD_jNS0_19identity_decomposerENS1_16block_id_wrapperIjLb0EEEEE10hipError_tT1_PNSt15iterator_traitsISI_E10value_typeET2_T3_PNSJ_ISO_E10value_typeET4_T5_PST_SU_PNS1_23onesweep_lookback_stateEbbT6_jjT7_P12ihipStream_tbENKUlT_T0_SI_SN_E_clISD_SD_SD_SD_EEDaS11_S12_SI_SN_EUlS11_E_NS1_11comp_targetILNS1_3genE9ELNS1_11target_archE1100ELNS1_3gpuE3ELNS1_3repE0EEENS1_47radix_sort_onesweep_sort_config_static_selectorELNS0_4arch9wavefront6targetE1EEEvSI_, .Lfunc_end856-_ZN7rocprim17ROCPRIM_400000_NS6detail17trampoline_kernelINS0_14default_configENS1_35radix_sort_onesweep_config_selectorIiiEEZZNS1_29radix_sort_onesweep_iterationIS3_Lb0EN6thrust23THRUST_200600_302600_NS6detail15normal_iteratorINS8_10device_ptrIiEEEESD_SD_SD_jNS0_19identity_decomposerENS1_16block_id_wrapperIjLb0EEEEE10hipError_tT1_PNSt15iterator_traitsISI_E10value_typeET2_T3_PNSJ_ISO_E10value_typeET4_T5_PST_SU_PNS1_23onesweep_lookback_stateEbbT6_jjT7_P12ihipStream_tbENKUlT_T0_SI_SN_E_clISD_SD_SD_SD_EEDaS11_S12_SI_SN_EUlS11_E_NS1_11comp_targetILNS1_3genE9ELNS1_11target_archE1100ELNS1_3gpuE3ELNS1_3repE0EEENS1_47radix_sort_onesweep_sort_config_static_selectorELNS0_4arch9wavefront6targetE1EEEvSI_
                                        ; -- End function
	.set _ZN7rocprim17ROCPRIM_400000_NS6detail17trampoline_kernelINS0_14default_configENS1_35radix_sort_onesweep_config_selectorIiiEEZZNS1_29radix_sort_onesweep_iterationIS3_Lb0EN6thrust23THRUST_200600_302600_NS6detail15normal_iteratorINS8_10device_ptrIiEEEESD_SD_SD_jNS0_19identity_decomposerENS1_16block_id_wrapperIjLb0EEEEE10hipError_tT1_PNSt15iterator_traitsISI_E10value_typeET2_T3_PNSJ_ISO_E10value_typeET4_T5_PST_SU_PNS1_23onesweep_lookback_stateEbbT6_jjT7_P12ihipStream_tbENKUlT_T0_SI_SN_E_clISD_SD_SD_SD_EEDaS11_S12_SI_SN_EUlS11_E_NS1_11comp_targetILNS1_3genE9ELNS1_11target_archE1100ELNS1_3gpuE3ELNS1_3repE0EEENS1_47radix_sort_onesweep_sort_config_static_selectorELNS0_4arch9wavefront6targetE1EEEvSI_.num_vgpr, 0
	.set _ZN7rocprim17ROCPRIM_400000_NS6detail17trampoline_kernelINS0_14default_configENS1_35radix_sort_onesweep_config_selectorIiiEEZZNS1_29radix_sort_onesweep_iterationIS3_Lb0EN6thrust23THRUST_200600_302600_NS6detail15normal_iteratorINS8_10device_ptrIiEEEESD_SD_SD_jNS0_19identity_decomposerENS1_16block_id_wrapperIjLb0EEEEE10hipError_tT1_PNSt15iterator_traitsISI_E10value_typeET2_T3_PNSJ_ISO_E10value_typeET4_T5_PST_SU_PNS1_23onesweep_lookback_stateEbbT6_jjT7_P12ihipStream_tbENKUlT_T0_SI_SN_E_clISD_SD_SD_SD_EEDaS11_S12_SI_SN_EUlS11_E_NS1_11comp_targetILNS1_3genE9ELNS1_11target_archE1100ELNS1_3gpuE3ELNS1_3repE0EEENS1_47radix_sort_onesweep_sort_config_static_selectorELNS0_4arch9wavefront6targetE1EEEvSI_.num_agpr, 0
	.set _ZN7rocprim17ROCPRIM_400000_NS6detail17trampoline_kernelINS0_14default_configENS1_35radix_sort_onesweep_config_selectorIiiEEZZNS1_29radix_sort_onesweep_iterationIS3_Lb0EN6thrust23THRUST_200600_302600_NS6detail15normal_iteratorINS8_10device_ptrIiEEEESD_SD_SD_jNS0_19identity_decomposerENS1_16block_id_wrapperIjLb0EEEEE10hipError_tT1_PNSt15iterator_traitsISI_E10value_typeET2_T3_PNSJ_ISO_E10value_typeET4_T5_PST_SU_PNS1_23onesweep_lookback_stateEbbT6_jjT7_P12ihipStream_tbENKUlT_T0_SI_SN_E_clISD_SD_SD_SD_EEDaS11_S12_SI_SN_EUlS11_E_NS1_11comp_targetILNS1_3genE9ELNS1_11target_archE1100ELNS1_3gpuE3ELNS1_3repE0EEENS1_47radix_sort_onesweep_sort_config_static_selectorELNS0_4arch9wavefront6targetE1EEEvSI_.numbered_sgpr, 0
	.set _ZN7rocprim17ROCPRIM_400000_NS6detail17trampoline_kernelINS0_14default_configENS1_35radix_sort_onesweep_config_selectorIiiEEZZNS1_29radix_sort_onesweep_iterationIS3_Lb0EN6thrust23THRUST_200600_302600_NS6detail15normal_iteratorINS8_10device_ptrIiEEEESD_SD_SD_jNS0_19identity_decomposerENS1_16block_id_wrapperIjLb0EEEEE10hipError_tT1_PNSt15iterator_traitsISI_E10value_typeET2_T3_PNSJ_ISO_E10value_typeET4_T5_PST_SU_PNS1_23onesweep_lookback_stateEbbT6_jjT7_P12ihipStream_tbENKUlT_T0_SI_SN_E_clISD_SD_SD_SD_EEDaS11_S12_SI_SN_EUlS11_E_NS1_11comp_targetILNS1_3genE9ELNS1_11target_archE1100ELNS1_3gpuE3ELNS1_3repE0EEENS1_47radix_sort_onesweep_sort_config_static_selectorELNS0_4arch9wavefront6targetE1EEEvSI_.num_named_barrier, 0
	.set _ZN7rocprim17ROCPRIM_400000_NS6detail17trampoline_kernelINS0_14default_configENS1_35radix_sort_onesweep_config_selectorIiiEEZZNS1_29radix_sort_onesweep_iterationIS3_Lb0EN6thrust23THRUST_200600_302600_NS6detail15normal_iteratorINS8_10device_ptrIiEEEESD_SD_SD_jNS0_19identity_decomposerENS1_16block_id_wrapperIjLb0EEEEE10hipError_tT1_PNSt15iterator_traitsISI_E10value_typeET2_T3_PNSJ_ISO_E10value_typeET4_T5_PST_SU_PNS1_23onesweep_lookback_stateEbbT6_jjT7_P12ihipStream_tbENKUlT_T0_SI_SN_E_clISD_SD_SD_SD_EEDaS11_S12_SI_SN_EUlS11_E_NS1_11comp_targetILNS1_3genE9ELNS1_11target_archE1100ELNS1_3gpuE3ELNS1_3repE0EEENS1_47radix_sort_onesweep_sort_config_static_selectorELNS0_4arch9wavefront6targetE1EEEvSI_.private_seg_size, 0
	.set _ZN7rocprim17ROCPRIM_400000_NS6detail17trampoline_kernelINS0_14default_configENS1_35radix_sort_onesweep_config_selectorIiiEEZZNS1_29radix_sort_onesweep_iterationIS3_Lb0EN6thrust23THRUST_200600_302600_NS6detail15normal_iteratorINS8_10device_ptrIiEEEESD_SD_SD_jNS0_19identity_decomposerENS1_16block_id_wrapperIjLb0EEEEE10hipError_tT1_PNSt15iterator_traitsISI_E10value_typeET2_T3_PNSJ_ISO_E10value_typeET4_T5_PST_SU_PNS1_23onesweep_lookback_stateEbbT6_jjT7_P12ihipStream_tbENKUlT_T0_SI_SN_E_clISD_SD_SD_SD_EEDaS11_S12_SI_SN_EUlS11_E_NS1_11comp_targetILNS1_3genE9ELNS1_11target_archE1100ELNS1_3gpuE3ELNS1_3repE0EEENS1_47radix_sort_onesweep_sort_config_static_selectorELNS0_4arch9wavefront6targetE1EEEvSI_.uses_vcc, 0
	.set _ZN7rocprim17ROCPRIM_400000_NS6detail17trampoline_kernelINS0_14default_configENS1_35radix_sort_onesweep_config_selectorIiiEEZZNS1_29radix_sort_onesweep_iterationIS3_Lb0EN6thrust23THRUST_200600_302600_NS6detail15normal_iteratorINS8_10device_ptrIiEEEESD_SD_SD_jNS0_19identity_decomposerENS1_16block_id_wrapperIjLb0EEEEE10hipError_tT1_PNSt15iterator_traitsISI_E10value_typeET2_T3_PNSJ_ISO_E10value_typeET4_T5_PST_SU_PNS1_23onesweep_lookback_stateEbbT6_jjT7_P12ihipStream_tbENKUlT_T0_SI_SN_E_clISD_SD_SD_SD_EEDaS11_S12_SI_SN_EUlS11_E_NS1_11comp_targetILNS1_3genE9ELNS1_11target_archE1100ELNS1_3gpuE3ELNS1_3repE0EEENS1_47radix_sort_onesweep_sort_config_static_selectorELNS0_4arch9wavefront6targetE1EEEvSI_.uses_flat_scratch, 0
	.set _ZN7rocprim17ROCPRIM_400000_NS6detail17trampoline_kernelINS0_14default_configENS1_35radix_sort_onesweep_config_selectorIiiEEZZNS1_29radix_sort_onesweep_iterationIS3_Lb0EN6thrust23THRUST_200600_302600_NS6detail15normal_iteratorINS8_10device_ptrIiEEEESD_SD_SD_jNS0_19identity_decomposerENS1_16block_id_wrapperIjLb0EEEEE10hipError_tT1_PNSt15iterator_traitsISI_E10value_typeET2_T3_PNSJ_ISO_E10value_typeET4_T5_PST_SU_PNS1_23onesweep_lookback_stateEbbT6_jjT7_P12ihipStream_tbENKUlT_T0_SI_SN_E_clISD_SD_SD_SD_EEDaS11_S12_SI_SN_EUlS11_E_NS1_11comp_targetILNS1_3genE9ELNS1_11target_archE1100ELNS1_3gpuE3ELNS1_3repE0EEENS1_47radix_sort_onesweep_sort_config_static_selectorELNS0_4arch9wavefront6targetE1EEEvSI_.has_dyn_sized_stack, 0
	.set _ZN7rocprim17ROCPRIM_400000_NS6detail17trampoline_kernelINS0_14default_configENS1_35radix_sort_onesweep_config_selectorIiiEEZZNS1_29radix_sort_onesweep_iterationIS3_Lb0EN6thrust23THRUST_200600_302600_NS6detail15normal_iteratorINS8_10device_ptrIiEEEESD_SD_SD_jNS0_19identity_decomposerENS1_16block_id_wrapperIjLb0EEEEE10hipError_tT1_PNSt15iterator_traitsISI_E10value_typeET2_T3_PNSJ_ISO_E10value_typeET4_T5_PST_SU_PNS1_23onesweep_lookback_stateEbbT6_jjT7_P12ihipStream_tbENKUlT_T0_SI_SN_E_clISD_SD_SD_SD_EEDaS11_S12_SI_SN_EUlS11_E_NS1_11comp_targetILNS1_3genE9ELNS1_11target_archE1100ELNS1_3gpuE3ELNS1_3repE0EEENS1_47radix_sort_onesweep_sort_config_static_selectorELNS0_4arch9wavefront6targetE1EEEvSI_.has_recursion, 0
	.set _ZN7rocprim17ROCPRIM_400000_NS6detail17trampoline_kernelINS0_14default_configENS1_35radix_sort_onesweep_config_selectorIiiEEZZNS1_29radix_sort_onesweep_iterationIS3_Lb0EN6thrust23THRUST_200600_302600_NS6detail15normal_iteratorINS8_10device_ptrIiEEEESD_SD_SD_jNS0_19identity_decomposerENS1_16block_id_wrapperIjLb0EEEEE10hipError_tT1_PNSt15iterator_traitsISI_E10value_typeET2_T3_PNSJ_ISO_E10value_typeET4_T5_PST_SU_PNS1_23onesweep_lookback_stateEbbT6_jjT7_P12ihipStream_tbENKUlT_T0_SI_SN_E_clISD_SD_SD_SD_EEDaS11_S12_SI_SN_EUlS11_E_NS1_11comp_targetILNS1_3genE9ELNS1_11target_archE1100ELNS1_3gpuE3ELNS1_3repE0EEENS1_47radix_sort_onesweep_sort_config_static_selectorELNS0_4arch9wavefront6targetE1EEEvSI_.has_indirect_call, 0
	.section	.AMDGPU.csdata,"",@progbits
; Kernel info:
; codeLenInByte = 0
; TotalNumSgprs: 6
; NumVgprs: 0
; NumAgprs: 0
; TotalNumVgprs: 0
; ScratchSize: 0
; MemoryBound: 0
; FloatMode: 240
; IeeeMode: 1
; LDSByteSize: 0 bytes/workgroup (compile time only)
; SGPRBlocks: 0
; VGPRBlocks: 0
; NumSGPRsForWavesPerEU: 6
; NumVGPRsForWavesPerEU: 1
; AccumOffset: 4
; Occupancy: 8
; WaveLimiterHint : 0
; COMPUTE_PGM_RSRC2:SCRATCH_EN: 0
; COMPUTE_PGM_RSRC2:USER_SGPR: 2
; COMPUTE_PGM_RSRC2:TRAP_HANDLER: 0
; COMPUTE_PGM_RSRC2:TGID_X_EN: 1
; COMPUTE_PGM_RSRC2:TGID_Y_EN: 0
; COMPUTE_PGM_RSRC2:TGID_Z_EN: 0
; COMPUTE_PGM_RSRC2:TIDIG_COMP_CNT: 0
; COMPUTE_PGM_RSRC3_GFX90A:ACCUM_OFFSET: 0
; COMPUTE_PGM_RSRC3_GFX90A:TG_SPLIT: 0
	.section	.text._ZN7rocprim17ROCPRIM_400000_NS6detail17trampoline_kernelINS0_14default_configENS1_35radix_sort_onesweep_config_selectorIiiEEZZNS1_29radix_sort_onesweep_iterationIS3_Lb0EN6thrust23THRUST_200600_302600_NS6detail15normal_iteratorINS8_10device_ptrIiEEEESD_SD_SD_jNS0_19identity_decomposerENS1_16block_id_wrapperIjLb0EEEEE10hipError_tT1_PNSt15iterator_traitsISI_E10value_typeET2_T3_PNSJ_ISO_E10value_typeET4_T5_PST_SU_PNS1_23onesweep_lookback_stateEbbT6_jjT7_P12ihipStream_tbENKUlT_T0_SI_SN_E_clISD_SD_SD_SD_EEDaS11_S12_SI_SN_EUlS11_E_NS1_11comp_targetILNS1_3genE8ELNS1_11target_archE1030ELNS1_3gpuE2ELNS1_3repE0EEENS1_47radix_sort_onesweep_sort_config_static_selectorELNS0_4arch9wavefront6targetE1EEEvSI_,"axG",@progbits,_ZN7rocprim17ROCPRIM_400000_NS6detail17trampoline_kernelINS0_14default_configENS1_35radix_sort_onesweep_config_selectorIiiEEZZNS1_29radix_sort_onesweep_iterationIS3_Lb0EN6thrust23THRUST_200600_302600_NS6detail15normal_iteratorINS8_10device_ptrIiEEEESD_SD_SD_jNS0_19identity_decomposerENS1_16block_id_wrapperIjLb0EEEEE10hipError_tT1_PNSt15iterator_traitsISI_E10value_typeET2_T3_PNSJ_ISO_E10value_typeET4_T5_PST_SU_PNS1_23onesweep_lookback_stateEbbT6_jjT7_P12ihipStream_tbENKUlT_T0_SI_SN_E_clISD_SD_SD_SD_EEDaS11_S12_SI_SN_EUlS11_E_NS1_11comp_targetILNS1_3genE8ELNS1_11target_archE1030ELNS1_3gpuE2ELNS1_3repE0EEENS1_47radix_sort_onesweep_sort_config_static_selectorELNS0_4arch9wavefront6targetE1EEEvSI_,comdat
	.protected	_ZN7rocprim17ROCPRIM_400000_NS6detail17trampoline_kernelINS0_14default_configENS1_35radix_sort_onesweep_config_selectorIiiEEZZNS1_29radix_sort_onesweep_iterationIS3_Lb0EN6thrust23THRUST_200600_302600_NS6detail15normal_iteratorINS8_10device_ptrIiEEEESD_SD_SD_jNS0_19identity_decomposerENS1_16block_id_wrapperIjLb0EEEEE10hipError_tT1_PNSt15iterator_traitsISI_E10value_typeET2_T3_PNSJ_ISO_E10value_typeET4_T5_PST_SU_PNS1_23onesweep_lookback_stateEbbT6_jjT7_P12ihipStream_tbENKUlT_T0_SI_SN_E_clISD_SD_SD_SD_EEDaS11_S12_SI_SN_EUlS11_E_NS1_11comp_targetILNS1_3genE8ELNS1_11target_archE1030ELNS1_3gpuE2ELNS1_3repE0EEENS1_47radix_sort_onesweep_sort_config_static_selectorELNS0_4arch9wavefront6targetE1EEEvSI_ ; -- Begin function _ZN7rocprim17ROCPRIM_400000_NS6detail17trampoline_kernelINS0_14default_configENS1_35radix_sort_onesweep_config_selectorIiiEEZZNS1_29radix_sort_onesweep_iterationIS3_Lb0EN6thrust23THRUST_200600_302600_NS6detail15normal_iteratorINS8_10device_ptrIiEEEESD_SD_SD_jNS0_19identity_decomposerENS1_16block_id_wrapperIjLb0EEEEE10hipError_tT1_PNSt15iterator_traitsISI_E10value_typeET2_T3_PNSJ_ISO_E10value_typeET4_T5_PST_SU_PNS1_23onesweep_lookback_stateEbbT6_jjT7_P12ihipStream_tbENKUlT_T0_SI_SN_E_clISD_SD_SD_SD_EEDaS11_S12_SI_SN_EUlS11_E_NS1_11comp_targetILNS1_3genE8ELNS1_11target_archE1030ELNS1_3gpuE2ELNS1_3repE0EEENS1_47radix_sort_onesweep_sort_config_static_selectorELNS0_4arch9wavefront6targetE1EEEvSI_
	.globl	_ZN7rocprim17ROCPRIM_400000_NS6detail17trampoline_kernelINS0_14default_configENS1_35radix_sort_onesweep_config_selectorIiiEEZZNS1_29radix_sort_onesweep_iterationIS3_Lb0EN6thrust23THRUST_200600_302600_NS6detail15normal_iteratorINS8_10device_ptrIiEEEESD_SD_SD_jNS0_19identity_decomposerENS1_16block_id_wrapperIjLb0EEEEE10hipError_tT1_PNSt15iterator_traitsISI_E10value_typeET2_T3_PNSJ_ISO_E10value_typeET4_T5_PST_SU_PNS1_23onesweep_lookback_stateEbbT6_jjT7_P12ihipStream_tbENKUlT_T0_SI_SN_E_clISD_SD_SD_SD_EEDaS11_S12_SI_SN_EUlS11_E_NS1_11comp_targetILNS1_3genE8ELNS1_11target_archE1030ELNS1_3gpuE2ELNS1_3repE0EEENS1_47radix_sort_onesweep_sort_config_static_selectorELNS0_4arch9wavefront6targetE1EEEvSI_
	.p2align	8
	.type	_ZN7rocprim17ROCPRIM_400000_NS6detail17trampoline_kernelINS0_14default_configENS1_35radix_sort_onesweep_config_selectorIiiEEZZNS1_29radix_sort_onesweep_iterationIS3_Lb0EN6thrust23THRUST_200600_302600_NS6detail15normal_iteratorINS8_10device_ptrIiEEEESD_SD_SD_jNS0_19identity_decomposerENS1_16block_id_wrapperIjLb0EEEEE10hipError_tT1_PNSt15iterator_traitsISI_E10value_typeET2_T3_PNSJ_ISO_E10value_typeET4_T5_PST_SU_PNS1_23onesweep_lookback_stateEbbT6_jjT7_P12ihipStream_tbENKUlT_T0_SI_SN_E_clISD_SD_SD_SD_EEDaS11_S12_SI_SN_EUlS11_E_NS1_11comp_targetILNS1_3genE8ELNS1_11target_archE1030ELNS1_3gpuE2ELNS1_3repE0EEENS1_47radix_sort_onesweep_sort_config_static_selectorELNS0_4arch9wavefront6targetE1EEEvSI_,@function
_ZN7rocprim17ROCPRIM_400000_NS6detail17trampoline_kernelINS0_14default_configENS1_35radix_sort_onesweep_config_selectorIiiEEZZNS1_29radix_sort_onesweep_iterationIS3_Lb0EN6thrust23THRUST_200600_302600_NS6detail15normal_iteratorINS8_10device_ptrIiEEEESD_SD_SD_jNS0_19identity_decomposerENS1_16block_id_wrapperIjLb0EEEEE10hipError_tT1_PNSt15iterator_traitsISI_E10value_typeET2_T3_PNSJ_ISO_E10value_typeET4_T5_PST_SU_PNS1_23onesweep_lookback_stateEbbT6_jjT7_P12ihipStream_tbENKUlT_T0_SI_SN_E_clISD_SD_SD_SD_EEDaS11_S12_SI_SN_EUlS11_E_NS1_11comp_targetILNS1_3genE8ELNS1_11target_archE1030ELNS1_3gpuE2ELNS1_3repE0EEENS1_47radix_sort_onesweep_sort_config_static_selectorELNS0_4arch9wavefront6targetE1EEEvSI_: ; @_ZN7rocprim17ROCPRIM_400000_NS6detail17trampoline_kernelINS0_14default_configENS1_35radix_sort_onesweep_config_selectorIiiEEZZNS1_29radix_sort_onesweep_iterationIS3_Lb0EN6thrust23THRUST_200600_302600_NS6detail15normal_iteratorINS8_10device_ptrIiEEEESD_SD_SD_jNS0_19identity_decomposerENS1_16block_id_wrapperIjLb0EEEEE10hipError_tT1_PNSt15iterator_traitsISI_E10value_typeET2_T3_PNSJ_ISO_E10value_typeET4_T5_PST_SU_PNS1_23onesweep_lookback_stateEbbT6_jjT7_P12ihipStream_tbENKUlT_T0_SI_SN_E_clISD_SD_SD_SD_EEDaS11_S12_SI_SN_EUlS11_E_NS1_11comp_targetILNS1_3genE8ELNS1_11target_archE1030ELNS1_3gpuE2ELNS1_3repE0EEENS1_47radix_sort_onesweep_sort_config_static_selectorELNS0_4arch9wavefront6targetE1EEEvSI_
; %bb.0:
	.section	.rodata,"a",@progbits
	.p2align	6, 0x0
	.amdhsa_kernel _ZN7rocprim17ROCPRIM_400000_NS6detail17trampoline_kernelINS0_14default_configENS1_35radix_sort_onesweep_config_selectorIiiEEZZNS1_29radix_sort_onesweep_iterationIS3_Lb0EN6thrust23THRUST_200600_302600_NS6detail15normal_iteratorINS8_10device_ptrIiEEEESD_SD_SD_jNS0_19identity_decomposerENS1_16block_id_wrapperIjLb0EEEEE10hipError_tT1_PNSt15iterator_traitsISI_E10value_typeET2_T3_PNSJ_ISO_E10value_typeET4_T5_PST_SU_PNS1_23onesweep_lookback_stateEbbT6_jjT7_P12ihipStream_tbENKUlT_T0_SI_SN_E_clISD_SD_SD_SD_EEDaS11_S12_SI_SN_EUlS11_E_NS1_11comp_targetILNS1_3genE8ELNS1_11target_archE1030ELNS1_3gpuE2ELNS1_3repE0EEENS1_47radix_sort_onesweep_sort_config_static_selectorELNS0_4arch9wavefront6targetE1EEEvSI_
		.amdhsa_group_segment_fixed_size 0
		.amdhsa_private_segment_fixed_size 0
		.amdhsa_kernarg_size 88
		.amdhsa_user_sgpr_count 2
		.amdhsa_user_sgpr_dispatch_ptr 0
		.amdhsa_user_sgpr_queue_ptr 0
		.amdhsa_user_sgpr_kernarg_segment_ptr 1
		.amdhsa_user_sgpr_dispatch_id 0
		.amdhsa_user_sgpr_kernarg_preload_length 0
		.amdhsa_user_sgpr_kernarg_preload_offset 0
		.amdhsa_user_sgpr_private_segment_size 0
		.amdhsa_uses_dynamic_stack 0
		.amdhsa_enable_private_segment 0
		.amdhsa_system_sgpr_workgroup_id_x 1
		.amdhsa_system_sgpr_workgroup_id_y 0
		.amdhsa_system_sgpr_workgroup_id_z 0
		.amdhsa_system_sgpr_workgroup_info 0
		.amdhsa_system_vgpr_workitem_id 0
		.amdhsa_next_free_vgpr 1
		.amdhsa_next_free_sgpr 0
		.amdhsa_accum_offset 4
		.amdhsa_reserve_vcc 0
		.amdhsa_float_round_mode_32 0
		.amdhsa_float_round_mode_16_64 0
		.amdhsa_float_denorm_mode_32 3
		.amdhsa_float_denorm_mode_16_64 3
		.amdhsa_dx10_clamp 1
		.amdhsa_ieee_mode 1
		.amdhsa_fp16_overflow 0
		.amdhsa_tg_split 0
		.amdhsa_exception_fp_ieee_invalid_op 0
		.amdhsa_exception_fp_denorm_src 0
		.amdhsa_exception_fp_ieee_div_zero 0
		.amdhsa_exception_fp_ieee_overflow 0
		.amdhsa_exception_fp_ieee_underflow 0
		.amdhsa_exception_fp_ieee_inexact 0
		.amdhsa_exception_int_div_zero 0
	.end_amdhsa_kernel
	.section	.text._ZN7rocprim17ROCPRIM_400000_NS6detail17trampoline_kernelINS0_14default_configENS1_35radix_sort_onesweep_config_selectorIiiEEZZNS1_29radix_sort_onesweep_iterationIS3_Lb0EN6thrust23THRUST_200600_302600_NS6detail15normal_iteratorINS8_10device_ptrIiEEEESD_SD_SD_jNS0_19identity_decomposerENS1_16block_id_wrapperIjLb0EEEEE10hipError_tT1_PNSt15iterator_traitsISI_E10value_typeET2_T3_PNSJ_ISO_E10value_typeET4_T5_PST_SU_PNS1_23onesweep_lookback_stateEbbT6_jjT7_P12ihipStream_tbENKUlT_T0_SI_SN_E_clISD_SD_SD_SD_EEDaS11_S12_SI_SN_EUlS11_E_NS1_11comp_targetILNS1_3genE8ELNS1_11target_archE1030ELNS1_3gpuE2ELNS1_3repE0EEENS1_47radix_sort_onesweep_sort_config_static_selectorELNS0_4arch9wavefront6targetE1EEEvSI_,"axG",@progbits,_ZN7rocprim17ROCPRIM_400000_NS6detail17trampoline_kernelINS0_14default_configENS1_35radix_sort_onesweep_config_selectorIiiEEZZNS1_29radix_sort_onesweep_iterationIS3_Lb0EN6thrust23THRUST_200600_302600_NS6detail15normal_iteratorINS8_10device_ptrIiEEEESD_SD_SD_jNS0_19identity_decomposerENS1_16block_id_wrapperIjLb0EEEEE10hipError_tT1_PNSt15iterator_traitsISI_E10value_typeET2_T3_PNSJ_ISO_E10value_typeET4_T5_PST_SU_PNS1_23onesweep_lookback_stateEbbT6_jjT7_P12ihipStream_tbENKUlT_T0_SI_SN_E_clISD_SD_SD_SD_EEDaS11_S12_SI_SN_EUlS11_E_NS1_11comp_targetILNS1_3genE8ELNS1_11target_archE1030ELNS1_3gpuE2ELNS1_3repE0EEENS1_47radix_sort_onesweep_sort_config_static_selectorELNS0_4arch9wavefront6targetE1EEEvSI_,comdat
.Lfunc_end857:
	.size	_ZN7rocprim17ROCPRIM_400000_NS6detail17trampoline_kernelINS0_14default_configENS1_35radix_sort_onesweep_config_selectorIiiEEZZNS1_29radix_sort_onesweep_iterationIS3_Lb0EN6thrust23THRUST_200600_302600_NS6detail15normal_iteratorINS8_10device_ptrIiEEEESD_SD_SD_jNS0_19identity_decomposerENS1_16block_id_wrapperIjLb0EEEEE10hipError_tT1_PNSt15iterator_traitsISI_E10value_typeET2_T3_PNSJ_ISO_E10value_typeET4_T5_PST_SU_PNS1_23onesweep_lookback_stateEbbT6_jjT7_P12ihipStream_tbENKUlT_T0_SI_SN_E_clISD_SD_SD_SD_EEDaS11_S12_SI_SN_EUlS11_E_NS1_11comp_targetILNS1_3genE8ELNS1_11target_archE1030ELNS1_3gpuE2ELNS1_3repE0EEENS1_47radix_sort_onesweep_sort_config_static_selectorELNS0_4arch9wavefront6targetE1EEEvSI_, .Lfunc_end857-_ZN7rocprim17ROCPRIM_400000_NS6detail17trampoline_kernelINS0_14default_configENS1_35radix_sort_onesweep_config_selectorIiiEEZZNS1_29radix_sort_onesweep_iterationIS3_Lb0EN6thrust23THRUST_200600_302600_NS6detail15normal_iteratorINS8_10device_ptrIiEEEESD_SD_SD_jNS0_19identity_decomposerENS1_16block_id_wrapperIjLb0EEEEE10hipError_tT1_PNSt15iterator_traitsISI_E10value_typeET2_T3_PNSJ_ISO_E10value_typeET4_T5_PST_SU_PNS1_23onesweep_lookback_stateEbbT6_jjT7_P12ihipStream_tbENKUlT_T0_SI_SN_E_clISD_SD_SD_SD_EEDaS11_S12_SI_SN_EUlS11_E_NS1_11comp_targetILNS1_3genE8ELNS1_11target_archE1030ELNS1_3gpuE2ELNS1_3repE0EEENS1_47radix_sort_onesweep_sort_config_static_selectorELNS0_4arch9wavefront6targetE1EEEvSI_
                                        ; -- End function
	.set _ZN7rocprim17ROCPRIM_400000_NS6detail17trampoline_kernelINS0_14default_configENS1_35radix_sort_onesweep_config_selectorIiiEEZZNS1_29radix_sort_onesweep_iterationIS3_Lb0EN6thrust23THRUST_200600_302600_NS6detail15normal_iteratorINS8_10device_ptrIiEEEESD_SD_SD_jNS0_19identity_decomposerENS1_16block_id_wrapperIjLb0EEEEE10hipError_tT1_PNSt15iterator_traitsISI_E10value_typeET2_T3_PNSJ_ISO_E10value_typeET4_T5_PST_SU_PNS1_23onesweep_lookback_stateEbbT6_jjT7_P12ihipStream_tbENKUlT_T0_SI_SN_E_clISD_SD_SD_SD_EEDaS11_S12_SI_SN_EUlS11_E_NS1_11comp_targetILNS1_3genE8ELNS1_11target_archE1030ELNS1_3gpuE2ELNS1_3repE0EEENS1_47radix_sort_onesweep_sort_config_static_selectorELNS0_4arch9wavefront6targetE1EEEvSI_.num_vgpr, 0
	.set _ZN7rocprim17ROCPRIM_400000_NS6detail17trampoline_kernelINS0_14default_configENS1_35radix_sort_onesweep_config_selectorIiiEEZZNS1_29radix_sort_onesweep_iterationIS3_Lb0EN6thrust23THRUST_200600_302600_NS6detail15normal_iteratorINS8_10device_ptrIiEEEESD_SD_SD_jNS0_19identity_decomposerENS1_16block_id_wrapperIjLb0EEEEE10hipError_tT1_PNSt15iterator_traitsISI_E10value_typeET2_T3_PNSJ_ISO_E10value_typeET4_T5_PST_SU_PNS1_23onesweep_lookback_stateEbbT6_jjT7_P12ihipStream_tbENKUlT_T0_SI_SN_E_clISD_SD_SD_SD_EEDaS11_S12_SI_SN_EUlS11_E_NS1_11comp_targetILNS1_3genE8ELNS1_11target_archE1030ELNS1_3gpuE2ELNS1_3repE0EEENS1_47radix_sort_onesweep_sort_config_static_selectorELNS0_4arch9wavefront6targetE1EEEvSI_.num_agpr, 0
	.set _ZN7rocprim17ROCPRIM_400000_NS6detail17trampoline_kernelINS0_14default_configENS1_35radix_sort_onesweep_config_selectorIiiEEZZNS1_29radix_sort_onesweep_iterationIS3_Lb0EN6thrust23THRUST_200600_302600_NS6detail15normal_iteratorINS8_10device_ptrIiEEEESD_SD_SD_jNS0_19identity_decomposerENS1_16block_id_wrapperIjLb0EEEEE10hipError_tT1_PNSt15iterator_traitsISI_E10value_typeET2_T3_PNSJ_ISO_E10value_typeET4_T5_PST_SU_PNS1_23onesweep_lookback_stateEbbT6_jjT7_P12ihipStream_tbENKUlT_T0_SI_SN_E_clISD_SD_SD_SD_EEDaS11_S12_SI_SN_EUlS11_E_NS1_11comp_targetILNS1_3genE8ELNS1_11target_archE1030ELNS1_3gpuE2ELNS1_3repE0EEENS1_47radix_sort_onesweep_sort_config_static_selectorELNS0_4arch9wavefront6targetE1EEEvSI_.numbered_sgpr, 0
	.set _ZN7rocprim17ROCPRIM_400000_NS6detail17trampoline_kernelINS0_14default_configENS1_35radix_sort_onesweep_config_selectorIiiEEZZNS1_29radix_sort_onesweep_iterationIS3_Lb0EN6thrust23THRUST_200600_302600_NS6detail15normal_iteratorINS8_10device_ptrIiEEEESD_SD_SD_jNS0_19identity_decomposerENS1_16block_id_wrapperIjLb0EEEEE10hipError_tT1_PNSt15iterator_traitsISI_E10value_typeET2_T3_PNSJ_ISO_E10value_typeET4_T5_PST_SU_PNS1_23onesweep_lookback_stateEbbT6_jjT7_P12ihipStream_tbENKUlT_T0_SI_SN_E_clISD_SD_SD_SD_EEDaS11_S12_SI_SN_EUlS11_E_NS1_11comp_targetILNS1_3genE8ELNS1_11target_archE1030ELNS1_3gpuE2ELNS1_3repE0EEENS1_47radix_sort_onesweep_sort_config_static_selectorELNS0_4arch9wavefront6targetE1EEEvSI_.num_named_barrier, 0
	.set _ZN7rocprim17ROCPRIM_400000_NS6detail17trampoline_kernelINS0_14default_configENS1_35radix_sort_onesweep_config_selectorIiiEEZZNS1_29radix_sort_onesweep_iterationIS3_Lb0EN6thrust23THRUST_200600_302600_NS6detail15normal_iteratorINS8_10device_ptrIiEEEESD_SD_SD_jNS0_19identity_decomposerENS1_16block_id_wrapperIjLb0EEEEE10hipError_tT1_PNSt15iterator_traitsISI_E10value_typeET2_T3_PNSJ_ISO_E10value_typeET4_T5_PST_SU_PNS1_23onesweep_lookback_stateEbbT6_jjT7_P12ihipStream_tbENKUlT_T0_SI_SN_E_clISD_SD_SD_SD_EEDaS11_S12_SI_SN_EUlS11_E_NS1_11comp_targetILNS1_3genE8ELNS1_11target_archE1030ELNS1_3gpuE2ELNS1_3repE0EEENS1_47radix_sort_onesweep_sort_config_static_selectorELNS0_4arch9wavefront6targetE1EEEvSI_.private_seg_size, 0
	.set _ZN7rocprim17ROCPRIM_400000_NS6detail17trampoline_kernelINS0_14default_configENS1_35radix_sort_onesweep_config_selectorIiiEEZZNS1_29radix_sort_onesweep_iterationIS3_Lb0EN6thrust23THRUST_200600_302600_NS6detail15normal_iteratorINS8_10device_ptrIiEEEESD_SD_SD_jNS0_19identity_decomposerENS1_16block_id_wrapperIjLb0EEEEE10hipError_tT1_PNSt15iterator_traitsISI_E10value_typeET2_T3_PNSJ_ISO_E10value_typeET4_T5_PST_SU_PNS1_23onesweep_lookback_stateEbbT6_jjT7_P12ihipStream_tbENKUlT_T0_SI_SN_E_clISD_SD_SD_SD_EEDaS11_S12_SI_SN_EUlS11_E_NS1_11comp_targetILNS1_3genE8ELNS1_11target_archE1030ELNS1_3gpuE2ELNS1_3repE0EEENS1_47radix_sort_onesweep_sort_config_static_selectorELNS0_4arch9wavefront6targetE1EEEvSI_.uses_vcc, 0
	.set _ZN7rocprim17ROCPRIM_400000_NS6detail17trampoline_kernelINS0_14default_configENS1_35radix_sort_onesweep_config_selectorIiiEEZZNS1_29radix_sort_onesweep_iterationIS3_Lb0EN6thrust23THRUST_200600_302600_NS6detail15normal_iteratorINS8_10device_ptrIiEEEESD_SD_SD_jNS0_19identity_decomposerENS1_16block_id_wrapperIjLb0EEEEE10hipError_tT1_PNSt15iterator_traitsISI_E10value_typeET2_T3_PNSJ_ISO_E10value_typeET4_T5_PST_SU_PNS1_23onesweep_lookback_stateEbbT6_jjT7_P12ihipStream_tbENKUlT_T0_SI_SN_E_clISD_SD_SD_SD_EEDaS11_S12_SI_SN_EUlS11_E_NS1_11comp_targetILNS1_3genE8ELNS1_11target_archE1030ELNS1_3gpuE2ELNS1_3repE0EEENS1_47radix_sort_onesweep_sort_config_static_selectorELNS0_4arch9wavefront6targetE1EEEvSI_.uses_flat_scratch, 0
	.set _ZN7rocprim17ROCPRIM_400000_NS6detail17trampoline_kernelINS0_14default_configENS1_35radix_sort_onesweep_config_selectorIiiEEZZNS1_29radix_sort_onesweep_iterationIS3_Lb0EN6thrust23THRUST_200600_302600_NS6detail15normal_iteratorINS8_10device_ptrIiEEEESD_SD_SD_jNS0_19identity_decomposerENS1_16block_id_wrapperIjLb0EEEEE10hipError_tT1_PNSt15iterator_traitsISI_E10value_typeET2_T3_PNSJ_ISO_E10value_typeET4_T5_PST_SU_PNS1_23onesweep_lookback_stateEbbT6_jjT7_P12ihipStream_tbENKUlT_T0_SI_SN_E_clISD_SD_SD_SD_EEDaS11_S12_SI_SN_EUlS11_E_NS1_11comp_targetILNS1_3genE8ELNS1_11target_archE1030ELNS1_3gpuE2ELNS1_3repE0EEENS1_47radix_sort_onesweep_sort_config_static_selectorELNS0_4arch9wavefront6targetE1EEEvSI_.has_dyn_sized_stack, 0
	.set _ZN7rocprim17ROCPRIM_400000_NS6detail17trampoline_kernelINS0_14default_configENS1_35radix_sort_onesweep_config_selectorIiiEEZZNS1_29radix_sort_onesweep_iterationIS3_Lb0EN6thrust23THRUST_200600_302600_NS6detail15normal_iteratorINS8_10device_ptrIiEEEESD_SD_SD_jNS0_19identity_decomposerENS1_16block_id_wrapperIjLb0EEEEE10hipError_tT1_PNSt15iterator_traitsISI_E10value_typeET2_T3_PNSJ_ISO_E10value_typeET4_T5_PST_SU_PNS1_23onesweep_lookback_stateEbbT6_jjT7_P12ihipStream_tbENKUlT_T0_SI_SN_E_clISD_SD_SD_SD_EEDaS11_S12_SI_SN_EUlS11_E_NS1_11comp_targetILNS1_3genE8ELNS1_11target_archE1030ELNS1_3gpuE2ELNS1_3repE0EEENS1_47radix_sort_onesweep_sort_config_static_selectorELNS0_4arch9wavefront6targetE1EEEvSI_.has_recursion, 0
	.set _ZN7rocprim17ROCPRIM_400000_NS6detail17trampoline_kernelINS0_14default_configENS1_35radix_sort_onesweep_config_selectorIiiEEZZNS1_29radix_sort_onesweep_iterationIS3_Lb0EN6thrust23THRUST_200600_302600_NS6detail15normal_iteratorINS8_10device_ptrIiEEEESD_SD_SD_jNS0_19identity_decomposerENS1_16block_id_wrapperIjLb0EEEEE10hipError_tT1_PNSt15iterator_traitsISI_E10value_typeET2_T3_PNSJ_ISO_E10value_typeET4_T5_PST_SU_PNS1_23onesweep_lookback_stateEbbT6_jjT7_P12ihipStream_tbENKUlT_T0_SI_SN_E_clISD_SD_SD_SD_EEDaS11_S12_SI_SN_EUlS11_E_NS1_11comp_targetILNS1_3genE8ELNS1_11target_archE1030ELNS1_3gpuE2ELNS1_3repE0EEENS1_47radix_sort_onesweep_sort_config_static_selectorELNS0_4arch9wavefront6targetE1EEEvSI_.has_indirect_call, 0
	.section	.AMDGPU.csdata,"",@progbits
; Kernel info:
; codeLenInByte = 0
; TotalNumSgprs: 6
; NumVgprs: 0
; NumAgprs: 0
; TotalNumVgprs: 0
; ScratchSize: 0
; MemoryBound: 0
; FloatMode: 240
; IeeeMode: 1
; LDSByteSize: 0 bytes/workgroup (compile time only)
; SGPRBlocks: 0
; VGPRBlocks: 0
; NumSGPRsForWavesPerEU: 6
; NumVGPRsForWavesPerEU: 1
; AccumOffset: 4
; Occupancy: 8
; WaveLimiterHint : 0
; COMPUTE_PGM_RSRC2:SCRATCH_EN: 0
; COMPUTE_PGM_RSRC2:USER_SGPR: 2
; COMPUTE_PGM_RSRC2:TRAP_HANDLER: 0
; COMPUTE_PGM_RSRC2:TGID_X_EN: 1
; COMPUTE_PGM_RSRC2:TGID_Y_EN: 0
; COMPUTE_PGM_RSRC2:TGID_Z_EN: 0
; COMPUTE_PGM_RSRC2:TIDIG_COMP_CNT: 0
; COMPUTE_PGM_RSRC3_GFX90A:ACCUM_OFFSET: 0
; COMPUTE_PGM_RSRC3_GFX90A:TG_SPLIT: 0
	.section	.text._ZN7rocprim17ROCPRIM_400000_NS6detail17trampoline_kernelINS0_14default_configENS1_35radix_sort_onesweep_config_selectorIiiEEZZNS1_29radix_sort_onesweep_iterationIS3_Lb0EN6thrust23THRUST_200600_302600_NS6detail15normal_iteratorINS8_10device_ptrIiEEEESD_SD_SD_jNS0_19identity_decomposerENS1_16block_id_wrapperIjLb0EEEEE10hipError_tT1_PNSt15iterator_traitsISI_E10value_typeET2_T3_PNSJ_ISO_E10value_typeET4_T5_PST_SU_PNS1_23onesweep_lookback_stateEbbT6_jjT7_P12ihipStream_tbENKUlT_T0_SI_SN_E_clISD_PiSD_S15_EEDaS11_S12_SI_SN_EUlS11_E_NS1_11comp_targetILNS1_3genE0ELNS1_11target_archE4294967295ELNS1_3gpuE0ELNS1_3repE0EEENS1_47radix_sort_onesweep_sort_config_static_selectorELNS0_4arch9wavefront6targetE1EEEvSI_,"axG",@progbits,_ZN7rocprim17ROCPRIM_400000_NS6detail17trampoline_kernelINS0_14default_configENS1_35radix_sort_onesweep_config_selectorIiiEEZZNS1_29radix_sort_onesweep_iterationIS3_Lb0EN6thrust23THRUST_200600_302600_NS6detail15normal_iteratorINS8_10device_ptrIiEEEESD_SD_SD_jNS0_19identity_decomposerENS1_16block_id_wrapperIjLb0EEEEE10hipError_tT1_PNSt15iterator_traitsISI_E10value_typeET2_T3_PNSJ_ISO_E10value_typeET4_T5_PST_SU_PNS1_23onesweep_lookback_stateEbbT6_jjT7_P12ihipStream_tbENKUlT_T0_SI_SN_E_clISD_PiSD_S15_EEDaS11_S12_SI_SN_EUlS11_E_NS1_11comp_targetILNS1_3genE0ELNS1_11target_archE4294967295ELNS1_3gpuE0ELNS1_3repE0EEENS1_47radix_sort_onesweep_sort_config_static_selectorELNS0_4arch9wavefront6targetE1EEEvSI_,comdat
	.protected	_ZN7rocprim17ROCPRIM_400000_NS6detail17trampoline_kernelINS0_14default_configENS1_35radix_sort_onesweep_config_selectorIiiEEZZNS1_29radix_sort_onesweep_iterationIS3_Lb0EN6thrust23THRUST_200600_302600_NS6detail15normal_iteratorINS8_10device_ptrIiEEEESD_SD_SD_jNS0_19identity_decomposerENS1_16block_id_wrapperIjLb0EEEEE10hipError_tT1_PNSt15iterator_traitsISI_E10value_typeET2_T3_PNSJ_ISO_E10value_typeET4_T5_PST_SU_PNS1_23onesweep_lookback_stateEbbT6_jjT7_P12ihipStream_tbENKUlT_T0_SI_SN_E_clISD_PiSD_S15_EEDaS11_S12_SI_SN_EUlS11_E_NS1_11comp_targetILNS1_3genE0ELNS1_11target_archE4294967295ELNS1_3gpuE0ELNS1_3repE0EEENS1_47radix_sort_onesweep_sort_config_static_selectorELNS0_4arch9wavefront6targetE1EEEvSI_ ; -- Begin function _ZN7rocprim17ROCPRIM_400000_NS6detail17trampoline_kernelINS0_14default_configENS1_35radix_sort_onesweep_config_selectorIiiEEZZNS1_29radix_sort_onesweep_iterationIS3_Lb0EN6thrust23THRUST_200600_302600_NS6detail15normal_iteratorINS8_10device_ptrIiEEEESD_SD_SD_jNS0_19identity_decomposerENS1_16block_id_wrapperIjLb0EEEEE10hipError_tT1_PNSt15iterator_traitsISI_E10value_typeET2_T3_PNSJ_ISO_E10value_typeET4_T5_PST_SU_PNS1_23onesweep_lookback_stateEbbT6_jjT7_P12ihipStream_tbENKUlT_T0_SI_SN_E_clISD_PiSD_S15_EEDaS11_S12_SI_SN_EUlS11_E_NS1_11comp_targetILNS1_3genE0ELNS1_11target_archE4294967295ELNS1_3gpuE0ELNS1_3repE0EEENS1_47radix_sort_onesweep_sort_config_static_selectorELNS0_4arch9wavefront6targetE1EEEvSI_
	.globl	_ZN7rocprim17ROCPRIM_400000_NS6detail17trampoline_kernelINS0_14default_configENS1_35radix_sort_onesweep_config_selectorIiiEEZZNS1_29radix_sort_onesweep_iterationIS3_Lb0EN6thrust23THRUST_200600_302600_NS6detail15normal_iteratorINS8_10device_ptrIiEEEESD_SD_SD_jNS0_19identity_decomposerENS1_16block_id_wrapperIjLb0EEEEE10hipError_tT1_PNSt15iterator_traitsISI_E10value_typeET2_T3_PNSJ_ISO_E10value_typeET4_T5_PST_SU_PNS1_23onesweep_lookback_stateEbbT6_jjT7_P12ihipStream_tbENKUlT_T0_SI_SN_E_clISD_PiSD_S15_EEDaS11_S12_SI_SN_EUlS11_E_NS1_11comp_targetILNS1_3genE0ELNS1_11target_archE4294967295ELNS1_3gpuE0ELNS1_3repE0EEENS1_47radix_sort_onesweep_sort_config_static_selectorELNS0_4arch9wavefront6targetE1EEEvSI_
	.p2align	8
	.type	_ZN7rocprim17ROCPRIM_400000_NS6detail17trampoline_kernelINS0_14default_configENS1_35radix_sort_onesweep_config_selectorIiiEEZZNS1_29radix_sort_onesweep_iterationIS3_Lb0EN6thrust23THRUST_200600_302600_NS6detail15normal_iteratorINS8_10device_ptrIiEEEESD_SD_SD_jNS0_19identity_decomposerENS1_16block_id_wrapperIjLb0EEEEE10hipError_tT1_PNSt15iterator_traitsISI_E10value_typeET2_T3_PNSJ_ISO_E10value_typeET4_T5_PST_SU_PNS1_23onesweep_lookback_stateEbbT6_jjT7_P12ihipStream_tbENKUlT_T0_SI_SN_E_clISD_PiSD_S15_EEDaS11_S12_SI_SN_EUlS11_E_NS1_11comp_targetILNS1_3genE0ELNS1_11target_archE4294967295ELNS1_3gpuE0ELNS1_3repE0EEENS1_47radix_sort_onesweep_sort_config_static_selectorELNS0_4arch9wavefront6targetE1EEEvSI_,@function
_ZN7rocprim17ROCPRIM_400000_NS6detail17trampoline_kernelINS0_14default_configENS1_35radix_sort_onesweep_config_selectorIiiEEZZNS1_29radix_sort_onesweep_iterationIS3_Lb0EN6thrust23THRUST_200600_302600_NS6detail15normal_iteratorINS8_10device_ptrIiEEEESD_SD_SD_jNS0_19identity_decomposerENS1_16block_id_wrapperIjLb0EEEEE10hipError_tT1_PNSt15iterator_traitsISI_E10value_typeET2_T3_PNSJ_ISO_E10value_typeET4_T5_PST_SU_PNS1_23onesweep_lookback_stateEbbT6_jjT7_P12ihipStream_tbENKUlT_T0_SI_SN_E_clISD_PiSD_S15_EEDaS11_S12_SI_SN_EUlS11_E_NS1_11comp_targetILNS1_3genE0ELNS1_11target_archE4294967295ELNS1_3gpuE0ELNS1_3repE0EEENS1_47radix_sort_onesweep_sort_config_static_selectorELNS0_4arch9wavefront6targetE1EEEvSI_: ; @_ZN7rocprim17ROCPRIM_400000_NS6detail17trampoline_kernelINS0_14default_configENS1_35radix_sort_onesweep_config_selectorIiiEEZZNS1_29radix_sort_onesweep_iterationIS3_Lb0EN6thrust23THRUST_200600_302600_NS6detail15normal_iteratorINS8_10device_ptrIiEEEESD_SD_SD_jNS0_19identity_decomposerENS1_16block_id_wrapperIjLb0EEEEE10hipError_tT1_PNSt15iterator_traitsISI_E10value_typeET2_T3_PNSJ_ISO_E10value_typeET4_T5_PST_SU_PNS1_23onesweep_lookback_stateEbbT6_jjT7_P12ihipStream_tbENKUlT_T0_SI_SN_E_clISD_PiSD_S15_EEDaS11_S12_SI_SN_EUlS11_E_NS1_11comp_targetILNS1_3genE0ELNS1_11target_archE4294967295ELNS1_3gpuE0ELNS1_3repE0EEENS1_47radix_sort_onesweep_sort_config_static_selectorELNS0_4arch9wavefront6targetE1EEEvSI_
; %bb.0:
	.section	.rodata,"a",@progbits
	.p2align	6, 0x0
	.amdhsa_kernel _ZN7rocprim17ROCPRIM_400000_NS6detail17trampoline_kernelINS0_14default_configENS1_35radix_sort_onesweep_config_selectorIiiEEZZNS1_29radix_sort_onesweep_iterationIS3_Lb0EN6thrust23THRUST_200600_302600_NS6detail15normal_iteratorINS8_10device_ptrIiEEEESD_SD_SD_jNS0_19identity_decomposerENS1_16block_id_wrapperIjLb0EEEEE10hipError_tT1_PNSt15iterator_traitsISI_E10value_typeET2_T3_PNSJ_ISO_E10value_typeET4_T5_PST_SU_PNS1_23onesweep_lookback_stateEbbT6_jjT7_P12ihipStream_tbENKUlT_T0_SI_SN_E_clISD_PiSD_S15_EEDaS11_S12_SI_SN_EUlS11_E_NS1_11comp_targetILNS1_3genE0ELNS1_11target_archE4294967295ELNS1_3gpuE0ELNS1_3repE0EEENS1_47radix_sort_onesweep_sort_config_static_selectorELNS0_4arch9wavefront6targetE1EEEvSI_
		.amdhsa_group_segment_fixed_size 0
		.amdhsa_private_segment_fixed_size 0
		.amdhsa_kernarg_size 88
		.amdhsa_user_sgpr_count 2
		.amdhsa_user_sgpr_dispatch_ptr 0
		.amdhsa_user_sgpr_queue_ptr 0
		.amdhsa_user_sgpr_kernarg_segment_ptr 1
		.amdhsa_user_sgpr_dispatch_id 0
		.amdhsa_user_sgpr_kernarg_preload_length 0
		.amdhsa_user_sgpr_kernarg_preload_offset 0
		.amdhsa_user_sgpr_private_segment_size 0
		.amdhsa_uses_dynamic_stack 0
		.amdhsa_enable_private_segment 0
		.amdhsa_system_sgpr_workgroup_id_x 1
		.amdhsa_system_sgpr_workgroup_id_y 0
		.amdhsa_system_sgpr_workgroup_id_z 0
		.amdhsa_system_sgpr_workgroup_info 0
		.amdhsa_system_vgpr_workitem_id 0
		.amdhsa_next_free_vgpr 1
		.amdhsa_next_free_sgpr 0
		.amdhsa_accum_offset 4
		.amdhsa_reserve_vcc 0
		.amdhsa_float_round_mode_32 0
		.amdhsa_float_round_mode_16_64 0
		.amdhsa_float_denorm_mode_32 3
		.amdhsa_float_denorm_mode_16_64 3
		.amdhsa_dx10_clamp 1
		.amdhsa_ieee_mode 1
		.amdhsa_fp16_overflow 0
		.amdhsa_tg_split 0
		.amdhsa_exception_fp_ieee_invalid_op 0
		.amdhsa_exception_fp_denorm_src 0
		.amdhsa_exception_fp_ieee_div_zero 0
		.amdhsa_exception_fp_ieee_overflow 0
		.amdhsa_exception_fp_ieee_underflow 0
		.amdhsa_exception_fp_ieee_inexact 0
		.amdhsa_exception_int_div_zero 0
	.end_amdhsa_kernel
	.section	.text._ZN7rocprim17ROCPRIM_400000_NS6detail17trampoline_kernelINS0_14default_configENS1_35radix_sort_onesweep_config_selectorIiiEEZZNS1_29radix_sort_onesweep_iterationIS3_Lb0EN6thrust23THRUST_200600_302600_NS6detail15normal_iteratorINS8_10device_ptrIiEEEESD_SD_SD_jNS0_19identity_decomposerENS1_16block_id_wrapperIjLb0EEEEE10hipError_tT1_PNSt15iterator_traitsISI_E10value_typeET2_T3_PNSJ_ISO_E10value_typeET4_T5_PST_SU_PNS1_23onesweep_lookback_stateEbbT6_jjT7_P12ihipStream_tbENKUlT_T0_SI_SN_E_clISD_PiSD_S15_EEDaS11_S12_SI_SN_EUlS11_E_NS1_11comp_targetILNS1_3genE0ELNS1_11target_archE4294967295ELNS1_3gpuE0ELNS1_3repE0EEENS1_47radix_sort_onesweep_sort_config_static_selectorELNS0_4arch9wavefront6targetE1EEEvSI_,"axG",@progbits,_ZN7rocprim17ROCPRIM_400000_NS6detail17trampoline_kernelINS0_14default_configENS1_35radix_sort_onesweep_config_selectorIiiEEZZNS1_29radix_sort_onesweep_iterationIS3_Lb0EN6thrust23THRUST_200600_302600_NS6detail15normal_iteratorINS8_10device_ptrIiEEEESD_SD_SD_jNS0_19identity_decomposerENS1_16block_id_wrapperIjLb0EEEEE10hipError_tT1_PNSt15iterator_traitsISI_E10value_typeET2_T3_PNSJ_ISO_E10value_typeET4_T5_PST_SU_PNS1_23onesweep_lookback_stateEbbT6_jjT7_P12ihipStream_tbENKUlT_T0_SI_SN_E_clISD_PiSD_S15_EEDaS11_S12_SI_SN_EUlS11_E_NS1_11comp_targetILNS1_3genE0ELNS1_11target_archE4294967295ELNS1_3gpuE0ELNS1_3repE0EEENS1_47radix_sort_onesweep_sort_config_static_selectorELNS0_4arch9wavefront6targetE1EEEvSI_,comdat
.Lfunc_end858:
	.size	_ZN7rocprim17ROCPRIM_400000_NS6detail17trampoline_kernelINS0_14default_configENS1_35radix_sort_onesweep_config_selectorIiiEEZZNS1_29radix_sort_onesweep_iterationIS3_Lb0EN6thrust23THRUST_200600_302600_NS6detail15normal_iteratorINS8_10device_ptrIiEEEESD_SD_SD_jNS0_19identity_decomposerENS1_16block_id_wrapperIjLb0EEEEE10hipError_tT1_PNSt15iterator_traitsISI_E10value_typeET2_T3_PNSJ_ISO_E10value_typeET4_T5_PST_SU_PNS1_23onesweep_lookback_stateEbbT6_jjT7_P12ihipStream_tbENKUlT_T0_SI_SN_E_clISD_PiSD_S15_EEDaS11_S12_SI_SN_EUlS11_E_NS1_11comp_targetILNS1_3genE0ELNS1_11target_archE4294967295ELNS1_3gpuE0ELNS1_3repE0EEENS1_47radix_sort_onesweep_sort_config_static_selectorELNS0_4arch9wavefront6targetE1EEEvSI_, .Lfunc_end858-_ZN7rocprim17ROCPRIM_400000_NS6detail17trampoline_kernelINS0_14default_configENS1_35radix_sort_onesweep_config_selectorIiiEEZZNS1_29radix_sort_onesweep_iterationIS3_Lb0EN6thrust23THRUST_200600_302600_NS6detail15normal_iteratorINS8_10device_ptrIiEEEESD_SD_SD_jNS0_19identity_decomposerENS1_16block_id_wrapperIjLb0EEEEE10hipError_tT1_PNSt15iterator_traitsISI_E10value_typeET2_T3_PNSJ_ISO_E10value_typeET4_T5_PST_SU_PNS1_23onesweep_lookback_stateEbbT6_jjT7_P12ihipStream_tbENKUlT_T0_SI_SN_E_clISD_PiSD_S15_EEDaS11_S12_SI_SN_EUlS11_E_NS1_11comp_targetILNS1_3genE0ELNS1_11target_archE4294967295ELNS1_3gpuE0ELNS1_3repE0EEENS1_47radix_sort_onesweep_sort_config_static_selectorELNS0_4arch9wavefront6targetE1EEEvSI_
                                        ; -- End function
	.set _ZN7rocprim17ROCPRIM_400000_NS6detail17trampoline_kernelINS0_14default_configENS1_35radix_sort_onesweep_config_selectorIiiEEZZNS1_29radix_sort_onesweep_iterationIS3_Lb0EN6thrust23THRUST_200600_302600_NS6detail15normal_iteratorINS8_10device_ptrIiEEEESD_SD_SD_jNS0_19identity_decomposerENS1_16block_id_wrapperIjLb0EEEEE10hipError_tT1_PNSt15iterator_traitsISI_E10value_typeET2_T3_PNSJ_ISO_E10value_typeET4_T5_PST_SU_PNS1_23onesweep_lookback_stateEbbT6_jjT7_P12ihipStream_tbENKUlT_T0_SI_SN_E_clISD_PiSD_S15_EEDaS11_S12_SI_SN_EUlS11_E_NS1_11comp_targetILNS1_3genE0ELNS1_11target_archE4294967295ELNS1_3gpuE0ELNS1_3repE0EEENS1_47radix_sort_onesweep_sort_config_static_selectorELNS0_4arch9wavefront6targetE1EEEvSI_.num_vgpr, 0
	.set _ZN7rocprim17ROCPRIM_400000_NS6detail17trampoline_kernelINS0_14default_configENS1_35radix_sort_onesweep_config_selectorIiiEEZZNS1_29radix_sort_onesweep_iterationIS3_Lb0EN6thrust23THRUST_200600_302600_NS6detail15normal_iteratorINS8_10device_ptrIiEEEESD_SD_SD_jNS0_19identity_decomposerENS1_16block_id_wrapperIjLb0EEEEE10hipError_tT1_PNSt15iterator_traitsISI_E10value_typeET2_T3_PNSJ_ISO_E10value_typeET4_T5_PST_SU_PNS1_23onesweep_lookback_stateEbbT6_jjT7_P12ihipStream_tbENKUlT_T0_SI_SN_E_clISD_PiSD_S15_EEDaS11_S12_SI_SN_EUlS11_E_NS1_11comp_targetILNS1_3genE0ELNS1_11target_archE4294967295ELNS1_3gpuE0ELNS1_3repE0EEENS1_47radix_sort_onesweep_sort_config_static_selectorELNS0_4arch9wavefront6targetE1EEEvSI_.num_agpr, 0
	.set _ZN7rocprim17ROCPRIM_400000_NS6detail17trampoline_kernelINS0_14default_configENS1_35radix_sort_onesweep_config_selectorIiiEEZZNS1_29radix_sort_onesweep_iterationIS3_Lb0EN6thrust23THRUST_200600_302600_NS6detail15normal_iteratorINS8_10device_ptrIiEEEESD_SD_SD_jNS0_19identity_decomposerENS1_16block_id_wrapperIjLb0EEEEE10hipError_tT1_PNSt15iterator_traitsISI_E10value_typeET2_T3_PNSJ_ISO_E10value_typeET4_T5_PST_SU_PNS1_23onesweep_lookback_stateEbbT6_jjT7_P12ihipStream_tbENKUlT_T0_SI_SN_E_clISD_PiSD_S15_EEDaS11_S12_SI_SN_EUlS11_E_NS1_11comp_targetILNS1_3genE0ELNS1_11target_archE4294967295ELNS1_3gpuE0ELNS1_3repE0EEENS1_47radix_sort_onesweep_sort_config_static_selectorELNS0_4arch9wavefront6targetE1EEEvSI_.numbered_sgpr, 0
	.set _ZN7rocprim17ROCPRIM_400000_NS6detail17trampoline_kernelINS0_14default_configENS1_35radix_sort_onesweep_config_selectorIiiEEZZNS1_29radix_sort_onesweep_iterationIS3_Lb0EN6thrust23THRUST_200600_302600_NS6detail15normal_iteratorINS8_10device_ptrIiEEEESD_SD_SD_jNS0_19identity_decomposerENS1_16block_id_wrapperIjLb0EEEEE10hipError_tT1_PNSt15iterator_traitsISI_E10value_typeET2_T3_PNSJ_ISO_E10value_typeET4_T5_PST_SU_PNS1_23onesweep_lookback_stateEbbT6_jjT7_P12ihipStream_tbENKUlT_T0_SI_SN_E_clISD_PiSD_S15_EEDaS11_S12_SI_SN_EUlS11_E_NS1_11comp_targetILNS1_3genE0ELNS1_11target_archE4294967295ELNS1_3gpuE0ELNS1_3repE0EEENS1_47radix_sort_onesweep_sort_config_static_selectorELNS0_4arch9wavefront6targetE1EEEvSI_.num_named_barrier, 0
	.set _ZN7rocprim17ROCPRIM_400000_NS6detail17trampoline_kernelINS0_14default_configENS1_35radix_sort_onesweep_config_selectorIiiEEZZNS1_29radix_sort_onesweep_iterationIS3_Lb0EN6thrust23THRUST_200600_302600_NS6detail15normal_iteratorINS8_10device_ptrIiEEEESD_SD_SD_jNS0_19identity_decomposerENS1_16block_id_wrapperIjLb0EEEEE10hipError_tT1_PNSt15iterator_traitsISI_E10value_typeET2_T3_PNSJ_ISO_E10value_typeET4_T5_PST_SU_PNS1_23onesweep_lookback_stateEbbT6_jjT7_P12ihipStream_tbENKUlT_T0_SI_SN_E_clISD_PiSD_S15_EEDaS11_S12_SI_SN_EUlS11_E_NS1_11comp_targetILNS1_3genE0ELNS1_11target_archE4294967295ELNS1_3gpuE0ELNS1_3repE0EEENS1_47radix_sort_onesweep_sort_config_static_selectorELNS0_4arch9wavefront6targetE1EEEvSI_.private_seg_size, 0
	.set _ZN7rocprim17ROCPRIM_400000_NS6detail17trampoline_kernelINS0_14default_configENS1_35radix_sort_onesweep_config_selectorIiiEEZZNS1_29radix_sort_onesweep_iterationIS3_Lb0EN6thrust23THRUST_200600_302600_NS6detail15normal_iteratorINS8_10device_ptrIiEEEESD_SD_SD_jNS0_19identity_decomposerENS1_16block_id_wrapperIjLb0EEEEE10hipError_tT1_PNSt15iterator_traitsISI_E10value_typeET2_T3_PNSJ_ISO_E10value_typeET4_T5_PST_SU_PNS1_23onesweep_lookback_stateEbbT6_jjT7_P12ihipStream_tbENKUlT_T0_SI_SN_E_clISD_PiSD_S15_EEDaS11_S12_SI_SN_EUlS11_E_NS1_11comp_targetILNS1_3genE0ELNS1_11target_archE4294967295ELNS1_3gpuE0ELNS1_3repE0EEENS1_47radix_sort_onesweep_sort_config_static_selectorELNS0_4arch9wavefront6targetE1EEEvSI_.uses_vcc, 0
	.set _ZN7rocprim17ROCPRIM_400000_NS6detail17trampoline_kernelINS0_14default_configENS1_35radix_sort_onesweep_config_selectorIiiEEZZNS1_29radix_sort_onesweep_iterationIS3_Lb0EN6thrust23THRUST_200600_302600_NS6detail15normal_iteratorINS8_10device_ptrIiEEEESD_SD_SD_jNS0_19identity_decomposerENS1_16block_id_wrapperIjLb0EEEEE10hipError_tT1_PNSt15iterator_traitsISI_E10value_typeET2_T3_PNSJ_ISO_E10value_typeET4_T5_PST_SU_PNS1_23onesweep_lookback_stateEbbT6_jjT7_P12ihipStream_tbENKUlT_T0_SI_SN_E_clISD_PiSD_S15_EEDaS11_S12_SI_SN_EUlS11_E_NS1_11comp_targetILNS1_3genE0ELNS1_11target_archE4294967295ELNS1_3gpuE0ELNS1_3repE0EEENS1_47radix_sort_onesweep_sort_config_static_selectorELNS0_4arch9wavefront6targetE1EEEvSI_.uses_flat_scratch, 0
	.set _ZN7rocprim17ROCPRIM_400000_NS6detail17trampoline_kernelINS0_14default_configENS1_35radix_sort_onesweep_config_selectorIiiEEZZNS1_29radix_sort_onesweep_iterationIS3_Lb0EN6thrust23THRUST_200600_302600_NS6detail15normal_iteratorINS8_10device_ptrIiEEEESD_SD_SD_jNS0_19identity_decomposerENS1_16block_id_wrapperIjLb0EEEEE10hipError_tT1_PNSt15iterator_traitsISI_E10value_typeET2_T3_PNSJ_ISO_E10value_typeET4_T5_PST_SU_PNS1_23onesweep_lookback_stateEbbT6_jjT7_P12ihipStream_tbENKUlT_T0_SI_SN_E_clISD_PiSD_S15_EEDaS11_S12_SI_SN_EUlS11_E_NS1_11comp_targetILNS1_3genE0ELNS1_11target_archE4294967295ELNS1_3gpuE0ELNS1_3repE0EEENS1_47radix_sort_onesweep_sort_config_static_selectorELNS0_4arch9wavefront6targetE1EEEvSI_.has_dyn_sized_stack, 0
	.set _ZN7rocprim17ROCPRIM_400000_NS6detail17trampoline_kernelINS0_14default_configENS1_35radix_sort_onesweep_config_selectorIiiEEZZNS1_29radix_sort_onesweep_iterationIS3_Lb0EN6thrust23THRUST_200600_302600_NS6detail15normal_iteratorINS8_10device_ptrIiEEEESD_SD_SD_jNS0_19identity_decomposerENS1_16block_id_wrapperIjLb0EEEEE10hipError_tT1_PNSt15iterator_traitsISI_E10value_typeET2_T3_PNSJ_ISO_E10value_typeET4_T5_PST_SU_PNS1_23onesweep_lookback_stateEbbT6_jjT7_P12ihipStream_tbENKUlT_T0_SI_SN_E_clISD_PiSD_S15_EEDaS11_S12_SI_SN_EUlS11_E_NS1_11comp_targetILNS1_3genE0ELNS1_11target_archE4294967295ELNS1_3gpuE0ELNS1_3repE0EEENS1_47radix_sort_onesweep_sort_config_static_selectorELNS0_4arch9wavefront6targetE1EEEvSI_.has_recursion, 0
	.set _ZN7rocprim17ROCPRIM_400000_NS6detail17trampoline_kernelINS0_14default_configENS1_35radix_sort_onesweep_config_selectorIiiEEZZNS1_29radix_sort_onesweep_iterationIS3_Lb0EN6thrust23THRUST_200600_302600_NS6detail15normal_iteratorINS8_10device_ptrIiEEEESD_SD_SD_jNS0_19identity_decomposerENS1_16block_id_wrapperIjLb0EEEEE10hipError_tT1_PNSt15iterator_traitsISI_E10value_typeET2_T3_PNSJ_ISO_E10value_typeET4_T5_PST_SU_PNS1_23onesweep_lookback_stateEbbT6_jjT7_P12ihipStream_tbENKUlT_T0_SI_SN_E_clISD_PiSD_S15_EEDaS11_S12_SI_SN_EUlS11_E_NS1_11comp_targetILNS1_3genE0ELNS1_11target_archE4294967295ELNS1_3gpuE0ELNS1_3repE0EEENS1_47radix_sort_onesweep_sort_config_static_selectorELNS0_4arch9wavefront6targetE1EEEvSI_.has_indirect_call, 0
	.section	.AMDGPU.csdata,"",@progbits
; Kernel info:
; codeLenInByte = 0
; TotalNumSgprs: 6
; NumVgprs: 0
; NumAgprs: 0
; TotalNumVgprs: 0
; ScratchSize: 0
; MemoryBound: 0
; FloatMode: 240
; IeeeMode: 1
; LDSByteSize: 0 bytes/workgroup (compile time only)
; SGPRBlocks: 0
; VGPRBlocks: 0
; NumSGPRsForWavesPerEU: 6
; NumVGPRsForWavesPerEU: 1
; AccumOffset: 4
; Occupancy: 8
; WaveLimiterHint : 0
; COMPUTE_PGM_RSRC2:SCRATCH_EN: 0
; COMPUTE_PGM_RSRC2:USER_SGPR: 2
; COMPUTE_PGM_RSRC2:TRAP_HANDLER: 0
; COMPUTE_PGM_RSRC2:TGID_X_EN: 1
; COMPUTE_PGM_RSRC2:TGID_Y_EN: 0
; COMPUTE_PGM_RSRC2:TGID_Z_EN: 0
; COMPUTE_PGM_RSRC2:TIDIG_COMP_CNT: 0
; COMPUTE_PGM_RSRC3_GFX90A:ACCUM_OFFSET: 0
; COMPUTE_PGM_RSRC3_GFX90A:TG_SPLIT: 0
	.section	.text._ZN7rocprim17ROCPRIM_400000_NS6detail17trampoline_kernelINS0_14default_configENS1_35radix_sort_onesweep_config_selectorIiiEEZZNS1_29radix_sort_onesweep_iterationIS3_Lb0EN6thrust23THRUST_200600_302600_NS6detail15normal_iteratorINS8_10device_ptrIiEEEESD_SD_SD_jNS0_19identity_decomposerENS1_16block_id_wrapperIjLb0EEEEE10hipError_tT1_PNSt15iterator_traitsISI_E10value_typeET2_T3_PNSJ_ISO_E10value_typeET4_T5_PST_SU_PNS1_23onesweep_lookback_stateEbbT6_jjT7_P12ihipStream_tbENKUlT_T0_SI_SN_E_clISD_PiSD_S15_EEDaS11_S12_SI_SN_EUlS11_E_NS1_11comp_targetILNS1_3genE6ELNS1_11target_archE950ELNS1_3gpuE13ELNS1_3repE0EEENS1_47radix_sort_onesweep_sort_config_static_selectorELNS0_4arch9wavefront6targetE1EEEvSI_,"axG",@progbits,_ZN7rocprim17ROCPRIM_400000_NS6detail17trampoline_kernelINS0_14default_configENS1_35radix_sort_onesweep_config_selectorIiiEEZZNS1_29radix_sort_onesweep_iterationIS3_Lb0EN6thrust23THRUST_200600_302600_NS6detail15normal_iteratorINS8_10device_ptrIiEEEESD_SD_SD_jNS0_19identity_decomposerENS1_16block_id_wrapperIjLb0EEEEE10hipError_tT1_PNSt15iterator_traitsISI_E10value_typeET2_T3_PNSJ_ISO_E10value_typeET4_T5_PST_SU_PNS1_23onesweep_lookback_stateEbbT6_jjT7_P12ihipStream_tbENKUlT_T0_SI_SN_E_clISD_PiSD_S15_EEDaS11_S12_SI_SN_EUlS11_E_NS1_11comp_targetILNS1_3genE6ELNS1_11target_archE950ELNS1_3gpuE13ELNS1_3repE0EEENS1_47radix_sort_onesweep_sort_config_static_selectorELNS0_4arch9wavefront6targetE1EEEvSI_,comdat
	.protected	_ZN7rocprim17ROCPRIM_400000_NS6detail17trampoline_kernelINS0_14default_configENS1_35radix_sort_onesweep_config_selectorIiiEEZZNS1_29radix_sort_onesweep_iterationIS3_Lb0EN6thrust23THRUST_200600_302600_NS6detail15normal_iteratorINS8_10device_ptrIiEEEESD_SD_SD_jNS0_19identity_decomposerENS1_16block_id_wrapperIjLb0EEEEE10hipError_tT1_PNSt15iterator_traitsISI_E10value_typeET2_T3_PNSJ_ISO_E10value_typeET4_T5_PST_SU_PNS1_23onesweep_lookback_stateEbbT6_jjT7_P12ihipStream_tbENKUlT_T0_SI_SN_E_clISD_PiSD_S15_EEDaS11_S12_SI_SN_EUlS11_E_NS1_11comp_targetILNS1_3genE6ELNS1_11target_archE950ELNS1_3gpuE13ELNS1_3repE0EEENS1_47radix_sort_onesweep_sort_config_static_selectorELNS0_4arch9wavefront6targetE1EEEvSI_ ; -- Begin function _ZN7rocprim17ROCPRIM_400000_NS6detail17trampoline_kernelINS0_14default_configENS1_35radix_sort_onesweep_config_selectorIiiEEZZNS1_29radix_sort_onesweep_iterationIS3_Lb0EN6thrust23THRUST_200600_302600_NS6detail15normal_iteratorINS8_10device_ptrIiEEEESD_SD_SD_jNS0_19identity_decomposerENS1_16block_id_wrapperIjLb0EEEEE10hipError_tT1_PNSt15iterator_traitsISI_E10value_typeET2_T3_PNSJ_ISO_E10value_typeET4_T5_PST_SU_PNS1_23onesweep_lookback_stateEbbT6_jjT7_P12ihipStream_tbENKUlT_T0_SI_SN_E_clISD_PiSD_S15_EEDaS11_S12_SI_SN_EUlS11_E_NS1_11comp_targetILNS1_3genE6ELNS1_11target_archE950ELNS1_3gpuE13ELNS1_3repE0EEENS1_47radix_sort_onesweep_sort_config_static_selectorELNS0_4arch9wavefront6targetE1EEEvSI_
	.globl	_ZN7rocprim17ROCPRIM_400000_NS6detail17trampoline_kernelINS0_14default_configENS1_35radix_sort_onesweep_config_selectorIiiEEZZNS1_29radix_sort_onesweep_iterationIS3_Lb0EN6thrust23THRUST_200600_302600_NS6detail15normal_iteratorINS8_10device_ptrIiEEEESD_SD_SD_jNS0_19identity_decomposerENS1_16block_id_wrapperIjLb0EEEEE10hipError_tT1_PNSt15iterator_traitsISI_E10value_typeET2_T3_PNSJ_ISO_E10value_typeET4_T5_PST_SU_PNS1_23onesweep_lookback_stateEbbT6_jjT7_P12ihipStream_tbENKUlT_T0_SI_SN_E_clISD_PiSD_S15_EEDaS11_S12_SI_SN_EUlS11_E_NS1_11comp_targetILNS1_3genE6ELNS1_11target_archE950ELNS1_3gpuE13ELNS1_3repE0EEENS1_47radix_sort_onesweep_sort_config_static_selectorELNS0_4arch9wavefront6targetE1EEEvSI_
	.p2align	8
	.type	_ZN7rocprim17ROCPRIM_400000_NS6detail17trampoline_kernelINS0_14default_configENS1_35radix_sort_onesweep_config_selectorIiiEEZZNS1_29radix_sort_onesweep_iterationIS3_Lb0EN6thrust23THRUST_200600_302600_NS6detail15normal_iteratorINS8_10device_ptrIiEEEESD_SD_SD_jNS0_19identity_decomposerENS1_16block_id_wrapperIjLb0EEEEE10hipError_tT1_PNSt15iterator_traitsISI_E10value_typeET2_T3_PNSJ_ISO_E10value_typeET4_T5_PST_SU_PNS1_23onesweep_lookback_stateEbbT6_jjT7_P12ihipStream_tbENKUlT_T0_SI_SN_E_clISD_PiSD_S15_EEDaS11_S12_SI_SN_EUlS11_E_NS1_11comp_targetILNS1_3genE6ELNS1_11target_archE950ELNS1_3gpuE13ELNS1_3repE0EEENS1_47radix_sort_onesweep_sort_config_static_selectorELNS0_4arch9wavefront6targetE1EEEvSI_,@function
_ZN7rocprim17ROCPRIM_400000_NS6detail17trampoline_kernelINS0_14default_configENS1_35radix_sort_onesweep_config_selectorIiiEEZZNS1_29radix_sort_onesweep_iterationIS3_Lb0EN6thrust23THRUST_200600_302600_NS6detail15normal_iteratorINS8_10device_ptrIiEEEESD_SD_SD_jNS0_19identity_decomposerENS1_16block_id_wrapperIjLb0EEEEE10hipError_tT1_PNSt15iterator_traitsISI_E10value_typeET2_T3_PNSJ_ISO_E10value_typeET4_T5_PST_SU_PNS1_23onesweep_lookback_stateEbbT6_jjT7_P12ihipStream_tbENKUlT_T0_SI_SN_E_clISD_PiSD_S15_EEDaS11_S12_SI_SN_EUlS11_E_NS1_11comp_targetILNS1_3genE6ELNS1_11target_archE950ELNS1_3gpuE13ELNS1_3repE0EEENS1_47radix_sort_onesweep_sort_config_static_selectorELNS0_4arch9wavefront6targetE1EEEvSI_: ; @_ZN7rocprim17ROCPRIM_400000_NS6detail17trampoline_kernelINS0_14default_configENS1_35radix_sort_onesweep_config_selectorIiiEEZZNS1_29radix_sort_onesweep_iterationIS3_Lb0EN6thrust23THRUST_200600_302600_NS6detail15normal_iteratorINS8_10device_ptrIiEEEESD_SD_SD_jNS0_19identity_decomposerENS1_16block_id_wrapperIjLb0EEEEE10hipError_tT1_PNSt15iterator_traitsISI_E10value_typeET2_T3_PNSJ_ISO_E10value_typeET4_T5_PST_SU_PNS1_23onesweep_lookback_stateEbbT6_jjT7_P12ihipStream_tbENKUlT_T0_SI_SN_E_clISD_PiSD_S15_EEDaS11_S12_SI_SN_EUlS11_E_NS1_11comp_targetILNS1_3genE6ELNS1_11target_archE950ELNS1_3gpuE13ELNS1_3repE0EEENS1_47radix_sort_onesweep_sort_config_static_selectorELNS0_4arch9wavefront6targetE1EEEvSI_
; %bb.0:
	s_load_dwordx8 s[52:59], s[0:1], 0x0
	s_load_dwordx4 s[64:67], s[0:1], 0x44
	s_load_dwordx4 s[60:63], s[0:1], 0x28
	s_load_dwordx2 s[50:51], s[0:1], 0x38
	s_mov_b64 s[4:5], -1
	v_mbcnt_lo_u32_b32 v1, -1, 0
	s_waitcnt lgkmcnt(0)
	s_cmp_ge_u32 s2, s66
	s_cbranch_scc0 .LBB859_204
; %bb.1:
	s_load_dword s3, s[0:1], 0x20
	s_lshl_b32 s6, s66, 14
	s_lshl_b32 s4, s2, 14
	s_mov_b32 s5, 0
	v_and_b32_e32 v2, 0x3ff, v0
	s_waitcnt lgkmcnt(0)
	s_sub_i32 s3, s3, s6
	s_lshl_b64 s[66:67], s[4:5], 2
	v_mbcnt_hi_u32_b32 v12, -1, v1
	s_add_u32 s4, s52, s66
	v_and_b32_e32 v10, 63, v12
	v_lshlrev_b32_e32 v4, 4, v2
	s_addc_u32 s5, s53, s67
	v_and_b32_e32 v11, 0x3c00, v4
	v_mov_b32_e32 v5, 0
	v_lshlrev_b32_e32 v4, 2, v10
	v_lshl_add_u64 v[8:9], s[4:5], 0, v[4:5]
	v_lshlrev_b32_e32 v6, 2, v11
	v_mov_b32_e32 v7, v5
	v_or_b32_e32 v10, v10, v11
	v_mov_b32_e32 v3, -1
	v_lshl_add_u64 v[8:9], v[8:9], 0, v[6:7]
	v_cmp_gt_u32_e32 vcc, s3, v10
	v_mov_b32_e32 v5, -1
	s_and_saveexec_b64 s[4:5], vcc
	s_cbranch_execz .LBB859_3
; %bb.2:
	global_load_dword v5, v[8:9], off
	s_waitcnt vmcnt(0)
	v_xor_b32_e32 v5, 0x80000000, v5
.LBB859_3:
	s_or_b64 exec, exec, s[4:5]
	v_or_b32_e32 v7, 64, v10
	v_cmp_gt_u32_e64 s[42:43], s3, v7
	s_and_saveexec_b64 s[4:5], s[42:43]
	s_cbranch_execz .LBB859_5
; %bb.4:
	global_load_dword v3, v[8:9], off offset:256
	s_waitcnt vmcnt(0)
	v_xor_b32_e32 v3, 0x80000000, v3
.LBB859_5:
	s_or_b64 exec, exec, s[4:5]
	v_or_b32_e32 v7, 0x80, v10
	v_cmp_gt_u32_e64 s[4:5], s3, v7
	v_mov_b32_e32 v7, -1
	v_mov_b32_e32 v14, -1
	s_and_saveexec_b64 s[6:7], s[4:5]
	s_cbranch_execz .LBB859_7
; %bb.6:
	global_load_dword v11, v[8:9], off offset:512
	s_waitcnt vmcnt(0)
	v_xor_b32_e32 v14, 0x80000000, v11
.LBB859_7:
	s_or_b64 exec, exec, s[6:7]
	v_or_b32_e32 v11, 0xc0, v10
	v_cmp_gt_u32_e64 s[6:7], s3, v11
	s_and_saveexec_b64 s[8:9], s[6:7]
	s_cbranch_execz .LBB859_9
; %bb.8:
	global_load_dword v7, v[8:9], off offset:768
	s_waitcnt vmcnt(0)
	v_xor_b32_e32 v7, 0x80000000, v7
.LBB859_9:
	s_or_b64 exec, exec, s[8:9]
	v_or_b32_e32 v11, 0x100, v10
	v_cmp_gt_u32_e64 s[8:9], s3, v11
	v_mov_b32_e32 v15, -1
	v_mov_b32_e32 v16, -1
	s_and_saveexec_b64 s[10:11], s[8:9]
	s_cbranch_execz .LBB859_11
; %bb.10:
	global_load_dword v11, v[8:9], off offset:1024
	s_waitcnt vmcnt(0)
	v_xor_b32_e32 v16, 0x80000000, v11
.LBB859_11:
	;; [unrolled: 22-line block ×7, first 2 shown]
	s_or_b64 exec, exec, s[30:31]
	v_or_b32_e32 v10, 0x3c0, v10
	v_cmp_gt_u32_e64 s[30:31], s3, v10
	s_and_saveexec_b64 s[34:35], s[30:31]
	s_cbranch_execz .LBB859_33
; %bb.32:
	global_load_dword v8, v[8:9], off offset:3840
	s_waitcnt vmcnt(0)
	v_xor_b32_e32 v25, 0x80000000, v8
.LBB859_33:
	s_or_b64 exec, exec, s[34:35]
	s_load_dword s34, s[0:1], 0x64
	s_load_dword s33, s[0:1], 0x58
	s_add_u32 s35, s0, 0x58
	s_addc_u32 s36, s1, 0
	v_mov_b32_e32 v9, 0
	s_waitcnt lgkmcnt(0)
	s_lshr_b32 s37, s34, 16
	s_cmp_lt_u32 s2, s33
	s_cselect_b32 s34, 12, 18
	s_add_u32 s34, s35, s34
	s_addc_u32 s35, s36, 0
	global_load_ushort v27, v9, s[34:35]
	v_lshrrev_b32_e32 v29, s64, v5
	s_lshl_b32 s34, -1, s65
	v_bfe_u32 v8, v0, 10, 10
	v_bfe_u32 v11, v0, 20, 10
	v_bitop3_b32 v38, v29, s34, v29 bitop3:0x30
	s_movk_i32 s69, 0x44
	v_mad_u32_u24 v40, v11, s37, v8
	v_and_b32_e32 v8, 1, v38
	v_lshlrev_b32_e32 v11, 30, v38
	v_mov_b32_e32 v10, v9
	v_mov_b32_e32 v30, v9
	s_not_b32 s68, s34
	v_mul_lo_u32 v42, v38, s69
	v_lshlrev_b32_e32 v29, 29, v38
	v_lshlrev_b32_e32 v31, 28, v38
	;; [unrolled: 1-line block ×6, first 2 shown]
	v_lshl_add_u64 v[38:39], v[8:9], 0, -1
	v_cmp_ne_u32_e64 s[34:35], 0, v8
	v_not_b32_e32 v8, v11
	v_mov_b32_e32 v28, v9
	v_mov_b32_e32 v32, v9
	v_cmp_gt_i64_e64 s[36:37], 0, v[10:11]
	v_not_b32_e32 v10, v29
	v_cmp_gt_i64_e64 s[40:41], 0, v[30:31]
	v_not_b32_e32 v11, v31
	v_xor_b32_e32 v31, s35, v39
	v_ashrrev_i32_e32 v8, 31, v8
	v_mov_b32_e32 v34, v9
	v_cmp_gt_i64_e64 s[38:39], 0, v[28:29]
	v_cmp_gt_i64_e64 s[44:45], 0, v[32:33]
	v_not_b32_e32 v28, v33
	v_xor_b32_e32 v32, s34, v38
	v_ashrrev_i32_e32 v10, 31, v10
	v_and_b32_e32 v31, exec_hi, v31
	v_xor_b32_e32 v33, s37, v8
	v_cmp_gt_i64_e64 s[46:47], 0, v[34:35]
	v_ashrrev_i32_e32 v11, 31, v11
	v_and_b32_e32 v32, exec_lo, v32
	v_xor_b32_e32 v8, s36, v8
	v_xor_b32_e32 v34, s39, v10
	v_and_b32_e32 v31, v31, v33
	v_mov_b32_e32 v36, v9
	v_not_b32_e32 v29, v35
	v_ashrrev_i32_e32 v28, 31, v28
	v_xor_b32_e32 v10, s38, v10
	v_xor_b32_e32 v35, s41, v11
	v_and_b32_e32 v8, v32, v8
	v_and_b32_e32 v31, v31, v34
	v_cmp_gt_i64_e64 s[48:49], 0, v[36:37]
	v_not_b32_e32 v30, v37
	v_ashrrev_i32_e32 v29, 31, v29
	v_xor_b32_e32 v36, s45, v28
	v_and_b32_e32 v8, v8, v10
	v_and_b32_e32 v10, v31, v35
	v_ashrrev_i32_e32 v30, 31, v30
	v_xor_b32_e32 v11, s40, v11
	v_xor_b32_e32 v37, s47, v29
	v_and_b32_e32 v10, v10, v36
	v_xor_b32_e32 v28, s44, v28
	v_xor_b32_e32 v38, s49, v30
	v_and_b32_e32 v8, v8, v11
	v_and_b32_e32 v10, v10, v37
	;; [unrolled: 1-line block ×4, first 2 shown]
	v_xor_b32_e32 v29, s46, v29
	v_xor_b32_e32 v30, s48, v30
	v_and_b32_e32 v8, v8, v29
	v_and_b32_e32 v8, v8, v30
	v_mul_u32_u24_e32 v13, 20, v2
	ds_write2_b32 v13, v9, v9 offset0:16 offset1:17
	ds_write2_b32 v13, v9, v9 offset0:18 offset1:19
	ds_write_b32 v13, v9 offset:80
	s_waitcnt lgkmcnt(0)
	s_barrier
	s_waitcnt vmcnt(0)
	; wave barrier
	v_mad_u64_u32 v[10:11], s[34:35], v40, v27, v[2:3]
	v_lshrrev_b32_e32 v38, 6, v10
	v_mov_b32_e32 v40, v9
	v_not_b32_e32 v10, v41
	v_cmp_gt_i64_e64 s[34:35], 0, v[40:41]
	v_ashrrev_i32_e32 v10, 31, v10
	v_lshl_add_u32 v31, v38, 2, v42
	v_xor_b32_e32 v11, s35, v10
	v_xor_b32_e32 v10, s34, v10
	v_and_b32_e32 v10, v8, v10
	v_and_b32_e32 v11, v28, v11
	v_mbcnt_lo_u32_b32 v8, v10, 0
	v_mbcnt_hi_u32_b32 v28, v11, v8
	v_cmp_eq_u32_e64 s[34:35], 0, v28
	v_cmp_ne_u64_e64 s[36:37], 0, v[10:11]
	s_and_b64 s[36:37], s[36:37], s[34:35]
	s_and_saveexec_b64 s[34:35], s[36:37]
; %bb.34:
	v_bcnt_u32_b32 v8, v10, 0
	v_bcnt_u32_b32 v8, v11, v8
	ds_write_b32 v31, v8 offset:64
; %bb.35:
	s_or_b64 exec, exec, s[34:35]
	v_lshrrev_b32_e32 v8, s64, v3
	v_and_b32_e32 v29, s68, v8
	v_mul_lo_u32 v8, v29, s69
	v_lshl_add_u32 v33, v38, 2, v8
	v_and_b32_e32 v8, 1, v29
	v_lshl_add_u64 v[10:11], v[8:9], 0, -1
	v_cmp_ne_u32_e64 s[34:35], 0, v8
	; wave barrier
	s_nop 1
	v_xor_b32_e32 v10, s34, v10
	v_xor_b32_e32 v8, s35, v11
	v_and_b32_e32 v30, exec_lo, v10
	v_lshlrev_b32_e32 v11, 30, v29
	v_mov_b32_e32 v10, v9
	v_cmp_gt_i64_e64 s[34:35], 0, v[10:11]
	v_not_b32_e32 v10, v11
	v_ashrrev_i32_e32 v10, 31, v10
	v_and_b32_e32 v8, exec_hi, v8
	v_xor_b32_e32 v11, s35, v10
	v_xor_b32_e32 v10, s34, v10
	v_and_b32_e32 v8, v8, v11
	v_and_b32_e32 v30, v30, v10
	v_lshlrev_b32_e32 v11, 29, v29
	v_mov_b32_e32 v10, v9
	v_cmp_gt_i64_e64 s[34:35], 0, v[10:11]
	v_not_b32_e32 v10, v11
	v_ashrrev_i32_e32 v10, 31, v10
	v_xor_b32_e32 v11, s35, v10
	v_xor_b32_e32 v10, s34, v10
	v_and_b32_e32 v8, v8, v11
	v_and_b32_e32 v30, v30, v10
	v_lshlrev_b32_e32 v11, 28, v29
	v_mov_b32_e32 v10, v9
	v_cmp_gt_i64_e64 s[34:35], 0, v[10:11]
	v_not_b32_e32 v10, v11
	v_ashrrev_i32_e32 v10, 31, v10
	;; [unrolled: 9-line block ×5, first 2 shown]
	v_xor_b32_e32 v11, s35, v10
	v_xor_b32_e32 v10, s34, v10
	v_and_b32_e32 v8, v8, v11
	v_lshlrev_b32_e32 v11, 24, v29
	v_and_b32_e32 v30, v30, v10
	v_mov_b32_e32 v10, v9
	v_not_b32_e32 v9, v11
	v_cmp_gt_i64_e64 s[34:35], 0, v[10:11]
	v_ashrrev_i32_e32 v9, 31, v9
	ds_read_b32 v27, v33 offset:64
	v_xor_b32_e32 v10, s35, v9
	v_xor_b32_e32 v11, s34, v9
	v_and_b32_e32 v9, v8, v10
	v_and_b32_e32 v8, v30, v11
	v_mbcnt_lo_u32_b32 v10, v8, 0
	v_mbcnt_hi_u32_b32 v29, v9, v10
	v_cmp_eq_u32_e64 s[34:35], 0, v29
	v_cmp_ne_u64_e64 s[36:37], 0, v[8:9]
	s_and_b64 s[36:37], s[36:37], s[34:35]
	; wave barrier
	s_and_saveexec_b64 s[34:35], s[36:37]
	s_cbranch_execz .LBB859_37
; %bb.36:
	v_bcnt_u32_b32 v8, v8, 0
	v_bcnt_u32_b32 v8, v9, v8
	s_waitcnt lgkmcnt(0)
	v_add_u32_e32 v8, v27, v8
	ds_write_b32 v33, v8 offset:64
.LBB859_37:
	s_or_b64 exec, exec, s[34:35]
	v_lshrrev_b32_e32 v8, s64, v14
	v_and_b32_e32 v32, s68, v8
	s_movk_i32 s38, 0x44
	v_mul_lo_u32 v8, v32, s38
	v_lshl_add_u32 v36, v38, 2, v8
	v_and_b32_e32 v8, 1, v32
	v_mov_b32_e32 v9, 0
	v_lshl_add_u64 v[10:11], v[8:9], 0, -1
	v_cmp_ne_u32_e64 s[34:35], 0, v8
	; wave barrier
	s_nop 1
	v_xor_b32_e32 v10, s34, v10
	v_xor_b32_e32 v8, s35, v11
	v_and_b32_e32 v34, exec_lo, v10
	v_lshlrev_b32_e32 v11, 30, v32
	v_mov_b32_e32 v10, v9
	v_cmp_gt_i64_e64 s[34:35], 0, v[10:11]
	v_not_b32_e32 v10, v11
	v_ashrrev_i32_e32 v10, 31, v10
	v_and_b32_e32 v8, exec_hi, v8
	v_xor_b32_e32 v11, s35, v10
	v_xor_b32_e32 v10, s34, v10
	v_and_b32_e32 v8, v8, v11
	v_and_b32_e32 v34, v34, v10
	v_lshlrev_b32_e32 v11, 29, v32
	v_mov_b32_e32 v10, v9
	v_cmp_gt_i64_e64 s[34:35], 0, v[10:11]
	v_not_b32_e32 v10, v11
	v_ashrrev_i32_e32 v10, 31, v10
	v_xor_b32_e32 v11, s35, v10
	v_xor_b32_e32 v10, s34, v10
	v_and_b32_e32 v8, v8, v11
	v_and_b32_e32 v34, v34, v10
	v_lshlrev_b32_e32 v11, 28, v32
	v_mov_b32_e32 v10, v9
	v_cmp_gt_i64_e64 s[34:35], 0, v[10:11]
	v_not_b32_e32 v10, v11
	v_ashrrev_i32_e32 v10, 31, v10
	;; [unrolled: 9-line block ×6, first 2 shown]
	v_xor_b32_e32 v11, s35, v10
	v_xor_b32_e32 v10, s34, v10
	ds_read_b32 v30, v36 offset:64
	v_and_b32_e32 v10, v34, v10
	v_and_b32_e32 v11, v8, v11
	v_mbcnt_lo_u32_b32 v8, v10, 0
	v_mbcnt_hi_u32_b32 v32, v11, v8
	v_cmp_eq_u32_e64 s[34:35], 0, v32
	v_cmp_ne_u64_e64 s[36:37], 0, v[10:11]
	s_and_b64 s[36:37], s[36:37], s[34:35]
	; wave barrier
	s_and_saveexec_b64 s[34:35], s[36:37]
	s_cbranch_execz .LBB859_39
; %bb.38:
	v_bcnt_u32_b32 v8, v10, 0
	v_bcnt_u32_b32 v8, v11, v8
	s_waitcnt lgkmcnt(0)
	v_add_u32_e32 v8, v30, v8
	ds_write_b32 v36, v8 offset:64
.LBB859_39:
	s_or_b64 exec, exec, s[34:35]
	v_lshrrev_b32_e32 v8, s64, v7
	v_and_b32_e32 v35, s68, v8
	v_mul_lo_u32 v8, v35, s38
	v_lshl_add_u32 v40, v38, 2, v8
	v_and_b32_e32 v8, 1, v35
	v_lshl_add_u64 v[10:11], v[8:9], 0, -1
	v_cmp_ne_u32_e64 s[34:35], 0, v8
	; wave barrier
	s_nop 1
	v_xor_b32_e32 v10, s34, v10
	v_xor_b32_e32 v8, s35, v11
	v_and_b32_e32 v37, exec_lo, v10
	v_lshlrev_b32_e32 v11, 30, v35
	v_mov_b32_e32 v10, v9
	v_cmp_gt_i64_e64 s[34:35], 0, v[10:11]
	v_not_b32_e32 v10, v11
	v_ashrrev_i32_e32 v10, 31, v10
	v_and_b32_e32 v8, exec_hi, v8
	v_xor_b32_e32 v11, s35, v10
	v_xor_b32_e32 v10, s34, v10
	v_and_b32_e32 v8, v8, v11
	v_and_b32_e32 v37, v37, v10
	v_lshlrev_b32_e32 v11, 29, v35
	v_mov_b32_e32 v10, v9
	v_cmp_gt_i64_e64 s[34:35], 0, v[10:11]
	v_not_b32_e32 v10, v11
	v_ashrrev_i32_e32 v10, 31, v10
	v_xor_b32_e32 v11, s35, v10
	v_xor_b32_e32 v10, s34, v10
	v_and_b32_e32 v8, v8, v11
	v_and_b32_e32 v37, v37, v10
	v_lshlrev_b32_e32 v11, 28, v35
	v_mov_b32_e32 v10, v9
	v_cmp_gt_i64_e64 s[34:35], 0, v[10:11]
	v_not_b32_e32 v10, v11
	v_ashrrev_i32_e32 v10, 31, v10
	;; [unrolled: 9-line block ×5, first 2 shown]
	v_xor_b32_e32 v11, s35, v10
	v_xor_b32_e32 v10, s34, v10
	v_and_b32_e32 v8, v8, v11
	v_lshlrev_b32_e32 v11, 24, v35
	v_and_b32_e32 v37, v37, v10
	v_mov_b32_e32 v10, v9
	v_not_b32_e32 v9, v11
	v_cmp_gt_i64_e64 s[34:35], 0, v[10:11]
	v_ashrrev_i32_e32 v9, 31, v9
	ds_read_b32 v34, v40 offset:64
	v_xor_b32_e32 v10, s35, v9
	v_xor_b32_e32 v11, s34, v9
	v_and_b32_e32 v9, v8, v10
	v_and_b32_e32 v8, v37, v11
	v_mbcnt_lo_u32_b32 v10, v8, 0
	v_mbcnt_hi_u32_b32 v35, v9, v10
	v_cmp_eq_u32_e64 s[34:35], 0, v35
	v_cmp_ne_u64_e64 s[36:37], 0, v[8:9]
	s_and_b64 s[36:37], s[36:37], s[34:35]
	; wave barrier
	s_and_saveexec_b64 s[34:35], s[36:37]
	s_cbranch_execz .LBB859_41
; %bb.40:
	v_bcnt_u32_b32 v8, v8, 0
	v_bcnt_u32_b32 v8, v9, v8
	s_waitcnt lgkmcnt(0)
	v_add_u32_e32 v8, v34, v8
	ds_write_b32 v40, v8 offset:64
.LBB859_41:
	s_or_b64 exec, exec, s[34:35]
	v_lshrrev_b32_e32 v8, s64, v16
	v_and_b32_e32 v39, s68, v8
	v_mul_lo_u32 v8, v39, s38
	v_lshl_add_u32 v43, v38, 2, v8
	v_and_b32_e32 v8, 1, v39
	v_mov_b32_e32 v9, 0
	v_lshl_add_u64 v[10:11], v[8:9], 0, -1
	v_cmp_ne_u32_e64 s[34:35], 0, v8
	; wave barrier
	s_nop 1
	v_xor_b32_e32 v10, s34, v10
	v_xor_b32_e32 v8, s35, v11
	v_and_b32_e32 v41, exec_lo, v10
	v_lshlrev_b32_e32 v11, 30, v39
	v_mov_b32_e32 v10, v9
	v_cmp_gt_i64_e64 s[34:35], 0, v[10:11]
	v_not_b32_e32 v10, v11
	v_ashrrev_i32_e32 v10, 31, v10
	v_and_b32_e32 v8, exec_hi, v8
	v_xor_b32_e32 v11, s35, v10
	v_xor_b32_e32 v10, s34, v10
	v_and_b32_e32 v8, v8, v11
	v_and_b32_e32 v41, v41, v10
	v_lshlrev_b32_e32 v11, 29, v39
	v_mov_b32_e32 v10, v9
	v_cmp_gt_i64_e64 s[34:35], 0, v[10:11]
	v_not_b32_e32 v10, v11
	v_ashrrev_i32_e32 v10, 31, v10
	v_xor_b32_e32 v11, s35, v10
	v_xor_b32_e32 v10, s34, v10
	v_and_b32_e32 v8, v8, v11
	v_and_b32_e32 v41, v41, v10
	v_lshlrev_b32_e32 v11, 28, v39
	v_mov_b32_e32 v10, v9
	v_cmp_gt_i64_e64 s[34:35], 0, v[10:11]
	v_not_b32_e32 v10, v11
	v_ashrrev_i32_e32 v10, 31, v10
	;; [unrolled: 9-line block ×6, first 2 shown]
	v_xor_b32_e32 v11, s35, v10
	v_xor_b32_e32 v10, s34, v10
	ds_read_b32 v37, v43 offset:64
	v_and_b32_e32 v10, v41, v10
	v_and_b32_e32 v11, v8, v11
	v_mbcnt_lo_u32_b32 v8, v10, 0
	v_mbcnt_hi_u32_b32 v39, v11, v8
	v_cmp_eq_u32_e64 s[34:35], 0, v39
	v_cmp_ne_u64_e64 s[36:37], 0, v[10:11]
	s_and_b64 s[36:37], s[36:37], s[34:35]
	; wave barrier
	s_and_saveexec_b64 s[34:35], s[36:37]
	s_cbranch_execz .LBB859_43
; %bb.42:
	v_bcnt_u32_b32 v8, v10, 0
	v_bcnt_u32_b32 v8, v11, v8
	s_waitcnt lgkmcnt(0)
	v_add_u32_e32 v8, v37, v8
	ds_write_b32 v43, v8 offset:64
.LBB859_43:
	s_or_b64 exec, exec, s[34:35]
	v_lshrrev_b32_e32 v8, s64, v15
	v_and_b32_e32 v42, s68, v8
	v_mul_lo_u32 v8, v42, s38
	v_lshl_add_u32 v45, v38, 2, v8
	v_and_b32_e32 v8, 1, v42
	v_lshl_add_u64 v[10:11], v[8:9], 0, -1
	v_cmp_ne_u32_e64 s[34:35], 0, v8
	; wave barrier
	s_nop 1
	v_xor_b32_e32 v10, s34, v10
	v_xor_b32_e32 v8, s35, v11
	v_and_b32_e32 v44, exec_lo, v10
	v_lshlrev_b32_e32 v11, 30, v42
	v_mov_b32_e32 v10, v9
	v_cmp_gt_i64_e64 s[34:35], 0, v[10:11]
	v_not_b32_e32 v10, v11
	v_ashrrev_i32_e32 v10, 31, v10
	v_and_b32_e32 v8, exec_hi, v8
	v_xor_b32_e32 v11, s35, v10
	v_xor_b32_e32 v10, s34, v10
	v_and_b32_e32 v8, v8, v11
	v_and_b32_e32 v44, v44, v10
	v_lshlrev_b32_e32 v11, 29, v42
	v_mov_b32_e32 v10, v9
	v_cmp_gt_i64_e64 s[34:35], 0, v[10:11]
	v_not_b32_e32 v10, v11
	v_ashrrev_i32_e32 v10, 31, v10
	v_xor_b32_e32 v11, s35, v10
	v_xor_b32_e32 v10, s34, v10
	v_and_b32_e32 v8, v8, v11
	v_and_b32_e32 v44, v44, v10
	v_lshlrev_b32_e32 v11, 28, v42
	v_mov_b32_e32 v10, v9
	v_cmp_gt_i64_e64 s[34:35], 0, v[10:11]
	v_not_b32_e32 v10, v11
	v_ashrrev_i32_e32 v10, 31, v10
	;; [unrolled: 9-line block ×5, first 2 shown]
	v_xor_b32_e32 v11, s35, v10
	v_xor_b32_e32 v10, s34, v10
	v_and_b32_e32 v8, v8, v11
	v_lshlrev_b32_e32 v11, 24, v42
	v_and_b32_e32 v44, v44, v10
	v_mov_b32_e32 v10, v9
	v_not_b32_e32 v9, v11
	v_cmp_gt_i64_e64 s[34:35], 0, v[10:11]
	v_ashrrev_i32_e32 v9, 31, v9
	ds_read_b32 v41, v45 offset:64
	v_xor_b32_e32 v10, s35, v9
	v_xor_b32_e32 v11, s34, v9
	v_and_b32_e32 v9, v8, v10
	v_and_b32_e32 v8, v44, v11
	v_mbcnt_lo_u32_b32 v10, v8, 0
	v_mbcnt_hi_u32_b32 v42, v9, v10
	v_cmp_eq_u32_e64 s[34:35], 0, v42
	v_cmp_ne_u64_e64 s[36:37], 0, v[8:9]
	s_and_b64 s[36:37], s[36:37], s[34:35]
	; wave barrier
	s_and_saveexec_b64 s[34:35], s[36:37]
	s_cbranch_execz .LBB859_45
; %bb.44:
	v_bcnt_u32_b32 v8, v8, 0
	v_bcnt_u32_b32 v8, v9, v8
	s_waitcnt lgkmcnt(0)
	v_add_u32_e32 v8, v41, v8
	ds_write_b32 v45, v8 offset:64
.LBB859_45:
	s_or_b64 exec, exec, s[34:35]
	v_lshrrev_b32_e32 v8, s64, v18
	v_and_b32_e32 v46, s68, v8
	v_mul_lo_u32 v8, v46, s38
	v_lshl_add_u32 v48, v38, 2, v8
	v_and_b32_e32 v8, 1, v46
	v_mov_b32_e32 v9, 0
	v_lshl_add_u64 v[10:11], v[8:9], 0, -1
	v_cmp_ne_u32_e64 s[34:35], 0, v8
	; wave barrier
	s_nop 1
	v_xor_b32_e32 v10, s34, v10
	v_xor_b32_e32 v8, s35, v11
	v_and_b32_e32 v47, exec_lo, v10
	v_lshlrev_b32_e32 v11, 30, v46
	v_mov_b32_e32 v10, v9
	v_cmp_gt_i64_e64 s[34:35], 0, v[10:11]
	v_not_b32_e32 v10, v11
	v_ashrrev_i32_e32 v10, 31, v10
	v_and_b32_e32 v8, exec_hi, v8
	v_xor_b32_e32 v11, s35, v10
	v_xor_b32_e32 v10, s34, v10
	v_and_b32_e32 v8, v8, v11
	v_and_b32_e32 v47, v47, v10
	v_lshlrev_b32_e32 v11, 29, v46
	v_mov_b32_e32 v10, v9
	v_cmp_gt_i64_e64 s[34:35], 0, v[10:11]
	v_not_b32_e32 v10, v11
	v_ashrrev_i32_e32 v10, 31, v10
	v_xor_b32_e32 v11, s35, v10
	v_xor_b32_e32 v10, s34, v10
	v_and_b32_e32 v8, v8, v11
	v_and_b32_e32 v47, v47, v10
	v_lshlrev_b32_e32 v11, 28, v46
	v_mov_b32_e32 v10, v9
	v_cmp_gt_i64_e64 s[34:35], 0, v[10:11]
	v_not_b32_e32 v10, v11
	v_ashrrev_i32_e32 v10, 31, v10
	;; [unrolled: 9-line block ×6, first 2 shown]
	v_xor_b32_e32 v11, s35, v10
	v_xor_b32_e32 v10, s34, v10
	ds_read_b32 v44, v48 offset:64
	v_and_b32_e32 v10, v47, v10
	v_and_b32_e32 v11, v8, v11
	v_mbcnt_lo_u32_b32 v8, v10, 0
	v_mbcnt_hi_u32_b32 v46, v11, v8
	v_cmp_eq_u32_e64 s[34:35], 0, v46
	v_cmp_ne_u64_e64 s[36:37], 0, v[10:11]
	s_and_b64 s[36:37], s[36:37], s[34:35]
	; wave barrier
	s_and_saveexec_b64 s[34:35], s[36:37]
	s_cbranch_execz .LBB859_47
; %bb.46:
	v_bcnt_u32_b32 v8, v10, 0
	v_bcnt_u32_b32 v8, v11, v8
	s_waitcnt lgkmcnt(0)
	v_add_u32_e32 v8, v44, v8
	ds_write_b32 v48, v8 offset:64
.LBB859_47:
	s_or_b64 exec, exec, s[34:35]
	v_lshrrev_b32_e32 v8, s64, v17
	v_and_b32_e32 v49, s68, v8
	v_mul_lo_u32 v8, v49, s38
	v_lshl_add_u32 v51, v38, 2, v8
	v_and_b32_e32 v8, 1, v49
	v_lshl_add_u64 v[10:11], v[8:9], 0, -1
	v_cmp_ne_u32_e64 s[34:35], 0, v8
	; wave barrier
	s_nop 1
	v_xor_b32_e32 v10, s34, v10
	v_xor_b32_e32 v8, s35, v11
	v_and_b32_e32 v50, exec_lo, v10
	v_lshlrev_b32_e32 v11, 30, v49
	v_mov_b32_e32 v10, v9
	v_cmp_gt_i64_e64 s[34:35], 0, v[10:11]
	v_not_b32_e32 v10, v11
	v_ashrrev_i32_e32 v10, 31, v10
	v_and_b32_e32 v8, exec_hi, v8
	v_xor_b32_e32 v11, s35, v10
	v_xor_b32_e32 v10, s34, v10
	v_and_b32_e32 v8, v8, v11
	v_and_b32_e32 v50, v50, v10
	v_lshlrev_b32_e32 v11, 29, v49
	v_mov_b32_e32 v10, v9
	v_cmp_gt_i64_e64 s[34:35], 0, v[10:11]
	v_not_b32_e32 v10, v11
	v_ashrrev_i32_e32 v10, 31, v10
	v_xor_b32_e32 v11, s35, v10
	v_xor_b32_e32 v10, s34, v10
	v_and_b32_e32 v8, v8, v11
	v_and_b32_e32 v50, v50, v10
	v_lshlrev_b32_e32 v11, 28, v49
	v_mov_b32_e32 v10, v9
	v_cmp_gt_i64_e64 s[34:35], 0, v[10:11]
	v_not_b32_e32 v10, v11
	v_ashrrev_i32_e32 v10, 31, v10
	;; [unrolled: 9-line block ×5, first 2 shown]
	v_xor_b32_e32 v11, s35, v10
	v_xor_b32_e32 v10, s34, v10
	v_and_b32_e32 v8, v8, v11
	v_lshlrev_b32_e32 v11, 24, v49
	v_and_b32_e32 v50, v50, v10
	v_mov_b32_e32 v10, v9
	v_not_b32_e32 v9, v11
	v_cmp_gt_i64_e64 s[34:35], 0, v[10:11]
	v_ashrrev_i32_e32 v9, 31, v9
	ds_read_b32 v47, v51 offset:64
	v_xor_b32_e32 v10, s35, v9
	v_xor_b32_e32 v11, s34, v9
	v_and_b32_e32 v9, v8, v10
	v_and_b32_e32 v8, v50, v11
	v_mbcnt_lo_u32_b32 v10, v8, 0
	v_mbcnt_hi_u32_b32 v49, v9, v10
	v_cmp_eq_u32_e64 s[34:35], 0, v49
	v_cmp_ne_u64_e64 s[36:37], 0, v[8:9]
	s_and_b64 s[36:37], s[36:37], s[34:35]
	; wave barrier
	s_and_saveexec_b64 s[34:35], s[36:37]
	s_cbranch_execz .LBB859_49
; %bb.48:
	v_bcnt_u32_b32 v8, v8, 0
	v_bcnt_u32_b32 v8, v9, v8
	s_waitcnt lgkmcnt(0)
	v_add_u32_e32 v8, v47, v8
	ds_write_b32 v51, v8 offset:64
.LBB859_49:
	s_or_b64 exec, exec, s[34:35]
	v_lshrrev_b32_e32 v8, s64, v20
	v_and_b32_e32 v52, s68, v8
	v_mul_lo_u32 v8, v52, s38
	v_lshl_add_u32 v54, v38, 2, v8
	v_and_b32_e32 v8, 1, v52
	v_mov_b32_e32 v9, 0
	v_lshl_add_u64 v[10:11], v[8:9], 0, -1
	v_cmp_ne_u32_e64 s[34:35], 0, v8
	; wave barrier
	s_nop 1
	v_xor_b32_e32 v10, s34, v10
	v_xor_b32_e32 v8, s35, v11
	v_and_b32_e32 v53, exec_lo, v10
	v_lshlrev_b32_e32 v11, 30, v52
	v_mov_b32_e32 v10, v9
	v_cmp_gt_i64_e64 s[34:35], 0, v[10:11]
	v_not_b32_e32 v10, v11
	v_ashrrev_i32_e32 v10, 31, v10
	v_and_b32_e32 v8, exec_hi, v8
	v_xor_b32_e32 v11, s35, v10
	v_xor_b32_e32 v10, s34, v10
	v_and_b32_e32 v8, v8, v11
	v_and_b32_e32 v53, v53, v10
	v_lshlrev_b32_e32 v11, 29, v52
	v_mov_b32_e32 v10, v9
	v_cmp_gt_i64_e64 s[34:35], 0, v[10:11]
	v_not_b32_e32 v10, v11
	v_ashrrev_i32_e32 v10, 31, v10
	v_xor_b32_e32 v11, s35, v10
	v_xor_b32_e32 v10, s34, v10
	v_and_b32_e32 v8, v8, v11
	v_and_b32_e32 v53, v53, v10
	v_lshlrev_b32_e32 v11, 28, v52
	v_mov_b32_e32 v10, v9
	v_cmp_gt_i64_e64 s[34:35], 0, v[10:11]
	v_not_b32_e32 v10, v11
	v_ashrrev_i32_e32 v10, 31, v10
	;; [unrolled: 9-line block ×6, first 2 shown]
	v_xor_b32_e32 v11, s35, v10
	v_xor_b32_e32 v10, s34, v10
	ds_read_b32 v50, v54 offset:64
	v_and_b32_e32 v10, v53, v10
	v_and_b32_e32 v11, v8, v11
	v_mbcnt_lo_u32_b32 v8, v10, 0
	v_mbcnt_hi_u32_b32 v52, v11, v8
	v_cmp_eq_u32_e64 s[34:35], 0, v52
	v_cmp_ne_u64_e64 s[36:37], 0, v[10:11]
	s_and_b64 s[36:37], s[36:37], s[34:35]
	; wave barrier
	s_and_saveexec_b64 s[34:35], s[36:37]
	s_cbranch_execz .LBB859_51
; %bb.50:
	v_bcnt_u32_b32 v8, v10, 0
	v_bcnt_u32_b32 v8, v11, v8
	s_waitcnt lgkmcnt(0)
	v_add_u32_e32 v8, v50, v8
	ds_write_b32 v54, v8 offset:64
.LBB859_51:
	s_or_b64 exec, exec, s[34:35]
	v_lshrrev_b32_e32 v8, s64, v19
	v_and_b32_e32 v55, s68, v8
	v_mul_lo_u32 v8, v55, s38
	v_lshl_add_u32 v57, v38, 2, v8
	v_and_b32_e32 v8, 1, v55
	v_lshl_add_u64 v[10:11], v[8:9], 0, -1
	v_cmp_ne_u32_e64 s[34:35], 0, v8
	; wave barrier
	s_nop 1
	v_xor_b32_e32 v10, s34, v10
	v_xor_b32_e32 v8, s35, v11
	v_and_b32_e32 v56, exec_lo, v10
	v_lshlrev_b32_e32 v11, 30, v55
	v_mov_b32_e32 v10, v9
	v_cmp_gt_i64_e64 s[34:35], 0, v[10:11]
	v_not_b32_e32 v10, v11
	v_ashrrev_i32_e32 v10, 31, v10
	v_and_b32_e32 v8, exec_hi, v8
	v_xor_b32_e32 v11, s35, v10
	v_xor_b32_e32 v10, s34, v10
	v_and_b32_e32 v8, v8, v11
	v_and_b32_e32 v56, v56, v10
	v_lshlrev_b32_e32 v11, 29, v55
	v_mov_b32_e32 v10, v9
	v_cmp_gt_i64_e64 s[34:35], 0, v[10:11]
	v_not_b32_e32 v10, v11
	v_ashrrev_i32_e32 v10, 31, v10
	v_xor_b32_e32 v11, s35, v10
	v_xor_b32_e32 v10, s34, v10
	v_and_b32_e32 v8, v8, v11
	v_and_b32_e32 v56, v56, v10
	v_lshlrev_b32_e32 v11, 28, v55
	v_mov_b32_e32 v10, v9
	v_cmp_gt_i64_e64 s[34:35], 0, v[10:11]
	v_not_b32_e32 v10, v11
	v_ashrrev_i32_e32 v10, 31, v10
	;; [unrolled: 9-line block ×5, first 2 shown]
	v_xor_b32_e32 v11, s35, v10
	v_xor_b32_e32 v10, s34, v10
	v_and_b32_e32 v8, v8, v11
	v_lshlrev_b32_e32 v11, 24, v55
	v_and_b32_e32 v56, v56, v10
	v_mov_b32_e32 v10, v9
	v_not_b32_e32 v9, v11
	v_cmp_gt_i64_e64 s[34:35], 0, v[10:11]
	v_ashrrev_i32_e32 v9, 31, v9
	ds_read_b32 v53, v57 offset:64
	v_xor_b32_e32 v10, s35, v9
	v_xor_b32_e32 v11, s34, v9
	v_and_b32_e32 v9, v8, v10
	v_and_b32_e32 v8, v56, v11
	v_mbcnt_lo_u32_b32 v10, v8, 0
	v_mbcnt_hi_u32_b32 v55, v9, v10
	v_cmp_eq_u32_e64 s[34:35], 0, v55
	v_cmp_ne_u64_e64 s[36:37], 0, v[8:9]
	s_and_b64 s[36:37], s[36:37], s[34:35]
	; wave barrier
	s_and_saveexec_b64 s[34:35], s[36:37]
	s_cbranch_execz .LBB859_53
; %bb.52:
	v_bcnt_u32_b32 v8, v8, 0
	v_bcnt_u32_b32 v8, v9, v8
	s_waitcnt lgkmcnt(0)
	v_add_u32_e32 v8, v53, v8
	ds_write_b32 v57, v8 offset:64
.LBB859_53:
	s_or_b64 exec, exec, s[34:35]
	v_lshrrev_b32_e32 v8, s64, v22
	v_and_b32_e32 v58, s68, v8
	v_mul_lo_u32 v8, v58, s38
	v_lshl_add_u32 v60, v38, 2, v8
	v_and_b32_e32 v8, 1, v58
	v_mov_b32_e32 v9, 0
	v_lshl_add_u64 v[10:11], v[8:9], 0, -1
	v_cmp_ne_u32_e64 s[34:35], 0, v8
	; wave barrier
	s_nop 1
	v_xor_b32_e32 v10, s34, v10
	v_xor_b32_e32 v8, s35, v11
	v_and_b32_e32 v59, exec_lo, v10
	v_lshlrev_b32_e32 v11, 30, v58
	v_mov_b32_e32 v10, v9
	v_cmp_gt_i64_e64 s[34:35], 0, v[10:11]
	v_not_b32_e32 v10, v11
	v_ashrrev_i32_e32 v10, 31, v10
	v_and_b32_e32 v8, exec_hi, v8
	v_xor_b32_e32 v11, s35, v10
	v_xor_b32_e32 v10, s34, v10
	v_and_b32_e32 v8, v8, v11
	v_and_b32_e32 v59, v59, v10
	v_lshlrev_b32_e32 v11, 29, v58
	v_mov_b32_e32 v10, v9
	v_cmp_gt_i64_e64 s[34:35], 0, v[10:11]
	v_not_b32_e32 v10, v11
	v_ashrrev_i32_e32 v10, 31, v10
	v_xor_b32_e32 v11, s35, v10
	v_xor_b32_e32 v10, s34, v10
	v_and_b32_e32 v8, v8, v11
	v_and_b32_e32 v59, v59, v10
	v_lshlrev_b32_e32 v11, 28, v58
	v_mov_b32_e32 v10, v9
	v_cmp_gt_i64_e64 s[34:35], 0, v[10:11]
	v_not_b32_e32 v10, v11
	v_ashrrev_i32_e32 v10, 31, v10
	;; [unrolled: 9-line block ×6, first 2 shown]
	v_xor_b32_e32 v11, s35, v10
	v_xor_b32_e32 v10, s34, v10
	ds_read_b32 v56, v60 offset:64
	v_and_b32_e32 v10, v59, v10
	v_and_b32_e32 v11, v8, v11
	v_mbcnt_lo_u32_b32 v8, v10, 0
	v_mbcnt_hi_u32_b32 v58, v11, v8
	v_cmp_eq_u32_e64 s[34:35], 0, v58
	v_cmp_ne_u64_e64 s[36:37], 0, v[10:11]
	s_and_b64 s[36:37], s[36:37], s[34:35]
	; wave barrier
	s_and_saveexec_b64 s[34:35], s[36:37]
	s_cbranch_execz .LBB859_55
; %bb.54:
	v_bcnt_u32_b32 v8, v10, 0
	v_bcnt_u32_b32 v8, v11, v8
	s_waitcnt lgkmcnt(0)
	v_add_u32_e32 v8, v56, v8
	ds_write_b32 v60, v8 offset:64
.LBB859_55:
	s_or_b64 exec, exec, s[34:35]
	v_lshrrev_b32_e32 v8, s64, v21
	v_and_b32_e32 v61, s68, v8
	v_mul_lo_u32 v8, v61, s38
	v_lshl_add_u32 v63, v38, 2, v8
	v_and_b32_e32 v8, 1, v61
	v_lshl_add_u64 v[10:11], v[8:9], 0, -1
	v_cmp_ne_u32_e64 s[34:35], 0, v8
	; wave barrier
	s_nop 1
	v_xor_b32_e32 v10, s34, v10
	v_xor_b32_e32 v8, s35, v11
	v_and_b32_e32 v62, exec_lo, v10
	v_lshlrev_b32_e32 v11, 30, v61
	v_mov_b32_e32 v10, v9
	v_cmp_gt_i64_e64 s[34:35], 0, v[10:11]
	v_not_b32_e32 v10, v11
	v_ashrrev_i32_e32 v10, 31, v10
	v_and_b32_e32 v8, exec_hi, v8
	v_xor_b32_e32 v11, s35, v10
	v_xor_b32_e32 v10, s34, v10
	v_and_b32_e32 v8, v8, v11
	v_and_b32_e32 v62, v62, v10
	v_lshlrev_b32_e32 v11, 29, v61
	v_mov_b32_e32 v10, v9
	v_cmp_gt_i64_e64 s[34:35], 0, v[10:11]
	v_not_b32_e32 v10, v11
	v_ashrrev_i32_e32 v10, 31, v10
	v_xor_b32_e32 v11, s35, v10
	v_xor_b32_e32 v10, s34, v10
	v_and_b32_e32 v8, v8, v11
	v_and_b32_e32 v62, v62, v10
	v_lshlrev_b32_e32 v11, 28, v61
	v_mov_b32_e32 v10, v9
	v_cmp_gt_i64_e64 s[34:35], 0, v[10:11]
	v_not_b32_e32 v10, v11
	v_ashrrev_i32_e32 v10, 31, v10
	;; [unrolled: 9-line block ×5, first 2 shown]
	v_xor_b32_e32 v11, s35, v10
	v_xor_b32_e32 v10, s34, v10
	v_and_b32_e32 v8, v8, v11
	v_lshlrev_b32_e32 v11, 24, v61
	v_and_b32_e32 v62, v62, v10
	v_mov_b32_e32 v10, v9
	v_not_b32_e32 v9, v11
	v_cmp_gt_i64_e64 s[34:35], 0, v[10:11]
	v_ashrrev_i32_e32 v9, 31, v9
	ds_read_b32 v59, v63 offset:64
	v_xor_b32_e32 v10, s35, v9
	v_xor_b32_e32 v11, s34, v9
	v_and_b32_e32 v9, v8, v10
	v_and_b32_e32 v8, v62, v11
	v_mbcnt_lo_u32_b32 v10, v8, 0
	v_mbcnt_hi_u32_b32 v61, v9, v10
	v_cmp_eq_u32_e64 s[34:35], 0, v61
	v_cmp_ne_u64_e64 s[36:37], 0, v[8:9]
	s_and_b64 s[36:37], s[36:37], s[34:35]
	; wave barrier
	s_and_saveexec_b64 s[34:35], s[36:37]
	s_cbranch_execz .LBB859_57
; %bb.56:
	v_bcnt_u32_b32 v8, v8, 0
	v_bcnt_u32_b32 v8, v9, v8
	s_waitcnt lgkmcnt(0)
	v_add_u32_e32 v8, v59, v8
	ds_write_b32 v63, v8 offset:64
.LBB859_57:
	s_or_b64 exec, exec, s[34:35]
	v_lshrrev_b32_e32 v8, s64, v24
	v_and_b32_e32 v64, s68, v8
	v_mul_lo_u32 v8, v64, s38
	v_lshl_add_u32 v66, v38, 2, v8
	v_and_b32_e32 v8, 1, v64
	v_mov_b32_e32 v9, 0
	v_lshl_add_u64 v[10:11], v[8:9], 0, -1
	v_cmp_ne_u32_e64 s[34:35], 0, v8
	; wave barrier
	s_nop 1
	v_xor_b32_e32 v10, s34, v10
	v_xor_b32_e32 v8, s35, v11
	v_and_b32_e32 v65, exec_lo, v10
	v_lshlrev_b32_e32 v11, 30, v64
	v_mov_b32_e32 v10, v9
	v_cmp_gt_i64_e64 s[34:35], 0, v[10:11]
	v_not_b32_e32 v10, v11
	v_ashrrev_i32_e32 v10, 31, v10
	v_and_b32_e32 v8, exec_hi, v8
	v_xor_b32_e32 v11, s35, v10
	v_xor_b32_e32 v10, s34, v10
	v_and_b32_e32 v8, v8, v11
	v_and_b32_e32 v65, v65, v10
	v_lshlrev_b32_e32 v11, 29, v64
	v_mov_b32_e32 v10, v9
	v_cmp_gt_i64_e64 s[34:35], 0, v[10:11]
	v_not_b32_e32 v10, v11
	v_ashrrev_i32_e32 v10, 31, v10
	v_xor_b32_e32 v11, s35, v10
	v_xor_b32_e32 v10, s34, v10
	v_and_b32_e32 v8, v8, v11
	v_and_b32_e32 v65, v65, v10
	v_lshlrev_b32_e32 v11, 28, v64
	v_mov_b32_e32 v10, v9
	v_cmp_gt_i64_e64 s[34:35], 0, v[10:11]
	v_not_b32_e32 v10, v11
	v_ashrrev_i32_e32 v10, 31, v10
	;; [unrolled: 9-line block ×6, first 2 shown]
	v_xor_b32_e32 v11, s35, v10
	v_xor_b32_e32 v10, s34, v10
	ds_read_b32 v62, v66 offset:64
	v_and_b32_e32 v10, v65, v10
	v_and_b32_e32 v11, v8, v11
	v_mbcnt_lo_u32_b32 v8, v10, 0
	v_mbcnt_hi_u32_b32 v64, v11, v8
	v_cmp_eq_u32_e64 s[34:35], 0, v64
	v_cmp_ne_u64_e64 s[36:37], 0, v[10:11]
	s_and_b64 s[36:37], s[36:37], s[34:35]
	; wave barrier
	s_and_saveexec_b64 s[34:35], s[36:37]
	s_cbranch_execz .LBB859_59
; %bb.58:
	v_bcnt_u32_b32 v8, v10, 0
	v_bcnt_u32_b32 v8, v11, v8
	s_waitcnt lgkmcnt(0)
	v_add_u32_e32 v8, v62, v8
	ds_write_b32 v66, v8 offset:64
.LBB859_59:
	s_or_b64 exec, exec, s[34:35]
	v_lshrrev_b32_e32 v8, s64, v23
	v_and_b32_e32 v67, s68, v8
	v_mul_lo_u32 v8, v67, s38
	v_lshl_add_u32 v69, v38, 2, v8
	v_and_b32_e32 v8, 1, v67
	v_lshl_add_u64 v[10:11], v[8:9], 0, -1
	v_cmp_ne_u32_e64 s[34:35], 0, v8
	; wave barrier
	s_nop 1
	v_xor_b32_e32 v10, s34, v10
	v_xor_b32_e32 v8, s35, v11
	v_and_b32_e32 v68, exec_lo, v10
	v_lshlrev_b32_e32 v11, 30, v67
	v_mov_b32_e32 v10, v9
	v_cmp_gt_i64_e64 s[34:35], 0, v[10:11]
	v_not_b32_e32 v10, v11
	v_ashrrev_i32_e32 v10, 31, v10
	v_and_b32_e32 v8, exec_hi, v8
	v_xor_b32_e32 v11, s35, v10
	v_xor_b32_e32 v10, s34, v10
	v_and_b32_e32 v8, v8, v11
	v_and_b32_e32 v68, v68, v10
	v_lshlrev_b32_e32 v11, 29, v67
	v_mov_b32_e32 v10, v9
	v_cmp_gt_i64_e64 s[34:35], 0, v[10:11]
	v_not_b32_e32 v10, v11
	v_ashrrev_i32_e32 v10, 31, v10
	v_xor_b32_e32 v11, s35, v10
	v_xor_b32_e32 v10, s34, v10
	v_and_b32_e32 v8, v8, v11
	v_and_b32_e32 v68, v68, v10
	v_lshlrev_b32_e32 v11, 28, v67
	v_mov_b32_e32 v10, v9
	v_cmp_gt_i64_e64 s[34:35], 0, v[10:11]
	v_not_b32_e32 v10, v11
	v_ashrrev_i32_e32 v10, 31, v10
	;; [unrolled: 9-line block ×5, first 2 shown]
	v_xor_b32_e32 v11, s35, v10
	v_xor_b32_e32 v10, s34, v10
	v_and_b32_e32 v8, v8, v11
	v_lshlrev_b32_e32 v11, 24, v67
	v_and_b32_e32 v68, v68, v10
	v_mov_b32_e32 v10, v9
	v_not_b32_e32 v9, v11
	v_cmp_gt_i64_e64 s[34:35], 0, v[10:11]
	v_ashrrev_i32_e32 v9, 31, v9
	ds_read_b32 v65, v69 offset:64
	v_xor_b32_e32 v10, s35, v9
	v_xor_b32_e32 v11, s34, v9
	v_and_b32_e32 v9, v8, v10
	v_and_b32_e32 v8, v68, v11
	v_mbcnt_lo_u32_b32 v10, v8, 0
	v_mbcnt_hi_u32_b32 v67, v9, v10
	v_cmp_eq_u32_e64 s[34:35], 0, v67
	v_cmp_ne_u64_e64 s[36:37], 0, v[8:9]
	s_and_b64 s[36:37], s[36:37], s[34:35]
	; wave barrier
	s_and_saveexec_b64 s[34:35], s[36:37]
	s_cbranch_execz .LBB859_61
; %bb.60:
	v_bcnt_u32_b32 v8, v8, 0
	v_bcnt_u32_b32 v8, v9, v8
	s_waitcnt lgkmcnt(0)
	v_add_u32_e32 v8, v65, v8
	ds_write_b32 v69, v8 offset:64
.LBB859_61:
	s_or_b64 exec, exec, s[34:35]
	v_lshrrev_b32_e32 v8, s64, v26
	v_and_b32_e32 v70, s68, v8
	v_mul_lo_u32 v8, v70, s38
	v_lshl_add_u32 v72, v38, 2, v8
	v_and_b32_e32 v8, 1, v70
	v_mov_b32_e32 v9, 0
	v_lshl_add_u64 v[10:11], v[8:9], 0, -1
	v_cmp_ne_u32_e64 s[34:35], 0, v8
	; wave barrier
	s_nop 1
	v_xor_b32_e32 v10, s34, v10
	v_xor_b32_e32 v8, s35, v11
	v_and_b32_e32 v71, exec_lo, v10
	v_lshlrev_b32_e32 v11, 30, v70
	v_mov_b32_e32 v10, v9
	v_cmp_gt_i64_e64 s[34:35], 0, v[10:11]
	v_not_b32_e32 v10, v11
	v_ashrrev_i32_e32 v10, 31, v10
	v_and_b32_e32 v8, exec_hi, v8
	v_xor_b32_e32 v11, s35, v10
	v_xor_b32_e32 v10, s34, v10
	v_and_b32_e32 v8, v8, v11
	v_and_b32_e32 v71, v71, v10
	v_lshlrev_b32_e32 v11, 29, v70
	v_mov_b32_e32 v10, v9
	v_cmp_gt_i64_e64 s[34:35], 0, v[10:11]
	v_not_b32_e32 v10, v11
	v_ashrrev_i32_e32 v10, 31, v10
	v_xor_b32_e32 v11, s35, v10
	v_xor_b32_e32 v10, s34, v10
	v_and_b32_e32 v8, v8, v11
	v_and_b32_e32 v71, v71, v10
	v_lshlrev_b32_e32 v11, 28, v70
	v_mov_b32_e32 v10, v9
	v_cmp_gt_i64_e64 s[34:35], 0, v[10:11]
	v_not_b32_e32 v10, v11
	v_ashrrev_i32_e32 v10, 31, v10
	;; [unrolled: 9-line block ×6, first 2 shown]
	v_xor_b32_e32 v11, s35, v10
	v_xor_b32_e32 v10, s34, v10
	ds_read_b32 v68, v72 offset:64
	v_and_b32_e32 v10, v71, v10
	v_and_b32_e32 v11, v8, v11
	v_mbcnt_lo_u32_b32 v8, v10, 0
	v_mbcnt_hi_u32_b32 v70, v11, v8
	v_cmp_eq_u32_e64 s[34:35], 0, v70
	v_cmp_ne_u64_e64 s[36:37], 0, v[10:11]
	s_and_b64 s[36:37], s[36:37], s[34:35]
	; wave barrier
	s_and_saveexec_b64 s[34:35], s[36:37]
	s_cbranch_execz .LBB859_63
; %bb.62:
	v_bcnt_u32_b32 v8, v10, 0
	v_bcnt_u32_b32 v8, v11, v8
	s_waitcnt lgkmcnt(0)
	v_add_u32_e32 v8, v68, v8
	ds_write_b32 v72, v8 offset:64
.LBB859_63:
	s_or_b64 exec, exec, s[34:35]
	v_lshrrev_b32_e32 v8, s64, v25
	v_and_b32_e32 v73, s68, v8
	v_mul_lo_u32 v8, v73, s38
	v_lshl_add_u32 v74, v38, 2, v8
	v_and_b32_e32 v8, 1, v73
	v_lshl_add_u64 v[10:11], v[8:9], 0, -1
	v_cmp_ne_u32_e64 s[34:35], 0, v8
	; wave barrier
	s_nop 1
	v_xor_b32_e32 v10, s34, v10
	v_xor_b32_e32 v8, s35, v11
	v_and_b32_e32 v38, exec_lo, v10
	v_lshlrev_b32_e32 v11, 30, v73
	v_mov_b32_e32 v10, v9
	v_cmp_gt_i64_e64 s[34:35], 0, v[10:11]
	v_not_b32_e32 v10, v11
	v_ashrrev_i32_e32 v10, 31, v10
	v_and_b32_e32 v8, exec_hi, v8
	v_xor_b32_e32 v11, s35, v10
	v_xor_b32_e32 v10, s34, v10
	v_and_b32_e32 v8, v8, v11
	v_and_b32_e32 v38, v38, v10
	v_lshlrev_b32_e32 v11, 29, v73
	v_mov_b32_e32 v10, v9
	v_cmp_gt_i64_e64 s[34:35], 0, v[10:11]
	v_not_b32_e32 v10, v11
	v_ashrrev_i32_e32 v10, 31, v10
	v_xor_b32_e32 v11, s35, v10
	v_xor_b32_e32 v10, s34, v10
	v_and_b32_e32 v8, v8, v11
	v_and_b32_e32 v38, v38, v10
	v_lshlrev_b32_e32 v11, 28, v73
	v_mov_b32_e32 v10, v9
	v_cmp_gt_i64_e64 s[34:35], 0, v[10:11]
	v_not_b32_e32 v10, v11
	v_ashrrev_i32_e32 v10, 31, v10
	;; [unrolled: 9-line block ×5, first 2 shown]
	v_xor_b32_e32 v11, s35, v10
	v_xor_b32_e32 v10, s34, v10
	v_and_b32_e32 v8, v8, v11
	v_lshlrev_b32_e32 v11, 24, v73
	v_and_b32_e32 v38, v38, v10
	v_mov_b32_e32 v10, v9
	v_not_b32_e32 v9, v11
	v_cmp_gt_i64_e64 s[34:35], 0, v[10:11]
	v_ashrrev_i32_e32 v9, 31, v9
	ds_read_b32 v71, v74 offset:64
	v_xor_b32_e32 v10, s35, v9
	v_xor_b32_e32 v11, s34, v9
	v_and_b32_e32 v9, v8, v10
	v_and_b32_e32 v8, v38, v11
	v_mbcnt_lo_u32_b32 v10, v8, 0
	v_mbcnt_hi_u32_b32 v73, v9, v10
	v_cmp_eq_u32_e64 s[34:35], 0, v73
	v_cmp_ne_u64_e64 s[36:37], 0, v[8:9]
	s_and_b64 s[36:37], s[36:37], s[34:35]
	; wave barrier
	s_and_saveexec_b64 s[34:35], s[36:37]
	s_cbranch_execz .LBB859_65
; %bb.64:
	v_bcnt_u32_b32 v8, v8, 0
	v_bcnt_u32_b32 v8, v9, v8
	s_waitcnt lgkmcnt(0)
	v_add_u32_e32 v8, v71, v8
	ds_write_b32 v74, v8 offset:64
.LBB859_65:
	s_or_b64 exec, exec, s[34:35]
	; wave barrier
	s_waitcnt lgkmcnt(0)
	s_barrier
	ds_read2_b32 v[10:11], v13 offset0:16 offset1:17
	ds_read2_b32 v[8:9], v13 offset0:18 offset1:19
	ds_read_b32 v38, v13 offset:80
	v_cmp_lt_u32_e64 s[44:45], 31, v12
	s_waitcnt lgkmcnt(1)
	v_add3_u32 v75, v11, v10, v8
	s_waitcnt lgkmcnt(0)
	v_add3_u32 v38, v75, v9, v38
	v_and_b32_e32 v75, 15, v12
	v_cmp_eq_u32_e64 s[34:35], 0, v75
	v_mov_b32_dpp v76, v38 row_shr:1 row_mask:0xf bank_mask:0xf
	v_cmp_lt_u32_e64 s[36:37], 1, v75
	v_cndmask_b32_e64 v76, v76, 0, s[34:35]
	v_add_u32_e32 v38, v76, v38
	v_cmp_lt_u32_e64 s[38:39], 3, v75
	v_cmp_lt_u32_e64 s[40:41], 7, v75
	v_mov_b32_dpp v76, v38 row_shr:2 row_mask:0xf bank_mask:0xf
	v_cndmask_b32_e64 v76, 0, v76, s[36:37]
	v_add_u32_e32 v38, v38, v76
	s_nop 1
	v_mov_b32_dpp v76, v38 row_shr:4 row_mask:0xf bank_mask:0xf
	v_cndmask_b32_e64 v76, 0, v76, s[38:39]
	v_add_u32_e32 v38, v38, v76
	s_nop 1
	v_mov_b32_dpp v76, v38 row_shr:8 row_mask:0xf bank_mask:0xf
	v_cndmask_b32_e64 v75, 0, v76, s[40:41]
	v_add_u32_e32 v38, v38, v75
	v_bfe_i32 v76, v12, 4, 1
	s_nop 0
	v_mov_b32_dpp v75, v38 row_bcast:15 row_mask:0xf bank_mask:0xf
	v_and_b32_e32 v75, v76, v75
	v_add_u32_e32 v38, v38, v75
	v_lshrrev_b32_e32 v76, 6, v2
	s_nop 0
	v_mov_b32_dpp v75, v38 row_bcast:31 row_mask:0xf bank_mask:0xf
	v_cndmask_b32_e64 v75, 0, v75, s[44:45]
	v_add_u32_e32 v75, v38, v75
	v_and_b32_e32 v38, 63, v2
	v_cmp_eq_u32_e64 s[44:45], 63, v38
	s_and_saveexec_b64 s[46:47], s[44:45]
; %bb.66:
	v_lshlrev_b32_e32 v38, 2, v76
	ds_write_b32 v38, v75
; %bb.67:
	s_or_b64 exec, exec, s[46:47]
	v_cmp_gt_u32_e64 s[44:45], 16, v2
	v_lshlrev_b32_e32 v38, 2, v2
	s_waitcnt lgkmcnt(0)
	s_barrier
	s_and_saveexec_b64 s[46:47], s[44:45]
	s_cbranch_execz .LBB859_69
; %bb.68:
	ds_read_b32 v77, v38
	s_waitcnt lgkmcnt(0)
	s_nop 0
	v_mov_b32_dpp v78, v77 row_shr:1 row_mask:0xf bank_mask:0xf
	v_cndmask_b32_e64 v78, v78, 0, s[34:35]
	v_add_u32_e32 v77, v78, v77
	s_nop 1
	v_mov_b32_dpp v78, v77 row_shr:2 row_mask:0xf bank_mask:0xf
	v_cndmask_b32_e64 v78, 0, v78, s[36:37]
	v_add_u32_e32 v77, v77, v78
	;; [unrolled: 4-line block ×4, first 2 shown]
	ds_write_b32 v38, v77
.LBB859_69:
	s_or_b64 exec, exec, s[46:47]
	v_cmp_lt_u32_e64 s[34:35], 63, v2
	v_mov_b32_e32 v77, 0
	s_waitcnt lgkmcnt(0)
	s_barrier
	s_and_saveexec_b64 s[36:37], s[34:35]
; %bb.70:
	v_lshl_add_u32 v76, v76, 2, -4
	ds_read_b32 v77, v76
; %bb.71:
	s_or_b64 exec, exec, s[36:37]
	v_subrev_co_u32_e64 v76, s[34:35], 1, v12
	v_and_b32_e32 v78, 64, v12
	v_cmp_lt_i32_e64 s[36:37], v76, v78
	s_waitcnt lgkmcnt(0)
	v_add_u32_e32 v75, v77, v75
	s_movk_i32 s38, 0x100
	v_cndmask_b32_e64 v12, v76, v12, s[36:37]
	v_lshlrev_b32_e32 v12, 2, v12
	ds_bpermute_b32 v12, v12, v75
	v_cmp_gt_u32_e64 s[36:37], s38, v2
	s_waitcnt lgkmcnt(0)
	v_cndmask_b32_e64 v12, v12, v77, s[34:35]
	v_cmp_ne_u32_e64 s[34:35], 0, v2
	s_nop 1
	v_cndmask_b32_e64 v12, 0, v12, s[34:35]
	v_add_u32_e32 v10, v12, v10
	v_add_u32_e32 v11, v10, v11
	;; [unrolled: 1-line block ×4, first 2 shown]
	ds_write2_b32 v13, v12, v10 offset0:16 offset1:17
	ds_write2_b32 v13, v11, v8 offset0:18 offset1:19
	ds_write_b32 v13, v9 offset:80
	s_waitcnt lgkmcnt(0)
	s_barrier
	ds_read_b32 v84, v31 offset:64
	ds_read_b32 v75, v33 offset:64
	;; [unrolled: 1-line block ×16, first 2 shown]
	s_movk_i32 s34, 0xff
	v_cmp_lt_u32_e64 s[34:35], s34, v2
                                        ; implicit-def: $vgpr31
                                        ; implicit-def: $vgpr33
	s_and_saveexec_b64 s[40:41], s[36:37]
	s_cbranch_execz .LBB859_75
; %bb.72:
	v_mul_u32_u24_e32 v8, 0x44, v2
	ds_read_b32 v31, v8 offset:64
	v_add_u32_e32 v9, 1, v2
	v_cmp_ne_u32_e64 s[38:39], s38, v9
	v_mov_b32_e32 v8, 0x4000
	s_and_saveexec_b64 s[44:45], s[38:39]
; %bb.73:
	v_mul_u32_u24_e32 v8, 0x44, v9
	ds_read_b32 v8, v8 offset:64
; %bb.74:
	s_or_b64 exec, exec, s[44:45]
	s_waitcnt lgkmcnt(0)
	v_sub_u32_e32 v33, v8, v31
.LBB859_75:
	s_or_b64 exec, exec, s[40:41]
	v_mov_b32_e32 v9, 0
	s_waitcnt lgkmcnt(0)
	s_barrier
	s_and_saveexec_b64 s[38:39], s[36:37]
	s_cbranch_execz .LBB859_85
; %bb.76:
	v_lshl_add_u32 v8, s2, 8, v2
	v_lshl_add_u64 v[10:11], v[8:9], 2, s[50:51]
	v_or_b32_e32 v8, 2.0, v33
	s_mov_b64 s[40:41], 0
	s_brev_b32 s48, -4
	s_mov_b32 s49, s2
	v_mov_b32_e32 v48, 0
	global_store_dword v[10:11], v8, off sc1
                                        ; implicit-def: $sgpr36_sgpr37
	s_branch .LBB859_79
.LBB859_77:                             ;   in Loop: Header=BB859_79 Depth=1
	s_or_b64 exec, exec, s[46:47]
.LBB859_78:                             ;   in Loop: Header=BB859_79 Depth=1
	s_or_b64 exec, exec, s[44:45]
	v_and_b32_e32 v12, 0x3fffffff, v8
	v_add_u32_e32 v48, v12, v48
	v_cmp_gt_i32_e64 s[36:37], -2.0, v8
	s_and_b64 s[44:45], exec, s[36:37]
	s_or_b64 s[40:41], s[44:45], s[40:41]
	s_andn2_b64 exec, exec, s[40:41]
	s_cbranch_execz .LBB859_84
.LBB859_79:                             ; =>This Loop Header: Depth=1
                                        ;     Child Loop BB859_82 Depth 2
	s_or_b64 s[36:37], s[36:37], exec
	s_cmp_eq_u32 s49, 0
	s_cbranch_scc1 .LBB859_83
; %bb.80:                               ;   in Loop: Header=BB859_79 Depth=1
	s_add_i32 s49, s49, -1
	v_lshl_or_b32 v8, s49, 8, v2
	v_lshl_add_u64 v[12:13], v[8:9], 2, s[50:51]
	global_load_dword v8, v[12:13], off sc1
	s_waitcnt vmcnt(0)
	v_cmp_gt_u32_e64 s[36:37], 2.0, v8
	s_and_saveexec_b64 s[44:45], s[36:37]
	s_cbranch_execz .LBB859_78
; %bb.81:                               ;   in Loop: Header=BB859_79 Depth=1
	s_mov_b64 s[46:47], 0
.LBB859_82:                             ;   Parent Loop BB859_79 Depth=1
                                        ; =>  This Inner Loop Header: Depth=2
	global_load_dword v8, v[12:13], off sc1
	s_waitcnt vmcnt(0)
	v_cmp_lt_u32_e64 s[36:37], s48, v8
	s_or_b64 s[46:47], s[36:37], s[46:47]
	s_andn2_b64 exec, exec, s[46:47]
	s_cbranch_execnz .LBB859_82
	s_branch .LBB859_77
.LBB859_83:                             ;   in Loop: Header=BB859_79 Depth=1
                                        ; implicit-def: $sgpr49
	s_and_b64 s[44:45], exec, s[36:37]
	s_or_b64 s[40:41], s[44:45], s[40:41]
	s_andn2_b64 exec, exec, s[40:41]
	s_cbranch_execnz .LBB859_79
.LBB859_84:
	s_or_b64 exec, exec, s[40:41]
	v_add_u32_e32 v8, v48, v33
	v_or_b32_e32 v8, 0x80000000, v8
	global_store_dword v[10:11], v8, off sc1
	global_load_dword v8, v38, s[60:61]
	v_sub_u32_e32 v9, v48, v31
	s_waitcnt vmcnt(0)
	v_add_u32_e32 v8, v9, v8
	ds_write_b32 v38, v8
.LBB859_85:
	s_or_b64 exec, exec, s[38:39]
	v_add_u32_e32 v10, v84, v28
	v_add3_u32 v8, v29, v27, v75
	v_add3_u32 v9, v32, v30, v76
	;; [unrolled: 1-line block ×15, first 2 shown]
	v_mov_b32_e32 v87, 0x400
	s_movk_i32 s40, 0x400
	v_lshl_add_u32 v11, v11, 2, v87
	v_add3_u32 v12, v73, v43, v71
	v_lshl_add_u32 v13, v13, 2, v87
	v_add3_u32 v28, v70, v36, v68
	v_lshl_add_u32 v36, v86, 2, v87
	v_add3_u32 v40, v67, v40, v65
	v_lshl_add_u32 v43, v85, 2, v87
	v_add3_u32 v45, v64, v45, v62
	v_lshl_add_u32 v48, v48, 2, v87
	v_add3_u32 v51, v61, v51, v59
	v_lshl_add_u32 v54, v54, 2, v87
	v_add3_u32 v56, v58, v57, v56
	v_lshl_add_u32 v57, v84, 2, v87
	v_add3_u32 v53, v55, v83, v53
	v_lshl_add_u32 v55, v74, 2, v87
	v_add3_u32 v50, v52, v82, v50
	v_lshl_add_u32 v52, v72, 2, v87
	v_add3_u32 v47, v49, v81, v47
	v_lshl_add_u32 v49, v69, 2, v87
	v_add3_u32 v44, v46, v80, v44
	v_lshl_add_u32 v46, v66, 2, v87
	v_add3_u32 v41, v42, v79, v41
	v_lshl_add_u32 v42, v63, 2, v87
	v_add3_u32 v37, v39, v78, v37
	v_lshl_add_u32 v39, v60, 2, v87
	v_add3_u32 v34, v35, v77, v34
	v_lshl_add_u32 v35, v9, 2, v87
	v_add3_u32 v30, v32, v76, v30
	v_lshl_add_u32 v32, v8, 2, v87
	v_add3_u32 v27, v29, v75, v27
	v_lshl_add_u32 v29, v10, 2, v87
	s_mov_b32 s41, 0
	s_mov_b32 s44, 0
	s_movk_i32 s45, 0x1000
	v_mov_b32_e32 v9, 0
	s_movk_i32 s46, 0x800
	s_movk_i32 s47, 0xc00
	v_mov_b32_e32 v58, v2
	s_mov_b32 s48, 0
	s_branch .LBB859_87
.LBB859_86:                             ;   in Loop: Header=BB859_87 Depth=1
	s_or_b64 exec, exec, s[38:39]
	s_addk_i32 s48, 0xc000
	s_add_i32 s41, s41, 16
	s_addk_i32 s44, 0xf000
	s_cmp_eq_u32 s48, 0xffff0000
	v_add_u32_e32 v58, 0x1000, v58
	s_barrier
	s_cbranch_scc1 .LBB859_127
.LBB859_87:                             ; =>This Inner Loop Header: Depth=1
	v_add_u32_e32 v8, s44, v10
	v_cmp_gt_u32_e64 s[36:37], s45, v8
	s_and_saveexec_b64 s[38:39], s[36:37]
; %bb.88:                               ;   in Loop: Header=BB859_87 Depth=1
	v_add_u32_e32 v8, s48, v29
	ds_write_b32 v8, v5
; %bb.89:                               ;   in Loop: Header=BB859_87 Depth=1
	s_or_b64 exec, exec, s[38:39]
	v_add_u32_e32 v8, s44, v27
	v_cmp_gt_u32_e64 s[36:37], s45, v8
	s_and_saveexec_b64 s[38:39], s[36:37]
; %bb.90:                               ;   in Loop: Header=BB859_87 Depth=1
	v_add_u32_e32 v8, s48, v32
	ds_write_b32 v8, v3
; %bb.91:                               ;   in Loop: Header=BB859_87 Depth=1
	s_or_b64 exec, exec, s[38:39]
	;; [unrolled: 8-line block ×6, first 2 shown]
	v_add_u32_e32 v8, s44, v44
	v_cmp_gt_u32_e64 s[36:37], s45, v8
	s_and_saveexec_b64 s[38:39], s[36:37]
; %bb.100:                              ;   in Loop: Header=BB859_87 Depth=1
	v_add_u32_e32 v8, s48, v49
	ds_write_b32 v8, v18
; %bb.101:                              ;   in Loop: Header=BB859_87 Depth=1
	s_or_b64 exec, exec, s[38:39]
	v_add_u32_e32 v8, s44, v47
	v_cmp_gt_u32_e64 s[36:37], s45, v8
	s_and_saveexec_b64 s[38:39], s[36:37]
; %bb.102:                              ;   in Loop: Header=BB859_87 Depth=1
	v_add_u32_e32 v8, s48, v52
	ds_write_b32 v8, v17
; %bb.103:                              ;   in Loop: Header=BB859_87 Depth=1
	s_or_b64 exec, exec, s[38:39]
	;; [unrolled: 8-line block ×10, first 2 shown]
	v_cmp_gt_u32_e64 s[36:37], s3, v58
	s_waitcnt lgkmcnt(0)
	s_barrier
	s_and_saveexec_b64 s[38:39], s[36:37]
	s_cbranch_execz .LBB859_121
; %bb.120:                              ;   in Loop: Header=BB859_87 Depth=1
	ds_read_b32 v8, v38 offset:1024
	s_waitcnt lgkmcnt(0)
	v_lshrrev_b32_e32 v59, s64, v8
	v_and_b32_e32 v59, s68, v59
	v_lshlrev_b32_e32 v60, 2, v59
	ds_read_b32 v60, v60
	v_xor_b32_e32 v62, 0x80000000, v8
	s_waitcnt lgkmcnt(0)
	v_add_u32_e32 v8, v58, v60
	v_lshl_add_u64 v[60:61], v[8:9], 2, s[54:55]
	global_store_dword v[60:61], v62, off
	scratch_store_dword off, v59, s41
.LBB859_121:                            ;   in Loop: Header=BB859_87 Depth=1
	s_or_b64 exec, exec, s[38:39]
	v_add_u32_e32 v8, 0x400, v58
	v_cmp_gt_u32_e64 s[36:37], s3, v8
	s_and_saveexec_b64 s[38:39], s[36:37]
	s_cbranch_execz .LBB859_123
; %bb.122:                              ;   in Loop: Header=BB859_87 Depth=1
	ds_read_b32 v8, v38 offset:5120
	s_add_i32 s36, s41, 4
	s_waitcnt lgkmcnt(0)
	v_lshrrev_b32_e32 v59, s64, v8
	v_and_b32_e32 v59, s68, v59
	v_lshlrev_b32_e32 v60, 2, v59
	ds_read_b32 v60, v60
	v_xor_b32_e32 v62, 0x80000000, v8
	s_waitcnt lgkmcnt(0)
	v_add3_u32 v8, v58, v60, s40
	v_lshl_add_u64 v[60:61], v[8:9], 2, s[54:55]
	global_store_dword v[60:61], v62, off
	scratch_store_dword off, v59, s36
.LBB859_123:                            ;   in Loop: Header=BB859_87 Depth=1
	s_or_b64 exec, exec, s[38:39]
	v_add_u32_e32 v8, 0x800, v58
	v_cmp_gt_u32_e64 s[36:37], s3, v8
	s_and_saveexec_b64 s[38:39], s[36:37]
	s_cbranch_execz .LBB859_125
; %bb.124:                              ;   in Loop: Header=BB859_87 Depth=1
	ds_read_b32 v8, v38 offset:9216
	s_add_i32 s36, s41, 8
	s_waitcnt lgkmcnt(0)
	v_lshrrev_b32_e32 v59, s64, v8
	v_and_b32_e32 v59, s68, v59
	v_lshlrev_b32_e32 v60, 2, v59
	ds_read_b32 v60, v60
	v_xor_b32_e32 v62, 0x80000000, v8
	s_waitcnt lgkmcnt(0)
	v_add3_u32 v8, v58, v60, s46
	v_lshl_add_u64 v[60:61], v[8:9], 2, s[54:55]
	global_store_dword v[60:61], v62, off
	scratch_store_dword off, v59, s36
.LBB859_125:                            ;   in Loop: Header=BB859_87 Depth=1
	s_or_b64 exec, exec, s[38:39]
	v_add_u32_e32 v8, 0xc00, v58
	v_cmp_gt_u32_e64 s[36:37], s3, v8
	s_and_saveexec_b64 s[38:39], s[36:37]
	s_cbranch_execz .LBB859_86
; %bb.126:                              ;   in Loop: Header=BB859_87 Depth=1
	ds_read_b32 v8, v38 offset:13312
	s_add_i32 s36, s41, 12
	s_waitcnt lgkmcnt(0)
	v_lshrrev_b32_e32 v59, s64, v8
	v_and_b32_e32 v59, s68, v59
	v_lshlrev_b32_e32 v60, 2, v59
	ds_read_b32 v60, v60
	v_xor_b32_e32 v62, 0x80000000, v8
	s_waitcnt lgkmcnt(0)
	v_add3_u32 v8, v58, v60, s47
	v_lshl_add_u64 v[60:61], v[8:9], 2, s[54:55]
	global_store_dword v[60:61], v62, off
	scratch_store_dword off, v59, s36
	s_branch .LBB859_86
.LBB859_127:
	s_add_u32 s36, s56, s66
	s_addc_u32 s37, s57, s67
	v_mov_b32_e32 v5, 0
	v_lshl_add_u64 v[8:9], s[36:37], 0, v[4:5]
	v_mov_b32_e32 v7, v5
	v_lshl_add_u64 v[4:5], v[8:9], 0, v[6:7]
                                        ; implicit-def: $vgpr3
	s_and_saveexec_b64 s[36:37], vcc
	s_cbranch_execz .LBB859_143
; %bb.128:
	global_load_dword v3, v[4:5], off
	s_or_b64 exec, exec, s[36:37]
                                        ; implicit-def: $vgpr6
	s_and_saveexec_b64 s[36:37], s[42:43]
	s_cbranch_execnz .LBB859_144
.LBB859_129:
	s_or_b64 exec, exec, s[36:37]
                                        ; implicit-def: $vgpr7
	s_and_saveexec_b64 s[36:37], s[4:5]
	s_cbranch_execz .LBB859_145
.LBB859_130:
	global_load_dword v7, v[4:5], off offset:512
	s_or_b64 exec, exec, s[36:37]
                                        ; implicit-def: $vgpr8
	s_and_saveexec_b64 s[4:5], s[6:7]
	s_cbranch_execnz .LBB859_146
.LBB859_131:
	s_or_b64 exec, exec, s[4:5]
                                        ; implicit-def: $vgpr9
	s_and_saveexec_b64 s[4:5], s[8:9]
	s_cbranch_execz .LBB859_147
.LBB859_132:
	global_load_dword v9, v[4:5], off offset:1024
	s_or_b64 exec, exec, s[4:5]
                                        ; implicit-def: $vgpr14
	s_and_saveexec_b64 s[4:5], s[10:11]
	s_cbranch_execnz .LBB859_148
.LBB859_133:
	s_or_b64 exec, exec, s[4:5]
                                        ; implicit-def: $vgpr15
	s_and_saveexec_b64 s[4:5], s[12:13]
	s_cbranch_execz .LBB859_149
.LBB859_134:
	global_load_dword v15, v[4:5], off offset:1536
	s_or_b64 exec, exec, s[4:5]
                                        ; implicit-def: $vgpr16
	s_and_saveexec_b64 s[4:5], s[14:15]
	s_cbranch_execnz .LBB859_150
.LBB859_135:
	s_or_b64 exec, exec, s[4:5]
                                        ; implicit-def: $vgpr17
	s_and_saveexec_b64 s[4:5], s[16:17]
	s_cbranch_execz .LBB859_151
.LBB859_136:
	global_load_dword v17, v[4:5], off offset:2048
	s_or_b64 exec, exec, s[4:5]
                                        ; implicit-def: $vgpr18
	s_and_saveexec_b64 s[4:5], s[18:19]
	s_cbranch_execnz .LBB859_152
.LBB859_137:
	s_or_b64 exec, exec, s[4:5]
                                        ; implicit-def: $vgpr19
	s_and_saveexec_b64 s[4:5], s[20:21]
	s_cbranch_execz .LBB859_153
.LBB859_138:
	global_load_dword v19, v[4:5], off offset:2560
	s_or_b64 exec, exec, s[4:5]
                                        ; implicit-def: $vgpr20
	s_and_saveexec_b64 s[4:5], s[22:23]
	s_cbranch_execnz .LBB859_154
.LBB859_139:
	s_or_b64 exec, exec, s[4:5]
                                        ; implicit-def: $vgpr21
	s_and_saveexec_b64 s[4:5], s[24:25]
	s_cbranch_execz .LBB859_155
.LBB859_140:
	global_load_dword v21, v[4:5], off offset:3072
	s_or_b64 exec, exec, s[4:5]
                                        ; implicit-def: $vgpr22
	s_and_saveexec_b64 s[4:5], s[26:27]
	s_cbranch_execnz .LBB859_156
.LBB859_141:
	s_or_b64 exec, exec, s[4:5]
                                        ; implicit-def: $vgpr23
	s_and_saveexec_b64 s[4:5], s[28:29]
	s_cbranch_execz .LBB859_157
.LBB859_142:
	global_load_dword v23, v[4:5], off offset:3584
	s_or_b64 exec, exec, s[4:5]
                                        ; implicit-def: $vgpr24
	s_and_saveexec_b64 s[4:5], s[30:31]
	s_cbranch_execnz .LBB859_158
	s_branch .LBB859_159
.LBB859_143:
	s_or_b64 exec, exec, s[36:37]
                                        ; implicit-def: $vgpr6
	s_and_saveexec_b64 s[36:37], s[42:43]
	s_cbranch_execz .LBB859_129
.LBB859_144:
	global_load_dword v6, v[4:5], off offset:256
	s_or_b64 exec, exec, s[36:37]
                                        ; implicit-def: $vgpr7
	s_and_saveexec_b64 s[36:37], s[4:5]
	s_cbranch_execnz .LBB859_130
.LBB859_145:
	s_or_b64 exec, exec, s[36:37]
                                        ; implicit-def: $vgpr8
	s_and_saveexec_b64 s[4:5], s[6:7]
	s_cbranch_execz .LBB859_131
.LBB859_146:
	global_load_dword v8, v[4:5], off offset:768
	s_or_b64 exec, exec, s[4:5]
                                        ; implicit-def: $vgpr9
	s_and_saveexec_b64 s[4:5], s[8:9]
	s_cbranch_execnz .LBB859_132
.LBB859_147:
	s_or_b64 exec, exec, s[4:5]
                                        ; implicit-def: $vgpr14
	s_and_saveexec_b64 s[4:5], s[10:11]
	s_cbranch_execz .LBB859_133
.LBB859_148:
	global_load_dword v14, v[4:5], off offset:1280
	s_or_b64 exec, exec, s[4:5]
                                        ; implicit-def: $vgpr15
	s_and_saveexec_b64 s[4:5], s[12:13]
	s_cbranch_execnz .LBB859_134
.LBB859_149:
	s_or_b64 exec, exec, s[4:5]
                                        ; implicit-def: $vgpr16
	s_and_saveexec_b64 s[4:5], s[14:15]
	s_cbranch_execz .LBB859_135
.LBB859_150:
	global_load_dword v16, v[4:5], off offset:1792
	s_or_b64 exec, exec, s[4:5]
                                        ; implicit-def: $vgpr17
	s_and_saveexec_b64 s[4:5], s[16:17]
	s_cbranch_execnz .LBB859_136
.LBB859_151:
	s_or_b64 exec, exec, s[4:5]
                                        ; implicit-def: $vgpr18
	s_and_saveexec_b64 s[4:5], s[18:19]
	s_cbranch_execz .LBB859_137
.LBB859_152:
	global_load_dword v18, v[4:5], off offset:2304
	s_or_b64 exec, exec, s[4:5]
                                        ; implicit-def: $vgpr19
	s_and_saveexec_b64 s[4:5], s[20:21]
	s_cbranch_execnz .LBB859_138
.LBB859_153:
	s_or_b64 exec, exec, s[4:5]
                                        ; implicit-def: $vgpr20
	s_and_saveexec_b64 s[4:5], s[22:23]
	s_cbranch_execz .LBB859_139
.LBB859_154:
	global_load_dword v20, v[4:5], off offset:2816
	s_or_b64 exec, exec, s[4:5]
                                        ; implicit-def: $vgpr21
	s_and_saveexec_b64 s[4:5], s[24:25]
	s_cbranch_execnz .LBB859_140
.LBB859_155:
	s_or_b64 exec, exec, s[4:5]
                                        ; implicit-def: $vgpr22
	s_and_saveexec_b64 s[4:5], s[26:27]
	s_cbranch_execz .LBB859_141
.LBB859_156:
	global_load_dword v22, v[4:5], off offset:3328
	s_or_b64 exec, exec, s[4:5]
                                        ; implicit-def: $vgpr23
	s_and_saveexec_b64 s[4:5], s[28:29]
	s_cbranch_execnz .LBB859_142
.LBB859_157:
	s_or_b64 exec, exec, s[4:5]
                                        ; implicit-def: $vgpr24
	s_and_saveexec_b64 s[4:5], s[30:31]
	s_cbranch_execz .LBB859_159
.LBB859_158:
	global_load_dword v24, v[4:5], off offset:3840
.LBB859_159:
	s_or_b64 exec, exec, s[4:5]
	s_mov_b32 s6, 0
	s_mov_b32 s7, 0
	s_movk_i32 s8, 0x1000
	v_mov_b32_e32 v5, 0
	s_movk_i32 s9, 0x400
	s_movk_i32 s10, 0x800
	;; [unrolled: 1-line block ×3, first 2 shown]
	s_mov_b32 s12, 0
	s_branch .LBB859_161
.LBB859_160:                            ;   in Loop: Header=BB859_161 Depth=1
	s_or_b64 exec, exec, s[4:5]
	s_addk_i32 s12, 0xc000
	s_addk_i32 s7, 0xf000
	s_add_i32 s6, s6, 16
	s_cmp_eq_u32 s12, 0xffff0000
	v_add_u32_e32 v2, 0x1000, v2
	s_barrier
	s_cbranch_scc1 .LBB859_201
.LBB859_161:                            ; =>This Inner Loop Header: Depth=1
	v_add_u32_e32 v4, s7, v10
	v_cmp_gt_u32_e32 vcc, s8, v4
	s_and_saveexec_b64 s[4:5], vcc
	s_cbranch_execz .LBB859_163
; %bb.162:                              ;   in Loop: Header=BB859_161 Depth=1
	v_add_u32_e32 v4, s12, v29
	s_waitcnt vmcnt(0)
	ds_write_b32 v4, v3
.LBB859_163:                            ;   in Loop: Header=BB859_161 Depth=1
	s_or_b64 exec, exec, s[4:5]
	v_add_u32_e32 v4, s7, v27
	v_cmp_gt_u32_e32 vcc, s8, v4
	s_and_saveexec_b64 s[4:5], vcc
	s_cbranch_execz .LBB859_165
; %bb.164:                              ;   in Loop: Header=BB859_161 Depth=1
	v_add_u32_e32 v4, s12, v32
	s_waitcnt vmcnt(0)
	ds_write_b32 v4, v6
.LBB859_165:                            ;   in Loop: Header=BB859_161 Depth=1
	s_or_b64 exec, exec, s[4:5]
	;; [unrolled: 10-line block ×16, first 2 shown]
	v_cmp_gt_u32_e32 vcc, s3, v2
	s_waitcnt lgkmcnt(0)
	s_barrier
	s_and_saveexec_b64 s[4:5], vcc
	s_cbranch_execz .LBB859_195
; %bb.194:                              ;   in Loop: Header=BB859_161 Depth=1
	scratch_load_dword v4, off, s6
	s_waitcnt vmcnt(0)
	v_lshlrev_b32_e32 v4, 2, v4
	ds_read_b32 v4, v4
	ds_read_b32 v25, v38 offset:1024
	s_waitcnt lgkmcnt(1)
	v_add_u32_e32 v4, v2, v4
	v_lshl_add_u64 v[58:59], v[4:5], 2, s[58:59]
	s_waitcnt lgkmcnt(0)
	global_store_dword v[58:59], v25, off
.LBB859_195:                            ;   in Loop: Header=BB859_161 Depth=1
	s_or_b64 exec, exec, s[4:5]
	v_add_u32_e32 v4, 0x400, v2
	v_cmp_gt_u32_e32 vcc, s3, v4
	s_and_saveexec_b64 s[4:5], vcc
	s_cbranch_execz .LBB859_197
; %bb.196:                              ;   in Loop: Header=BB859_161 Depth=1
	s_add_i32 s13, s6, 4
	scratch_load_dword v4, off, s13
	s_waitcnt vmcnt(0)
	v_lshlrev_b32_e32 v4, 2, v4
	ds_read_b32 v4, v4
	ds_read_b32 v25, v38 offset:5120
	s_waitcnt lgkmcnt(1)
	v_add3_u32 v4, v2, v4, s9
	v_lshl_add_u64 v[58:59], v[4:5], 2, s[58:59]
	s_waitcnt lgkmcnt(0)
	global_store_dword v[58:59], v25, off
.LBB859_197:                            ;   in Loop: Header=BB859_161 Depth=1
	s_or_b64 exec, exec, s[4:5]
	v_add_u32_e32 v4, 0x800, v2
	v_cmp_gt_u32_e32 vcc, s3, v4
	s_and_saveexec_b64 s[4:5], vcc
	s_cbranch_execz .LBB859_199
; %bb.198:                              ;   in Loop: Header=BB859_161 Depth=1
	s_add_i32 s13, s6, 8
	scratch_load_dword v4, off, s13
	s_waitcnt vmcnt(0)
	v_lshlrev_b32_e32 v4, 2, v4
	ds_read_b32 v4, v4
	ds_read_b32 v25, v38 offset:9216
	s_waitcnt lgkmcnt(1)
	v_add3_u32 v4, v2, v4, s10
	v_lshl_add_u64 v[58:59], v[4:5], 2, s[58:59]
	s_waitcnt lgkmcnt(0)
	global_store_dword v[58:59], v25, off
.LBB859_199:                            ;   in Loop: Header=BB859_161 Depth=1
	s_or_b64 exec, exec, s[4:5]
	v_add_u32_e32 v4, 0xc00, v2
	v_cmp_gt_u32_e32 vcc, s3, v4
	s_and_saveexec_b64 s[4:5], vcc
	s_cbranch_execz .LBB859_160
; %bb.200:                              ;   in Loop: Header=BB859_161 Depth=1
	s_add_i32 s13, s6, 12
	scratch_load_dword v4, off, s13
	s_waitcnt vmcnt(0)
	v_lshlrev_b32_e32 v4, 2, v4
	ds_read_b32 v4, v4
	ds_read_b32 v25, v38 offset:13312
	s_waitcnt lgkmcnt(1)
	v_add3_u32 v4, v2, v4, s11
	v_lshl_add_u64 v[58:59], v[4:5], 2, s[58:59]
	s_waitcnt lgkmcnt(0)
	global_store_dword v[58:59], v25, off
	s_branch .LBB859_160
.LBB859_201:
	s_add_i32 s33, s33, -1
	s_cmp_eq_u32 s2, s33
	s_cselect_b64 s[4:5], -1, 0
	s_xor_b64 s[6:7], s[34:35], -1
	s_and_b64 s[6:7], s[6:7], s[4:5]
	s_and_saveexec_b64 s[4:5], s[6:7]
	s_cbranch_execz .LBB859_203
; %bb.202:
	ds_read_b32 v2, v38
	s_waitcnt lgkmcnt(0)
	v_add3_u32 v2, v31, v33, v2
	global_store_dword v38, v2, s[62:63]
.LBB859_203:
	s_or_b64 exec, exec, s[4:5]
	s_mov_b64 s[4:5], 0
.LBB859_204:
	s_and_b64 vcc, exec, s[4:5]
	s_cbranch_vccz .LBB859_327
; %bb.205:
	v_and_b32_e32 v2, 0x3ff, v0
	s_lshl_b32 s4, s2, 14
	s_mov_b32 s5, 0
	s_lshl_b64 s[10:11], s[4:5], 2
	v_mbcnt_hi_u32_b32 v10, -1, v1
	v_lshlrev_b32_e32 v1, 4, v2
	s_add_u32 s4, s52, s10
	s_waitcnt vmcnt(0)
	v_and_b32_e32 v3, 63, v10
	v_and_b32_e32 v6, 0x3c00, v1
	v_mov_b32_e32 v1, 0
	s_addc_u32 s5, s53, s11
	v_lshlrev_b32_e32 v4, 2, v3
	v_mov_b32_e32 v5, v1
	v_lshl_add_u64 v[8:9], s[4:5], 0, v[4:5]
	s_load_dword s3, s[0:1], 0x58
	s_load_dword s4, s[0:1], 0x64
	v_lshlrev_b32_e32 v6, 2, v6
	v_mov_b32_e32 v7, v1
	s_add_u32 s0, s0, 0x58
	v_lshl_add_u64 v[8:9], v[8:9], 0, v[6:7]
	s_addc_u32 s1, s1, 0
	s_waitcnt lgkmcnt(0)
	s_lshr_b32 s4, s4, 16
	global_load_dword v3, v[8:9], off
	s_cmp_lt_u32 s2, s3
	s_cselect_b32 s5, 12, 18
	s_add_u32 s0, s0, s5
	s_addc_u32 s1, s1, 0
	global_load_ushort v13, v1, s[0:1]
	v_mul_u32_u24_e32 v11, 20, v2
	ds_write2_b32 v11, v1, v1 offset0:16 offset1:17
	ds_write2_b32 v11, v1, v1 offset0:18 offset1:19
	ds_write_b32 v11, v1 offset:80
	global_load_dword v5, v[8:9], off offset:256
	global_load_dword v7, v[8:9], off offset:512
	;; [unrolled: 1-line block ×15, first 2 shown]
	v_bfe_u32 v14, v0, 10, 10
	v_bfe_u32 v0, v0, 20, 10
	v_mad_u32_u24 v8, v0, s4, v14
	s_lshl_b32 s0, -1, s65
	v_mov_b32_e32 v16, v1
	s_not_b32 s14, s0
	v_mov_b32_e32 v20, v1
	v_mov_b32_e32 v26, v1
	s_movk_i32 s8, 0x44
	s_waitcnt lgkmcnt(0)
	s_barrier
	s_waitcnt vmcnt(16)
	; wave barrier
	v_xor_b32_e32 v3, 0x80000000, v3
	v_lshrrev_b32_e32 v0, s64, v3
	v_bitop3_b32 v14, v0, s0, v0 bitop3:0x30
	v_and_b32_e32 v0, 1, v14
	v_lshlrev_b32_e32 v17, 30, v14
	v_lshlrev_b32_e32 v21, 29, v14
	s_waitcnt vmcnt(15)
	v_mad_u64_u32 v[8:9], s[0:1], v8, v13, v[2:3]
	v_lshl_add_u64 v[32:33], v[0:1], 0, -1
	v_cmp_ne_u32_e32 vcc, 0, v0
	v_not_b32_e32 v0, v17
	v_lshlrev_b32_e32 v27, 28, v14
	v_cmp_gt_i64_e64 s[0:1], 0, v[16:17]
	v_not_b32_e32 v9, v21
	v_lshrrev_b32_e32 v28, 6, v8
	v_xor_b32_e32 v8, vcc_hi, v33
	v_xor_b32_e32 v16, vcc_lo, v32
	v_ashrrev_i32_e32 v0, 31, v0
	v_cmp_gt_i64_e64 s[4:5], 0, v[20:21]
	v_not_b32_e32 v13, v27
	v_ashrrev_i32_e32 v9, 31, v9
	v_and_b32_e32 v8, exec_hi, v8
	v_and_b32_e32 v16, exec_lo, v16
	v_xor_b32_e32 v17, s1, v0
	v_xor_b32_e32 v0, s0, v0
	v_cmp_gt_i64_e64 s[6:7], 0, v[26:27]
	v_ashrrev_i32_e32 v13, 31, v13
	v_xor_b32_e32 v20, s5, v9
	v_xor_b32_e32 v9, s4, v9
	v_and_b32_e32 v8, v8, v17
	v_and_b32_e32 v0, v16, v0
	v_xor_b32_e32 v21, s7, v13
	v_and_b32_e32 v8, v8, v20
	v_and_b32_e32 v0, v0, v9
	;; [unrolled: 3-line block ×3, first 2 shown]
	v_lshlrev_b32_e32 v9, 27, v14
	v_mov_b32_e32 v8, v1
	v_cmp_gt_i64_e32 vcc, 0, v[8:9]
	v_not_b32_e32 v8, v9
	v_ashrrev_i32_e32 v8, 31, v8
	v_xor_b32_e32 v9, vcc_hi, v8
	v_xor_b32_e32 v8, vcc_lo, v8
	v_and_b32_e32 v13, v13, v9
	v_and_b32_e32 v0, v0, v8
	v_lshlrev_b32_e32 v9, 26, v14
	v_mov_b32_e32 v8, v1
	v_cmp_gt_i64_e32 vcc, 0, v[8:9]
	v_not_b32_e32 v8, v9
	v_ashrrev_i32_e32 v8, 31, v8
	v_xor_b32_e32 v9, vcc_hi, v8
	v_xor_b32_e32 v8, vcc_lo, v8
	v_and_b32_e32 v13, v13, v9
	v_and_b32_e32 v0, v0, v8
	;; [unrolled: 9-line block ×4, first 2 shown]
	v_mbcnt_lo_u32_b32 v0, v8, 0
	v_mul_lo_u32 v18, v14, s8
	v_mbcnt_hi_u32_b32 v14, v9, v0
	v_cmp_eq_u32_e32 vcc, 0, v14
	v_cmp_ne_u64_e64 s[0:1], 0, v[8:9]
	v_lshl_add_u32 v18, v28, 2, v18
	s_and_b64 s[4:5], s[0:1], vcc
	s_and_saveexec_b64 s[0:1], s[4:5]
; %bb.206:
	v_bcnt_u32_b32 v0, v8, 0
	v_bcnt_u32_b32 v0, v9, v0
	ds_write_b32 v18, v0 offset:64
; %bb.207:
	s_or_b64 exec, exec, s[0:1]
	s_waitcnt vmcnt(14)
	v_xor_b32_e32 v5, 0x80000000, v5
	v_lshrrev_b32_e32 v0, s64, v5
	v_and_b32_e32 v16, s14, v0
	v_mul_lo_u32 v0, v16, s8
	v_lshl_add_u32 v21, v28, 2, v0
	v_and_b32_e32 v0, 1, v16
	v_lshl_add_u64 v[8:9], v[0:1], 0, -1
	v_cmp_ne_u32_e32 vcc, 0, v0
	; wave barrier
	s_nop 1
	v_xor_b32_e32 v8, vcc_lo, v8
	v_xor_b32_e32 v0, vcc_hi, v9
	v_and_b32_e32 v17, exec_lo, v8
	v_lshlrev_b32_e32 v9, 30, v16
	v_mov_b32_e32 v8, v1
	v_cmp_gt_i64_e32 vcc, 0, v[8:9]
	v_not_b32_e32 v8, v9
	v_ashrrev_i32_e32 v8, 31, v8
	v_and_b32_e32 v0, exec_hi, v0
	v_xor_b32_e32 v9, vcc_hi, v8
	v_xor_b32_e32 v8, vcc_lo, v8
	v_and_b32_e32 v0, v0, v9
	v_and_b32_e32 v17, v17, v8
	v_lshlrev_b32_e32 v9, 29, v16
	v_mov_b32_e32 v8, v1
	v_cmp_gt_i64_e32 vcc, 0, v[8:9]
	v_not_b32_e32 v8, v9
	v_ashrrev_i32_e32 v8, 31, v8
	v_xor_b32_e32 v9, vcc_hi, v8
	v_xor_b32_e32 v8, vcc_lo, v8
	v_and_b32_e32 v0, v0, v9
	v_and_b32_e32 v17, v17, v8
	v_lshlrev_b32_e32 v9, 28, v16
	v_mov_b32_e32 v8, v1
	v_cmp_gt_i64_e32 vcc, 0, v[8:9]
	v_not_b32_e32 v8, v9
	v_ashrrev_i32_e32 v8, 31, v8
	;; [unrolled: 9-line block ×5, first 2 shown]
	v_xor_b32_e32 v9, vcc_hi, v8
	v_xor_b32_e32 v8, vcc_lo, v8
	v_and_b32_e32 v0, v0, v9
	v_lshlrev_b32_e32 v9, 24, v16
	v_and_b32_e32 v17, v17, v8
	v_mov_b32_e32 v8, v1
	v_not_b32_e32 v1, v9
	v_cmp_gt_i64_e32 vcc, 0, v[8:9]
	v_ashrrev_i32_e32 v1, 31, v1
	ds_read_b32 v13, v21 offset:64
	v_xor_b32_e32 v8, vcc_hi, v1
	v_xor_b32_e32 v9, vcc_lo, v1
	v_and_b32_e32 v1, v0, v8
	v_and_b32_e32 v0, v17, v9
	v_mbcnt_lo_u32_b32 v8, v0, 0
	v_mbcnt_hi_u32_b32 v16, v1, v8
	v_cmp_eq_u32_e32 vcc, 0, v16
	v_cmp_ne_u64_e64 s[0:1], 0, v[0:1]
	s_and_b64 s[4:5], s[0:1], vcc
	; wave barrier
	s_and_saveexec_b64 s[0:1], s[4:5]
	s_cbranch_execz .LBB859_209
; %bb.208:
	v_bcnt_u32_b32 v0, v0, 0
	v_bcnt_u32_b32 v0, v1, v0
	s_waitcnt lgkmcnt(0)
	v_add_u32_e32 v0, v13, v0
	ds_write_b32 v21, v0 offset:64
.LBB859_209:
	s_or_b64 exec, exec, s[0:1]
	s_waitcnt vmcnt(13)
	v_xor_b32_e32 v7, 0x80000000, v7
	v_lshrrev_b32_e32 v0, s64, v7
	v_and_b32_e32 v20, s14, v0
	s_movk_i32 s4, 0x44
	v_mul_lo_u32 v0, v20, s4
	v_lshl_add_u32 v26, v28, 2, v0
	v_and_b32_e32 v0, 1, v20
	v_mov_b32_e32 v1, 0
	v_lshl_add_u64 v[8:9], v[0:1], 0, -1
	v_cmp_ne_u32_e32 vcc, 0, v0
	; wave barrier
	s_nop 1
	v_xor_b32_e32 v8, vcc_lo, v8
	v_xor_b32_e32 v0, vcc_hi, v9
	v_and_b32_e32 v22, exec_lo, v8
	v_lshlrev_b32_e32 v9, 30, v20
	v_mov_b32_e32 v8, v1
	v_cmp_gt_i64_e32 vcc, 0, v[8:9]
	v_not_b32_e32 v8, v9
	v_ashrrev_i32_e32 v8, 31, v8
	v_and_b32_e32 v0, exec_hi, v0
	v_xor_b32_e32 v9, vcc_hi, v8
	v_xor_b32_e32 v8, vcc_lo, v8
	v_and_b32_e32 v0, v0, v9
	v_and_b32_e32 v22, v22, v8
	v_lshlrev_b32_e32 v9, 29, v20
	v_mov_b32_e32 v8, v1
	v_cmp_gt_i64_e32 vcc, 0, v[8:9]
	v_not_b32_e32 v8, v9
	v_ashrrev_i32_e32 v8, 31, v8
	v_xor_b32_e32 v9, vcc_hi, v8
	v_xor_b32_e32 v8, vcc_lo, v8
	v_and_b32_e32 v0, v0, v9
	v_and_b32_e32 v22, v22, v8
	v_lshlrev_b32_e32 v9, 28, v20
	v_mov_b32_e32 v8, v1
	v_cmp_gt_i64_e32 vcc, 0, v[8:9]
	v_not_b32_e32 v8, v9
	v_ashrrev_i32_e32 v8, 31, v8
	;; [unrolled: 9-line block ×6, first 2 shown]
	v_xor_b32_e32 v9, vcc_hi, v8
	v_xor_b32_e32 v8, vcc_lo, v8
	ds_read_b32 v17, v26 offset:64
	v_and_b32_e32 v8, v22, v8
	v_and_b32_e32 v9, v0, v9
	v_mbcnt_lo_u32_b32 v0, v8, 0
	v_mbcnt_hi_u32_b32 v20, v9, v0
	v_cmp_eq_u32_e32 vcc, 0, v20
	v_cmp_ne_u64_e64 s[0:1], 0, v[8:9]
	s_and_b64 s[6:7], s[0:1], vcc
	; wave barrier
	s_and_saveexec_b64 s[0:1], s[6:7]
	s_cbranch_execz .LBB859_211
; %bb.210:
	v_bcnt_u32_b32 v0, v8, 0
	v_bcnt_u32_b32 v0, v9, v0
	s_waitcnt lgkmcnt(0)
	v_add_u32_e32 v0, v17, v0
	ds_write_b32 v26, v0 offset:64
.LBB859_211:
	s_or_b64 exec, exec, s[0:1]
	s_waitcnt vmcnt(12)
	v_xor_b32_e32 v12, 0x80000000, v12
	v_lshrrev_b32_e32 v0, s64, v12
	v_and_b32_e32 v24, s14, v0
	v_mul_lo_u32 v0, v24, s4
	v_lshl_add_u32 v32, v28, 2, v0
	v_and_b32_e32 v0, 1, v24
	v_lshl_add_u64 v[8:9], v[0:1], 0, -1
	v_cmp_ne_u32_e32 vcc, 0, v0
	; wave barrier
	s_nop 1
	v_xor_b32_e32 v8, vcc_lo, v8
	v_xor_b32_e32 v0, vcc_hi, v9
	v_and_b32_e32 v27, exec_lo, v8
	v_lshlrev_b32_e32 v9, 30, v24
	v_mov_b32_e32 v8, v1
	v_cmp_gt_i64_e32 vcc, 0, v[8:9]
	v_not_b32_e32 v8, v9
	v_ashrrev_i32_e32 v8, 31, v8
	v_and_b32_e32 v0, exec_hi, v0
	v_xor_b32_e32 v9, vcc_hi, v8
	v_xor_b32_e32 v8, vcc_lo, v8
	v_and_b32_e32 v0, v0, v9
	v_and_b32_e32 v27, v27, v8
	v_lshlrev_b32_e32 v9, 29, v24
	v_mov_b32_e32 v8, v1
	v_cmp_gt_i64_e32 vcc, 0, v[8:9]
	v_not_b32_e32 v8, v9
	v_ashrrev_i32_e32 v8, 31, v8
	v_xor_b32_e32 v9, vcc_hi, v8
	v_xor_b32_e32 v8, vcc_lo, v8
	v_and_b32_e32 v0, v0, v9
	v_and_b32_e32 v27, v27, v8
	v_lshlrev_b32_e32 v9, 28, v24
	v_mov_b32_e32 v8, v1
	v_cmp_gt_i64_e32 vcc, 0, v[8:9]
	v_not_b32_e32 v8, v9
	v_ashrrev_i32_e32 v8, 31, v8
	;; [unrolled: 9-line block ×5, first 2 shown]
	v_xor_b32_e32 v9, vcc_hi, v8
	v_xor_b32_e32 v8, vcc_lo, v8
	v_and_b32_e32 v0, v0, v9
	v_lshlrev_b32_e32 v9, 24, v24
	v_and_b32_e32 v27, v27, v8
	v_mov_b32_e32 v8, v1
	v_not_b32_e32 v1, v9
	v_cmp_gt_i64_e32 vcc, 0, v[8:9]
	v_ashrrev_i32_e32 v1, 31, v1
	ds_read_b32 v22, v32 offset:64
	v_xor_b32_e32 v8, vcc_hi, v1
	v_xor_b32_e32 v9, vcc_lo, v1
	v_and_b32_e32 v1, v0, v8
	v_and_b32_e32 v0, v27, v9
	v_mbcnt_lo_u32_b32 v8, v0, 0
	v_mbcnt_hi_u32_b32 v24, v1, v8
	v_cmp_eq_u32_e32 vcc, 0, v24
	v_cmp_ne_u64_e64 s[0:1], 0, v[0:1]
	s_and_b64 s[4:5], s[0:1], vcc
	; wave barrier
	s_and_saveexec_b64 s[0:1], s[4:5]
	s_cbranch_execz .LBB859_213
; %bb.212:
	v_bcnt_u32_b32 v0, v0, 0
	v_bcnt_u32_b32 v0, v1, v0
	s_waitcnt lgkmcnt(0)
	v_add_u32_e32 v0, v22, v0
	ds_write_b32 v32, v0 offset:64
.LBB859_213:
	s_or_b64 exec, exec, s[0:1]
	s_waitcnt vmcnt(11)
	v_xor_b32_e32 v15, 0x80000000, v15
	v_lshrrev_b32_e32 v0, s64, v15
	v_and_b32_e32 v30, s14, v0
	s_movk_i32 s4, 0x44
	v_mul_lo_u32 v0, v30, s4
	v_lshl_add_u32 v37, v28, 2, v0
	v_and_b32_e32 v0, 1, v30
	v_mov_b32_e32 v1, 0
	v_lshl_add_u64 v[8:9], v[0:1], 0, -1
	v_cmp_ne_u32_e32 vcc, 0, v0
	; wave barrier
	s_nop 1
	v_xor_b32_e32 v8, vcc_lo, v8
	v_xor_b32_e32 v0, vcc_hi, v9
	v_and_b32_e32 v33, exec_lo, v8
	v_lshlrev_b32_e32 v9, 30, v30
	v_mov_b32_e32 v8, v1
	v_cmp_gt_i64_e32 vcc, 0, v[8:9]
	v_not_b32_e32 v8, v9
	v_ashrrev_i32_e32 v8, 31, v8
	v_and_b32_e32 v0, exec_hi, v0
	v_xor_b32_e32 v9, vcc_hi, v8
	v_xor_b32_e32 v8, vcc_lo, v8
	v_and_b32_e32 v0, v0, v9
	v_and_b32_e32 v33, v33, v8
	v_lshlrev_b32_e32 v9, 29, v30
	v_mov_b32_e32 v8, v1
	v_cmp_gt_i64_e32 vcc, 0, v[8:9]
	v_not_b32_e32 v8, v9
	v_ashrrev_i32_e32 v8, 31, v8
	v_xor_b32_e32 v9, vcc_hi, v8
	v_xor_b32_e32 v8, vcc_lo, v8
	v_and_b32_e32 v0, v0, v9
	v_and_b32_e32 v33, v33, v8
	v_lshlrev_b32_e32 v9, 28, v30
	v_mov_b32_e32 v8, v1
	v_cmp_gt_i64_e32 vcc, 0, v[8:9]
	v_not_b32_e32 v8, v9
	v_ashrrev_i32_e32 v8, 31, v8
	v_xor_b32_e32 v9, vcc_hi, v8
	v_xor_b32_e32 v8, vcc_lo, v8
	v_and_b32_e32 v0, v0, v9
	v_and_b32_e32 v33, v33, v8
	v_lshlrev_b32_e32 v9, 27, v30
	v_mov_b32_e32 v8, v1
	v_cmp_gt_i64_e32 vcc, 0, v[8:9]
	v_not_b32_e32 v8, v9
	v_ashrrev_i32_e32 v8, 31, v8
	v_xor_b32_e32 v9, vcc_hi, v8
	v_xor_b32_e32 v8, vcc_lo, v8
	v_and_b32_e32 v0, v0, v9
	v_and_b32_e32 v33, v33, v8
	v_lshlrev_b32_e32 v9, 26, v30
	v_mov_b32_e32 v8, v1
	v_cmp_gt_i64_e32 vcc, 0, v[8:9]
	v_not_b32_e32 v8, v9
	v_ashrrev_i32_e32 v8, 31, v8
	v_xor_b32_e32 v9, vcc_hi, v8
	v_xor_b32_e32 v8, vcc_lo, v8
	v_and_b32_e32 v0, v0, v9
	v_and_b32_e32 v33, v33, v8
	v_lshlrev_b32_e32 v9, 25, v30
	v_mov_b32_e32 v8, v1
	v_cmp_gt_i64_e32 vcc, 0, v[8:9]
	v_not_b32_e32 v8, v9
	v_ashrrev_i32_e32 v8, 31, v8
	v_xor_b32_e32 v9, vcc_hi, v8
	v_xor_b32_e32 v8, vcc_lo, v8
	v_and_b32_e32 v0, v0, v9
	v_and_b32_e32 v33, v33, v8
	v_lshlrev_b32_e32 v9, 24, v30
	v_mov_b32_e32 v8, v1
	v_cmp_gt_i64_e32 vcc, 0, v[8:9]
	v_not_b32_e32 v8, v9
	v_ashrrev_i32_e32 v8, 31, v8
	v_xor_b32_e32 v9, vcc_hi, v8
	v_xor_b32_e32 v8, vcc_lo, v8
	ds_read_b32 v27, v37 offset:64
	v_and_b32_e32 v8, v33, v8
	v_and_b32_e32 v9, v0, v9
	v_mbcnt_lo_u32_b32 v0, v8, 0
	v_mbcnt_hi_u32_b32 v30, v9, v0
	v_cmp_eq_u32_e32 vcc, 0, v30
	v_cmp_ne_u64_e64 s[0:1], 0, v[8:9]
	s_and_b64 s[6:7], s[0:1], vcc
	; wave barrier
	s_and_saveexec_b64 s[0:1], s[6:7]
	s_cbranch_execz .LBB859_215
; %bb.214:
	v_bcnt_u32_b32 v0, v8, 0
	v_bcnt_u32_b32 v0, v9, v0
	s_waitcnt lgkmcnt(0)
	v_add_u32_e32 v0, v27, v0
	ds_write_b32 v37, v0 offset:64
.LBB859_215:
	s_or_b64 exec, exec, s[0:1]
	s_waitcnt vmcnt(10)
	v_xor_b32_e32 v19, 0x80000000, v19
	v_lshrrev_b32_e32 v0, s64, v19
	v_and_b32_e32 v35, s14, v0
	v_mul_lo_u32 v0, v35, s4
	v_lshl_add_u32 v41, v28, 2, v0
	v_and_b32_e32 v0, 1, v35
	v_lshl_add_u64 v[8:9], v[0:1], 0, -1
	v_cmp_ne_u32_e32 vcc, 0, v0
	; wave barrier
	s_nop 1
	v_xor_b32_e32 v8, vcc_lo, v8
	v_xor_b32_e32 v0, vcc_hi, v9
	v_and_b32_e32 v38, exec_lo, v8
	v_lshlrev_b32_e32 v9, 30, v35
	v_mov_b32_e32 v8, v1
	v_cmp_gt_i64_e32 vcc, 0, v[8:9]
	v_not_b32_e32 v8, v9
	v_ashrrev_i32_e32 v8, 31, v8
	v_and_b32_e32 v0, exec_hi, v0
	v_xor_b32_e32 v9, vcc_hi, v8
	v_xor_b32_e32 v8, vcc_lo, v8
	v_and_b32_e32 v0, v0, v9
	v_and_b32_e32 v38, v38, v8
	v_lshlrev_b32_e32 v9, 29, v35
	v_mov_b32_e32 v8, v1
	v_cmp_gt_i64_e32 vcc, 0, v[8:9]
	v_not_b32_e32 v8, v9
	v_ashrrev_i32_e32 v8, 31, v8
	v_xor_b32_e32 v9, vcc_hi, v8
	v_xor_b32_e32 v8, vcc_lo, v8
	v_and_b32_e32 v0, v0, v9
	v_and_b32_e32 v38, v38, v8
	v_lshlrev_b32_e32 v9, 28, v35
	v_mov_b32_e32 v8, v1
	v_cmp_gt_i64_e32 vcc, 0, v[8:9]
	v_not_b32_e32 v8, v9
	v_ashrrev_i32_e32 v8, 31, v8
	v_xor_b32_e32 v9, vcc_hi, v8
	v_xor_b32_e32 v8, vcc_lo, v8
	v_and_b32_e32 v0, v0, v9
	v_and_b32_e32 v38, v38, v8
	v_lshlrev_b32_e32 v9, 27, v35
	v_mov_b32_e32 v8, v1
	v_cmp_gt_i64_e32 vcc, 0, v[8:9]
	v_not_b32_e32 v8, v9
	v_ashrrev_i32_e32 v8, 31, v8
	v_xor_b32_e32 v9, vcc_hi, v8
	v_xor_b32_e32 v8, vcc_lo, v8
	v_and_b32_e32 v0, v0, v9
	v_and_b32_e32 v38, v38, v8
	v_lshlrev_b32_e32 v9, 26, v35
	v_mov_b32_e32 v8, v1
	v_cmp_gt_i64_e32 vcc, 0, v[8:9]
	v_not_b32_e32 v8, v9
	v_ashrrev_i32_e32 v8, 31, v8
	v_xor_b32_e32 v9, vcc_hi, v8
	v_xor_b32_e32 v8, vcc_lo, v8
	v_and_b32_e32 v0, v0, v9
	v_and_b32_e32 v38, v38, v8
	v_lshlrev_b32_e32 v9, 25, v35
	v_mov_b32_e32 v8, v1
	v_cmp_gt_i64_e32 vcc, 0, v[8:9]
	v_not_b32_e32 v8, v9
	v_ashrrev_i32_e32 v8, 31, v8
	v_xor_b32_e32 v9, vcc_hi, v8
	v_xor_b32_e32 v8, vcc_lo, v8
	v_and_b32_e32 v0, v0, v9
	v_lshlrev_b32_e32 v9, 24, v35
	v_and_b32_e32 v38, v38, v8
	v_mov_b32_e32 v8, v1
	v_not_b32_e32 v1, v9
	v_cmp_gt_i64_e32 vcc, 0, v[8:9]
	v_ashrrev_i32_e32 v1, 31, v1
	ds_read_b32 v33, v41 offset:64
	v_xor_b32_e32 v8, vcc_hi, v1
	v_xor_b32_e32 v9, vcc_lo, v1
	v_and_b32_e32 v1, v0, v8
	v_and_b32_e32 v0, v38, v9
	v_mbcnt_lo_u32_b32 v8, v0, 0
	v_mbcnt_hi_u32_b32 v35, v1, v8
	v_cmp_eq_u32_e32 vcc, 0, v35
	v_cmp_ne_u64_e64 s[0:1], 0, v[0:1]
	s_and_b64 s[4:5], s[0:1], vcc
	; wave barrier
	s_and_saveexec_b64 s[0:1], s[4:5]
	s_cbranch_execz .LBB859_217
; %bb.216:
	v_bcnt_u32_b32 v0, v0, 0
	v_bcnt_u32_b32 v0, v1, v0
	s_waitcnt lgkmcnt(0)
	v_add_u32_e32 v0, v33, v0
	ds_write_b32 v41, v0 offset:64
.LBB859_217:
	s_or_b64 exec, exec, s[0:1]
	s_waitcnt vmcnt(9)
	v_xor_b32_e32 v23, 0x80000000, v23
	v_lshrrev_b32_e32 v0, s64, v23
	v_and_b32_e32 v42, s14, v0
	s_movk_i32 s4, 0x44
	v_mul_lo_u32 v0, v42, s4
	v_lshl_add_u32 v46, v28, 2, v0
	v_and_b32_e32 v0, 1, v42
	v_mov_b32_e32 v1, 0
	v_lshl_add_u64 v[8:9], v[0:1], 0, -1
	v_cmp_ne_u32_e32 vcc, 0, v0
	; wave barrier
	s_nop 1
	v_xor_b32_e32 v8, vcc_lo, v8
	v_xor_b32_e32 v0, vcc_hi, v9
	v_and_b32_e32 v43, exec_lo, v8
	v_lshlrev_b32_e32 v9, 30, v42
	v_mov_b32_e32 v8, v1
	v_cmp_gt_i64_e32 vcc, 0, v[8:9]
	v_not_b32_e32 v8, v9
	v_ashrrev_i32_e32 v8, 31, v8
	v_and_b32_e32 v0, exec_hi, v0
	v_xor_b32_e32 v9, vcc_hi, v8
	v_xor_b32_e32 v8, vcc_lo, v8
	v_and_b32_e32 v0, v0, v9
	v_and_b32_e32 v43, v43, v8
	v_lshlrev_b32_e32 v9, 29, v42
	v_mov_b32_e32 v8, v1
	v_cmp_gt_i64_e32 vcc, 0, v[8:9]
	v_not_b32_e32 v8, v9
	v_ashrrev_i32_e32 v8, 31, v8
	v_xor_b32_e32 v9, vcc_hi, v8
	v_xor_b32_e32 v8, vcc_lo, v8
	v_and_b32_e32 v0, v0, v9
	v_and_b32_e32 v43, v43, v8
	v_lshlrev_b32_e32 v9, 28, v42
	v_mov_b32_e32 v8, v1
	v_cmp_gt_i64_e32 vcc, 0, v[8:9]
	v_not_b32_e32 v8, v9
	v_ashrrev_i32_e32 v8, 31, v8
	;; [unrolled: 9-line block ×6, first 2 shown]
	v_xor_b32_e32 v9, vcc_hi, v8
	v_xor_b32_e32 v8, vcc_lo, v8
	ds_read_b32 v38, v46 offset:64
	v_and_b32_e32 v8, v43, v8
	v_and_b32_e32 v9, v0, v9
	v_mbcnt_lo_u32_b32 v0, v8, 0
	v_mbcnt_hi_u32_b32 v42, v9, v0
	v_cmp_eq_u32_e32 vcc, 0, v42
	v_cmp_ne_u64_e64 s[0:1], 0, v[8:9]
	s_and_b64 s[6:7], s[0:1], vcc
	; wave barrier
	s_and_saveexec_b64 s[0:1], s[6:7]
	s_cbranch_execz .LBB859_219
; %bb.218:
	v_bcnt_u32_b32 v0, v8, 0
	v_bcnt_u32_b32 v0, v9, v0
	s_waitcnt lgkmcnt(0)
	v_add_u32_e32 v0, v38, v0
	ds_write_b32 v46, v0 offset:64
.LBB859_219:
	s_or_b64 exec, exec, s[0:1]
	s_waitcnt vmcnt(8)
	v_xor_b32_e32 v29, 0x80000000, v29
	v_lshrrev_b32_e32 v0, s64, v29
	v_and_b32_e32 v47, s14, v0
	v_mul_lo_u32 v0, v47, s4
	v_lshl_add_u32 v49, v28, 2, v0
	v_and_b32_e32 v0, 1, v47
	v_lshl_add_u64 v[8:9], v[0:1], 0, -1
	v_cmp_ne_u32_e32 vcc, 0, v0
	; wave barrier
	s_nop 1
	v_xor_b32_e32 v8, vcc_lo, v8
	v_xor_b32_e32 v0, vcc_hi, v9
	v_and_b32_e32 v48, exec_lo, v8
	v_lshlrev_b32_e32 v9, 30, v47
	v_mov_b32_e32 v8, v1
	v_cmp_gt_i64_e32 vcc, 0, v[8:9]
	v_not_b32_e32 v8, v9
	v_ashrrev_i32_e32 v8, 31, v8
	v_and_b32_e32 v0, exec_hi, v0
	v_xor_b32_e32 v9, vcc_hi, v8
	v_xor_b32_e32 v8, vcc_lo, v8
	v_and_b32_e32 v0, v0, v9
	v_and_b32_e32 v48, v48, v8
	v_lshlrev_b32_e32 v9, 29, v47
	v_mov_b32_e32 v8, v1
	v_cmp_gt_i64_e32 vcc, 0, v[8:9]
	v_not_b32_e32 v8, v9
	v_ashrrev_i32_e32 v8, 31, v8
	v_xor_b32_e32 v9, vcc_hi, v8
	v_xor_b32_e32 v8, vcc_lo, v8
	v_and_b32_e32 v0, v0, v9
	v_and_b32_e32 v48, v48, v8
	v_lshlrev_b32_e32 v9, 28, v47
	v_mov_b32_e32 v8, v1
	v_cmp_gt_i64_e32 vcc, 0, v[8:9]
	v_not_b32_e32 v8, v9
	v_ashrrev_i32_e32 v8, 31, v8
	;; [unrolled: 9-line block ×5, first 2 shown]
	v_xor_b32_e32 v9, vcc_hi, v8
	v_xor_b32_e32 v8, vcc_lo, v8
	v_and_b32_e32 v0, v0, v9
	v_lshlrev_b32_e32 v9, 24, v47
	v_and_b32_e32 v48, v48, v8
	v_mov_b32_e32 v8, v1
	v_not_b32_e32 v1, v9
	v_cmp_gt_i64_e32 vcc, 0, v[8:9]
	v_ashrrev_i32_e32 v1, 31, v1
	ds_read_b32 v43, v49 offset:64
	v_xor_b32_e32 v8, vcc_hi, v1
	v_xor_b32_e32 v9, vcc_lo, v1
	v_and_b32_e32 v1, v0, v8
	v_and_b32_e32 v0, v48, v9
	v_mbcnt_lo_u32_b32 v8, v0, 0
	v_mbcnt_hi_u32_b32 v47, v1, v8
	v_cmp_eq_u32_e32 vcc, 0, v47
	v_cmp_ne_u64_e64 s[0:1], 0, v[0:1]
	s_and_b64 s[4:5], s[0:1], vcc
	; wave barrier
	s_and_saveexec_b64 s[0:1], s[4:5]
	s_cbranch_execz .LBB859_221
; %bb.220:
	v_bcnt_u32_b32 v0, v0, 0
	v_bcnt_u32_b32 v0, v1, v0
	s_waitcnt lgkmcnt(0)
	v_add_u32_e32 v0, v43, v0
	ds_write_b32 v49, v0 offset:64
.LBB859_221:
	s_or_b64 exec, exec, s[0:1]
	s_waitcnt vmcnt(7)
	v_xor_b32_e32 v34, 0x80000000, v34
	v_lshrrev_b32_e32 v0, s64, v34
	v_and_b32_e32 v50, s14, v0
	s_movk_i32 s4, 0x44
	v_mul_lo_u32 v0, v50, s4
	v_lshl_add_u32 v52, v28, 2, v0
	v_and_b32_e32 v0, 1, v50
	v_mov_b32_e32 v1, 0
	v_lshl_add_u64 v[8:9], v[0:1], 0, -1
	v_cmp_ne_u32_e32 vcc, 0, v0
	; wave barrier
	s_nop 1
	v_xor_b32_e32 v8, vcc_lo, v8
	v_xor_b32_e32 v0, vcc_hi, v9
	v_and_b32_e32 v51, exec_lo, v8
	v_lshlrev_b32_e32 v9, 30, v50
	v_mov_b32_e32 v8, v1
	v_cmp_gt_i64_e32 vcc, 0, v[8:9]
	v_not_b32_e32 v8, v9
	v_ashrrev_i32_e32 v8, 31, v8
	v_and_b32_e32 v0, exec_hi, v0
	v_xor_b32_e32 v9, vcc_hi, v8
	v_xor_b32_e32 v8, vcc_lo, v8
	v_and_b32_e32 v0, v0, v9
	v_and_b32_e32 v51, v51, v8
	v_lshlrev_b32_e32 v9, 29, v50
	v_mov_b32_e32 v8, v1
	v_cmp_gt_i64_e32 vcc, 0, v[8:9]
	v_not_b32_e32 v8, v9
	v_ashrrev_i32_e32 v8, 31, v8
	v_xor_b32_e32 v9, vcc_hi, v8
	v_xor_b32_e32 v8, vcc_lo, v8
	v_and_b32_e32 v0, v0, v9
	v_and_b32_e32 v51, v51, v8
	v_lshlrev_b32_e32 v9, 28, v50
	v_mov_b32_e32 v8, v1
	v_cmp_gt_i64_e32 vcc, 0, v[8:9]
	v_not_b32_e32 v8, v9
	v_ashrrev_i32_e32 v8, 31, v8
	;; [unrolled: 9-line block ×6, first 2 shown]
	v_xor_b32_e32 v9, vcc_hi, v8
	v_xor_b32_e32 v8, vcc_lo, v8
	ds_read_b32 v48, v52 offset:64
	v_and_b32_e32 v8, v51, v8
	v_and_b32_e32 v9, v0, v9
	v_mbcnt_lo_u32_b32 v0, v8, 0
	v_mbcnt_hi_u32_b32 v50, v9, v0
	v_cmp_eq_u32_e32 vcc, 0, v50
	v_cmp_ne_u64_e64 s[0:1], 0, v[8:9]
	s_and_b64 s[6:7], s[0:1], vcc
	; wave barrier
	s_and_saveexec_b64 s[0:1], s[6:7]
	s_cbranch_execz .LBB859_223
; %bb.222:
	v_bcnt_u32_b32 v0, v8, 0
	v_bcnt_u32_b32 v0, v9, v0
	s_waitcnt lgkmcnt(0)
	v_add_u32_e32 v0, v48, v0
	ds_write_b32 v52, v0 offset:64
.LBB859_223:
	s_or_b64 exec, exec, s[0:1]
	s_waitcnt vmcnt(6)
	v_xor_b32_e32 v39, 0x80000000, v39
	v_lshrrev_b32_e32 v0, s64, v39
	v_and_b32_e32 v53, s14, v0
	v_mul_lo_u32 v0, v53, s4
	v_lshl_add_u32 v55, v28, 2, v0
	v_and_b32_e32 v0, 1, v53
	v_lshl_add_u64 v[8:9], v[0:1], 0, -1
	v_cmp_ne_u32_e32 vcc, 0, v0
	; wave barrier
	s_nop 1
	v_xor_b32_e32 v8, vcc_lo, v8
	v_xor_b32_e32 v0, vcc_hi, v9
	v_and_b32_e32 v54, exec_lo, v8
	v_lshlrev_b32_e32 v9, 30, v53
	v_mov_b32_e32 v8, v1
	v_cmp_gt_i64_e32 vcc, 0, v[8:9]
	v_not_b32_e32 v8, v9
	v_ashrrev_i32_e32 v8, 31, v8
	v_and_b32_e32 v0, exec_hi, v0
	v_xor_b32_e32 v9, vcc_hi, v8
	v_xor_b32_e32 v8, vcc_lo, v8
	v_and_b32_e32 v0, v0, v9
	v_and_b32_e32 v54, v54, v8
	v_lshlrev_b32_e32 v9, 29, v53
	v_mov_b32_e32 v8, v1
	v_cmp_gt_i64_e32 vcc, 0, v[8:9]
	v_not_b32_e32 v8, v9
	v_ashrrev_i32_e32 v8, 31, v8
	v_xor_b32_e32 v9, vcc_hi, v8
	v_xor_b32_e32 v8, vcc_lo, v8
	v_and_b32_e32 v0, v0, v9
	v_and_b32_e32 v54, v54, v8
	v_lshlrev_b32_e32 v9, 28, v53
	v_mov_b32_e32 v8, v1
	v_cmp_gt_i64_e32 vcc, 0, v[8:9]
	v_not_b32_e32 v8, v9
	v_ashrrev_i32_e32 v8, 31, v8
	;; [unrolled: 9-line block ×5, first 2 shown]
	v_xor_b32_e32 v9, vcc_hi, v8
	v_xor_b32_e32 v8, vcc_lo, v8
	v_and_b32_e32 v0, v0, v9
	v_lshlrev_b32_e32 v9, 24, v53
	v_and_b32_e32 v54, v54, v8
	v_mov_b32_e32 v8, v1
	v_not_b32_e32 v1, v9
	v_cmp_gt_i64_e32 vcc, 0, v[8:9]
	v_ashrrev_i32_e32 v1, 31, v1
	ds_read_b32 v51, v55 offset:64
	v_xor_b32_e32 v8, vcc_hi, v1
	v_xor_b32_e32 v9, vcc_lo, v1
	v_and_b32_e32 v1, v0, v8
	v_and_b32_e32 v0, v54, v9
	v_mbcnt_lo_u32_b32 v8, v0, 0
	v_mbcnt_hi_u32_b32 v53, v1, v8
	v_cmp_eq_u32_e32 vcc, 0, v53
	v_cmp_ne_u64_e64 s[0:1], 0, v[0:1]
	s_and_b64 s[4:5], s[0:1], vcc
	; wave barrier
	s_and_saveexec_b64 s[0:1], s[4:5]
	s_cbranch_execz .LBB859_225
; %bb.224:
	v_bcnt_u32_b32 v0, v0, 0
	v_bcnt_u32_b32 v0, v1, v0
	s_waitcnt lgkmcnt(0)
	v_add_u32_e32 v0, v51, v0
	ds_write_b32 v55, v0 offset:64
.LBB859_225:
	s_or_b64 exec, exec, s[0:1]
	s_waitcnt vmcnt(5)
	v_xor_b32_e32 v44, 0x80000000, v44
	v_lshrrev_b32_e32 v0, s64, v44
	v_and_b32_e32 v56, s14, v0
	s_movk_i32 s4, 0x44
	v_mul_lo_u32 v0, v56, s4
	v_lshl_add_u32 v58, v28, 2, v0
	v_and_b32_e32 v0, 1, v56
	v_mov_b32_e32 v1, 0
	v_lshl_add_u64 v[8:9], v[0:1], 0, -1
	v_cmp_ne_u32_e32 vcc, 0, v0
	; wave barrier
	s_nop 1
	v_xor_b32_e32 v8, vcc_lo, v8
	v_xor_b32_e32 v0, vcc_hi, v9
	v_and_b32_e32 v57, exec_lo, v8
	v_lshlrev_b32_e32 v9, 30, v56
	v_mov_b32_e32 v8, v1
	v_cmp_gt_i64_e32 vcc, 0, v[8:9]
	v_not_b32_e32 v8, v9
	v_ashrrev_i32_e32 v8, 31, v8
	v_and_b32_e32 v0, exec_hi, v0
	v_xor_b32_e32 v9, vcc_hi, v8
	v_xor_b32_e32 v8, vcc_lo, v8
	v_and_b32_e32 v0, v0, v9
	v_and_b32_e32 v57, v57, v8
	v_lshlrev_b32_e32 v9, 29, v56
	v_mov_b32_e32 v8, v1
	v_cmp_gt_i64_e32 vcc, 0, v[8:9]
	v_not_b32_e32 v8, v9
	v_ashrrev_i32_e32 v8, 31, v8
	v_xor_b32_e32 v9, vcc_hi, v8
	v_xor_b32_e32 v8, vcc_lo, v8
	v_and_b32_e32 v0, v0, v9
	v_and_b32_e32 v57, v57, v8
	v_lshlrev_b32_e32 v9, 28, v56
	v_mov_b32_e32 v8, v1
	v_cmp_gt_i64_e32 vcc, 0, v[8:9]
	v_not_b32_e32 v8, v9
	v_ashrrev_i32_e32 v8, 31, v8
	;; [unrolled: 9-line block ×6, first 2 shown]
	v_xor_b32_e32 v9, vcc_hi, v8
	v_xor_b32_e32 v8, vcc_lo, v8
	ds_read_b32 v54, v58 offset:64
	v_and_b32_e32 v8, v57, v8
	v_and_b32_e32 v9, v0, v9
	v_mbcnt_lo_u32_b32 v0, v8, 0
	v_mbcnt_hi_u32_b32 v56, v9, v0
	v_cmp_eq_u32_e32 vcc, 0, v56
	v_cmp_ne_u64_e64 s[0:1], 0, v[8:9]
	s_and_b64 s[6:7], s[0:1], vcc
	; wave barrier
	s_and_saveexec_b64 s[0:1], s[6:7]
	s_cbranch_execz .LBB859_227
; %bb.226:
	v_bcnt_u32_b32 v0, v8, 0
	v_bcnt_u32_b32 v0, v9, v0
	s_waitcnt lgkmcnt(0)
	v_add_u32_e32 v0, v54, v0
	ds_write_b32 v58, v0 offset:64
.LBB859_227:
	s_or_b64 exec, exec, s[0:1]
	s_waitcnt vmcnt(4)
	v_xor_b32_e32 v45, 0x80000000, v45
	v_lshrrev_b32_e32 v0, s64, v45
	v_and_b32_e32 v59, s14, v0
	v_mul_lo_u32 v0, v59, s4
	v_lshl_add_u32 v62, v28, 2, v0
	v_and_b32_e32 v0, 1, v59
	v_lshl_add_u64 v[8:9], v[0:1], 0, -1
	v_cmp_ne_u32_e32 vcc, 0, v0
	; wave barrier
	s_nop 1
	v_xor_b32_e32 v8, vcc_lo, v8
	v_xor_b32_e32 v0, vcc_hi, v9
	v_and_b32_e32 v60, exec_lo, v8
	v_lshlrev_b32_e32 v9, 30, v59
	v_mov_b32_e32 v8, v1
	v_cmp_gt_i64_e32 vcc, 0, v[8:9]
	v_not_b32_e32 v8, v9
	v_ashrrev_i32_e32 v8, 31, v8
	v_and_b32_e32 v0, exec_hi, v0
	v_xor_b32_e32 v9, vcc_hi, v8
	v_xor_b32_e32 v8, vcc_lo, v8
	v_and_b32_e32 v0, v0, v9
	v_and_b32_e32 v60, v60, v8
	v_lshlrev_b32_e32 v9, 29, v59
	v_mov_b32_e32 v8, v1
	v_cmp_gt_i64_e32 vcc, 0, v[8:9]
	v_not_b32_e32 v8, v9
	v_ashrrev_i32_e32 v8, 31, v8
	v_xor_b32_e32 v9, vcc_hi, v8
	v_xor_b32_e32 v8, vcc_lo, v8
	v_and_b32_e32 v0, v0, v9
	v_and_b32_e32 v60, v60, v8
	v_lshlrev_b32_e32 v9, 28, v59
	v_mov_b32_e32 v8, v1
	v_cmp_gt_i64_e32 vcc, 0, v[8:9]
	v_not_b32_e32 v8, v9
	v_ashrrev_i32_e32 v8, 31, v8
	;; [unrolled: 9-line block ×5, first 2 shown]
	v_xor_b32_e32 v9, vcc_hi, v8
	v_xor_b32_e32 v8, vcc_lo, v8
	v_and_b32_e32 v0, v0, v9
	v_lshlrev_b32_e32 v9, 24, v59
	v_and_b32_e32 v60, v60, v8
	v_mov_b32_e32 v8, v1
	v_not_b32_e32 v1, v9
	v_cmp_gt_i64_e32 vcc, 0, v[8:9]
	v_ashrrev_i32_e32 v1, 31, v1
	ds_read_b32 v57, v62 offset:64
	v_xor_b32_e32 v8, vcc_hi, v1
	v_xor_b32_e32 v9, vcc_lo, v1
	v_and_b32_e32 v1, v0, v8
	v_and_b32_e32 v0, v60, v9
	v_mbcnt_lo_u32_b32 v8, v0, 0
	v_mbcnt_hi_u32_b32 v59, v1, v8
	v_cmp_eq_u32_e32 vcc, 0, v59
	v_cmp_ne_u64_e64 s[0:1], 0, v[0:1]
	s_and_b64 s[4:5], s[0:1], vcc
	; wave barrier
	s_and_saveexec_b64 s[0:1], s[4:5]
	s_cbranch_execz .LBB859_229
; %bb.228:
	v_bcnt_u32_b32 v0, v0, 0
	v_bcnt_u32_b32 v0, v1, v0
	s_waitcnt lgkmcnt(0)
	v_add_u32_e32 v0, v57, v0
	ds_write_b32 v62, v0 offset:64
.LBB859_229:
	s_or_b64 exec, exec, s[0:1]
	s_waitcnt vmcnt(3)
	v_xor_b32_e32 v40, 0x80000000, v40
	v_lshrrev_b32_e32 v0, s64, v40
	v_and_b32_e32 v61, s14, v0
	s_movk_i32 s4, 0x44
	v_mul_lo_u32 v0, v61, s4
	v_lshl_add_u32 v65, v28, 2, v0
	v_and_b32_e32 v0, 1, v61
	v_mov_b32_e32 v1, 0
	v_lshl_add_u64 v[8:9], v[0:1], 0, -1
	v_cmp_ne_u32_e32 vcc, 0, v0
	; wave barrier
	s_nop 1
	v_xor_b32_e32 v8, vcc_lo, v8
	v_xor_b32_e32 v0, vcc_hi, v9
	v_and_b32_e32 v63, exec_lo, v8
	v_lshlrev_b32_e32 v9, 30, v61
	v_mov_b32_e32 v8, v1
	v_cmp_gt_i64_e32 vcc, 0, v[8:9]
	v_not_b32_e32 v8, v9
	v_ashrrev_i32_e32 v8, 31, v8
	v_and_b32_e32 v0, exec_hi, v0
	v_xor_b32_e32 v9, vcc_hi, v8
	v_xor_b32_e32 v8, vcc_lo, v8
	v_and_b32_e32 v0, v0, v9
	v_and_b32_e32 v63, v63, v8
	v_lshlrev_b32_e32 v9, 29, v61
	v_mov_b32_e32 v8, v1
	v_cmp_gt_i64_e32 vcc, 0, v[8:9]
	v_not_b32_e32 v8, v9
	v_ashrrev_i32_e32 v8, 31, v8
	v_xor_b32_e32 v9, vcc_hi, v8
	v_xor_b32_e32 v8, vcc_lo, v8
	v_and_b32_e32 v0, v0, v9
	v_and_b32_e32 v63, v63, v8
	v_lshlrev_b32_e32 v9, 28, v61
	v_mov_b32_e32 v8, v1
	v_cmp_gt_i64_e32 vcc, 0, v[8:9]
	v_not_b32_e32 v8, v9
	v_ashrrev_i32_e32 v8, 31, v8
	;; [unrolled: 9-line block ×6, first 2 shown]
	v_xor_b32_e32 v9, vcc_hi, v8
	v_xor_b32_e32 v8, vcc_lo, v8
	ds_read_b32 v60, v65 offset:64
	v_and_b32_e32 v8, v63, v8
	v_and_b32_e32 v9, v0, v9
	v_mbcnt_lo_u32_b32 v0, v8, 0
	v_mbcnt_hi_u32_b32 v63, v9, v0
	v_cmp_eq_u32_e32 vcc, 0, v63
	v_cmp_ne_u64_e64 s[0:1], 0, v[8:9]
	s_and_b64 s[6:7], s[0:1], vcc
	; wave barrier
	s_and_saveexec_b64 s[0:1], s[6:7]
	s_cbranch_execz .LBB859_231
; %bb.230:
	v_bcnt_u32_b32 v0, v8, 0
	v_bcnt_u32_b32 v0, v9, v0
	s_waitcnt lgkmcnt(0)
	v_add_u32_e32 v0, v60, v0
	ds_write_b32 v65, v0 offset:64
.LBB859_231:
	s_or_b64 exec, exec, s[0:1]
	s_waitcnt vmcnt(2)
	v_xor_b32_e32 v36, 0x80000000, v36
	v_lshrrev_b32_e32 v0, s64, v36
	v_and_b32_e32 v61, s14, v0
	v_mul_lo_u32 v0, v61, s4
	v_lshl_add_u32 v68, v28, 2, v0
	v_and_b32_e32 v0, 1, v61
	v_lshl_add_u64 v[8:9], v[0:1], 0, -1
	v_cmp_ne_u32_e32 vcc, 0, v0
	; wave barrier
	s_nop 1
	v_xor_b32_e32 v8, vcc_lo, v8
	v_xor_b32_e32 v0, vcc_hi, v9
	v_and_b32_e32 v66, exec_lo, v8
	v_lshlrev_b32_e32 v9, 30, v61
	v_mov_b32_e32 v8, v1
	v_cmp_gt_i64_e32 vcc, 0, v[8:9]
	v_not_b32_e32 v8, v9
	v_ashrrev_i32_e32 v8, 31, v8
	v_and_b32_e32 v0, exec_hi, v0
	v_xor_b32_e32 v9, vcc_hi, v8
	v_xor_b32_e32 v8, vcc_lo, v8
	v_and_b32_e32 v0, v0, v9
	v_and_b32_e32 v66, v66, v8
	v_lshlrev_b32_e32 v9, 29, v61
	v_mov_b32_e32 v8, v1
	v_cmp_gt_i64_e32 vcc, 0, v[8:9]
	v_not_b32_e32 v8, v9
	v_ashrrev_i32_e32 v8, 31, v8
	v_xor_b32_e32 v9, vcc_hi, v8
	v_xor_b32_e32 v8, vcc_lo, v8
	v_and_b32_e32 v0, v0, v9
	v_and_b32_e32 v66, v66, v8
	v_lshlrev_b32_e32 v9, 28, v61
	v_mov_b32_e32 v8, v1
	v_cmp_gt_i64_e32 vcc, 0, v[8:9]
	v_not_b32_e32 v8, v9
	v_ashrrev_i32_e32 v8, 31, v8
	;; [unrolled: 9-line block ×5, first 2 shown]
	v_xor_b32_e32 v9, vcc_hi, v8
	v_xor_b32_e32 v8, vcc_lo, v8
	v_and_b32_e32 v0, v0, v9
	v_lshlrev_b32_e32 v9, 24, v61
	v_and_b32_e32 v66, v66, v8
	v_mov_b32_e32 v8, v1
	v_not_b32_e32 v1, v9
	v_cmp_gt_i64_e32 vcc, 0, v[8:9]
	v_ashrrev_i32_e32 v1, 31, v1
	ds_read_b32 v64, v68 offset:64
	v_xor_b32_e32 v8, vcc_hi, v1
	v_xor_b32_e32 v9, vcc_lo, v1
	v_and_b32_e32 v1, v0, v8
	v_and_b32_e32 v0, v66, v9
	v_mbcnt_lo_u32_b32 v8, v0, 0
	v_mbcnt_hi_u32_b32 v66, v1, v8
	v_cmp_eq_u32_e32 vcc, 0, v66
	v_cmp_ne_u64_e64 s[0:1], 0, v[0:1]
	s_and_b64 s[4:5], s[0:1], vcc
	; wave barrier
	s_and_saveexec_b64 s[0:1], s[4:5]
	s_cbranch_execz .LBB859_233
; %bb.232:
	v_bcnt_u32_b32 v0, v0, 0
	v_bcnt_u32_b32 v0, v1, v0
	s_waitcnt lgkmcnt(0)
	v_add_u32_e32 v0, v64, v0
	ds_write_b32 v68, v0 offset:64
.LBB859_233:
	s_or_b64 exec, exec, s[0:1]
	s_waitcnt vmcnt(1)
	v_xor_b32_e32 v31, 0x80000000, v31
	v_lshrrev_b32_e32 v0, s64, v31
	v_and_b32_e32 v61, s14, v0
	s_movk_i32 s4, 0x44
	v_mul_lo_u32 v0, v61, s4
	v_lshl_add_u32 v70, v28, 2, v0
	v_and_b32_e32 v0, 1, v61
	v_mov_b32_e32 v1, 0
	v_lshl_add_u64 v[8:9], v[0:1], 0, -1
	v_cmp_ne_u32_e32 vcc, 0, v0
	; wave barrier
	s_nop 1
	v_xor_b32_e32 v8, vcc_lo, v8
	v_xor_b32_e32 v0, vcc_hi, v9
	v_and_b32_e32 v69, exec_lo, v8
	v_lshlrev_b32_e32 v9, 30, v61
	v_mov_b32_e32 v8, v1
	v_cmp_gt_i64_e32 vcc, 0, v[8:9]
	v_not_b32_e32 v8, v9
	v_ashrrev_i32_e32 v8, 31, v8
	v_and_b32_e32 v0, exec_hi, v0
	v_xor_b32_e32 v9, vcc_hi, v8
	v_xor_b32_e32 v8, vcc_lo, v8
	v_and_b32_e32 v0, v0, v9
	v_and_b32_e32 v69, v69, v8
	v_lshlrev_b32_e32 v9, 29, v61
	v_mov_b32_e32 v8, v1
	v_cmp_gt_i64_e32 vcc, 0, v[8:9]
	v_not_b32_e32 v8, v9
	v_ashrrev_i32_e32 v8, 31, v8
	v_xor_b32_e32 v9, vcc_hi, v8
	v_xor_b32_e32 v8, vcc_lo, v8
	v_and_b32_e32 v0, v0, v9
	v_and_b32_e32 v69, v69, v8
	v_lshlrev_b32_e32 v9, 28, v61
	v_mov_b32_e32 v8, v1
	v_cmp_gt_i64_e32 vcc, 0, v[8:9]
	v_not_b32_e32 v8, v9
	v_ashrrev_i32_e32 v8, 31, v8
	v_xor_b32_e32 v9, vcc_hi, v8
	v_xor_b32_e32 v8, vcc_lo, v8
	v_and_b32_e32 v0, v0, v9
	v_and_b32_e32 v69, v69, v8
	v_lshlrev_b32_e32 v9, 27, v61
	v_mov_b32_e32 v8, v1
	v_cmp_gt_i64_e32 vcc, 0, v[8:9]
	v_not_b32_e32 v8, v9
	v_ashrrev_i32_e32 v8, 31, v8
	v_xor_b32_e32 v9, vcc_hi, v8
	v_xor_b32_e32 v8, vcc_lo, v8
	v_and_b32_e32 v0, v0, v9
	v_and_b32_e32 v69, v69, v8
	v_lshlrev_b32_e32 v9, 26, v61
	v_mov_b32_e32 v8, v1
	v_cmp_gt_i64_e32 vcc, 0, v[8:9]
	v_not_b32_e32 v8, v9
	v_ashrrev_i32_e32 v8, 31, v8
	v_xor_b32_e32 v9, vcc_hi, v8
	v_xor_b32_e32 v8, vcc_lo, v8
	v_and_b32_e32 v0, v0, v9
	v_and_b32_e32 v69, v69, v8
	v_lshlrev_b32_e32 v9, 25, v61
	v_mov_b32_e32 v8, v1
	v_cmp_gt_i64_e32 vcc, 0, v[8:9]
	v_not_b32_e32 v8, v9
	v_ashrrev_i32_e32 v8, 31, v8
	v_xor_b32_e32 v9, vcc_hi, v8
	v_xor_b32_e32 v8, vcc_lo, v8
	v_and_b32_e32 v0, v0, v9
	v_and_b32_e32 v69, v69, v8
	v_lshlrev_b32_e32 v9, 24, v61
	v_mov_b32_e32 v8, v1
	v_cmp_gt_i64_e32 vcc, 0, v[8:9]
	v_not_b32_e32 v8, v9
	v_ashrrev_i32_e32 v8, 31, v8
	v_xor_b32_e32 v9, vcc_hi, v8
	v_xor_b32_e32 v8, vcc_lo, v8
	ds_read_b32 v67, v70 offset:64
	v_and_b32_e32 v8, v69, v8
	v_and_b32_e32 v9, v0, v9
	v_mbcnt_lo_u32_b32 v0, v8, 0
	v_mbcnt_hi_u32_b32 v69, v9, v0
	v_cmp_eq_u32_e32 vcc, 0, v69
	v_cmp_ne_u64_e64 s[0:1], 0, v[8:9]
	s_and_b64 s[6:7], s[0:1], vcc
	; wave barrier
	s_and_saveexec_b64 s[0:1], s[6:7]
	s_cbranch_execz .LBB859_235
; %bb.234:
	v_bcnt_u32_b32 v0, v8, 0
	v_bcnt_u32_b32 v0, v9, v0
	s_waitcnt lgkmcnt(0)
	v_add_u32_e32 v0, v67, v0
	ds_write_b32 v70, v0 offset:64
.LBB859_235:
	s_or_b64 exec, exec, s[0:1]
	s_waitcnt vmcnt(0)
	v_xor_b32_e32 v61, 0x80000000, v25
	v_lshrrev_b32_e32 v0, s64, v61
	v_and_b32_e32 v25, s14, v0
	v_mul_lo_u32 v0, v25, s4
	v_lshl_add_u32 v72, v28, 2, v0
	v_and_b32_e32 v0, 1, v25
	v_lshl_add_u64 v[8:9], v[0:1], 0, -1
	v_cmp_ne_u32_e32 vcc, 0, v0
	; wave barrier
	s_nop 1
	v_xor_b32_e32 v8, vcc_lo, v8
	v_xor_b32_e32 v0, vcc_hi, v9
	v_and_b32_e32 v71, exec_lo, v8
	v_lshlrev_b32_e32 v9, 30, v25
	v_mov_b32_e32 v8, v1
	v_cmp_gt_i64_e32 vcc, 0, v[8:9]
	v_not_b32_e32 v8, v9
	v_ashrrev_i32_e32 v8, 31, v8
	v_and_b32_e32 v0, exec_hi, v0
	v_xor_b32_e32 v9, vcc_hi, v8
	v_xor_b32_e32 v8, vcc_lo, v8
	v_and_b32_e32 v0, v0, v9
	v_and_b32_e32 v71, v71, v8
	v_lshlrev_b32_e32 v9, 29, v25
	v_mov_b32_e32 v8, v1
	v_cmp_gt_i64_e32 vcc, 0, v[8:9]
	v_not_b32_e32 v8, v9
	v_ashrrev_i32_e32 v8, 31, v8
	v_xor_b32_e32 v9, vcc_hi, v8
	v_xor_b32_e32 v8, vcc_lo, v8
	v_and_b32_e32 v0, v0, v9
	v_and_b32_e32 v71, v71, v8
	v_lshlrev_b32_e32 v9, 28, v25
	v_mov_b32_e32 v8, v1
	v_cmp_gt_i64_e32 vcc, 0, v[8:9]
	v_not_b32_e32 v8, v9
	v_ashrrev_i32_e32 v8, 31, v8
	;; [unrolled: 9-line block ×5, first 2 shown]
	v_xor_b32_e32 v9, vcc_hi, v8
	v_xor_b32_e32 v8, vcc_lo, v8
	v_and_b32_e32 v0, v0, v9
	v_lshlrev_b32_e32 v9, 24, v25
	v_and_b32_e32 v71, v71, v8
	v_mov_b32_e32 v8, v1
	v_not_b32_e32 v1, v9
	v_cmp_gt_i64_e32 vcc, 0, v[8:9]
	v_ashrrev_i32_e32 v1, 31, v1
	ds_read_b32 v28, v72 offset:64
	v_xor_b32_e32 v8, vcc_hi, v1
	v_xor_b32_e32 v9, vcc_lo, v1
	v_and_b32_e32 v1, v0, v8
	v_and_b32_e32 v0, v71, v9
	v_mbcnt_lo_u32_b32 v8, v0, 0
	v_mbcnt_hi_u32_b32 v71, v1, v8
	v_cmp_eq_u32_e32 vcc, 0, v71
	v_cmp_ne_u64_e64 s[0:1], 0, v[0:1]
	s_and_b64 s[4:5], s[0:1], vcc
	; wave barrier
	s_and_saveexec_b64 s[0:1], s[4:5]
	s_cbranch_execz .LBB859_237
; %bb.236:
	v_bcnt_u32_b32 v0, v0, 0
	v_bcnt_u32_b32 v0, v1, v0
	s_waitcnt lgkmcnt(0)
	v_add_u32_e32 v0, v28, v0
	ds_write_b32 v72, v0 offset:64
.LBB859_237:
	s_or_b64 exec, exec, s[0:1]
	; wave barrier
	s_waitcnt lgkmcnt(0)
	s_barrier
	ds_read2_b32 v[8:9], v11 offset0:16 offset1:17
	ds_read2_b32 v[0:1], v11 offset0:18 offset1:19
	ds_read_b32 v25, v11 offset:80
	v_cmp_lt_u32_e64 s[8:9], 31, v10
	s_waitcnt lgkmcnt(1)
	v_add3_u32 v73, v9, v8, v0
	s_waitcnt lgkmcnt(0)
	v_add3_u32 v25, v73, v1, v25
	v_and_b32_e32 v73, 15, v10
	v_cmp_eq_u32_e32 vcc, 0, v73
	v_mov_b32_dpp v74, v25 row_shr:1 row_mask:0xf bank_mask:0xf
	v_cmp_lt_u32_e64 s[0:1], 1, v73
	v_cndmask_b32_e64 v74, v74, 0, vcc
	v_add_u32_e32 v25, v74, v25
	v_cmp_lt_u32_e64 s[6:7], 3, v73
	v_cmp_lt_u32_e64 s[4:5], 7, v73
	v_mov_b32_dpp v74, v25 row_shr:2 row_mask:0xf bank_mask:0xf
	v_cndmask_b32_e64 v74, 0, v74, s[0:1]
	v_add_u32_e32 v25, v25, v74
	s_nop 1
	v_mov_b32_dpp v74, v25 row_shr:4 row_mask:0xf bank_mask:0xf
	v_cndmask_b32_e64 v74, 0, v74, s[6:7]
	v_add_u32_e32 v25, v25, v74
	s_nop 1
	v_mov_b32_dpp v74, v25 row_shr:8 row_mask:0xf bank_mask:0xf
	v_cndmask_b32_e64 v73, 0, v74, s[4:5]
	v_add_u32_e32 v25, v25, v73
	v_bfe_i32 v74, v10, 4, 1
	s_nop 0
	v_mov_b32_dpp v73, v25 row_bcast:15 row_mask:0xf bank_mask:0xf
	v_and_b32_e32 v73, v74, v73
	v_add_u32_e32 v25, v25, v73
	v_lshrrev_b32_e32 v74, 6, v2
	s_nop 0
	v_mov_b32_dpp v73, v25 row_bcast:31 row_mask:0xf bank_mask:0xf
	v_cndmask_b32_e64 v73, 0, v73, s[8:9]
	v_add_u32_e32 v73, v25, v73
	v_and_b32_e32 v25, 63, v2
	v_cmp_eq_u32_e64 s[8:9], 63, v25
	s_and_saveexec_b64 s[12:13], s[8:9]
; %bb.238:
	v_lshlrev_b32_e32 v25, 2, v74
	ds_write_b32 v25, v73
; %bb.239:
	s_or_b64 exec, exec, s[12:13]
	v_cmp_gt_u32_e64 s[8:9], 16, v2
	v_lshlrev_b32_e32 v25, 2, v2
	s_waitcnt lgkmcnt(0)
	s_barrier
	s_and_saveexec_b64 s[12:13], s[8:9]
	s_cbranch_execz .LBB859_241
; %bb.240:
	ds_read_b32 v75, v25
	s_waitcnt lgkmcnt(0)
	s_nop 0
	v_mov_b32_dpp v76, v75 row_shr:1 row_mask:0xf bank_mask:0xf
	v_cndmask_b32_e64 v76, v76, 0, vcc
	v_add_u32_e32 v75, v76, v75
	s_nop 1
	v_mov_b32_dpp v76, v75 row_shr:2 row_mask:0xf bank_mask:0xf
	v_cndmask_b32_e64 v76, 0, v76, s[0:1]
	v_add_u32_e32 v75, v75, v76
	s_nop 1
	v_mov_b32_dpp v76, v75 row_shr:4 row_mask:0xf bank_mask:0xf
	v_cndmask_b32_e64 v76, 0, v76, s[6:7]
	;; [unrolled: 4-line block ×3, first 2 shown]
	v_add_u32_e32 v75, v75, v76
	ds_write_b32 v25, v75
.LBB859_241:
	s_or_b64 exec, exec, s[12:13]
	v_cmp_lt_u32_e32 vcc, 63, v2
	v_mov_b32_e32 v75, 0
	s_waitcnt lgkmcnt(0)
	s_barrier
	s_and_saveexec_b64 s[0:1], vcc
; %bb.242:
	v_lshl_add_u32 v74, v74, 2, -4
	ds_read_b32 v75, v74
; %bb.243:
	s_or_b64 exec, exec, s[0:1]
	v_subrev_co_u32_e32 v74, vcc, 1, v10
	v_and_b32_e32 v76, 64, v10
	v_cmp_lt_i32_e64 s[0:1], v74, v76
	s_waitcnt lgkmcnt(0)
	v_add_u32_e32 v73, v75, v73
	s_movk_i32 s4, 0x100
	v_cndmask_b32_e64 v10, v74, v10, s[0:1]
	v_lshlrev_b32_e32 v10, 2, v10
	ds_bpermute_b32 v10, v10, v73
	s_movk_i32 s0, 0xff
	s_waitcnt lgkmcnt(0)
	v_cndmask_b32_e32 v10, v10, v75, vcc
	v_cmp_ne_u32_e32 vcc, 0, v2
	s_nop 1
	v_cndmask_b32_e32 v10, 0, v10, vcc
	v_add_u32_e32 v8, v10, v8
	v_add_u32_e32 v9, v8, v9
	;; [unrolled: 1-line block ×4, first 2 shown]
	ds_write2_b32 v11, v10, v8 offset0:16 offset1:17
	ds_write2_b32 v11, v9, v0 offset0:18 offset1:19
	ds_write_b32 v11, v1 offset:80
	s_waitcnt lgkmcnt(0)
	s_barrier
	ds_read_b32 v81, v18 offset:64
	ds_read_b32 v73, v21 offset:64
	;; [unrolled: 1-line block ×16, first 2 shown]
	v_cmp_lt_u32_e32 vcc, s0, v2
	v_cmp_gt_u32_e64 s[0:1], s4, v2
                                        ; implicit-def: $vgpr18
                                        ; implicit-def: $vgpr21
	s_and_saveexec_b64 s[6:7], s[0:1]
	s_cbranch_execz .LBB859_247
; %bb.244:
	v_mul_u32_u24_e32 v0, 0x44, v2
	ds_read_b32 v18, v0 offset:64
	v_add_u32_e32 v1, 1, v2
	v_cmp_ne_u32_e64 s[4:5], s4, v1
	v_mov_b32_e32 v0, 0x4000
	s_and_saveexec_b64 s[8:9], s[4:5]
; %bb.245:
	v_mul_u32_u24_e32 v0, 0x44, v1
	ds_read_b32 v0, v0 offset:64
; %bb.246:
	s_or_b64 exec, exec, s[8:9]
	s_waitcnt lgkmcnt(0)
	v_sub_u32_e32 v21, v0, v18
.LBB859_247:
	s_or_b64 exec, exec, s[6:7]
	v_mov_b32_e32 v1, 0
	s_waitcnt lgkmcnt(0)
	s_barrier
	s_and_saveexec_b64 s[4:5], s[0:1]
	s_cbranch_execz .LBB859_257
; %bb.248:
	v_lshl_add_u32 v0, s2, 8, v2
	v_lshl_add_u64 v[8:9], v[0:1], 2, s[50:51]
	v_or_b32_e32 v0, 2.0, v21
	s_mov_b64 s[6:7], 0
	s_brev_b32 s15, -4
	s_mov_b32 s16, s2
	v_mov_b32_e32 v49, 0
	global_store_dword v[8:9], v0, off sc1
                                        ; implicit-def: $sgpr0_sgpr1
	s_branch .LBB859_251
.LBB859_249:                            ;   in Loop: Header=BB859_251 Depth=1
	s_or_b64 exec, exec, s[12:13]
.LBB859_250:                            ;   in Loop: Header=BB859_251 Depth=1
	s_or_b64 exec, exec, s[8:9]
	v_and_b32_e32 v10, 0x3fffffff, v0
	v_add_u32_e32 v49, v10, v49
	v_cmp_gt_i32_e64 s[0:1], -2.0, v0
	s_and_b64 s[8:9], exec, s[0:1]
	s_or_b64 s[6:7], s[8:9], s[6:7]
	s_andn2_b64 exec, exec, s[6:7]
	s_cbranch_execz .LBB859_256
.LBB859_251:                            ; =>This Loop Header: Depth=1
                                        ;     Child Loop BB859_254 Depth 2
	s_or_b64 s[0:1], s[0:1], exec
	s_cmp_eq_u32 s16, 0
	s_cbranch_scc1 .LBB859_255
; %bb.252:                              ;   in Loop: Header=BB859_251 Depth=1
	s_add_i32 s16, s16, -1
	v_lshl_or_b32 v0, s16, 8, v2
	v_lshl_add_u64 v[10:11], v[0:1], 2, s[50:51]
	global_load_dword v0, v[10:11], off sc1
	s_waitcnt vmcnt(0)
	v_cmp_gt_u32_e64 s[0:1], 2.0, v0
	s_and_saveexec_b64 s[8:9], s[0:1]
	s_cbranch_execz .LBB859_250
; %bb.253:                              ;   in Loop: Header=BB859_251 Depth=1
	s_mov_b64 s[12:13], 0
.LBB859_254:                            ;   Parent Loop BB859_251 Depth=1
                                        ; =>  This Inner Loop Header: Depth=2
	global_load_dword v0, v[10:11], off sc1
	s_waitcnt vmcnt(0)
	v_cmp_lt_u32_e64 s[0:1], s15, v0
	s_or_b64 s[12:13], s[0:1], s[12:13]
	s_andn2_b64 exec, exec, s[12:13]
	s_cbranch_execnz .LBB859_254
	s_branch .LBB859_249
.LBB859_255:                            ;   in Loop: Header=BB859_251 Depth=1
                                        ; implicit-def: $sgpr16
	s_and_b64 s[8:9], exec, s[0:1]
	s_or_b64 s[6:7], s[8:9], s[6:7]
	s_andn2_b64 exec, exec, s[6:7]
	s_cbranch_execnz .LBB859_251
.LBB859_256:
	s_or_b64 exec, exec, s[6:7]
	v_add_u32_e32 v0, v49, v21
	v_or_b32_e32 v0, 0x80000000, v0
	global_store_dword v[8:9], v0, off sc1
	global_load_dword v0, v25, s[60:61]
	v_sub_u32_e32 v1, v49, v18
	s_waitcnt vmcnt(0)
	v_add_u32_e32 v0, v1, v0
	ds_write_b32 v25, v0
.LBB859_257:
	s_or_b64 exec, exec, s[4:5]
	v_add_u32_e32 v8, v81, v14
	v_add3_u32 v0, v16, v13, v73
	v_add3_u32 v1, v20, v17, v74
	;; [unrolled: 1-line block ×15, first 2 shown]
	v_mov_b32_e32 v85, 0x400
	s_mov_b32 s6, s64
	s_mov_b32 s7, s14
	s_movk_i32 s8, 0x400
	v_lshl_add_u32 v9, v9, 2, v85
	v_add3_u32 v10, v71, v41, v28
	v_lshl_add_u32 v11, v11, 2, v85
	v_add3_u32 v14, v69, v26, v67
	;; [unrolled: 2-line block ×15, first 2 shown]
	v_lshl_add_u32 v16, v8, 2, v85
	s_mov_b32 s9, 0
	s_mov_b32 s12, 0
	s_movk_i32 s13, 0x1000
	v_mov_b32_e32 v1, 0
	s_movk_i32 s15, 0x800
	s_movk_i32 s16, 0xc00
	v_mov_b32_e32 v55, v2
	s_mov_b32 s17, 0
	s_branch .LBB859_259
.LBB859_258:                            ;   in Loop: Header=BB859_259 Depth=1
	s_or_b64 exec, exec, s[4:5]
	s_waitcnt lgkmcnt(0)
	s_barrier
	ds_read2st64_b32 v[56:57], v25 offset0:4 offset1:20
	ds_read2st64_b32 v[62:63], v25 offset0:36 offset1:52
	s_addk_i32 s17, 0xc000
	s_addk_i32 s12, 0xf000
	s_waitcnt lgkmcnt(1)
	v_xor_b32_e32 v60, 0x80000000, v56
	v_lshrrev_b32_e32 v56, s64, v56
	v_lshrrev_b32_e32 v0, s6, v57
	v_and_b32_e32 v56, s14, v56
	v_xor_b32_e32 v66, 0x80000000, v57
	v_and_b32_e32 v57, s7, v0
	v_lshlrev_b32_e32 v0, 2, v56
	ds_read_b32 v0, v0
	s_waitcnt lgkmcnt(1)
	v_lshrrev_b32_e32 v58, s6, v63
	v_lshrrev_b32_e32 v65, s64, v62
	v_and_b32_e32 v59, s7, v58
	v_lshlrev_b32_e32 v64, 2, v57
	v_and_b32_e32 v58, s14, v65
	v_lshlrev_b32_e32 v67, 2, v59
	v_lshlrev_b32_e32 v65, 2, v58
	ds_read_b32 v68, v64
	ds_read_b32 v69, v65
	;; [unrolled: 1-line block ×3, first 2 shown]
	s_waitcnt lgkmcnt(3)
	v_add_u32_e32 v0, v55, v0
	v_lshl_add_u64 v[64:65], v[0:1], 2, s[54:55]
	s_waitcnt lgkmcnt(2)
	v_add3_u32 v0, v55, v68, s8
	global_store_dword v[64:65], v60, off
	v_lshl_add_u64 v[64:65], v[0:1], 2, s[54:55]
	s_waitcnt lgkmcnt(1)
	v_add3_u32 v0, v55, v69, s15
	global_store_dword v[64:65], v66, off
	v_xor_b32_e32 v60, 0x80000000, v62
	v_xor_b32_e32 v64, 0x80000000, v63
	v_lshl_add_u64 v[62:63], v[0:1], 2, s[54:55]
	s_waitcnt lgkmcnt(0)
	v_add3_u32 v0, v55, v67, s16
	global_store_dword v[62:63], v60, off
	v_lshl_add_u64 v[62:63], v[0:1], 2, s[54:55]
	global_store_dword v[62:63], v64, off
	scratch_store_dwordx4 off, v[56:59], s9
	s_add_i32 s9, s9, 16
	s_cmp_eq_u32 s17, 0xffff0000
	v_add_u32_e32 v55, 0x1000, v55
	s_barrier
	s_cbranch_scc1 .LBB859_291
.LBB859_259:                            ; =>This Inner Loop Header: Depth=1
	v_add_u32_e32 v0, s12, v8
	v_cmp_gt_u32_e64 s[0:1], s13, v0
	s_and_saveexec_b64 s[4:5], s[0:1]
; %bb.260:                              ;   in Loop: Header=BB859_259 Depth=1
	v_add_u32_e32 v0, s17, v16
	ds_write_b32 v0, v3
; %bb.261:                              ;   in Loop: Header=BB859_259 Depth=1
	s_or_b64 exec, exec, s[4:5]
	v_add_u32_e32 v0, s12, v13
	v_cmp_gt_u32_e64 s[0:1], s13, v0
	s_and_saveexec_b64 s[4:5], s[0:1]
; %bb.262:                              ;   in Loop: Header=BB859_259 Depth=1
	v_add_u32_e32 v0, s17, v20
	ds_write_b32 v0, v5
; %bb.263:                              ;   in Loop: Header=BB859_259 Depth=1
	s_or_b64 exec, exec, s[4:5]
	;; [unrolled: 8-line block ×15, first 2 shown]
	v_add_u32_e32 v0, s12, v10
	v_cmp_gt_u32_e64 s[0:1], s13, v0
	s_and_saveexec_b64 s[4:5], s[0:1]
	s_cbranch_execz .LBB859_258
; %bb.290:                              ;   in Loop: Header=BB859_259 Depth=1
	v_add_u32_e32 v0, s17, v9
	ds_write_b32 v0, v61
	s_branch .LBB859_258
.LBB859_291:
	s_add_u32 s0, s56, s10
	s_addc_u32 s1, s57, s11
	v_mov_b32_e32 v5, 0
	v_lshl_add_u64 v[0:1], s[0:1], 0, v[4:5]
	v_mov_b32_e32 v7, v5
	v_lshl_add_u64 v[44:45], v[0:1], 0, v[6:7]
	global_load_dword v0, v[44:45], off
	global_load_dword v1, v[44:45], off offset:256
	global_load_dword v3, v[44:45], off offset:512
	;; [unrolled: 1-line block ×14, first 2 shown]
	s_nop 0
	global_load_dword v44, v[44:45], off offset:3840
	s_mov_b32 s6, 0
	s_mov_b32 s7, 0
	s_movk_i32 s8, 0x1000
	s_movk_i32 s9, 0x400
	;; [unrolled: 1-line block ×4, first 2 shown]
	s_mov_b32 s12, 0
	s_branch .LBB859_293
.LBB859_292:                            ;   in Loop: Header=BB859_293 Depth=1
	s_or_b64 exec, exec, s[4:5]
	s_waitcnt lgkmcnt(0)
	s_barrier
	scratch_load_dwordx4 v[56:59], off, s6
	ds_read2st64_b32 v[60:61], v25 offset0:4 offset1:20
	ds_read2st64_b32 v[62:63], v25 offset0:36 offset1:52
	s_addk_i32 s12, 0xc000
	s_addk_i32 s7, 0xf000
	s_add_i32 s6, s6, 16
	s_cmp_eq_u32 s12, 0xffff0000
	s_waitcnt vmcnt(0)
	v_lshlrev_b32_e32 v4, 2, v56
	ds_read_b32 v4, v4
	v_lshlrev_b32_e32 v45, 2, v57
	v_lshlrev_b32_e32 v55, 2, v58
	;; [unrolled: 1-line block ×3, first 2 shown]
	ds_read_b32 v45, v45
	ds_read_b32 v55, v55
	;; [unrolled: 1-line block ×3, first 2 shown]
	s_waitcnt lgkmcnt(3)
	v_add_u32_e32 v4, v2, v4
	v_lshl_add_u64 v[56:57], v[4:5], 2, s[58:59]
	s_waitcnt lgkmcnt(2)
	v_add3_u32 v4, v2, v45, s9
	global_store_dword v[56:57], v60, off
	v_lshl_add_u64 v[56:57], v[4:5], 2, s[58:59]
	s_waitcnt lgkmcnt(1)
	v_add3_u32 v4, v2, v55, s10
	global_store_dword v[56:57], v61, off
	;; [unrolled: 4-line block ×3, first 2 shown]
	v_lshl_add_u64 v[56:57], v[4:5], 2, s[58:59]
	v_add_u32_e32 v2, 0x1000, v2
	global_store_dword v[56:57], v63, off
	s_barrier
	s_cbranch_scc1 .LBB859_325
.LBB859_293:                            ; =>This Inner Loop Header: Depth=1
	v_add_u32_e32 v4, s7, v8
	v_cmp_gt_u32_e64 s[0:1], s8, v4
	s_and_saveexec_b64 s[4:5], s[0:1]
	s_cbranch_execz .LBB859_295
; %bb.294:                              ;   in Loop: Header=BB859_293 Depth=1
	v_add_u32_e32 v4, s12, v16
	s_waitcnt vmcnt(15)
	ds_write_b32 v4, v0
.LBB859_295:                            ;   in Loop: Header=BB859_293 Depth=1
	s_or_b64 exec, exec, s[4:5]
	v_add_u32_e32 v4, s7, v13
	v_cmp_gt_u32_e64 s[0:1], s8, v4
	s_and_saveexec_b64 s[4:5], s[0:1]
	s_cbranch_execz .LBB859_297
; %bb.296:                              ;   in Loop: Header=BB859_293 Depth=1
	v_add_u32_e32 v4, s12, v20
	s_waitcnt vmcnt(14)
	ds_write_b32 v4, v1
.LBB859_297:                            ;   in Loop: Header=BB859_293 Depth=1
	s_or_b64 exec, exec, s[4:5]
	;; [unrolled: 10-line block ×15, first 2 shown]
	v_add_u32_e32 v4, s7, v10
	v_cmp_gt_u32_e64 s[0:1], s8, v4
	s_and_saveexec_b64 s[4:5], s[0:1]
	s_cbranch_execz .LBB859_292
; %bb.324:                              ;   in Loop: Header=BB859_293 Depth=1
	v_add_u32_e32 v4, s12, v9
	s_waitcnt vmcnt(0)
	ds_write_b32 v4, v44
	s_branch .LBB859_292
.LBB859_325:
	s_add_i32 s3, s3, -1
	s_cmp_eq_u32 s2, s3
	s_cselect_b64 s[0:1], -1, 0
	s_xor_b64 s[2:3], vcc, -1
	s_and_b64 s[0:1], s[2:3], s[0:1]
	s_and_saveexec_b64 s[2:3], s[0:1]
	s_cbranch_execz .LBB859_327
; %bb.326:
	ds_read_b32 v0, v25
	s_waitcnt lgkmcnt(0)
	v_add3_u32 v0, v18, v21, v0
	global_store_dword v25, v0, s[62:63]
.LBB859_327:
	s_endpgm
	.section	.rodata,"a",@progbits
	.p2align	6, 0x0
	.amdhsa_kernel _ZN7rocprim17ROCPRIM_400000_NS6detail17trampoline_kernelINS0_14default_configENS1_35radix_sort_onesweep_config_selectorIiiEEZZNS1_29radix_sort_onesweep_iterationIS3_Lb0EN6thrust23THRUST_200600_302600_NS6detail15normal_iteratorINS8_10device_ptrIiEEEESD_SD_SD_jNS0_19identity_decomposerENS1_16block_id_wrapperIjLb0EEEEE10hipError_tT1_PNSt15iterator_traitsISI_E10value_typeET2_T3_PNSJ_ISO_E10value_typeET4_T5_PST_SU_PNS1_23onesweep_lookback_stateEbbT6_jjT7_P12ihipStream_tbENKUlT_T0_SI_SN_E_clISD_PiSD_S15_EEDaS11_S12_SI_SN_EUlS11_E_NS1_11comp_targetILNS1_3genE6ELNS1_11target_archE950ELNS1_3gpuE13ELNS1_3repE0EEENS1_47radix_sort_onesweep_sort_config_static_selectorELNS0_4arch9wavefront6targetE1EEEvSI_
		.amdhsa_group_segment_fixed_size 20552
		.amdhsa_private_segment_fixed_size 80
		.amdhsa_kernarg_size 344
		.amdhsa_user_sgpr_count 2
		.amdhsa_user_sgpr_dispatch_ptr 0
		.amdhsa_user_sgpr_queue_ptr 0
		.amdhsa_user_sgpr_kernarg_segment_ptr 1
		.amdhsa_user_sgpr_dispatch_id 0
		.amdhsa_user_sgpr_kernarg_preload_length 0
		.amdhsa_user_sgpr_kernarg_preload_offset 0
		.amdhsa_user_sgpr_private_segment_size 0
		.amdhsa_uses_dynamic_stack 0
		.amdhsa_enable_private_segment 1
		.amdhsa_system_sgpr_workgroup_id_x 1
		.amdhsa_system_sgpr_workgroup_id_y 0
		.amdhsa_system_sgpr_workgroup_id_z 0
		.amdhsa_system_sgpr_workgroup_info 0
		.amdhsa_system_vgpr_workitem_id 2
		.amdhsa_next_free_vgpr 88
		.amdhsa_next_free_sgpr 70
		.amdhsa_accum_offset 88
		.amdhsa_reserve_vcc 1
		.amdhsa_float_round_mode_32 0
		.amdhsa_float_round_mode_16_64 0
		.amdhsa_float_denorm_mode_32 3
		.amdhsa_float_denorm_mode_16_64 3
		.amdhsa_dx10_clamp 1
		.amdhsa_ieee_mode 1
		.amdhsa_fp16_overflow 0
		.amdhsa_tg_split 0
		.amdhsa_exception_fp_ieee_invalid_op 0
		.amdhsa_exception_fp_denorm_src 0
		.amdhsa_exception_fp_ieee_div_zero 0
		.amdhsa_exception_fp_ieee_overflow 0
		.amdhsa_exception_fp_ieee_underflow 0
		.amdhsa_exception_fp_ieee_inexact 0
		.amdhsa_exception_int_div_zero 0
	.end_amdhsa_kernel
	.section	.text._ZN7rocprim17ROCPRIM_400000_NS6detail17trampoline_kernelINS0_14default_configENS1_35radix_sort_onesweep_config_selectorIiiEEZZNS1_29radix_sort_onesweep_iterationIS3_Lb0EN6thrust23THRUST_200600_302600_NS6detail15normal_iteratorINS8_10device_ptrIiEEEESD_SD_SD_jNS0_19identity_decomposerENS1_16block_id_wrapperIjLb0EEEEE10hipError_tT1_PNSt15iterator_traitsISI_E10value_typeET2_T3_PNSJ_ISO_E10value_typeET4_T5_PST_SU_PNS1_23onesweep_lookback_stateEbbT6_jjT7_P12ihipStream_tbENKUlT_T0_SI_SN_E_clISD_PiSD_S15_EEDaS11_S12_SI_SN_EUlS11_E_NS1_11comp_targetILNS1_3genE6ELNS1_11target_archE950ELNS1_3gpuE13ELNS1_3repE0EEENS1_47radix_sort_onesweep_sort_config_static_selectorELNS0_4arch9wavefront6targetE1EEEvSI_,"axG",@progbits,_ZN7rocprim17ROCPRIM_400000_NS6detail17trampoline_kernelINS0_14default_configENS1_35radix_sort_onesweep_config_selectorIiiEEZZNS1_29radix_sort_onesweep_iterationIS3_Lb0EN6thrust23THRUST_200600_302600_NS6detail15normal_iteratorINS8_10device_ptrIiEEEESD_SD_SD_jNS0_19identity_decomposerENS1_16block_id_wrapperIjLb0EEEEE10hipError_tT1_PNSt15iterator_traitsISI_E10value_typeET2_T3_PNSJ_ISO_E10value_typeET4_T5_PST_SU_PNS1_23onesweep_lookback_stateEbbT6_jjT7_P12ihipStream_tbENKUlT_T0_SI_SN_E_clISD_PiSD_S15_EEDaS11_S12_SI_SN_EUlS11_E_NS1_11comp_targetILNS1_3genE6ELNS1_11target_archE950ELNS1_3gpuE13ELNS1_3repE0EEENS1_47radix_sort_onesweep_sort_config_static_selectorELNS0_4arch9wavefront6targetE1EEEvSI_,comdat
.Lfunc_end859:
	.size	_ZN7rocprim17ROCPRIM_400000_NS6detail17trampoline_kernelINS0_14default_configENS1_35radix_sort_onesweep_config_selectorIiiEEZZNS1_29radix_sort_onesweep_iterationIS3_Lb0EN6thrust23THRUST_200600_302600_NS6detail15normal_iteratorINS8_10device_ptrIiEEEESD_SD_SD_jNS0_19identity_decomposerENS1_16block_id_wrapperIjLb0EEEEE10hipError_tT1_PNSt15iterator_traitsISI_E10value_typeET2_T3_PNSJ_ISO_E10value_typeET4_T5_PST_SU_PNS1_23onesweep_lookback_stateEbbT6_jjT7_P12ihipStream_tbENKUlT_T0_SI_SN_E_clISD_PiSD_S15_EEDaS11_S12_SI_SN_EUlS11_E_NS1_11comp_targetILNS1_3genE6ELNS1_11target_archE950ELNS1_3gpuE13ELNS1_3repE0EEENS1_47radix_sort_onesweep_sort_config_static_selectorELNS0_4arch9wavefront6targetE1EEEvSI_, .Lfunc_end859-_ZN7rocprim17ROCPRIM_400000_NS6detail17trampoline_kernelINS0_14default_configENS1_35radix_sort_onesweep_config_selectorIiiEEZZNS1_29radix_sort_onesweep_iterationIS3_Lb0EN6thrust23THRUST_200600_302600_NS6detail15normal_iteratorINS8_10device_ptrIiEEEESD_SD_SD_jNS0_19identity_decomposerENS1_16block_id_wrapperIjLb0EEEEE10hipError_tT1_PNSt15iterator_traitsISI_E10value_typeET2_T3_PNSJ_ISO_E10value_typeET4_T5_PST_SU_PNS1_23onesweep_lookback_stateEbbT6_jjT7_P12ihipStream_tbENKUlT_T0_SI_SN_E_clISD_PiSD_S15_EEDaS11_S12_SI_SN_EUlS11_E_NS1_11comp_targetILNS1_3genE6ELNS1_11target_archE950ELNS1_3gpuE13ELNS1_3repE0EEENS1_47radix_sort_onesweep_sort_config_static_selectorELNS0_4arch9wavefront6targetE1EEEvSI_
                                        ; -- End function
	.set _ZN7rocprim17ROCPRIM_400000_NS6detail17trampoline_kernelINS0_14default_configENS1_35radix_sort_onesweep_config_selectorIiiEEZZNS1_29radix_sort_onesweep_iterationIS3_Lb0EN6thrust23THRUST_200600_302600_NS6detail15normal_iteratorINS8_10device_ptrIiEEEESD_SD_SD_jNS0_19identity_decomposerENS1_16block_id_wrapperIjLb0EEEEE10hipError_tT1_PNSt15iterator_traitsISI_E10value_typeET2_T3_PNSJ_ISO_E10value_typeET4_T5_PST_SU_PNS1_23onesweep_lookback_stateEbbT6_jjT7_P12ihipStream_tbENKUlT_T0_SI_SN_E_clISD_PiSD_S15_EEDaS11_S12_SI_SN_EUlS11_E_NS1_11comp_targetILNS1_3genE6ELNS1_11target_archE950ELNS1_3gpuE13ELNS1_3repE0EEENS1_47radix_sort_onesweep_sort_config_static_selectorELNS0_4arch9wavefront6targetE1EEEvSI_.num_vgpr, 88
	.set _ZN7rocprim17ROCPRIM_400000_NS6detail17trampoline_kernelINS0_14default_configENS1_35radix_sort_onesweep_config_selectorIiiEEZZNS1_29radix_sort_onesweep_iterationIS3_Lb0EN6thrust23THRUST_200600_302600_NS6detail15normal_iteratorINS8_10device_ptrIiEEEESD_SD_SD_jNS0_19identity_decomposerENS1_16block_id_wrapperIjLb0EEEEE10hipError_tT1_PNSt15iterator_traitsISI_E10value_typeET2_T3_PNSJ_ISO_E10value_typeET4_T5_PST_SU_PNS1_23onesweep_lookback_stateEbbT6_jjT7_P12ihipStream_tbENKUlT_T0_SI_SN_E_clISD_PiSD_S15_EEDaS11_S12_SI_SN_EUlS11_E_NS1_11comp_targetILNS1_3genE6ELNS1_11target_archE950ELNS1_3gpuE13ELNS1_3repE0EEENS1_47radix_sort_onesweep_sort_config_static_selectorELNS0_4arch9wavefront6targetE1EEEvSI_.num_agpr, 0
	.set _ZN7rocprim17ROCPRIM_400000_NS6detail17trampoline_kernelINS0_14default_configENS1_35radix_sort_onesweep_config_selectorIiiEEZZNS1_29radix_sort_onesweep_iterationIS3_Lb0EN6thrust23THRUST_200600_302600_NS6detail15normal_iteratorINS8_10device_ptrIiEEEESD_SD_SD_jNS0_19identity_decomposerENS1_16block_id_wrapperIjLb0EEEEE10hipError_tT1_PNSt15iterator_traitsISI_E10value_typeET2_T3_PNSJ_ISO_E10value_typeET4_T5_PST_SU_PNS1_23onesweep_lookback_stateEbbT6_jjT7_P12ihipStream_tbENKUlT_T0_SI_SN_E_clISD_PiSD_S15_EEDaS11_S12_SI_SN_EUlS11_E_NS1_11comp_targetILNS1_3genE6ELNS1_11target_archE950ELNS1_3gpuE13ELNS1_3repE0EEENS1_47radix_sort_onesweep_sort_config_static_selectorELNS0_4arch9wavefront6targetE1EEEvSI_.numbered_sgpr, 70
	.set _ZN7rocprim17ROCPRIM_400000_NS6detail17trampoline_kernelINS0_14default_configENS1_35radix_sort_onesweep_config_selectorIiiEEZZNS1_29radix_sort_onesweep_iterationIS3_Lb0EN6thrust23THRUST_200600_302600_NS6detail15normal_iteratorINS8_10device_ptrIiEEEESD_SD_SD_jNS0_19identity_decomposerENS1_16block_id_wrapperIjLb0EEEEE10hipError_tT1_PNSt15iterator_traitsISI_E10value_typeET2_T3_PNSJ_ISO_E10value_typeET4_T5_PST_SU_PNS1_23onesweep_lookback_stateEbbT6_jjT7_P12ihipStream_tbENKUlT_T0_SI_SN_E_clISD_PiSD_S15_EEDaS11_S12_SI_SN_EUlS11_E_NS1_11comp_targetILNS1_3genE6ELNS1_11target_archE950ELNS1_3gpuE13ELNS1_3repE0EEENS1_47radix_sort_onesweep_sort_config_static_selectorELNS0_4arch9wavefront6targetE1EEEvSI_.num_named_barrier, 0
	.set _ZN7rocprim17ROCPRIM_400000_NS6detail17trampoline_kernelINS0_14default_configENS1_35radix_sort_onesweep_config_selectorIiiEEZZNS1_29radix_sort_onesweep_iterationIS3_Lb0EN6thrust23THRUST_200600_302600_NS6detail15normal_iteratorINS8_10device_ptrIiEEEESD_SD_SD_jNS0_19identity_decomposerENS1_16block_id_wrapperIjLb0EEEEE10hipError_tT1_PNSt15iterator_traitsISI_E10value_typeET2_T3_PNSJ_ISO_E10value_typeET4_T5_PST_SU_PNS1_23onesweep_lookback_stateEbbT6_jjT7_P12ihipStream_tbENKUlT_T0_SI_SN_E_clISD_PiSD_S15_EEDaS11_S12_SI_SN_EUlS11_E_NS1_11comp_targetILNS1_3genE6ELNS1_11target_archE950ELNS1_3gpuE13ELNS1_3repE0EEENS1_47radix_sort_onesweep_sort_config_static_selectorELNS0_4arch9wavefront6targetE1EEEvSI_.private_seg_size, 80
	.set _ZN7rocprim17ROCPRIM_400000_NS6detail17trampoline_kernelINS0_14default_configENS1_35radix_sort_onesweep_config_selectorIiiEEZZNS1_29radix_sort_onesweep_iterationIS3_Lb0EN6thrust23THRUST_200600_302600_NS6detail15normal_iteratorINS8_10device_ptrIiEEEESD_SD_SD_jNS0_19identity_decomposerENS1_16block_id_wrapperIjLb0EEEEE10hipError_tT1_PNSt15iterator_traitsISI_E10value_typeET2_T3_PNSJ_ISO_E10value_typeET4_T5_PST_SU_PNS1_23onesweep_lookback_stateEbbT6_jjT7_P12ihipStream_tbENKUlT_T0_SI_SN_E_clISD_PiSD_S15_EEDaS11_S12_SI_SN_EUlS11_E_NS1_11comp_targetILNS1_3genE6ELNS1_11target_archE950ELNS1_3gpuE13ELNS1_3repE0EEENS1_47radix_sort_onesweep_sort_config_static_selectorELNS0_4arch9wavefront6targetE1EEEvSI_.uses_vcc, 1
	.set _ZN7rocprim17ROCPRIM_400000_NS6detail17trampoline_kernelINS0_14default_configENS1_35radix_sort_onesweep_config_selectorIiiEEZZNS1_29radix_sort_onesweep_iterationIS3_Lb0EN6thrust23THRUST_200600_302600_NS6detail15normal_iteratorINS8_10device_ptrIiEEEESD_SD_SD_jNS0_19identity_decomposerENS1_16block_id_wrapperIjLb0EEEEE10hipError_tT1_PNSt15iterator_traitsISI_E10value_typeET2_T3_PNSJ_ISO_E10value_typeET4_T5_PST_SU_PNS1_23onesweep_lookback_stateEbbT6_jjT7_P12ihipStream_tbENKUlT_T0_SI_SN_E_clISD_PiSD_S15_EEDaS11_S12_SI_SN_EUlS11_E_NS1_11comp_targetILNS1_3genE6ELNS1_11target_archE950ELNS1_3gpuE13ELNS1_3repE0EEENS1_47radix_sort_onesweep_sort_config_static_selectorELNS0_4arch9wavefront6targetE1EEEvSI_.uses_flat_scratch, 0
	.set _ZN7rocprim17ROCPRIM_400000_NS6detail17trampoline_kernelINS0_14default_configENS1_35radix_sort_onesweep_config_selectorIiiEEZZNS1_29radix_sort_onesweep_iterationIS3_Lb0EN6thrust23THRUST_200600_302600_NS6detail15normal_iteratorINS8_10device_ptrIiEEEESD_SD_SD_jNS0_19identity_decomposerENS1_16block_id_wrapperIjLb0EEEEE10hipError_tT1_PNSt15iterator_traitsISI_E10value_typeET2_T3_PNSJ_ISO_E10value_typeET4_T5_PST_SU_PNS1_23onesweep_lookback_stateEbbT6_jjT7_P12ihipStream_tbENKUlT_T0_SI_SN_E_clISD_PiSD_S15_EEDaS11_S12_SI_SN_EUlS11_E_NS1_11comp_targetILNS1_3genE6ELNS1_11target_archE950ELNS1_3gpuE13ELNS1_3repE0EEENS1_47radix_sort_onesweep_sort_config_static_selectorELNS0_4arch9wavefront6targetE1EEEvSI_.has_dyn_sized_stack, 0
	.set _ZN7rocprim17ROCPRIM_400000_NS6detail17trampoline_kernelINS0_14default_configENS1_35radix_sort_onesweep_config_selectorIiiEEZZNS1_29radix_sort_onesweep_iterationIS3_Lb0EN6thrust23THRUST_200600_302600_NS6detail15normal_iteratorINS8_10device_ptrIiEEEESD_SD_SD_jNS0_19identity_decomposerENS1_16block_id_wrapperIjLb0EEEEE10hipError_tT1_PNSt15iterator_traitsISI_E10value_typeET2_T3_PNSJ_ISO_E10value_typeET4_T5_PST_SU_PNS1_23onesweep_lookback_stateEbbT6_jjT7_P12ihipStream_tbENKUlT_T0_SI_SN_E_clISD_PiSD_S15_EEDaS11_S12_SI_SN_EUlS11_E_NS1_11comp_targetILNS1_3genE6ELNS1_11target_archE950ELNS1_3gpuE13ELNS1_3repE0EEENS1_47radix_sort_onesweep_sort_config_static_selectorELNS0_4arch9wavefront6targetE1EEEvSI_.has_recursion, 0
	.set _ZN7rocprim17ROCPRIM_400000_NS6detail17trampoline_kernelINS0_14default_configENS1_35radix_sort_onesweep_config_selectorIiiEEZZNS1_29radix_sort_onesweep_iterationIS3_Lb0EN6thrust23THRUST_200600_302600_NS6detail15normal_iteratorINS8_10device_ptrIiEEEESD_SD_SD_jNS0_19identity_decomposerENS1_16block_id_wrapperIjLb0EEEEE10hipError_tT1_PNSt15iterator_traitsISI_E10value_typeET2_T3_PNSJ_ISO_E10value_typeET4_T5_PST_SU_PNS1_23onesweep_lookback_stateEbbT6_jjT7_P12ihipStream_tbENKUlT_T0_SI_SN_E_clISD_PiSD_S15_EEDaS11_S12_SI_SN_EUlS11_E_NS1_11comp_targetILNS1_3genE6ELNS1_11target_archE950ELNS1_3gpuE13ELNS1_3repE0EEENS1_47radix_sort_onesweep_sort_config_static_selectorELNS0_4arch9wavefront6targetE1EEEvSI_.has_indirect_call, 0
	.section	.AMDGPU.csdata,"",@progbits
; Kernel info:
; codeLenInByte = 22584
; TotalNumSgprs: 76
; NumVgprs: 88
; NumAgprs: 0
; TotalNumVgprs: 88
; ScratchSize: 80
; MemoryBound: 0
; FloatMode: 240
; IeeeMode: 1
; LDSByteSize: 20552 bytes/workgroup (compile time only)
; SGPRBlocks: 9
; VGPRBlocks: 10
; NumSGPRsForWavesPerEU: 76
; NumVGPRsForWavesPerEU: 88
; AccumOffset: 88
; Occupancy: 5
; WaveLimiterHint : 1
; COMPUTE_PGM_RSRC2:SCRATCH_EN: 1
; COMPUTE_PGM_RSRC2:USER_SGPR: 2
; COMPUTE_PGM_RSRC2:TRAP_HANDLER: 0
; COMPUTE_PGM_RSRC2:TGID_X_EN: 1
; COMPUTE_PGM_RSRC2:TGID_Y_EN: 0
; COMPUTE_PGM_RSRC2:TGID_Z_EN: 0
; COMPUTE_PGM_RSRC2:TIDIG_COMP_CNT: 2
; COMPUTE_PGM_RSRC3_GFX90A:ACCUM_OFFSET: 21
; COMPUTE_PGM_RSRC3_GFX90A:TG_SPLIT: 0
	.section	.text._ZN7rocprim17ROCPRIM_400000_NS6detail17trampoline_kernelINS0_14default_configENS1_35radix_sort_onesweep_config_selectorIiiEEZZNS1_29radix_sort_onesweep_iterationIS3_Lb0EN6thrust23THRUST_200600_302600_NS6detail15normal_iteratorINS8_10device_ptrIiEEEESD_SD_SD_jNS0_19identity_decomposerENS1_16block_id_wrapperIjLb0EEEEE10hipError_tT1_PNSt15iterator_traitsISI_E10value_typeET2_T3_PNSJ_ISO_E10value_typeET4_T5_PST_SU_PNS1_23onesweep_lookback_stateEbbT6_jjT7_P12ihipStream_tbENKUlT_T0_SI_SN_E_clISD_PiSD_S15_EEDaS11_S12_SI_SN_EUlS11_E_NS1_11comp_targetILNS1_3genE5ELNS1_11target_archE942ELNS1_3gpuE9ELNS1_3repE0EEENS1_47radix_sort_onesweep_sort_config_static_selectorELNS0_4arch9wavefront6targetE1EEEvSI_,"axG",@progbits,_ZN7rocprim17ROCPRIM_400000_NS6detail17trampoline_kernelINS0_14default_configENS1_35radix_sort_onesweep_config_selectorIiiEEZZNS1_29radix_sort_onesweep_iterationIS3_Lb0EN6thrust23THRUST_200600_302600_NS6detail15normal_iteratorINS8_10device_ptrIiEEEESD_SD_SD_jNS0_19identity_decomposerENS1_16block_id_wrapperIjLb0EEEEE10hipError_tT1_PNSt15iterator_traitsISI_E10value_typeET2_T3_PNSJ_ISO_E10value_typeET4_T5_PST_SU_PNS1_23onesweep_lookback_stateEbbT6_jjT7_P12ihipStream_tbENKUlT_T0_SI_SN_E_clISD_PiSD_S15_EEDaS11_S12_SI_SN_EUlS11_E_NS1_11comp_targetILNS1_3genE5ELNS1_11target_archE942ELNS1_3gpuE9ELNS1_3repE0EEENS1_47radix_sort_onesweep_sort_config_static_selectorELNS0_4arch9wavefront6targetE1EEEvSI_,comdat
	.protected	_ZN7rocprim17ROCPRIM_400000_NS6detail17trampoline_kernelINS0_14default_configENS1_35radix_sort_onesweep_config_selectorIiiEEZZNS1_29radix_sort_onesweep_iterationIS3_Lb0EN6thrust23THRUST_200600_302600_NS6detail15normal_iteratorINS8_10device_ptrIiEEEESD_SD_SD_jNS0_19identity_decomposerENS1_16block_id_wrapperIjLb0EEEEE10hipError_tT1_PNSt15iterator_traitsISI_E10value_typeET2_T3_PNSJ_ISO_E10value_typeET4_T5_PST_SU_PNS1_23onesweep_lookback_stateEbbT6_jjT7_P12ihipStream_tbENKUlT_T0_SI_SN_E_clISD_PiSD_S15_EEDaS11_S12_SI_SN_EUlS11_E_NS1_11comp_targetILNS1_3genE5ELNS1_11target_archE942ELNS1_3gpuE9ELNS1_3repE0EEENS1_47radix_sort_onesweep_sort_config_static_selectorELNS0_4arch9wavefront6targetE1EEEvSI_ ; -- Begin function _ZN7rocprim17ROCPRIM_400000_NS6detail17trampoline_kernelINS0_14default_configENS1_35radix_sort_onesweep_config_selectorIiiEEZZNS1_29radix_sort_onesweep_iterationIS3_Lb0EN6thrust23THRUST_200600_302600_NS6detail15normal_iteratorINS8_10device_ptrIiEEEESD_SD_SD_jNS0_19identity_decomposerENS1_16block_id_wrapperIjLb0EEEEE10hipError_tT1_PNSt15iterator_traitsISI_E10value_typeET2_T3_PNSJ_ISO_E10value_typeET4_T5_PST_SU_PNS1_23onesweep_lookback_stateEbbT6_jjT7_P12ihipStream_tbENKUlT_T0_SI_SN_E_clISD_PiSD_S15_EEDaS11_S12_SI_SN_EUlS11_E_NS1_11comp_targetILNS1_3genE5ELNS1_11target_archE942ELNS1_3gpuE9ELNS1_3repE0EEENS1_47radix_sort_onesweep_sort_config_static_selectorELNS0_4arch9wavefront6targetE1EEEvSI_
	.globl	_ZN7rocprim17ROCPRIM_400000_NS6detail17trampoline_kernelINS0_14default_configENS1_35radix_sort_onesweep_config_selectorIiiEEZZNS1_29radix_sort_onesweep_iterationIS3_Lb0EN6thrust23THRUST_200600_302600_NS6detail15normal_iteratorINS8_10device_ptrIiEEEESD_SD_SD_jNS0_19identity_decomposerENS1_16block_id_wrapperIjLb0EEEEE10hipError_tT1_PNSt15iterator_traitsISI_E10value_typeET2_T3_PNSJ_ISO_E10value_typeET4_T5_PST_SU_PNS1_23onesweep_lookback_stateEbbT6_jjT7_P12ihipStream_tbENKUlT_T0_SI_SN_E_clISD_PiSD_S15_EEDaS11_S12_SI_SN_EUlS11_E_NS1_11comp_targetILNS1_3genE5ELNS1_11target_archE942ELNS1_3gpuE9ELNS1_3repE0EEENS1_47radix_sort_onesweep_sort_config_static_selectorELNS0_4arch9wavefront6targetE1EEEvSI_
	.p2align	8
	.type	_ZN7rocprim17ROCPRIM_400000_NS6detail17trampoline_kernelINS0_14default_configENS1_35radix_sort_onesweep_config_selectorIiiEEZZNS1_29radix_sort_onesweep_iterationIS3_Lb0EN6thrust23THRUST_200600_302600_NS6detail15normal_iteratorINS8_10device_ptrIiEEEESD_SD_SD_jNS0_19identity_decomposerENS1_16block_id_wrapperIjLb0EEEEE10hipError_tT1_PNSt15iterator_traitsISI_E10value_typeET2_T3_PNSJ_ISO_E10value_typeET4_T5_PST_SU_PNS1_23onesweep_lookback_stateEbbT6_jjT7_P12ihipStream_tbENKUlT_T0_SI_SN_E_clISD_PiSD_S15_EEDaS11_S12_SI_SN_EUlS11_E_NS1_11comp_targetILNS1_3genE5ELNS1_11target_archE942ELNS1_3gpuE9ELNS1_3repE0EEENS1_47radix_sort_onesweep_sort_config_static_selectorELNS0_4arch9wavefront6targetE1EEEvSI_,@function
_ZN7rocprim17ROCPRIM_400000_NS6detail17trampoline_kernelINS0_14default_configENS1_35radix_sort_onesweep_config_selectorIiiEEZZNS1_29radix_sort_onesweep_iterationIS3_Lb0EN6thrust23THRUST_200600_302600_NS6detail15normal_iteratorINS8_10device_ptrIiEEEESD_SD_SD_jNS0_19identity_decomposerENS1_16block_id_wrapperIjLb0EEEEE10hipError_tT1_PNSt15iterator_traitsISI_E10value_typeET2_T3_PNSJ_ISO_E10value_typeET4_T5_PST_SU_PNS1_23onesweep_lookback_stateEbbT6_jjT7_P12ihipStream_tbENKUlT_T0_SI_SN_E_clISD_PiSD_S15_EEDaS11_S12_SI_SN_EUlS11_E_NS1_11comp_targetILNS1_3genE5ELNS1_11target_archE942ELNS1_3gpuE9ELNS1_3repE0EEENS1_47radix_sort_onesweep_sort_config_static_selectorELNS0_4arch9wavefront6targetE1EEEvSI_: ; @_ZN7rocprim17ROCPRIM_400000_NS6detail17trampoline_kernelINS0_14default_configENS1_35radix_sort_onesweep_config_selectorIiiEEZZNS1_29radix_sort_onesweep_iterationIS3_Lb0EN6thrust23THRUST_200600_302600_NS6detail15normal_iteratorINS8_10device_ptrIiEEEESD_SD_SD_jNS0_19identity_decomposerENS1_16block_id_wrapperIjLb0EEEEE10hipError_tT1_PNSt15iterator_traitsISI_E10value_typeET2_T3_PNSJ_ISO_E10value_typeET4_T5_PST_SU_PNS1_23onesweep_lookback_stateEbbT6_jjT7_P12ihipStream_tbENKUlT_T0_SI_SN_E_clISD_PiSD_S15_EEDaS11_S12_SI_SN_EUlS11_E_NS1_11comp_targetILNS1_3genE5ELNS1_11target_archE942ELNS1_3gpuE9ELNS1_3repE0EEENS1_47radix_sort_onesweep_sort_config_static_selectorELNS0_4arch9wavefront6targetE1EEEvSI_
; %bb.0:
	.section	.rodata,"a",@progbits
	.p2align	6, 0x0
	.amdhsa_kernel _ZN7rocprim17ROCPRIM_400000_NS6detail17trampoline_kernelINS0_14default_configENS1_35radix_sort_onesweep_config_selectorIiiEEZZNS1_29radix_sort_onesweep_iterationIS3_Lb0EN6thrust23THRUST_200600_302600_NS6detail15normal_iteratorINS8_10device_ptrIiEEEESD_SD_SD_jNS0_19identity_decomposerENS1_16block_id_wrapperIjLb0EEEEE10hipError_tT1_PNSt15iterator_traitsISI_E10value_typeET2_T3_PNSJ_ISO_E10value_typeET4_T5_PST_SU_PNS1_23onesweep_lookback_stateEbbT6_jjT7_P12ihipStream_tbENKUlT_T0_SI_SN_E_clISD_PiSD_S15_EEDaS11_S12_SI_SN_EUlS11_E_NS1_11comp_targetILNS1_3genE5ELNS1_11target_archE942ELNS1_3gpuE9ELNS1_3repE0EEENS1_47radix_sort_onesweep_sort_config_static_selectorELNS0_4arch9wavefront6targetE1EEEvSI_
		.amdhsa_group_segment_fixed_size 0
		.amdhsa_private_segment_fixed_size 0
		.amdhsa_kernarg_size 88
		.amdhsa_user_sgpr_count 2
		.amdhsa_user_sgpr_dispatch_ptr 0
		.amdhsa_user_sgpr_queue_ptr 0
		.amdhsa_user_sgpr_kernarg_segment_ptr 1
		.amdhsa_user_sgpr_dispatch_id 0
		.amdhsa_user_sgpr_kernarg_preload_length 0
		.amdhsa_user_sgpr_kernarg_preload_offset 0
		.amdhsa_user_sgpr_private_segment_size 0
		.amdhsa_uses_dynamic_stack 0
		.amdhsa_enable_private_segment 0
		.amdhsa_system_sgpr_workgroup_id_x 1
		.amdhsa_system_sgpr_workgroup_id_y 0
		.amdhsa_system_sgpr_workgroup_id_z 0
		.amdhsa_system_sgpr_workgroup_info 0
		.amdhsa_system_vgpr_workitem_id 0
		.amdhsa_next_free_vgpr 1
		.amdhsa_next_free_sgpr 0
		.amdhsa_accum_offset 4
		.amdhsa_reserve_vcc 0
		.amdhsa_float_round_mode_32 0
		.amdhsa_float_round_mode_16_64 0
		.amdhsa_float_denorm_mode_32 3
		.amdhsa_float_denorm_mode_16_64 3
		.amdhsa_dx10_clamp 1
		.amdhsa_ieee_mode 1
		.amdhsa_fp16_overflow 0
		.amdhsa_tg_split 0
		.amdhsa_exception_fp_ieee_invalid_op 0
		.amdhsa_exception_fp_denorm_src 0
		.amdhsa_exception_fp_ieee_div_zero 0
		.amdhsa_exception_fp_ieee_overflow 0
		.amdhsa_exception_fp_ieee_underflow 0
		.amdhsa_exception_fp_ieee_inexact 0
		.amdhsa_exception_int_div_zero 0
	.end_amdhsa_kernel
	.section	.text._ZN7rocprim17ROCPRIM_400000_NS6detail17trampoline_kernelINS0_14default_configENS1_35radix_sort_onesweep_config_selectorIiiEEZZNS1_29radix_sort_onesweep_iterationIS3_Lb0EN6thrust23THRUST_200600_302600_NS6detail15normal_iteratorINS8_10device_ptrIiEEEESD_SD_SD_jNS0_19identity_decomposerENS1_16block_id_wrapperIjLb0EEEEE10hipError_tT1_PNSt15iterator_traitsISI_E10value_typeET2_T3_PNSJ_ISO_E10value_typeET4_T5_PST_SU_PNS1_23onesweep_lookback_stateEbbT6_jjT7_P12ihipStream_tbENKUlT_T0_SI_SN_E_clISD_PiSD_S15_EEDaS11_S12_SI_SN_EUlS11_E_NS1_11comp_targetILNS1_3genE5ELNS1_11target_archE942ELNS1_3gpuE9ELNS1_3repE0EEENS1_47radix_sort_onesweep_sort_config_static_selectorELNS0_4arch9wavefront6targetE1EEEvSI_,"axG",@progbits,_ZN7rocprim17ROCPRIM_400000_NS6detail17trampoline_kernelINS0_14default_configENS1_35radix_sort_onesweep_config_selectorIiiEEZZNS1_29radix_sort_onesweep_iterationIS3_Lb0EN6thrust23THRUST_200600_302600_NS6detail15normal_iteratorINS8_10device_ptrIiEEEESD_SD_SD_jNS0_19identity_decomposerENS1_16block_id_wrapperIjLb0EEEEE10hipError_tT1_PNSt15iterator_traitsISI_E10value_typeET2_T3_PNSJ_ISO_E10value_typeET4_T5_PST_SU_PNS1_23onesweep_lookback_stateEbbT6_jjT7_P12ihipStream_tbENKUlT_T0_SI_SN_E_clISD_PiSD_S15_EEDaS11_S12_SI_SN_EUlS11_E_NS1_11comp_targetILNS1_3genE5ELNS1_11target_archE942ELNS1_3gpuE9ELNS1_3repE0EEENS1_47radix_sort_onesweep_sort_config_static_selectorELNS0_4arch9wavefront6targetE1EEEvSI_,comdat
.Lfunc_end860:
	.size	_ZN7rocprim17ROCPRIM_400000_NS6detail17trampoline_kernelINS0_14default_configENS1_35radix_sort_onesweep_config_selectorIiiEEZZNS1_29radix_sort_onesweep_iterationIS3_Lb0EN6thrust23THRUST_200600_302600_NS6detail15normal_iteratorINS8_10device_ptrIiEEEESD_SD_SD_jNS0_19identity_decomposerENS1_16block_id_wrapperIjLb0EEEEE10hipError_tT1_PNSt15iterator_traitsISI_E10value_typeET2_T3_PNSJ_ISO_E10value_typeET4_T5_PST_SU_PNS1_23onesweep_lookback_stateEbbT6_jjT7_P12ihipStream_tbENKUlT_T0_SI_SN_E_clISD_PiSD_S15_EEDaS11_S12_SI_SN_EUlS11_E_NS1_11comp_targetILNS1_3genE5ELNS1_11target_archE942ELNS1_3gpuE9ELNS1_3repE0EEENS1_47radix_sort_onesweep_sort_config_static_selectorELNS0_4arch9wavefront6targetE1EEEvSI_, .Lfunc_end860-_ZN7rocprim17ROCPRIM_400000_NS6detail17trampoline_kernelINS0_14default_configENS1_35radix_sort_onesweep_config_selectorIiiEEZZNS1_29radix_sort_onesweep_iterationIS3_Lb0EN6thrust23THRUST_200600_302600_NS6detail15normal_iteratorINS8_10device_ptrIiEEEESD_SD_SD_jNS0_19identity_decomposerENS1_16block_id_wrapperIjLb0EEEEE10hipError_tT1_PNSt15iterator_traitsISI_E10value_typeET2_T3_PNSJ_ISO_E10value_typeET4_T5_PST_SU_PNS1_23onesweep_lookback_stateEbbT6_jjT7_P12ihipStream_tbENKUlT_T0_SI_SN_E_clISD_PiSD_S15_EEDaS11_S12_SI_SN_EUlS11_E_NS1_11comp_targetILNS1_3genE5ELNS1_11target_archE942ELNS1_3gpuE9ELNS1_3repE0EEENS1_47radix_sort_onesweep_sort_config_static_selectorELNS0_4arch9wavefront6targetE1EEEvSI_
                                        ; -- End function
	.set _ZN7rocprim17ROCPRIM_400000_NS6detail17trampoline_kernelINS0_14default_configENS1_35radix_sort_onesweep_config_selectorIiiEEZZNS1_29radix_sort_onesweep_iterationIS3_Lb0EN6thrust23THRUST_200600_302600_NS6detail15normal_iteratorINS8_10device_ptrIiEEEESD_SD_SD_jNS0_19identity_decomposerENS1_16block_id_wrapperIjLb0EEEEE10hipError_tT1_PNSt15iterator_traitsISI_E10value_typeET2_T3_PNSJ_ISO_E10value_typeET4_T5_PST_SU_PNS1_23onesweep_lookback_stateEbbT6_jjT7_P12ihipStream_tbENKUlT_T0_SI_SN_E_clISD_PiSD_S15_EEDaS11_S12_SI_SN_EUlS11_E_NS1_11comp_targetILNS1_3genE5ELNS1_11target_archE942ELNS1_3gpuE9ELNS1_3repE0EEENS1_47radix_sort_onesweep_sort_config_static_selectorELNS0_4arch9wavefront6targetE1EEEvSI_.num_vgpr, 0
	.set _ZN7rocprim17ROCPRIM_400000_NS6detail17trampoline_kernelINS0_14default_configENS1_35radix_sort_onesweep_config_selectorIiiEEZZNS1_29radix_sort_onesweep_iterationIS3_Lb0EN6thrust23THRUST_200600_302600_NS6detail15normal_iteratorINS8_10device_ptrIiEEEESD_SD_SD_jNS0_19identity_decomposerENS1_16block_id_wrapperIjLb0EEEEE10hipError_tT1_PNSt15iterator_traitsISI_E10value_typeET2_T3_PNSJ_ISO_E10value_typeET4_T5_PST_SU_PNS1_23onesweep_lookback_stateEbbT6_jjT7_P12ihipStream_tbENKUlT_T0_SI_SN_E_clISD_PiSD_S15_EEDaS11_S12_SI_SN_EUlS11_E_NS1_11comp_targetILNS1_3genE5ELNS1_11target_archE942ELNS1_3gpuE9ELNS1_3repE0EEENS1_47radix_sort_onesweep_sort_config_static_selectorELNS0_4arch9wavefront6targetE1EEEvSI_.num_agpr, 0
	.set _ZN7rocprim17ROCPRIM_400000_NS6detail17trampoline_kernelINS0_14default_configENS1_35radix_sort_onesweep_config_selectorIiiEEZZNS1_29radix_sort_onesweep_iterationIS3_Lb0EN6thrust23THRUST_200600_302600_NS6detail15normal_iteratorINS8_10device_ptrIiEEEESD_SD_SD_jNS0_19identity_decomposerENS1_16block_id_wrapperIjLb0EEEEE10hipError_tT1_PNSt15iterator_traitsISI_E10value_typeET2_T3_PNSJ_ISO_E10value_typeET4_T5_PST_SU_PNS1_23onesweep_lookback_stateEbbT6_jjT7_P12ihipStream_tbENKUlT_T0_SI_SN_E_clISD_PiSD_S15_EEDaS11_S12_SI_SN_EUlS11_E_NS1_11comp_targetILNS1_3genE5ELNS1_11target_archE942ELNS1_3gpuE9ELNS1_3repE0EEENS1_47radix_sort_onesweep_sort_config_static_selectorELNS0_4arch9wavefront6targetE1EEEvSI_.numbered_sgpr, 0
	.set _ZN7rocprim17ROCPRIM_400000_NS6detail17trampoline_kernelINS0_14default_configENS1_35radix_sort_onesweep_config_selectorIiiEEZZNS1_29radix_sort_onesweep_iterationIS3_Lb0EN6thrust23THRUST_200600_302600_NS6detail15normal_iteratorINS8_10device_ptrIiEEEESD_SD_SD_jNS0_19identity_decomposerENS1_16block_id_wrapperIjLb0EEEEE10hipError_tT1_PNSt15iterator_traitsISI_E10value_typeET2_T3_PNSJ_ISO_E10value_typeET4_T5_PST_SU_PNS1_23onesweep_lookback_stateEbbT6_jjT7_P12ihipStream_tbENKUlT_T0_SI_SN_E_clISD_PiSD_S15_EEDaS11_S12_SI_SN_EUlS11_E_NS1_11comp_targetILNS1_3genE5ELNS1_11target_archE942ELNS1_3gpuE9ELNS1_3repE0EEENS1_47radix_sort_onesweep_sort_config_static_selectorELNS0_4arch9wavefront6targetE1EEEvSI_.num_named_barrier, 0
	.set _ZN7rocprim17ROCPRIM_400000_NS6detail17trampoline_kernelINS0_14default_configENS1_35radix_sort_onesweep_config_selectorIiiEEZZNS1_29radix_sort_onesweep_iterationIS3_Lb0EN6thrust23THRUST_200600_302600_NS6detail15normal_iteratorINS8_10device_ptrIiEEEESD_SD_SD_jNS0_19identity_decomposerENS1_16block_id_wrapperIjLb0EEEEE10hipError_tT1_PNSt15iterator_traitsISI_E10value_typeET2_T3_PNSJ_ISO_E10value_typeET4_T5_PST_SU_PNS1_23onesweep_lookback_stateEbbT6_jjT7_P12ihipStream_tbENKUlT_T0_SI_SN_E_clISD_PiSD_S15_EEDaS11_S12_SI_SN_EUlS11_E_NS1_11comp_targetILNS1_3genE5ELNS1_11target_archE942ELNS1_3gpuE9ELNS1_3repE0EEENS1_47radix_sort_onesweep_sort_config_static_selectorELNS0_4arch9wavefront6targetE1EEEvSI_.private_seg_size, 0
	.set _ZN7rocprim17ROCPRIM_400000_NS6detail17trampoline_kernelINS0_14default_configENS1_35radix_sort_onesweep_config_selectorIiiEEZZNS1_29radix_sort_onesweep_iterationIS3_Lb0EN6thrust23THRUST_200600_302600_NS6detail15normal_iteratorINS8_10device_ptrIiEEEESD_SD_SD_jNS0_19identity_decomposerENS1_16block_id_wrapperIjLb0EEEEE10hipError_tT1_PNSt15iterator_traitsISI_E10value_typeET2_T3_PNSJ_ISO_E10value_typeET4_T5_PST_SU_PNS1_23onesweep_lookback_stateEbbT6_jjT7_P12ihipStream_tbENKUlT_T0_SI_SN_E_clISD_PiSD_S15_EEDaS11_S12_SI_SN_EUlS11_E_NS1_11comp_targetILNS1_3genE5ELNS1_11target_archE942ELNS1_3gpuE9ELNS1_3repE0EEENS1_47radix_sort_onesweep_sort_config_static_selectorELNS0_4arch9wavefront6targetE1EEEvSI_.uses_vcc, 0
	.set _ZN7rocprim17ROCPRIM_400000_NS6detail17trampoline_kernelINS0_14default_configENS1_35radix_sort_onesweep_config_selectorIiiEEZZNS1_29radix_sort_onesweep_iterationIS3_Lb0EN6thrust23THRUST_200600_302600_NS6detail15normal_iteratorINS8_10device_ptrIiEEEESD_SD_SD_jNS0_19identity_decomposerENS1_16block_id_wrapperIjLb0EEEEE10hipError_tT1_PNSt15iterator_traitsISI_E10value_typeET2_T3_PNSJ_ISO_E10value_typeET4_T5_PST_SU_PNS1_23onesweep_lookback_stateEbbT6_jjT7_P12ihipStream_tbENKUlT_T0_SI_SN_E_clISD_PiSD_S15_EEDaS11_S12_SI_SN_EUlS11_E_NS1_11comp_targetILNS1_3genE5ELNS1_11target_archE942ELNS1_3gpuE9ELNS1_3repE0EEENS1_47radix_sort_onesweep_sort_config_static_selectorELNS0_4arch9wavefront6targetE1EEEvSI_.uses_flat_scratch, 0
	.set _ZN7rocprim17ROCPRIM_400000_NS6detail17trampoline_kernelINS0_14default_configENS1_35radix_sort_onesweep_config_selectorIiiEEZZNS1_29radix_sort_onesweep_iterationIS3_Lb0EN6thrust23THRUST_200600_302600_NS6detail15normal_iteratorINS8_10device_ptrIiEEEESD_SD_SD_jNS0_19identity_decomposerENS1_16block_id_wrapperIjLb0EEEEE10hipError_tT1_PNSt15iterator_traitsISI_E10value_typeET2_T3_PNSJ_ISO_E10value_typeET4_T5_PST_SU_PNS1_23onesweep_lookback_stateEbbT6_jjT7_P12ihipStream_tbENKUlT_T0_SI_SN_E_clISD_PiSD_S15_EEDaS11_S12_SI_SN_EUlS11_E_NS1_11comp_targetILNS1_3genE5ELNS1_11target_archE942ELNS1_3gpuE9ELNS1_3repE0EEENS1_47radix_sort_onesweep_sort_config_static_selectorELNS0_4arch9wavefront6targetE1EEEvSI_.has_dyn_sized_stack, 0
	.set _ZN7rocprim17ROCPRIM_400000_NS6detail17trampoline_kernelINS0_14default_configENS1_35radix_sort_onesweep_config_selectorIiiEEZZNS1_29radix_sort_onesweep_iterationIS3_Lb0EN6thrust23THRUST_200600_302600_NS6detail15normal_iteratorINS8_10device_ptrIiEEEESD_SD_SD_jNS0_19identity_decomposerENS1_16block_id_wrapperIjLb0EEEEE10hipError_tT1_PNSt15iterator_traitsISI_E10value_typeET2_T3_PNSJ_ISO_E10value_typeET4_T5_PST_SU_PNS1_23onesweep_lookback_stateEbbT6_jjT7_P12ihipStream_tbENKUlT_T0_SI_SN_E_clISD_PiSD_S15_EEDaS11_S12_SI_SN_EUlS11_E_NS1_11comp_targetILNS1_3genE5ELNS1_11target_archE942ELNS1_3gpuE9ELNS1_3repE0EEENS1_47radix_sort_onesweep_sort_config_static_selectorELNS0_4arch9wavefront6targetE1EEEvSI_.has_recursion, 0
	.set _ZN7rocprim17ROCPRIM_400000_NS6detail17trampoline_kernelINS0_14default_configENS1_35radix_sort_onesweep_config_selectorIiiEEZZNS1_29radix_sort_onesweep_iterationIS3_Lb0EN6thrust23THRUST_200600_302600_NS6detail15normal_iteratorINS8_10device_ptrIiEEEESD_SD_SD_jNS0_19identity_decomposerENS1_16block_id_wrapperIjLb0EEEEE10hipError_tT1_PNSt15iterator_traitsISI_E10value_typeET2_T3_PNSJ_ISO_E10value_typeET4_T5_PST_SU_PNS1_23onesweep_lookback_stateEbbT6_jjT7_P12ihipStream_tbENKUlT_T0_SI_SN_E_clISD_PiSD_S15_EEDaS11_S12_SI_SN_EUlS11_E_NS1_11comp_targetILNS1_3genE5ELNS1_11target_archE942ELNS1_3gpuE9ELNS1_3repE0EEENS1_47radix_sort_onesweep_sort_config_static_selectorELNS0_4arch9wavefront6targetE1EEEvSI_.has_indirect_call, 0
	.section	.AMDGPU.csdata,"",@progbits
; Kernel info:
; codeLenInByte = 0
; TotalNumSgprs: 6
; NumVgprs: 0
; NumAgprs: 0
; TotalNumVgprs: 0
; ScratchSize: 0
; MemoryBound: 0
; FloatMode: 240
; IeeeMode: 1
; LDSByteSize: 0 bytes/workgroup (compile time only)
; SGPRBlocks: 0
; VGPRBlocks: 0
; NumSGPRsForWavesPerEU: 6
; NumVGPRsForWavesPerEU: 1
; AccumOffset: 4
; Occupancy: 8
; WaveLimiterHint : 0
; COMPUTE_PGM_RSRC2:SCRATCH_EN: 0
; COMPUTE_PGM_RSRC2:USER_SGPR: 2
; COMPUTE_PGM_RSRC2:TRAP_HANDLER: 0
; COMPUTE_PGM_RSRC2:TGID_X_EN: 1
; COMPUTE_PGM_RSRC2:TGID_Y_EN: 0
; COMPUTE_PGM_RSRC2:TGID_Z_EN: 0
; COMPUTE_PGM_RSRC2:TIDIG_COMP_CNT: 0
; COMPUTE_PGM_RSRC3_GFX90A:ACCUM_OFFSET: 0
; COMPUTE_PGM_RSRC3_GFX90A:TG_SPLIT: 0
	.section	.text._ZN7rocprim17ROCPRIM_400000_NS6detail17trampoline_kernelINS0_14default_configENS1_35radix_sort_onesweep_config_selectorIiiEEZZNS1_29radix_sort_onesweep_iterationIS3_Lb0EN6thrust23THRUST_200600_302600_NS6detail15normal_iteratorINS8_10device_ptrIiEEEESD_SD_SD_jNS0_19identity_decomposerENS1_16block_id_wrapperIjLb0EEEEE10hipError_tT1_PNSt15iterator_traitsISI_E10value_typeET2_T3_PNSJ_ISO_E10value_typeET4_T5_PST_SU_PNS1_23onesweep_lookback_stateEbbT6_jjT7_P12ihipStream_tbENKUlT_T0_SI_SN_E_clISD_PiSD_S15_EEDaS11_S12_SI_SN_EUlS11_E_NS1_11comp_targetILNS1_3genE2ELNS1_11target_archE906ELNS1_3gpuE6ELNS1_3repE0EEENS1_47radix_sort_onesweep_sort_config_static_selectorELNS0_4arch9wavefront6targetE1EEEvSI_,"axG",@progbits,_ZN7rocprim17ROCPRIM_400000_NS6detail17trampoline_kernelINS0_14default_configENS1_35radix_sort_onesweep_config_selectorIiiEEZZNS1_29radix_sort_onesweep_iterationIS3_Lb0EN6thrust23THRUST_200600_302600_NS6detail15normal_iteratorINS8_10device_ptrIiEEEESD_SD_SD_jNS0_19identity_decomposerENS1_16block_id_wrapperIjLb0EEEEE10hipError_tT1_PNSt15iterator_traitsISI_E10value_typeET2_T3_PNSJ_ISO_E10value_typeET4_T5_PST_SU_PNS1_23onesweep_lookback_stateEbbT6_jjT7_P12ihipStream_tbENKUlT_T0_SI_SN_E_clISD_PiSD_S15_EEDaS11_S12_SI_SN_EUlS11_E_NS1_11comp_targetILNS1_3genE2ELNS1_11target_archE906ELNS1_3gpuE6ELNS1_3repE0EEENS1_47radix_sort_onesweep_sort_config_static_selectorELNS0_4arch9wavefront6targetE1EEEvSI_,comdat
	.protected	_ZN7rocprim17ROCPRIM_400000_NS6detail17trampoline_kernelINS0_14default_configENS1_35radix_sort_onesweep_config_selectorIiiEEZZNS1_29radix_sort_onesweep_iterationIS3_Lb0EN6thrust23THRUST_200600_302600_NS6detail15normal_iteratorINS8_10device_ptrIiEEEESD_SD_SD_jNS0_19identity_decomposerENS1_16block_id_wrapperIjLb0EEEEE10hipError_tT1_PNSt15iterator_traitsISI_E10value_typeET2_T3_PNSJ_ISO_E10value_typeET4_T5_PST_SU_PNS1_23onesweep_lookback_stateEbbT6_jjT7_P12ihipStream_tbENKUlT_T0_SI_SN_E_clISD_PiSD_S15_EEDaS11_S12_SI_SN_EUlS11_E_NS1_11comp_targetILNS1_3genE2ELNS1_11target_archE906ELNS1_3gpuE6ELNS1_3repE0EEENS1_47radix_sort_onesweep_sort_config_static_selectorELNS0_4arch9wavefront6targetE1EEEvSI_ ; -- Begin function _ZN7rocprim17ROCPRIM_400000_NS6detail17trampoline_kernelINS0_14default_configENS1_35radix_sort_onesweep_config_selectorIiiEEZZNS1_29radix_sort_onesweep_iterationIS3_Lb0EN6thrust23THRUST_200600_302600_NS6detail15normal_iteratorINS8_10device_ptrIiEEEESD_SD_SD_jNS0_19identity_decomposerENS1_16block_id_wrapperIjLb0EEEEE10hipError_tT1_PNSt15iterator_traitsISI_E10value_typeET2_T3_PNSJ_ISO_E10value_typeET4_T5_PST_SU_PNS1_23onesweep_lookback_stateEbbT6_jjT7_P12ihipStream_tbENKUlT_T0_SI_SN_E_clISD_PiSD_S15_EEDaS11_S12_SI_SN_EUlS11_E_NS1_11comp_targetILNS1_3genE2ELNS1_11target_archE906ELNS1_3gpuE6ELNS1_3repE0EEENS1_47radix_sort_onesweep_sort_config_static_selectorELNS0_4arch9wavefront6targetE1EEEvSI_
	.globl	_ZN7rocprim17ROCPRIM_400000_NS6detail17trampoline_kernelINS0_14default_configENS1_35radix_sort_onesweep_config_selectorIiiEEZZNS1_29radix_sort_onesweep_iterationIS3_Lb0EN6thrust23THRUST_200600_302600_NS6detail15normal_iteratorINS8_10device_ptrIiEEEESD_SD_SD_jNS0_19identity_decomposerENS1_16block_id_wrapperIjLb0EEEEE10hipError_tT1_PNSt15iterator_traitsISI_E10value_typeET2_T3_PNSJ_ISO_E10value_typeET4_T5_PST_SU_PNS1_23onesweep_lookback_stateEbbT6_jjT7_P12ihipStream_tbENKUlT_T0_SI_SN_E_clISD_PiSD_S15_EEDaS11_S12_SI_SN_EUlS11_E_NS1_11comp_targetILNS1_3genE2ELNS1_11target_archE906ELNS1_3gpuE6ELNS1_3repE0EEENS1_47radix_sort_onesweep_sort_config_static_selectorELNS0_4arch9wavefront6targetE1EEEvSI_
	.p2align	8
	.type	_ZN7rocprim17ROCPRIM_400000_NS6detail17trampoline_kernelINS0_14default_configENS1_35radix_sort_onesweep_config_selectorIiiEEZZNS1_29radix_sort_onesweep_iterationIS3_Lb0EN6thrust23THRUST_200600_302600_NS6detail15normal_iteratorINS8_10device_ptrIiEEEESD_SD_SD_jNS0_19identity_decomposerENS1_16block_id_wrapperIjLb0EEEEE10hipError_tT1_PNSt15iterator_traitsISI_E10value_typeET2_T3_PNSJ_ISO_E10value_typeET4_T5_PST_SU_PNS1_23onesweep_lookback_stateEbbT6_jjT7_P12ihipStream_tbENKUlT_T0_SI_SN_E_clISD_PiSD_S15_EEDaS11_S12_SI_SN_EUlS11_E_NS1_11comp_targetILNS1_3genE2ELNS1_11target_archE906ELNS1_3gpuE6ELNS1_3repE0EEENS1_47radix_sort_onesweep_sort_config_static_selectorELNS0_4arch9wavefront6targetE1EEEvSI_,@function
_ZN7rocprim17ROCPRIM_400000_NS6detail17trampoline_kernelINS0_14default_configENS1_35radix_sort_onesweep_config_selectorIiiEEZZNS1_29radix_sort_onesweep_iterationIS3_Lb0EN6thrust23THRUST_200600_302600_NS6detail15normal_iteratorINS8_10device_ptrIiEEEESD_SD_SD_jNS0_19identity_decomposerENS1_16block_id_wrapperIjLb0EEEEE10hipError_tT1_PNSt15iterator_traitsISI_E10value_typeET2_T3_PNSJ_ISO_E10value_typeET4_T5_PST_SU_PNS1_23onesweep_lookback_stateEbbT6_jjT7_P12ihipStream_tbENKUlT_T0_SI_SN_E_clISD_PiSD_S15_EEDaS11_S12_SI_SN_EUlS11_E_NS1_11comp_targetILNS1_3genE2ELNS1_11target_archE906ELNS1_3gpuE6ELNS1_3repE0EEENS1_47radix_sort_onesweep_sort_config_static_selectorELNS0_4arch9wavefront6targetE1EEEvSI_: ; @_ZN7rocprim17ROCPRIM_400000_NS6detail17trampoline_kernelINS0_14default_configENS1_35radix_sort_onesweep_config_selectorIiiEEZZNS1_29radix_sort_onesweep_iterationIS3_Lb0EN6thrust23THRUST_200600_302600_NS6detail15normal_iteratorINS8_10device_ptrIiEEEESD_SD_SD_jNS0_19identity_decomposerENS1_16block_id_wrapperIjLb0EEEEE10hipError_tT1_PNSt15iterator_traitsISI_E10value_typeET2_T3_PNSJ_ISO_E10value_typeET4_T5_PST_SU_PNS1_23onesweep_lookback_stateEbbT6_jjT7_P12ihipStream_tbENKUlT_T0_SI_SN_E_clISD_PiSD_S15_EEDaS11_S12_SI_SN_EUlS11_E_NS1_11comp_targetILNS1_3genE2ELNS1_11target_archE906ELNS1_3gpuE6ELNS1_3repE0EEENS1_47radix_sort_onesweep_sort_config_static_selectorELNS0_4arch9wavefront6targetE1EEEvSI_
; %bb.0:
	.section	.rodata,"a",@progbits
	.p2align	6, 0x0
	.amdhsa_kernel _ZN7rocprim17ROCPRIM_400000_NS6detail17trampoline_kernelINS0_14default_configENS1_35radix_sort_onesweep_config_selectorIiiEEZZNS1_29radix_sort_onesweep_iterationIS3_Lb0EN6thrust23THRUST_200600_302600_NS6detail15normal_iteratorINS8_10device_ptrIiEEEESD_SD_SD_jNS0_19identity_decomposerENS1_16block_id_wrapperIjLb0EEEEE10hipError_tT1_PNSt15iterator_traitsISI_E10value_typeET2_T3_PNSJ_ISO_E10value_typeET4_T5_PST_SU_PNS1_23onesweep_lookback_stateEbbT6_jjT7_P12ihipStream_tbENKUlT_T0_SI_SN_E_clISD_PiSD_S15_EEDaS11_S12_SI_SN_EUlS11_E_NS1_11comp_targetILNS1_3genE2ELNS1_11target_archE906ELNS1_3gpuE6ELNS1_3repE0EEENS1_47radix_sort_onesweep_sort_config_static_selectorELNS0_4arch9wavefront6targetE1EEEvSI_
		.amdhsa_group_segment_fixed_size 0
		.amdhsa_private_segment_fixed_size 0
		.amdhsa_kernarg_size 88
		.amdhsa_user_sgpr_count 2
		.amdhsa_user_sgpr_dispatch_ptr 0
		.amdhsa_user_sgpr_queue_ptr 0
		.amdhsa_user_sgpr_kernarg_segment_ptr 1
		.amdhsa_user_sgpr_dispatch_id 0
		.amdhsa_user_sgpr_kernarg_preload_length 0
		.amdhsa_user_sgpr_kernarg_preload_offset 0
		.amdhsa_user_sgpr_private_segment_size 0
		.amdhsa_uses_dynamic_stack 0
		.amdhsa_enable_private_segment 0
		.amdhsa_system_sgpr_workgroup_id_x 1
		.amdhsa_system_sgpr_workgroup_id_y 0
		.amdhsa_system_sgpr_workgroup_id_z 0
		.amdhsa_system_sgpr_workgroup_info 0
		.amdhsa_system_vgpr_workitem_id 0
		.amdhsa_next_free_vgpr 1
		.amdhsa_next_free_sgpr 0
		.amdhsa_accum_offset 4
		.amdhsa_reserve_vcc 0
		.amdhsa_float_round_mode_32 0
		.amdhsa_float_round_mode_16_64 0
		.amdhsa_float_denorm_mode_32 3
		.amdhsa_float_denorm_mode_16_64 3
		.amdhsa_dx10_clamp 1
		.amdhsa_ieee_mode 1
		.amdhsa_fp16_overflow 0
		.amdhsa_tg_split 0
		.amdhsa_exception_fp_ieee_invalid_op 0
		.amdhsa_exception_fp_denorm_src 0
		.amdhsa_exception_fp_ieee_div_zero 0
		.amdhsa_exception_fp_ieee_overflow 0
		.amdhsa_exception_fp_ieee_underflow 0
		.amdhsa_exception_fp_ieee_inexact 0
		.amdhsa_exception_int_div_zero 0
	.end_amdhsa_kernel
	.section	.text._ZN7rocprim17ROCPRIM_400000_NS6detail17trampoline_kernelINS0_14default_configENS1_35radix_sort_onesweep_config_selectorIiiEEZZNS1_29radix_sort_onesweep_iterationIS3_Lb0EN6thrust23THRUST_200600_302600_NS6detail15normal_iteratorINS8_10device_ptrIiEEEESD_SD_SD_jNS0_19identity_decomposerENS1_16block_id_wrapperIjLb0EEEEE10hipError_tT1_PNSt15iterator_traitsISI_E10value_typeET2_T3_PNSJ_ISO_E10value_typeET4_T5_PST_SU_PNS1_23onesweep_lookback_stateEbbT6_jjT7_P12ihipStream_tbENKUlT_T0_SI_SN_E_clISD_PiSD_S15_EEDaS11_S12_SI_SN_EUlS11_E_NS1_11comp_targetILNS1_3genE2ELNS1_11target_archE906ELNS1_3gpuE6ELNS1_3repE0EEENS1_47radix_sort_onesweep_sort_config_static_selectorELNS0_4arch9wavefront6targetE1EEEvSI_,"axG",@progbits,_ZN7rocprim17ROCPRIM_400000_NS6detail17trampoline_kernelINS0_14default_configENS1_35radix_sort_onesweep_config_selectorIiiEEZZNS1_29radix_sort_onesweep_iterationIS3_Lb0EN6thrust23THRUST_200600_302600_NS6detail15normal_iteratorINS8_10device_ptrIiEEEESD_SD_SD_jNS0_19identity_decomposerENS1_16block_id_wrapperIjLb0EEEEE10hipError_tT1_PNSt15iterator_traitsISI_E10value_typeET2_T3_PNSJ_ISO_E10value_typeET4_T5_PST_SU_PNS1_23onesweep_lookback_stateEbbT6_jjT7_P12ihipStream_tbENKUlT_T0_SI_SN_E_clISD_PiSD_S15_EEDaS11_S12_SI_SN_EUlS11_E_NS1_11comp_targetILNS1_3genE2ELNS1_11target_archE906ELNS1_3gpuE6ELNS1_3repE0EEENS1_47radix_sort_onesweep_sort_config_static_selectorELNS0_4arch9wavefront6targetE1EEEvSI_,comdat
.Lfunc_end861:
	.size	_ZN7rocprim17ROCPRIM_400000_NS6detail17trampoline_kernelINS0_14default_configENS1_35radix_sort_onesweep_config_selectorIiiEEZZNS1_29radix_sort_onesweep_iterationIS3_Lb0EN6thrust23THRUST_200600_302600_NS6detail15normal_iteratorINS8_10device_ptrIiEEEESD_SD_SD_jNS0_19identity_decomposerENS1_16block_id_wrapperIjLb0EEEEE10hipError_tT1_PNSt15iterator_traitsISI_E10value_typeET2_T3_PNSJ_ISO_E10value_typeET4_T5_PST_SU_PNS1_23onesweep_lookback_stateEbbT6_jjT7_P12ihipStream_tbENKUlT_T0_SI_SN_E_clISD_PiSD_S15_EEDaS11_S12_SI_SN_EUlS11_E_NS1_11comp_targetILNS1_3genE2ELNS1_11target_archE906ELNS1_3gpuE6ELNS1_3repE0EEENS1_47radix_sort_onesweep_sort_config_static_selectorELNS0_4arch9wavefront6targetE1EEEvSI_, .Lfunc_end861-_ZN7rocprim17ROCPRIM_400000_NS6detail17trampoline_kernelINS0_14default_configENS1_35radix_sort_onesweep_config_selectorIiiEEZZNS1_29radix_sort_onesweep_iterationIS3_Lb0EN6thrust23THRUST_200600_302600_NS6detail15normal_iteratorINS8_10device_ptrIiEEEESD_SD_SD_jNS0_19identity_decomposerENS1_16block_id_wrapperIjLb0EEEEE10hipError_tT1_PNSt15iterator_traitsISI_E10value_typeET2_T3_PNSJ_ISO_E10value_typeET4_T5_PST_SU_PNS1_23onesweep_lookback_stateEbbT6_jjT7_P12ihipStream_tbENKUlT_T0_SI_SN_E_clISD_PiSD_S15_EEDaS11_S12_SI_SN_EUlS11_E_NS1_11comp_targetILNS1_3genE2ELNS1_11target_archE906ELNS1_3gpuE6ELNS1_3repE0EEENS1_47radix_sort_onesweep_sort_config_static_selectorELNS0_4arch9wavefront6targetE1EEEvSI_
                                        ; -- End function
	.set _ZN7rocprim17ROCPRIM_400000_NS6detail17trampoline_kernelINS0_14default_configENS1_35radix_sort_onesweep_config_selectorIiiEEZZNS1_29radix_sort_onesweep_iterationIS3_Lb0EN6thrust23THRUST_200600_302600_NS6detail15normal_iteratorINS8_10device_ptrIiEEEESD_SD_SD_jNS0_19identity_decomposerENS1_16block_id_wrapperIjLb0EEEEE10hipError_tT1_PNSt15iterator_traitsISI_E10value_typeET2_T3_PNSJ_ISO_E10value_typeET4_T5_PST_SU_PNS1_23onesweep_lookback_stateEbbT6_jjT7_P12ihipStream_tbENKUlT_T0_SI_SN_E_clISD_PiSD_S15_EEDaS11_S12_SI_SN_EUlS11_E_NS1_11comp_targetILNS1_3genE2ELNS1_11target_archE906ELNS1_3gpuE6ELNS1_3repE0EEENS1_47radix_sort_onesweep_sort_config_static_selectorELNS0_4arch9wavefront6targetE1EEEvSI_.num_vgpr, 0
	.set _ZN7rocprim17ROCPRIM_400000_NS6detail17trampoline_kernelINS0_14default_configENS1_35radix_sort_onesweep_config_selectorIiiEEZZNS1_29radix_sort_onesweep_iterationIS3_Lb0EN6thrust23THRUST_200600_302600_NS6detail15normal_iteratorINS8_10device_ptrIiEEEESD_SD_SD_jNS0_19identity_decomposerENS1_16block_id_wrapperIjLb0EEEEE10hipError_tT1_PNSt15iterator_traitsISI_E10value_typeET2_T3_PNSJ_ISO_E10value_typeET4_T5_PST_SU_PNS1_23onesweep_lookback_stateEbbT6_jjT7_P12ihipStream_tbENKUlT_T0_SI_SN_E_clISD_PiSD_S15_EEDaS11_S12_SI_SN_EUlS11_E_NS1_11comp_targetILNS1_3genE2ELNS1_11target_archE906ELNS1_3gpuE6ELNS1_3repE0EEENS1_47radix_sort_onesweep_sort_config_static_selectorELNS0_4arch9wavefront6targetE1EEEvSI_.num_agpr, 0
	.set _ZN7rocprim17ROCPRIM_400000_NS6detail17trampoline_kernelINS0_14default_configENS1_35radix_sort_onesweep_config_selectorIiiEEZZNS1_29radix_sort_onesweep_iterationIS3_Lb0EN6thrust23THRUST_200600_302600_NS6detail15normal_iteratorINS8_10device_ptrIiEEEESD_SD_SD_jNS0_19identity_decomposerENS1_16block_id_wrapperIjLb0EEEEE10hipError_tT1_PNSt15iterator_traitsISI_E10value_typeET2_T3_PNSJ_ISO_E10value_typeET4_T5_PST_SU_PNS1_23onesweep_lookback_stateEbbT6_jjT7_P12ihipStream_tbENKUlT_T0_SI_SN_E_clISD_PiSD_S15_EEDaS11_S12_SI_SN_EUlS11_E_NS1_11comp_targetILNS1_3genE2ELNS1_11target_archE906ELNS1_3gpuE6ELNS1_3repE0EEENS1_47radix_sort_onesweep_sort_config_static_selectorELNS0_4arch9wavefront6targetE1EEEvSI_.numbered_sgpr, 0
	.set _ZN7rocprim17ROCPRIM_400000_NS6detail17trampoline_kernelINS0_14default_configENS1_35radix_sort_onesweep_config_selectorIiiEEZZNS1_29radix_sort_onesweep_iterationIS3_Lb0EN6thrust23THRUST_200600_302600_NS6detail15normal_iteratorINS8_10device_ptrIiEEEESD_SD_SD_jNS0_19identity_decomposerENS1_16block_id_wrapperIjLb0EEEEE10hipError_tT1_PNSt15iterator_traitsISI_E10value_typeET2_T3_PNSJ_ISO_E10value_typeET4_T5_PST_SU_PNS1_23onesweep_lookback_stateEbbT6_jjT7_P12ihipStream_tbENKUlT_T0_SI_SN_E_clISD_PiSD_S15_EEDaS11_S12_SI_SN_EUlS11_E_NS1_11comp_targetILNS1_3genE2ELNS1_11target_archE906ELNS1_3gpuE6ELNS1_3repE0EEENS1_47radix_sort_onesweep_sort_config_static_selectorELNS0_4arch9wavefront6targetE1EEEvSI_.num_named_barrier, 0
	.set _ZN7rocprim17ROCPRIM_400000_NS6detail17trampoline_kernelINS0_14default_configENS1_35radix_sort_onesweep_config_selectorIiiEEZZNS1_29radix_sort_onesweep_iterationIS3_Lb0EN6thrust23THRUST_200600_302600_NS6detail15normal_iteratorINS8_10device_ptrIiEEEESD_SD_SD_jNS0_19identity_decomposerENS1_16block_id_wrapperIjLb0EEEEE10hipError_tT1_PNSt15iterator_traitsISI_E10value_typeET2_T3_PNSJ_ISO_E10value_typeET4_T5_PST_SU_PNS1_23onesweep_lookback_stateEbbT6_jjT7_P12ihipStream_tbENKUlT_T0_SI_SN_E_clISD_PiSD_S15_EEDaS11_S12_SI_SN_EUlS11_E_NS1_11comp_targetILNS1_3genE2ELNS1_11target_archE906ELNS1_3gpuE6ELNS1_3repE0EEENS1_47radix_sort_onesweep_sort_config_static_selectorELNS0_4arch9wavefront6targetE1EEEvSI_.private_seg_size, 0
	.set _ZN7rocprim17ROCPRIM_400000_NS6detail17trampoline_kernelINS0_14default_configENS1_35radix_sort_onesweep_config_selectorIiiEEZZNS1_29radix_sort_onesweep_iterationIS3_Lb0EN6thrust23THRUST_200600_302600_NS6detail15normal_iteratorINS8_10device_ptrIiEEEESD_SD_SD_jNS0_19identity_decomposerENS1_16block_id_wrapperIjLb0EEEEE10hipError_tT1_PNSt15iterator_traitsISI_E10value_typeET2_T3_PNSJ_ISO_E10value_typeET4_T5_PST_SU_PNS1_23onesweep_lookback_stateEbbT6_jjT7_P12ihipStream_tbENKUlT_T0_SI_SN_E_clISD_PiSD_S15_EEDaS11_S12_SI_SN_EUlS11_E_NS1_11comp_targetILNS1_3genE2ELNS1_11target_archE906ELNS1_3gpuE6ELNS1_3repE0EEENS1_47radix_sort_onesweep_sort_config_static_selectorELNS0_4arch9wavefront6targetE1EEEvSI_.uses_vcc, 0
	.set _ZN7rocprim17ROCPRIM_400000_NS6detail17trampoline_kernelINS0_14default_configENS1_35radix_sort_onesweep_config_selectorIiiEEZZNS1_29radix_sort_onesweep_iterationIS3_Lb0EN6thrust23THRUST_200600_302600_NS6detail15normal_iteratorINS8_10device_ptrIiEEEESD_SD_SD_jNS0_19identity_decomposerENS1_16block_id_wrapperIjLb0EEEEE10hipError_tT1_PNSt15iterator_traitsISI_E10value_typeET2_T3_PNSJ_ISO_E10value_typeET4_T5_PST_SU_PNS1_23onesweep_lookback_stateEbbT6_jjT7_P12ihipStream_tbENKUlT_T0_SI_SN_E_clISD_PiSD_S15_EEDaS11_S12_SI_SN_EUlS11_E_NS1_11comp_targetILNS1_3genE2ELNS1_11target_archE906ELNS1_3gpuE6ELNS1_3repE0EEENS1_47radix_sort_onesweep_sort_config_static_selectorELNS0_4arch9wavefront6targetE1EEEvSI_.uses_flat_scratch, 0
	.set _ZN7rocprim17ROCPRIM_400000_NS6detail17trampoline_kernelINS0_14default_configENS1_35radix_sort_onesweep_config_selectorIiiEEZZNS1_29radix_sort_onesweep_iterationIS3_Lb0EN6thrust23THRUST_200600_302600_NS6detail15normal_iteratorINS8_10device_ptrIiEEEESD_SD_SD_jNS0_19identity_decomposerENS1_16block_id_wrapperIjLb0EEEEE10hipError_tT1_PNSt15iterator_traitsISI_E10value_typeET2_T3_PNSJ_ISO_E10value_typeET4_T5_PST_SU_PNS1_23onesweep_lookback_stateEbbT6_jjT7_P12ihipStream_tbENKUlT_T0_SI_SN_E_clISD_PiSD_S15_EEDaS11_S12_SI_SN_EUlS11_E_NS1_11comp_targetILNS1_3genE2ELNS1_11target_archE906ELNS1_3gpuE6ELNS1_3repE0EEENS1_47radix_sort_onesweep_sort_config_static_selectorELNS0_4arch9wavefront6targetE1EEEvSI_.has_dyn_sized_stack, 0
	.set _ZN7rocprim17ROCPRIM_400000_NS6detail17trampoline_kernelINS0_14default_configENS1_35radix_sort_onesweep_config_selectorIiiEEZZNS1_29radix_sort_onesweep_iterationIS3_Lb0EN6thrust23THRUST_200600_302600_NS6detail15normal_iteratorINS8_10device_ptrIiEEEESD_SD_SD_jNS0_19identity_decomposerENS1_16block_id_wrapperIjLb0EEEEE10hipError_tT1_PNSt15iterator_traitsISI_E10value_typeET2_T3_PNSJ_ISO_E10value_typeET4_T5_PST_SU_PNS1_23onesweep_lookback_stateEbbT6_jjT7_P12ihipStream_tbENKUlT_T0_SI_SN_E_clISD_PiSD_S15_EEDaS11_S12_SI_SN_EUlS11_E_NS1_11comp_targetILNS1_3genE2ELNS1_11target_archE906ELNS1_3gpuE6ELNS1_3repE0EEENS1_47radix_sort_onesweep_sort_config_static_selectorELNS0_4arch9wavefront6targetE1EEEvSI_.has_recursion, 0
	.set _ZN7rocprim17ROCPRIM_400000_NS6detail17trampoline_kernelINS0_14default_configENS1_35radix_sort_onesweep_config_selectorIiiEEZZNS1_29radix_sort_onesweep_iterationIS3_Lb0EN6thrust23THRUST_200600_302600_NS6detail15normal_iteratorINS8_10device_ptrIiEEEESD_SD_SD_jNS0_19identity_decomposerENS1_16block_id_wrapperIjLb0EEEEE10hipError_tT1_PNSt15iterator_traitsISI_E10value_typeET2_T3_PNSJ_ISO_E10value_typeET4_T5_PST_SU_PNS1_23onesweep_lookback_stateEbbT6_jjT7_P12ihipStream_tbENKUlT_T0_SI_SN_E_clISD_PiSD_S15_EEDaS11_S12_SI_SN_EUlS11_E_NS1_11comp_targetILNS1_3genE2ELNS1_11target_archE906ELNS1_3gpuE6ELNS1_3repE0EEENS1_47radix_sort_onesweep_sort_config_static_selectorELNS0_4arch9wavefront6targetE1EEEvSI_.has_indirect_call, 0
	.section	.AMDGPU.csdata,"",@progbits
; Kernel info:
; codeLenInByte = 0
; TotalNumSgprs: 6
; NumVgprs: 0
; NumAgprs: 0
; TotalNumVgprs: 0
; ScratchSize: 0
; MemoryBound: 0
; FloatMode: 240
; IeeeMode: 1
; LDSByteSize: 0 bytes/workgroup (compile time only)
; SGPRBlocks: 0
; VGPRBlocks: 0
; NumSGPRsForWavesPerEU: 6
; NumVGPRsForWavesPerEU: 1
; AccumOffset: 4
; Occupancy: 8
; WaveLimiterHint : 0
; COMPUTE_PGM_RSRC2:SCRATCH_EN: 0
; COMPUTE_PGM_RSRC2:USER_SGPR: 2
; COMPUTE_PGM_RSRC2:TRAP_HANDLER: 0
; COMPUTE_PGM_RSRC2:TGID_X_EN: 1
; COMPUTE_PGM_RSRC2:TGID_Y_EN: 0
; COMPUTE_PGM_RSRC2:TGID_Z_EN: 0
; COMPUTE_PGM_RSRC2:TIDIG_COMP_CNT: 0
; COMPUTE_PGM_RSRC3_GFX90A:ACCUM_OFFSET: 0
; COMPUTE_PGM_RSRC3_GFX90A:TG_SPLIT: 0
	.section	.text._ZN7rocprim17ROCPRIM_400000_NS6detail17trampoline_kernelINS0_14default_configENS1_35radix_sort_onesweep_config_selectorIiiEEZZNS1_29radix_sort_onesweep_iterationIS3_Lb0EN6thrust23THRUST_200600_302600_NS6detail15normal_iteratorINS8_10device_ptrIiEEEESD_SD_SD_jNS0_19identity_decomposerENS1_16block_id_wrapperIjLb0EEEEE10hipError_tT1_PNSt15iterator_traitsISI_E10value_typeET2_T3_PNSJ_ISO_E10value_typeET4_T5_PST_SU_PNS1_23onesweep_lookback_stateEbbT6_jjT7_P12ihipStream_tbENKUlT_T0_SI_SN_E_clISD_PiSD_S15_EEDaS11_S12_SI_SN_EUlS11_E_NS1_11comp_targetILNS1_3genE4ELNS1_11target_archE910ELNS1_3gpuE8ELNS1_3repE0EEENS1_47radix_sort_onesweep_sort_config_static_selectorELNS0_4arch9wavefront6targetE1EEEvSI_,"axG",@progbits,_ZN7rocprim17ROCPRIM_400000_NS6detail17trampoline_kernelINS0_14default_configENS1_35radix_sort_onesweep_config_selectorIiiEEZZNS1_29radix_sort_onesweep_iterationIS3_Lb0EN6thrust23THRUST_200600_302600_NS6detail15normal_iteratorINS8_10device_ptrIiEEEESD_SD_SD_jNS0_19identity_decomposerENS1_16block_id_wrapperIjLb0EEEEE10hipError_tT1_PNSt15iterator_traitsISI_E10value_typeET2_T3_PNSJ_ISO_E10value_typeET4_T5_PST_SU_PNS1_23onesweep_lookback_stateEbbT6_jjT7_P12ihipStream_tbENKUlT_T0_SI_SN_E_clISD_PiSD_S15_EEDaS11_S12_SI_SN_EUlS11_E_NS1_11comp_targetILNS1_3genE4ELNS1_11target_archE910ELNS1_3gpuE8ELNS1_3repE0EEENS1_47radix_sort_onesweep_sort_config_static_selectorELNS0_4arch9wavefront6targetE1EEEvSI_,comdat
	.protected	_ZN7rocprim17ROCPRIM_400000_NS6detail17trampoline_kernelINS0_14default_configENS1_35radix_sort_onesweep_config_selectorIiiEEZZNS1_29radix_sort_onesweep_iterationIS3_Lb0EN6thrust23THRUST_200600_302600_NS6detail15normal_iteratorINS8_10device_ptrIiEEEESD_SD_SD_jNS0_19identity_decomposerENS1_16block_id_wrapperIjLb0EEEEE10hipError_tT1_PNSt15iterator_traitsISI_E10value_typeET2_T3_PNSJ_ISO_E10value_typeET4_T5_PST_SU_PNS1_23onesweep_lookback_stateEbbT6_jjT7_P12ihipStream_tbENKUlT_T0_SI_SN_E_clISD_PiSD_S15_EEDaS11_S12_SI_SN_EUlS11_E_NS1_11comp_targetILNS1_3genE4ELNS1_11target_archE910ELNS1_3gpuE8ELNS1_3repE0EEENS1_47radix_sort_onesweep_sort_config_static_selectorELNS0_4arch9wavefront6targetE1EEEvSI_ ; -- Begin function _ZN7rocprim17ROCPRIM_400000_NS6detail17trampoline_kernelINS0_14default_configENS1_35radix_sort_onesweep_config_selectorIiiEEZZNS1_29radix_sort_onesweep_iterationIS3_Lb0EN6thrust23THRUST_200600_302600_NS6detail15normal_iteratorINS8_10device_ptrIiEEEESD_SD_SD_jNS0_19identity_decomposerENS1_16block_id_wrapperIjLb0EEEEE10hipError_tT1_PNSt15iterator_traitsISI_E10value_typeET2_T3_PNSJ_ISO_E10value_typeET4_T5_PST_SU_PNS1_23onesweep_lookback_stateEbbT6_jjT7_P12ihipStream_tbENKUlT_T0_SI_SN_E_clISD_PiSD_S15_EEDaS11_S12_SI_SN_EUlS11_E_NS1_11comp_targetILNS1_3genE4ELNS1_11target_archE910ELNS1_3gpuE8ELNS1_3repE0EEENS1_47radix_sort_onesweep_sort_config_static_selectorELNS0_4arch9wavefront6targetE1EEEvSI_
	.globl	_ZN7rocprim17ROCPRIM_400000_NS6detail17trampoline_kernelINS0_14default_configENS1_35radix_sort_onesweep_config_selectorIiiEEZZNS1_29radix_sort_onesweep_iterationIS3_Lb0EN6thrust23THRUST_200600_302600_NS6detail15normal_iteratorINS8_10device_ptrIiEEEESD_SD_SD_jNS0_19identity_decomposerENS1_16block_id_wrapperIjLb0EEEEE10hipError_tT1_PNSt15iterator_traitsISI_E10value_typeET2_T3_PNSJ_ISO_E10value_typeET4_T5_PST_SU_PNS1_23onesweep_lookback_stateEbbT6_jjT7_P12ihipStream_tbENKUlT_T0_SI_SN_E_clISD_PiSD_S15_EEDaS11_S12_SI_SN_EUlS11_E_NS1_11comp_targetILNS1_3genE4ELNS1_11target_archE910ELNS1_3gpuE8ELNS1_3repE0EEENS1_47radix_sort_onesweep_sort_config_static_selectorELNS0_4arch9wavefront6targetE1EEEvSI_
	.p2align	8
	.type	_ZN7rocprim17ROCPRIM_400000_NS6detail17trampoline_kernelINS0_14default_configENS1_35radix_sort_onesweep_config_selectorIiiEEZZNS1_29radix_sort_onesweep_iterationIS3_Lb0EN6thrust23THRUST_200600_302600_NS6detail15normal_iteratorINS8_10device_ptrIiEEEESD_SD_SD_jNS0_19identity_decomposerENS1_16block_id_wrapperIjLb0EEEEE10hipError_tT1_PNSt15iterator_traitsISI_E10value_typeET2_T3_PNSJ_ISO_E10value_typeET4_T5_PST_SU_PNS1_23onesweep_lookback_stateEbbT6_jjT7_P12ihipStream_tbENKUlT_T0_SI_SN_E_clISD_PiSD_S15_EEDaS11_S12_SI_SN_EUlS11_E_NS1_11comp_targetILNS1_3genE4ELNS1_11target_archE910ELNS1_3gpuE8ELNS1_3repE0EEENS1_47radix_sort_onesweep_sort_config_static_selectorELNS0_4arch9wavefront6targetE1EEEvSI_,@function
_ZN7rocprim17ROCPRIM_400000_NS6detail17trampoline_kernelINS0_14default_configENS1_35radix_sort_onesweep_config_selectorIiiEEZZNS1_29radix_sort_onesweep_iterationIS3_Lb0EN6thrust23THRUST_200600_302600_NS6detail15normal_iteratorINS8_10device_ptrIiEEEESD_SD_SD_jNS0_19identity_decomposerENS1_16block_id_wrapperIjLb0EEEEE10hipError_tT1_PNSt15iterator_traitsISI_E10value_typeET2_T3_PNSJ_ISO_E10value_typeET4_T5_PST_SU_PNS1_23onesweep_lookback_stateEbbT6_jjT7_P12ihipStream_tbENKUlT_T0_SI_SN_E_clISD_PiSD_S15_EEDaS11_S12_SI_SN_EUlS11_E_NS1_11comp_targetILNS1_3genE4ELNS1_11target_archE910ELNS1_3gpuE8ELNS1_3repE0EEENS1_47radix_sort_onesweep_sort_config_static_selectorELNS0_4arch9wavefront6targetE1EEEvSI_: ; @_ZN7rocprim17ROCPRIM_400000_NS6detail17trampoline_kernelINS0_14default_configENS1_35radix_sort_onesweep_config_selectorIiiEEZZNS1_29radix_sort_onesweep_iterationIS3_Lb0EN6thrust23THRUST_200600_302600_NS6detail15normal_iteratorINS8_10device_ptrIiEEEESD_SD_SD_jNS0_19identity_decomposerENS1_16block_id_wrapperIjLb0EEEEE10hipError_tT1_PNSt15iterator_traitsISI_E10value_typeET2_T3_PNSJ_ISO_E10value_typeET4_T5_PST_SU_PNS1_23onesweep_lookback_stateEbbT6_jjT7_P12ihipStream_tbENKUlT_T0_SI_SN_E_clISD_PiSD_S15_EEDaS11_S12_SI_SN_EUlS11_E_NS1_11comp_targetILNS1_3genE4ELNS1_11target_archE910ELNS1_3gpuE8ELNS1_3repE0EEENS1_47radix_sort_onesweep_sort_config_static_selectorELNS0_4arch9wavefront6targetE1EEEvSI_
; %bb.0:
	.section	.rodata,"a",@progbits
	.p2align	6, 0x0
	.amdhsa_kernel _ZN7rocprim17ROCPRIM_400000_NS6detail17trampoline_kernelINS0_14default_configENS1_35radix_sort_onesweep_config_selectorIiiEEZZNS1_29radix_sort_onesweep_iterationIS3_Lb0EN6thrust23THRUST_200600_302600_NS6detail15normal_iteratorINS8_10device_ptrIiEEEESD_SD_SD_jNS0_19identity_decomposerENS1_16block_id_wrapperIjLb0EEEEE10hipError_tT1_PNSt15iterator_traitsISI_E10value_typeET2_T3_PNSJ_ISO_E10value_typeET4_T5_PST_SU_PNS1_23onesweep_lookback_stateEbbT6_jjT7_P12ihipStream_tbENKUlT_T0_SI_SN_E_clISD_PiSD_S15_EEDaS11_S12_SI_SN_EUlS11_E_NS1_11comp_targetILNS1_3genE4ELNS1_11target_archE910ELNS1_3gpuE8ELNS1_3repE0EEENS1_47radix_sort_onesweep_sort_config_static_selectorELNS0_4arch9wavefront6targetE1EEEvSI_
		.amdhsa_group_segment_fixed_size 0
		.amdhsa_private_segment_fixed_size 0
		.amdhsa_kernarg_size 88
		.amdhsa_user_sgpr_count 2
		.amdhsa_user_sgpr_dispatch_ptr 0
		.amdhsa_user_sgpr_queue_ptr 0
		.amdhsa_user_sgpr_kernarg_segment_ptr 1
		.amdhsa_user_sgpr_dispatch_id 0
		.amdhsa_user_sgpr_kernarg_preload_length 0
		.amdhsa_user_sgpr_kernarg_preload_offset 0
		.amdhsa_user_sgpr_private_segment_size 0
		.amdhsa_uses_dynamic_stack 0
		.amdhsa_enable_private_segment 0
		.amdhsa_system_sgpr_workgroup_id_x 1
		.amdhsa_system_sgpr_workgroup_id_y 0
		.amdhsa_system_sgpr_workgroup_id_z 0
		.amdhsa_system_sgpr_workgroup_info 0
		.amdhsa_system_vgpr_workitem_id 0
		.amdhsa_next_free_vgpr 1
		.amdhsa_next_free_sgpr 0
		.amdhsa_accum_offset 4
		.amdhsa_reserve_vcc 0
		.amdhsa_float_round_mode_32 0
		.amdhsa_float_round_mode_16_64 0
		.amdhsa_float_denorm_mode_32 3
		.amdhsa_float_denorm_mode_16_64 3
		.amdhsa_dx10_clamp 1
		.amdhsa_ieee_mode 1
		.amdhsa_fp16_overflow 0
		.amdhsa_tg_split 0
		.amdhsa_exception_fp_ieee_invalid_op 0
		.amdhsa_exception_fp_denorm_src 0
		.amdhsa_exception_fp_ieee_div_zero 0
		.amdhsa_exception_fp_ieee_overflow 0
		.amdhsa_exception_fp_ieee_underflow 0
		.amdhsa_exception_fp_ieee_inexact 0
		.amdhsa_exception_int_div_zero 0
	.end_amdhsa_kernel
	.section	.text._ZN7rocprim17ROCPRIM_400000_NS6detail17trampoline_kernelINS0_14default_configENS1_35radix_sort_onesweep_config_selectorIiiEEZZNS1_29radix_sort_onesweep_iterationIS3_Lb0EN6thrust23THRUST_200600_302600_NS6detail15normal_iteratorINS8_10device_ptrIiEEEESD_SD_SD_jNS0_19identity_decomposerENS1_16block_id_wrapperIjLb0EEEEE10hipError_tT1_PNSt15iterator_traitsISI_E10value_typeET2_T3_PNSJ_ISO_E10value_typeET4_T5_PST_SU_PNS1_23onesweep_lookback_stateEbbT6_jjT7_P12ihipStream_tbENKUlT_T0_SI_SN_E_clISD_PiSD_S15_EEDaS11_S12_SI_SN_EUlS11_E_NS1_11comp_targetILNS1_3genE4ELNS1_11target_archE910ELNS1_3gpuE8ELNS1_3repE0EEENS1_47radix_sort_onesweep_sort_config_static_selectorELNS0_4arch9wavefront6targetE1EEEvSI_,"axG",@progbits,_ZN7rocprim17ROCPRIM_400000_NS6detail17trampoline_kernelINS0_14default_configENS1_35radix_sort_onesweep_config_selectorIiiEEZZNS1_29radix_sort_onesweep_iterationIS3_Lb0EN6thrust23THRUST_200600_302600_NS6detail15normal_iteratorINS8_10device_ptrIiEEEESD_SD_SD_jNS0_19identity_decomposerENS1_16block_id_wrapperIjLb0EEEEE10hipError_tT1_PNSt15iterator_traitsISI_E10value_typeET2_T3_PNSJ_ISO_E10value_typeET4_T5_PST_SU_PNS1_23onesweep_lookback_stateEbbT6_jjT7_P12ihipStream_tbENKUlT_T0_SI_SN_E_clISD_PiSD_S15_EEDaS11_S12_SI_SN_EUlS11_E_NS1_11comp_targetILNS1_3genE4ELNS1_11target_archE910ELNS1_3gpuE8ELNS1_3repE0EEENS1_47radix_sort_onesweep_sort_config_static_selectorELNS0_4arch9wavefront6targetE1EEEvSI_,comdat
.Lfunc_end862:
	.size	_ZN7rocprim17ROCPRIM_400000_NS6detail17trampoline_kernelINS0_14default_configENS1_35radix_sort_onesweep_config_selectorIiiEEZZNS1_29radix_sort_onesweep_iterationIS3_Lb0EN6thrust23THRUST_200600_302600_NS6detail15normal_iteratorINS8_10device_ptrIiEEEESD_SD_SD_jNS0_19identity_decomposerENS1_16block_id_wrapperIjLb0EEEEE10hipError_tT1_PNSt15iterator_traitsISI_E10value_typeET2_T3_PNSJ_ISO_E10value_typeET4_T5_PST_SU_PNS1_23onesweep_lookback_stateEbbT6_jjT7_P12ihipStream_tbENKUlT_T0_SI_SN_E_clISD_PiSD_S15_EEDaS11_S12_SI_SN_EUlS11_E_NS1_11comp_targetILNS1_3genE4ELNS1_11target_archE910ELNS1_3gpuE8ELNS1_3repE0EEENS1_47radix_sort_onesweep_sort_config_static_selectorELNS0_4arch9wavefront6targetE1EEEvSI_, .Lfunc_end862-_ZN7rocprim17ROCPRIM_400000_NS6detail17trampoline_kernelINS0_14default_configENS1_35radix_sort_onesweep_config_selectorIiiEEZZNS1_29radix_sort_onesweep_iterationIS3_Lb0EN6thrust23THRUST_200600_302600_NS6detail15normal_iteratorINS8_10device_ptrIiEEEESD_SD_SD_jNS0_19identity_decomposerENS1_16block_id_wrapperIjLb0EEEEE10hipError_tT1_PNSt15iterator_traitsISI_E10value_typeET2_T3_PNSJ_ISO_E10value_typeET4_T5_PST_SU_PNS1_23onesweep_lookback_stateEbbT6_jjT7_P12ihipStream_tbENKUlT_T0_SI_SN_E_clISD_PiSD_S15_EEDaS11_S12_SI_SN_EUlS11_E_NS1_11comp_targetILNS1_3genE4ELNS1_11target_archE910ELNS1_3gpuE8ELNS1_3repE0EEENS1_47radix_sort_onesweep_sort_config_static_selectorELNS0_4arch9wavefront6targetE1EEEvSI_
                                        ; -- End function
	.set _ZN7rocprim17ROCPRIM_400000_NS6detail17trampoline_kernelINS0_14default_configENS1_35radix_sort_onesweep_config_selectorIiiEEZZNS1_29radix_sort_onesweep_iterationIS3_Lb0EN6thrust23THRUST_200600_302600_NS6detail15normal_iteratorINS8_10device_ptrIiEEEESD_SD_SD_jNS0_19identity_decomposerENS1_16block_id_wrapperIjLb0EEEEE10hipError_tT1_PNSt15iterator_traitsISI_E10value_typeET2_T3_PNSJ_ISO_E10value_typeET4_T5_PST_SU_PNS1_23onesweep_lookback_stateEbbT6_jjT7_P12ihipStream_tbENKUlT_T0_SI_SN_E_clISD_PiSD_S15_EEDaS11_S12_SI_SN_EUlS11_E_NS1_11comp_targetILNS1_3genE4ELNS1_11target_archE910ELNS1_3gpuE8ELNS1_3repE0EEENS1_47radix_sort_onesweep_sort_config_static_selectorELNS0_4arch9wavefront6targetE1EEEvSI_.num_vgpr, 0
	.set _ZN7rocprim17ROCPRIM_400000_NS6detail17trampoline_kernelINS0_14default_configENS1_35radix_sort_onesweep_config_selectorIiiEEZZNS1_29radix_sort_onesweep_iterationIS3_Lb0EN6thrust23THRUST_200600_302600_NS6detail15normal_iteratorINS8_10device_ptrIiEEEESD_SD_SD_jNS0_19identity_decomposerENS1_16block_id_wrapperIjLb0EEEEE10hipError_tT1_PNSt15iterator_traitsISI_E10value_typeET2_T3_PNSJ_ISO_E10value_typeET4_T5_PST_SU_PNS1_23onesweep_lookback_stateEbbT6_jjT7_P12ihipStream_tbENKUlT_T0_SI_SN_E_clISD_PiSD_S15_EEDaS11_S12_SI_SN_EUlS11_E_NS1_11comp_targetILNS1_3genE4ELNS1_11target_archE910ELNS1_3gpuE8ELNS1_3repE0EEENS1_47radix_sort_onesweep_sort_config_static_selectorELNS0_4arch9wavefront6targetE1EEEvSI_.num_agpr, 0
	.set _ZN7rocprim17ROCPRIM_400000_NS6detail17trampoline_kernelINS0_14default_configENS1_35radix_sort_onesweep_config_selectorIiiEEZZNS1_29radix_sort_onesweep_iterationIS3_Lb0EN6thrust23THRUST_200600_302600_NS6detail15normal_iteratorINS8_10device_ptrIiEEEESD_SD_SD_jNS0_19identity_decomposerENS1_16block_id_wrapperIjLb0EEEEE10hipError_tT1_PNSt15iterator_traitsISI_E10value_typeET2_T3_PNSJ_ISO_E10value_typeET4_T5_PST_SU_PNS1_23onesweep_lookback_stateEbbT6_jjT7_P12ihipStream_tbENKUlT_T0_SI_SN_E_clISD_PiSD_S15_EEDaS11_S12_SI_SN_EUlS11_E_NS1_11comp_targetILNS1_3genE4ELNS1_11target_archE910ELNS1_3gpuE8ELNS1_3repE0EEENS1_47radix_sort_onesweep_sort_config_static_selectorELNS0_4arch9wavefront6targetE1EEEvSI_.numbered_sgpr, 0
	.set _ZN7rocprim17ROCPRIM_400000_NS6detail17trampoline_kernelINS0_14default_configENS1_35radix_sort_onesweep_config_selectorIiiEEZZNS1_29radix_sort_onesweep_iterationIS3_Lb0EN6thrust23THRUST_200600_302600_NS6detail15normal_iteratorINS8_10device_ptrIiEEEESD_SD_SD_jNS0_19identity_decomposerENS1_16block_id_wrapperIjLb0EEEEE10hipError_tT1_PNSt15iterator_traitsISI_E10value_typeET2_T3_PNSJ_ISO_E10value_typeET4_T5_PST_SU_PNS1_23onesweep_lookback_stateEbbT6_jjT7_P12ihipStream_tbENKUlT_T0_SI_SN_E_clISD_PiSD_S15_EEDaS11_S12_SI_SN_EUlS11_E_NS1_11comp_targetILNS1_3genE4ELNS1_11target_archE910ELNS1_3gpuE8ELNS1_3repE0EEENS1_47radix_sort_onesweep_sort_config_static_selectorELNS0_4arch9wavefront6targetE1EEEvSI_.num_named_barrier, 0
	.set _ZN7rocprim17ROCPRIM_400000_NS6detail17trampoline_kernelINS0_14default_configENS1_35radix_sort_onesweep_config_selectorIiiEEZZNS1_29radix_sort_onesweep_iterationIS3_Lb0EN6thrust23THRUST_200600_302600_NS6detail15normal_iteratorINS8_10device_ptrIiEEEESD_SD_SD_jNS0_19identity_decomposerENS1_16block_id_wrapperIjLb0EEEEE10hipError_tT1_PNSt15iterator_traitsISI_E10value_typeET2_T3_PNSJ_ISO_E10value_typeET4_T5_PST_SU_PNS1_23onesweep_lookback_stateEbbT6_jjT7_P12ihipStream_tbENKUlT_T0_SI_SN_E_clISD_PiSD_S15_EEDaS11_S12_SI_SN_EUlS11_E_NS1_11comp_targetILNS1_3genE4ELNS1_11target_archE910ELNS1_3gpuE8ELNS1_3repE0EEENS1_47radix_sort_onesweep_sort_config_static_selectorELNS0_4arch9wavefront6targetE1EEEvSI_.private_seg_size, 0
	.set _ZN7rocprim17ROCPRIM_400000_NS6detail17trampoline_kernelINS0_14default_configENS1_35radix_sort_onesweep_config_selectorIiiEEZZNS1_29radix_sort_onesweep_iterationIS3_Lb0EN6thrust23THRUST_200600_302600_NS6detail15normal_iteratorINS8_10device_ptrIiEEEESD_SD_SD_jNS0_19identity_decomposerENS1_16block_id_wrapperIjLb0EEEEE10hipError_tT1_PNSt15iterator_traitsISI_E10value_typeET2_T3_PNSJ_ISO_E10value_typeET4_T5_PST_SU_PNS1_23onesweep_lookback_stateEbbT6_jjT7_P12ihipStream_tbENKUlT_T0_SI_SN_E_clISD_PiSD_S15_EEDaS11_S12_SI_SN_EUlS11_E_NS1_11comp_targetILNS1_3genE4ELNS1_11target_archE910ELNS1_3gpuE8ELNS1_3repE0EEENS1_47radix_sort_onesweep_sort_config_static_selectorELNS0_4arch9wavefront6targetE1EEEvSI_.uses_vcc, 0
	.set _ZN7rocprim17ROCPRIM_400000_NS6detail17trampoline_kernelINS0_14default_configENS1_35radix_sort_onesweep_config_selectorIiiEEZZNS1_29radix_sort_onesweep_iterationIS3_Lb0EN6thrust23THRUST_200600_302600_NS6detail15normal_iteratorINS8_10device_ptrIiEEEESD_SD_SD_jNS0_19identity_decomposerENS1_16block_id_wrapperIjLb0EEEEE10hipError_tT1_PNSt15iterator_traitsISI_E10value_typeET2_T3_PNSJ_ISO_E10value_typeET4_T5_PST_SU_PNS1_23onesweep_lookback_stateEbbT6_jjT7_P12ihipStream_tbENKUlT_T0_SI_SN_E_clISD_PiSD_S15_EEDaS11_S12_SI_SN_EUlS11_E_NS1_11comp_targetILNS1_3genE4ELNS1_11target_archE910ELNS1_3gpuE8ELNS1_3repE0EEENS1_47radix_sort_onesweep_sort_config_static_selectorELNS0_4arch9wavefront6targetE1EEEvSI_.uses_flat_scratch, 0
	.set _ZN7rocprim17ROCPRIM_400000_NS6detail17trampoline_kernelINS0_14default_configENS1_35radix_sort_onesweep_config_selectorIiiEEZZNS1_29radix_sort_onesweep_iterationIS3_Lb0EN6thrust23THRUST_200600_302600_NS6detail15normal_iteratorINS8_10device_ptrIiEEEESD_SD_SD_jNS0_19identity_decomposerENS1_16block_id_wrapperIjLb0EEEEE10hipError_tT1_PNSt15iterator_traitsISI_E10value_typeET2_T3_PNSJ_ISO_E10value_typeET4_T5_PST_SU_PNS1_23onesweep_lookback_stateEbbT6_jjT7_P12ihipStream_tbENKUlT_T0_SI_SN_E_clISD_PiSD_S15_EEDaS11_S12_SI_SN_EUlS11_E_NS1_11comp_targetILNS1_3genE4ELNS1_11target_archE910ELNS1_3gpuE8ELNS1_3repE0EEENS1_47radix_sort_onesweep_sort_config_static_selectorELNS0_4arch9wavefront6targetE1EEEvSI_.has_dyn_sized_stack, 0
	.set _ZN7rocprim17ROCPRIM_400000_NS6detail17trampoline_kernelINS0_14default_configENS1_35radix_sort_onesweep_config_selectorIiiEEZZNS1_29radix_sort_onesweep_iterationIS3_Lb0EN6thrust23THRUST_200600_302600_NS6detail15normal_iteratorINS8_10device_ptrIiEEEESD_SD_SD_jNS0_19identity_decomposerENS1_16block_id_wrapperIjLb0EEEEE10hipError_tT1_PNSt15iterator_traitsISI_E10value_typeET2_T3_PNSJ_ISO_E10value_typeET4_T5_PST_SU_PNS1_23onesweep_lookback_stateEbbT6_jjT7_P12ihipStream_tbENKUlT_T0_SI_SN_E_clISD_PiSD_S15_EEDaS11_S12_SI_SN_EUlS11_E_NS1_11comp_targetILNS1_3genE4ELNS1_11target_archE910ELNS1_3gpuE8ELNS1_3repE0EEENS1_47radix_sort_onesweep_sort_config_static_selectorELNS0_4arch9wavefront6targetE1EEEvSI_.has_recursion, 0
	.set _ZN7rocprim17ROCPRIM_400000_NS6detail17trampoline_kernelINS0_14default_configENS1_35radix_sort_onesweep_config_selectorIiiEEZZNS1_29radix_sort_onesweep_iterationIS3_Lb0EN6thrust23THRUST_200600_302600_NS6detail15normal_iteratorINS8_10device_ptrIiEEEESD_SD_SD_jNS0_19identity_decomposerENS1_16block_id_wrapperIjLb0EEEEE10hipError_tT1_PNSt15iterator_traitsISI_E10value_typeET2_T3_PNSJ_ISO_E10value_typeET4_T5_PST_SU_PNS1_23onesweep_lookback_stateEbbT6_jjT7_P12ihipStream_tbENKUlT_T0_SI_SN_E_clISD_PiSD_S15_EEDaS11_S12_SI_SN_EUlS11_E_NS1_11comp_targetILNS1_3genE4ELNS1_11target_archE910ELNS1_3gpuE8ELNS1_3repE0EEENS1_47radix_sort_onesweep_sort_config_static_selectorELNS0_4arch9wavefront6targetE1EEEvSI_.has_indirect_call, 0
	.section	.AMDGPU.csdata,"",@progbits
; Kernel info:
; codeLenInByte = 0
; TotalNumSgprs: 6
; NumVgprs: 0
; NumAgprs: 0
; TotalNumVgprs: 0
; ScratchSize: 0
; MemoryBound: 0
; FloatMode: 240
; IeeeMode: 1
; LDSByteSize: 0 bytes/workgroup (compile time only)
; SGPRBlocks: 0
; VGPRBlocks: 0
; NumSGPRsForWavesPerEU: 6
; NumVGPRsForWavesPerEU: 1
; AccumOffset: 4
; Occupancy: 8
; WaveLimiterHint : 0
; COMPUTE_PGM_RSRC2:SCRATCH_EN: 0
; COMPUTE_PGM_RSRC2:USER_SGPR: 2
; COMPUTE_PGM_RSRC2:TRAP_HANDLER: 0
; COMPUTE_PGM_RSRC2:TGID_X_EN: 1
; COMPUTE_PGM_RSRC2:TGID_Y_EN: 0
; COMPUTE_PGM_RSRC2:TGID_Z_EN: 0
; COMPUTE_PGM_RSRC2:TIDIG_COMP_CNT: 0
; COMPUTE_PGM_RSRC3_GFX90A:ACCUM_OFFSET: 0
; COMPUTE_PGM_RSRC3_GFX90A:TG_SPLIT: 0
	.section	.text._ZN7rocprim17ROCPRIM_400000_NS6detail17trampoline_kernelINS0_14default_configENS1_35radix_sort_onesweep_config_selectorIiiEEZZNS1_29radix_sort_onesweep_iterationIS3_Lb0EN6thrust23THRUST_200600_302600_NS6detail15normal_iteratorINS8_10device_ptrIiEEEESD_SD_SD_jNS0_19identity_decomposerENS1_16block_id_wrapperIjLb0EEEEE10hipError_tT1_PNSt15iterator_traitsISI_E10value_typeET2_T3_PNSJ_ISO_E10value_typeET4_T5_PST_SU_PNS1_23onesweep_lookback_stateEbbT6_jjT7_P12ihipStream_tbENKUlT_T0_SI_SN_E_clISD_PiSD_S15_EEDaS11_S12_SI_SN_EUlS11_E_NS1_11comp_targetILNS1_3genE3ELNS1_11target_archE908ELNS1_3gpuE7ELNS1_3repE0EEENS1_47radix_sort_onesweep_sort_config_static_selectorELNS0_4arch9wavefront6targetE1EEEvSI_,"axG",@progbits,_ZN7rocprim17ROCPRIM_400000_NS6detail17trampoline_kernelINS0_14default_configENS1_35radix_sort_onesweep_config_selectorIiiEEZZNS1_29radix_sort_onesweep_iterationIS3_Lb0EN6thrust23THRUST_200600_302600_NS6detail15normal_iteratorINS8_10device_ptrIiEEEESD_SD_SD_jNS0_19identity_decomposerENS1_16block_id_wrapperIjLb0EEEEE10hipError_tT1_PNSt15iterator_traitsISI_E10value_typeET2_T3_PNSJ_ISO_E10value_typeET4_T5_PST_SU_PNS1_23onesweep_lookback_stateEbbT6_jjT7_P12ihipStream_tbENKUlT_T0_SI_SN_E_clISD_PiSD_S15_EEDaS11_S12_SI_SN_EUlS11_E_NS1_11comp_targetILNS1_3genE3ELNS1_11target_archE908ELNS1_3gpuE7ELNS1_3repE0EEENS1_47radix_sort_onesweep_sort_config_static_selectorELNS0_4arch9wavefront6targetE1EEEvSI_,comdat
	.protected	_ZN7rocprim17ROCPRIM_400000_NS6detail17trampoline_kernelINS0_14default_configENS1_35radix_sort_onesweep_config_selectorIiiEEZZNS1_29radix_sort_onesweep_iterationIS3_Lb0EN6thrust23THRUST_200600_302600_NS6detail15normal_iteratorINS8_10device_ptrIiEEEESD_SD_SD_jNS0_19identity_decomposerENS1_16block_id_wrapperIjLb0EEEEE10hipError_tT1_PNSt15iterator_traitsISI_E10value_typeET2_T3_PNSJ_ISO_E10value_typeET4_T5_PST_SU_PNS1_23onesweep_lookback_stateEbbT6_jjT7_P12ihipStream_tbENKUlT_T0_SI_SN_E_clISD_PiSD_S15_EEDaS11_S12_SI_SN_EUlS11_E_NS1_11comp_targetILNS1_3genE3ELNS1_11target_archE908ELNS1_3gpuE7ELNS1_3repE0EEENS1_47radix_sort_onesweep_sort_config_static_selectorELNS0_4arch9wavefront6targetE1EEEvSI_ ; -- Begin function _ZN7rocprim17ROCPRIM_400000_NS6detail17trampoline_kernelINS0_14default_configENS1_35radix_sort_onesweep_config_selectorIiiEEZZNS1_29radix_sort_onesweep_iterationIS3_Lb0EN6thrust23THRUST_200600_302600_NS6detail15normal_iteratorINS8_10device_ptrIiEEEESD_SD_SD_jNS0_19identity_decomposerENS1_16block_id_wrapperIjLb0EEEEE10hipError_tT1_PNSt15iterator_traitsISI_E10value_typeET2_T3_PNSJ_ISO_E10value_typeET4_T5_PST_SU_PNS1_23onesweep_lookback_stateEbbT6_jjT7_P12ihipStream_tbENKUlT_T0_SI_SN_E_clISD_PiSD_S15_EEDaS11_S12_SI_SN_EUlS11_E_NS1_11comp_targetILNS1_3genE3ELNS1_11target_archE908ELNS1_3gpuE7ELNS1_3repE0EEENS1_47radix_sort_onesweep_sort_config_static_selectorELNS0_4arch9wavefront6targetE1EEEvSI_
	.globl	_ZN7rocprim17ROCPRIM_400000_NS6detail17trampoline_kernelINS0_14default_configENS1_35radix_sort_onesweep_config_selectorIiiEEZZNS1_29radix_sort_onesweep_iterationIS3_Lb0EN6thrust23THRUST_200600_302600_NS6detail15normal_iteratorINS8_10device_ptrIiEEEESD_SD_SD_jNS0_19identity_decomposerENS1_16block_id_wrapperIjLb0EEEEE10hipError_tT1_PNSt15iterator_traitsISI_E10value_typeET2_T3_PNSJ_ISO_E10value_typeET4_T5_PST_SU_PNS1_23onesweep_lookback_stateEbbT6_jjT7_P12ihipStream_tbENKUlT_T0_SI_SN_E_clISD_PiSD_S15_EEDaS11_S12_SI_SN_EUlS11_E_NS1_11comp_targetILNS1_3genE3ELNS1_11target_archE908ELNS1_3gpuE7ELNS1_3repE0EEENS1_47radix_sort_onesweep_sort_config_static_selectorELNS0_4arch9wavefront6targetE1EEEvSI_
	.p2align	8
	.type	_ZN7rocprim17ROCPRIM_400000_NS6detail17trampoline_kernelINS0_14default_configENS1_35radix_sort_onesweep_config_selectorIiiEEZZNS1_29radix_sort_onesweep_iterationIS3_Lb0EN6thrust23THRUST_200600_302600_NS6detail15normal_iteratorINS8_10device_ptrIiEEEESD_SD_SD_jNS0_19identity_decomposerENS1_16block_id_wrapperIjLb0EEEEE10hipError_tT1_PNSt15iterator_traitsISI_E10value_typeET2_T3_PNSJ_ISO_E10value_typeET4_T5_PST_SU_PNS1_23onesweep_lookback_stateEbbT6_jjT7_P12ihipStream_tbENKUlT_T0_SI_SN_E_clISD_PiSD_S15_EEDaS11_S12_SI_SN_EUlS11_E_NS1_11comp_targetILNS1_3genE3ELNS1_11target_archE908ELNS1_3gpuE7ELNS1_3repE0EEENS1_47radix_sort_onesweep_sort_config_static_selectorELNS0_4arch9wavefront6targetE1EEEvSI_,@function
_ZN7rocprim17ROCPRIM_400000_NS6detail17trampoline_kernelINS0_14default_configENS1_35radix_sort_onesweep_config_selectorIiiEEZZNS1_29radix_sort_onesweep_iterationIS3_Lb0EN6thrust23THRUST_200600_302600_NS6detail15normal_iteratorINS8_10device_ptrIiEEEESD_SD_SD_jNS0_19identity_decomposerENS1_16block_id_wrapperIjLb0EEEEE10hipError_tT1_PNSt15iterator_traitsISI_E10value_typeET2_T3_PNSJ_ISO_E10value_typeET4_T5_PST_SU_PNS1_23onesweep_lookback_stateEbbT6_jjT7_P12ihipStream_tbENKUlT_T0_SI_SN_E_clISD_PiSD_S15_EEDaS11_S12_SI_SN_EUlS11_E_NS1_11comp_targetILNS1_3genE3ELNS1_11target_archE908ELNS1_3gpuE7ELNS1_3repE0EEENS1_47radix_sort_onesweep_sort_config_static_selectorELNS0_4arch9wavefront6targetE1EEEvSI_: ; @_ZN7rocprim17ROCPRIM_400000_NS6detail17trampoline_kernelINS0_14default_configENS1_35radix_sort_onesweep_config_selectorIiiEEZZNS1_29radix_sort_onesweep_iterationIS3_Lb0EN6thrust23THRUST_200600_302600_NS6detail15normal_iteratorINS8_10device_ptrIiEEEESD_SD_SD_jNS0_19identity_decomposerENS1_16block_id_wrapperIjLb0EEEEE10hipError_tT1_PNSt15iterator_traitsISI_E10value_typeET2_T3_PNSJ_ISO_E10value_typeET4_T5_PST_SU_PNS1_23onesweep_lookback_stateEbbT6_jjT7_P12ihipStream_tbENKUlT_T0_SI_SN_E_clISD_PiSD_S15_EEDaS11_S12_SI_SN_EUlS11_E_NS1_11comp_targetILNS1_3genE3ELNS1_11target_archE908ELNS1_3gpuE7ELNS1_3repE0EEENS1_47radix_sort_onesweep_sort_config_static_selectorELNS0_4arch9wavefront6targetE1EEEvSI_
; %bb.0:
	.section	.rodata,"a",@progbits
	.p2align	6, 0x0
	.amdhsa_kernel _ZN7rocprim17ROCPRIM_400000_NS6detail17trampoline_kernelINS0_14default_configENS1_35radix_sort_onesweep_config_selectorIiiEEZZNS1_29radix_sort_onesweep_iterationIS3_Lb0EN6thrust23THRUST_200600_302600_NS6detail15normal_iteratorINS8_10device_ptrIiEEEESD_SD_SD_jNS0_19identity_decomposerENS1_16block_id_wrapperIjLb0EEEEE10hipError_tT1_PNSt15iterator_traitsISI_E10value_typeET2_T3_PNSJ_ISO_E10value_typeET4_T5_PST_SU_PNS1_23onesweep_lookback_stateEbbT6_jjT7_P12ihipStream_tbENKUlT_T0_SI_SN_E_clISD_PiSD_S15_EEDaS11_S12_SI_SN_EUlS11_E_NS1_11comp_targetILNS1_3genE3ELNS1_11target_archE908ELNS1_3gpuE7ELNS1_3repE0EEENS1_47radix_sort_onesweep_sort_config_static_selectorELNS0_4arch9wavefront6targetE1EEEvSI_
		.amdhsa_group_segment_fixed_size 0
		.amdhsa_private_segment_fixed_size 0
		.amdhsa_kernarg_size 88
		.amdhsa_user_sgpr_count 2
		.amdhsa_user_sgpr_dispatch_ptr 0
		.amdhsa_user_sgpr_queue_ptr 0
		.amdhsa_user_sgpr_kernarg_segment_ptr 1
		.amdhsa_user_sgpr_dispatch_id 0
		.amdhsa_user_sgpr_kernarg_preload_length 0
		.amdhsa_user_sgpr_kernarg_preload_offset 0
		.amdhsa_user_sgpr_private_segment_size 0
		.amdhsa_uses_dynamic_stack 0
		.amdhsa_enable_private_segment 0
		.amdhsa_system_sgpr_workgroup_id_x 1
		.amdhsa_system_sgpr_workgroup_id_y 0
		.amdhsa_system_sgpr_workgroup_id_z 0
		.amdhsa_system_sgpr_workgroup_info 0
		.amdhsa_system_vgpr_workitem_id 0
		.amdhsa_next_free_vgpr 1
		.amdhsa_next_free_sgpr 0
		.amdhsa_accum_offset 4
		.amdhsa_reserve_vcc 0
		.amdhsa_float_round_mode_32 0
		.amdhsa_float_round_mode_16_64 0
		.amdhsa_float_denorm_mode_32 3
		.amdhsa_float_denorm_mode_16_64 3
		.amdhsa_dx10_clamp 1
		.amdhsa_ieee_mode 1
		.amdhsa_fp16_overflow 0
		.amdhsa_tg_split 0
		.amdhsa_exception_fp_ieee_invalid_op 0
		.amdhsa_exception_fp_denorm_src 0
		.amdhsa_exception_fp_ieee_div_zero 0
		.amdhsa_exception_fp_ieee_overflow 0
		.amdhsa_exception_fp_ieee_underflow 0
		.amdhsa_exception_fp_ieee_inexact 0
		.amdhsa_exception_int_div_zero 0
	.end_amdhsa_kernel
	.section	.text._ZN7rocprim17ROCPRIM_400000_NS6detail17trampoline_kernelINS0_14default_configENS1_35radix_sort_onesweep_config_selectorIiiEEZZNS1_29radix_sort_onesweep_iterationIS3_Lb0EN6thrust23THRUST_200600_302600_NS6detail15normal_iteratorINS8_10device_ptrIiEEEESD_SD_SD_jNS0_19identity_decomposerENS1_16block_id_wrapperIjLb0EEEEE10hipError_tT1_PNSt15iterator_traitsISI_E10value_typeET2_T3_PNSJ_ISO_E10value_typeET4_T5_PST_SU_PNS1_23onesweep_lookback_stateEbbT6_jjT7_P12ihipStream_tbENKUlT_T0_SI_SN_E_clISD_PiSD_S15_EEDaS11_S12_SI_SN_EUlS11_E_NS1_11comp_targetILNS1_3genE3ELNS1_11target_archE908ELNS1_3gpuE7ELNS1_3repE0EEENS1_47radix_sort_onesweep_sort_config_static_selectorELNS0_4arch9wavefront6targetE1EEEvSI_,"axG",@progbits,_ZN7rocprim17ROCPRIM_400000_NS6detail17trampoline_kernelINS0_14default_configENS1_35radix_sort_onesweep_config_selectorIiiEEZZNS1_29radix_sort_onesweep_iterationIS3_Lb0EN6thrust23THRUST_200600_302600_NS6detail15normal_iteratorINS8_10device_ptrIiEEEESD_SD_SD_jNS0_19identity_decomposerENS1_16block_id_wrapperIjLb0EEEEE10hipError_tT1_PNSt15iterator_traitsISI_E10value_typeET2_T3_PNSJ_ISO_E10value_typeET4_T5_PST_SU_PNS1_23onesweep_lookback_stateEbbT6_jjT7_P12ihipStream_tbENKUlT_T0_SI_SN_E_clISD_PiSD_S15_EEDaS11_S12_SI_SN_EUlS11_E_NS1_11comp_targetILNS1_3genE3ELNS1_11target_archE908ELNS1_3gpuE7ELNS1_3repE0EEENS1_47radix_sort_onesweep_sort_config_static_selectorELNS0_4arch9wavefront6targetE1EEEvSI_,comdat
.Lfunc_end863:
	.size	_ZN7rocprim17ROCPRIM_400000_NS6detail17trampoline_kernelINS0_14default_configENS1_35radix_sort_onesweep_config_selectorIiiEEZZNS1_29radix_sort_onesweep_iterationIS3_Lb0EN6thrust23THRUST_200600_302600_NS6detail15normal_iteratorINS8_10device_ptrIiEEEESD_SD_SD_jNS0_19identity_decomposerENS1_16block_id_wrapperIjLb0EEEEE10hipError_tT1_PNSt15iterator_traitsISI_E10value_typeET2_T3_PNSJ_ISO_E10value_typeET4_T5_PST_SU_PNS1_23onesweep_lookback_stateEbbT6_jjT7_P12ihipStream_tbENKUlT_T0_SI_SN_E_clISD_PiSD_S15_EEDaS11_S12_SI_SN_EUlS11_E_NS1_11comp_targetILNS1_3genE3ELNS1_11target_archE908ELNS1_3gpuE7ELNS1_3repE0EEENS1_47radix_sort_onesweep_sort_config_static_selectorELNS0_4arch9wavefront6targetE1EEEvSI_, .Lfunc_end863-_ZN7rocprim17ROCPRIM_400000_NS6detail17trampoline_kernelINS0_14default_configENS1_35radix_sort_onesweep_config_selectorIiiEEZZNS1_29radix_sort_onesweep_iterationIS3_Lb0EN6thrust23THRUST_200600_302600_NS6detail15normal_iteratorINS8_10device_ptrIiEEEESD_SD_SD_jNS0_19identity_decomposerENS1_16block_id_wrapperIjLb0EEEEE10hipError_tT1_PNSt15iterator_traitsISI_E10value_typeET2_T3_PNSJ_ISO_E10value_typeET4_T5_PST_SU_PNS1_23onesweep_lookback_stateEbbT6_jjT7_P12ihipStream_tbENKUlT_T0_SI_SN_E_clISD_PiSD_S15_EEDaS11_S12_SI_SN_EUlS11_E_NS1_11comp_targetILNS1_3genE3ELNS1_11target_archE908ELNS1_3gpuE7ELNS1_3repE0EEENS1_47radix_sort_onesweep_sort_config_static_selectorELNS0_4arch9wavefront6targetE1EEEvSI_
                                        ; -- End function
	.set _ZN7rocprim17ROCPRIM_400000_NS6detail17trampoline_kernelINS0_14default_configENS1_35radix_sort_onesweep_config_selectorIiiEEZZNS1_29radix_sort_onesweep_iterationIS3_Lb0EN6thrust23THRUST_200600_302600_NS6detail15normal_iteratorINS8_10device_ptrIiEEEESD_SD_SD_jNS0_19identity_decomposerENS1_16block_id_wrapperIjLb0EEEEE10hipError_tT1_PNSt15iterator_traitsISI_E10value_typeET2_T3_PNSJ_ISO_E10value_typeET4_T5_PST_SU_PNS1_23onesweep_lookback_stateEbbT6_jjT7_P12ihipStream_tbENKUlT_T0_SI_SN_E_clISD_PiSD_S15_EEDaS11_S12_SI_SN_EUlS11_E_NS1_11comp_targetILNS1_3genE3ELNS1_11target_archE908ELNS1_3gpuE7ELNS1_3repE0EEENS1_47radix_sort_onesweep_sort_config_static_selectorELNS0_4arch9wavefront6targetE1EEEvSI_.num_vgpr, 0
	.set _ZN7rocprim17ROCPRIM_400000_NS6detail17trampoline_kernelINS0_14default_configENS1_35radix_sort_onesweep_config_selectorIiiEEZZNS1_29radix_sort_onesweep_iterationIS3_Lb0EN6thrust23THRUST_200600_302600_NS6detail15normal_iteratorINS8_10device_ptrIiEEEESD_SD_SD_jNS0_19identity_decomposerENS1_16block_id_wrapperIjLb0EEEEE10hipError_tT1_PNSt15iterator_traitsISI_E10value_typeET2_T3_PNSJ_ISO_E10value_typeET4_T5_PST_SU_PNS1_23onesweep_lookback_stateEbbT6_jjT7_P12ihipStream_tbENKUlT_T0_SI_SN_E_clISD_PiSD_S15_EEDaS11_S12_SI_SN_EUlS11_E_NS1_11comp_targetILNS1_3genE3ELNS1_11target_archE908ELNS1_3gpuE7ELNS1_3repE0EEENS1_47radix_sort_onesweep_sort_config_static_selectorELNS0_4arch9wavefront6targetE1EEEvSI_.num_agpr, 0
	.set _ZN7rocprim17ROCPRIM_400000_NS6detail17trampoline_kernelINS0_14default_configENS1_35radix_sort_onesweep_config_selectorIiiEEZZNS1_29radix_sort_onesweep_iterationIS3_Lb0EN6thrust23THRUST_200600_302600_NS6detail15normal_iteratorINS8_10device_ptrIiEEEESD_SD_SD_jNS0_19identity_decomposerENS1_16block_id_wrapperIjLb0EEEEE10hipError_tT1_PNSt15iterator_traitsISI_E10value_typeET2_T3_PNSJ_ISO_E10value_typeET4_T5_PST_SU_PNS1_23onesweep_lookback_stateEbbT6_jjT7_P12ihipStream_tbENKUlT_T0_SI_SN_E_clISD_PiSD_S15_EEDaS11_S12_SI_SN_EUlS11_E_NS1_11comp_targetILNS1_3genE3ELNS1_11target_archE908ELNS1_3gpuE7ELNS1_3repE0EEENS1_47radix_sort_onesweep_sort_config_static_selectorELNS0_4arch9wavefront6targetE1EEEvSI_.numbered_sgpr, 0
	.set _ZN7rocprim17ROCPRIM_400000_NS6detail17trampoline_kernelINS0_14default_configENS1_35radix_sort_onesweep_config_selectorIiiEEZZNS1_29radix_sort_onesweep_iterationIS3_Lb0EN6thrust23THRUST_200600_302600_NS6detail15normal_iteratorINS8_10device_ptrIiEEEESD_SD_SD_jNS0_19identity_decomposerENS1_16block_id_wrapperIjLb0EEEEE10hipError_tT1_PNSt15iterator_traitsISI_E10value_typeET2_T3_PNSJ_ISO_E10value_typeET4_T5_PST_SU_PNS1_23onesweep_lookback_stateEbbT6_jjT7_P12ihipStream_tbENKUlT_T0_SI_SN_E_clISD_PiSD_S15_EEDaS11_S12_SI_SN_EUlS11_E_NS1_11comp_targetILNS1_3genE3ELNS1_11target_archE908ELNS1_3gpuE7ELNS1_3repE0EEENS1_47radix_sort_onesweep_sort_config_static_selectorELNS0_4arch9wavefront6targetE1EEEvSI_.num_named_barrier, 0
	.set _ZN7rocprim17ROCPRIM_400000_NS6detail17trampoline_kernelINS0_14default_configENS1_35radix_sort_onesweep_config_selectorIiiEEZZNS1_29radix_sort_onesweep_iterationIS3_Lb0EN6thrust23THRUST_200600_302600_NS6detail15normal_iteratorINS8_10device_ptrIiEEEESD_SD_SD_jNS0_19identity_decomposerENS1_16block_id_wrapperIjLb0EEEEE10hipError_tT1_PNSt15iterator_traitsISI_E10value_typeET2_T3_PNSJ_ISO_E10value_typeET4_T5_PST_SU_PNS1_23onesweep_lookback_stateEbbT6_jjT7_P12ihipStream_tbENKUlT_T0_SI_SN_E_clISD_PiSD_S15_EEDaS11_S12_SI_SN_EUlS11_E_NS1_11comp_targetILNS1_3genE3ELNS1_11target_archE908ELNS1_3gpuE7ELNS1_3repE0EEENS1_47radix_sort_onesweep_sort_config_static_selectorELNS0_4arch9wavefront6targetE1EEEvSI_.private_seg_size, 0
	.set _ZN7rocprim17ROCPRIM_400000_NS6detail17trampoline_kernelINS0_14default_configENS1_35radix_sort_onesweep_config_selectorIiiEEZZNS1_29radix_sort_onesweep_iterationIS3_Lb0EN6thrust23THRUST_200600_302600_NS6detail15normal_iteratorINS8_10device_ptrIiEEEESD_SD_SD_jNS0_19identity_decomposerENS1_16block_id_wrapperIjLb0EEEEE10hipError_tT1_PNSt15iterator_traitsISI_E10value_typeET2_T3_PNSJ_ISO_E10value_typeET4_T5_PST_SU_PNS1_23onesweep_lookback_stateEbbT6_jjT7_P12ihipStream_tbENKUlT_T0_SI_SN_E_clISD_PiSD_S15_EEDaS11_S12_SI_SN_EUlS11_E_NS1_11comp_targetILNS1_3genE3ELNS1_11target_archE908ELNS1_3gpuE7ELNS1_3repE0EEENS1_47radix_sort_onesweep_sort_config_static_selectorELNS0_4arch9wavefront6targetE1EEEvSI_.uses_vcc, 0
	.set _ZN7rocprim17ROCPRIM_400000_NS6detail17trampoline_kernelINS0_14default_configENS1_35radix_sort_onesweep_config_selectorIiiEEZZNS1_29radix_sort_onesweep_iterationIS3_Lb0EN6thrust23THRUST_200600_302600_NS6detail15normal_iteratorINS8_10device_ptrIiEEEESD_SD_SD_jNS0_19identity_decomposerENS1_16block_id_wrapperIjLb0EEEEE10hipError_tT1_PNSt15iterator_traitsISI_E10value_typeET2_T3_PNSJ_ISO_E10value_typeET4_T5_PST_SU_PNS1_23onesweep_lookback_stateEbbT6_jjT7_P12ihipStream_tbENKUlT_T0_SI_SN_E_clISD_PiSD_S15_EEDaS11_S12_SI_SN_EUlS11_E_NS1_11comp_targetILNS1_3genE3ELNS1_11target_archE908ELNS1_3gpuE7ELNS1_3repE0EEENS1_47radix_sort_onesweep_sort_config_static_selectorELNS0_4arch9wavefront6targetE1EEEvSI_.uses_flat_scratch, 0
	.set _ZN7rocprim17ROCPRIM_400000_NS6detail17trampoline_kernelINS0_14default_configENS1_35radix_sort_onesweep_config_selectorIiiEEZZNS1_29radix_sort_onesweep_iterationIS3_Lb0EN6thrust23THRUST_200600_302600_NS6detail15normal_iteratorINS8_10device_ptrIiEEEESD_SD_SD_jNS0_19identity_decomposerENS1_16block_id_wrapperIjLb0EEEEE10hipError_tT1_PNSt15iterator_traitsISI_E10value_typeET2_T3_PNSJ_ISO_E10value_typeET4_T5_PST_SU_PNS1_23onesweep_lookback_stateEbbT6_jjT7_P12ihipStream_tbENKUlT_T0_SI_SN_E_clISD_PiSD_S15_EEDaS11_S12_SI_SN_EUlS11_E_NS1_11comp_targetILNS1_3genE3ELNS1_11target_archE908ELNS1_3gpuE7ELNS1_3repE0EEENS1_47radix_sort_onesweep_sort_config_static_selectorELNS0_4arch9wavefront6targetE1EEEvSI_.has_dyn_sized_stack, 0
	.set _ZN7rocprim17ROCPRIM_400000_NS6detail17trampoline_kernelINS0_14default_configENS1_35radix_sort_onesweep_config_selectorIiiEEZZNS1_29radix_sort_onesweep_iterationIS3_Lb0EN6thrust23THRUST_200600_302600_NS6detail15normal_iteratorINS8_10device_ptrIiEEEESD_SD_SD_jNS0_19identity_decomposerENS1_16block_id_wrapperIjLb0EEEEE10hipError_tT1_PNSt15iterator_traitsISI_E10value_typeET2_T3_PNSJ_ISO_E10value_typeET4_T5_PST_SU_PNS1_23onesweep_lookback_stateEbbT6_jjT7_P12ihipStream_tbENKUlT_T0_SI_SN_E_clISD_PiSD_S15_EEDaS11_S12_SI_SN_EUlS11_E_NS1_11comp_targetILNS1_3genE3ELNS1_11target_archE908ELNS1_3gpuE7ELNS1_3repE0EEENS1_47radix_sort_onesweep_sort_config_static_selectorELNS0_4arch9wavefront6targetE1EEEvSI_.has_recursion, 0
	.set _ZN7rocprim17ROCPRIM_400000_NS6detail17trampoline_kernelINS0_14default_configENS1_35radix_sort_onesweep_config_selectorIiiEEZZNS1_29radix_sort_onesweep_iterationIS3_Lb0EN6thrust23THRUST_200600_302600_NS6detail15normal_iteratorINS8_10device_ptrIiEEEESD_SD_SD_jNS0_19identity_decomposerENS1_16block_id_wrapperIjLb0EEEEE10hipError_tT1_PNSt15iterator_traitsISI_E10value_typeET2_T3_PNSJ_ISO_E10value_typeET4_T5_PST_SU_PNS1_23onesweep_lookback_stateEbbT6_jjT7_P12ihipStream_tbENKUlT_T0_SI_SN_E_clISD_PiSD_S15_EEDaS11_S12_SI_SN_EUlS11_E_NS1_11comp_targetILNS1_3genE3ELNS1_11target_archE908ELNS1_3gpuE7ELNS1_3repE0EEENS1_47radix_sort_onesweep_sort_config_static_selectorELNS0_4arch9wavefront6targetE1EEEvSI_.has_indirect_call, 0
	.section	.AMDGPU.csdata,"",@progbits
; Kernel info:
; codeLenInByte = 0
; TotalNumSgprs: 6
; NumVgprs: 0
; NumAgprs: 0
; TotalNumVgprs: 0
; ScratchSize: 0
; MemoryBound: 0
; FloatMode: 240
; IeeeMode: 1
; LDSByteSize: 0 bytes/workgroup (compile time only)
; SGPRBlocks: 0
; VGPRBlocks: 0
; NumSGPRsForWavesPerEU: 6
; NumVGPRsForWavesPerEU: 1
; AccumOffset: 4
; Occupancy: 8
; WaveLimiterHint : 0
; COMPUTE_PGM_RSRC2:SCRATCH_EN: 0
; COMPUTE_PGM_RSRC2:USER_SGPR: 2
; COMPUTE_PGM_RSRC2:TRAP_HANDLER: 0
; COMPUTE_PGM_RSRC2:TGID_X_EN: 1
; COMPUTE_PGM_RSRC2:TGID_Y_EN: 0
; COMPUTE_PGM_RSRC2:TGID_Z_EN: 0
; COMPUTE_PGM_RSRC2:TIDIG_COMP_CNT: 0
; COMPUTE_PGM_RSRC3_GFX90A:ACCUM_OFFSET: 0
; COMPUTE_PGM_RSRC3_GFX90A:TG_SPLIT: 0
	.section	.text._ZN7rocprim17ROCPRIM_400000_NS6detail17trampoline_kernelINS0_14default_configENS1_35radix_sort_onesweep_config_selectorIiiEEZZNS1_29radix_sort_onesweep_iterationIS3_Lb0EN6thrust23THRUST_200600_302600_NS6detail15normal_iteratorINS8_10device_ptrIiEEEESD_SD_SD_jNS0_19identity_decomposerENS1_16block_id_wrapperIjLb0EEEEE10hipError_tT1_PNSt15iterator_traitsISI_E10value_typeET2_T3_PNSJ_ISO_E10value_typeET4_T5_PST_SU_PNS1_23onesweep_lookback_stateEbbT6_jjT7_P12ihipStream_tbENKUlT_T0_SI_SN_E_clISD_PiSD_S15_EEDaS11_S12_SI_SN_EUlS11_E_NS1_11comp_targetILNS1_3genE10ELNS1_11target_archE1201ELNS1_3gpuE5ELNS1_3repE0EEENS1_47radix_sort_onesweep_sort_config_static_selectorELNS0_4arch9wavefront6targetE1EEEvSI_,"axG",@progbits,_ZN7rocprim17ROCPRIM_400000_NS6detail17trampoline_kernelINS0_14default_configENS1_35radix_sort_onesweep_config_selectorIiiEEZZNS1_29radix_sort_onesweep_iterationIS3_Lb0EN6thrust23THRUST_200600_302600_NS6detail15normal_iteratorINS8_10device_ptrIiEEEESD_SD_SD_jNS0_19identity_decomposerENS1_16block_id_wrapperIjLb0EEEEE10hipError_tT1_PNSt15iterator_traitsISI_E10value_typeET2_T3_PNSJ_ISO_E10value_typeET4_T5_PST_SU_PNS1_23onesweep_lookback_stateEbbT6_jjT7_P12ihipStream_tbENKUlT_T0_SI_SN_E_clISD_PiSD_S15_EEDaS11_S12_SI_SN_EUlS11_E_NS1_11comp_targetILNS1_3genE10ELNS1_11target_archE1201ELNS1_3gpuE5ELNS1_3repE0EEENS1_47radix_sort_onesweep_sort_config_static_selectorELNS0_4arch9wavefront6targetE1EEEvSI_,comdat
	.protected	_ZN7rocprim17ROCPRIM_400000_NS6detail17trampoline_kernelINS0_14default_configENS1_35radix_sort_onesweep_config_selectorIiiEEZZNS1_29radix_sort_onesweep_iterationIS3_Lb0EN6thrust23THRUST_200600_302600_NS6detail15normal_iteratorINS8_10device_ptrIiEEEESD_SD_SD_jNS0_19identity_decomposerENS1_16block_id_wrapperIjLb0EEEEE10hipError_tT1_PNSt15iterator_traitsISI_E10value_typeET2_T3_PNSJ_ISO_E10value_typeET4_T5_PST_SU_PNS1_23onesweep_lookback_stateEbbT6_jjT7_P12ihipStream_tbENKUlT_T0_SI_SN_E_clISD_PiSD_S15_EEDaS11_S12_SI_SN_EUlS11_E_NS1_11comp_targetILNS1_3genE10ELNS1_11target_archE1201ELNS1_3gpuE5ELNS1_3repE0EEENS1_47radix_sort_onesweep_sort_config_static_selectorELNS0_4arch9wavefront6targetE1EEEvSI_ ; -- Begin function _ZN7rocprim17ROCPRIM_400000_NS6detail17trampoline_kernelINS0_14default_configENS1_35radix_sort_onesweep_config_selectorIiiEEZZNS1_29radix_sort_onesweep_iterationIS3_Lb0EN6thrust23THRUST_200600_302600_NS6detail15normal_iteratorINS8_10device_ptrIiEEEESD_SD_SD_jNS0_19identity_decomposerENS1_16block_id_wrapperIjLb0EEEEE10hipError_tT1_PNSt15iterator_traitsISI_E10value_typeET2_T3_PNSJ_ISO_E10value_typeET4_T5_PST_SU_PNS1_23onesweep_lookback_stateEbbT6_jjT7_P12ihipStream_tbENKUlT_T0_SI_SN_E_clISD_PiSD_S15_EEDaS11_S12_SI_SN_EUlS11_E_NS1_11comp_targetILNS1_3genE10ELNS1_11target_archE1201ELNS1_3gpuE5ELNS1_3repE0EEENS1_47radix_sort_onesweep_sort_config_static_selectorELNS0_4arch9wavefront6targetE1EEEvSI_
	.globl	_ZN7rocprim17ROCPRIM_400000_NS6detail17trampoline_kernelINS0_14default_configENS1_35radix_sort_onesweep_config_selectorIiiEEZZNS1_29radix_sort_onesweep_iterationIS3_Lb0EN6thrust23THRUST_200600_302600_NS6detail15normal_iteratorINS8_10device_ptrIiEEEESD_SD_SD_jNS0_19identity_decomposerENS1_16block_id_wrapperIjLb0EEEEE10hipError_tT1_PNSt15iterator_traitsISI_E10value_typeET2_T3_PNSJ_ISO_E10value_typeET4_T5_PST_SU_PNS1_23onesweep_lookback_stateEbbT6_jjT7_P12ihipStream_tbENKUlT_T0_SI_SN_E_clISD_PiSD_S15_EEDaS11_S12_SI_SN_EUlS11_E_NS1_11comp_targetILNS1_3genE10ELNS1_11target_archE1201ELNS1_3gpuE5ELNS1_3repE0EEENS1_47radix_sort_onesweep_sort_config_static_selectorELNS0_4arch9wavefront6targetE1EEEvSI_
	.p2align	8
	.type	_ZN7rocprim17ROCPRIM_400000_NS6detail17trampoline_kernelINS0_14default_configENS1_35radix_sort_onesweep_config_selectorIiiEEZZNS1_29radix_sort_onesweep_iterationIS3_Lb0EN6thrust23THRUST_200600_302600_NS6detail15normal_iteratorINS8_10device_ptrIiEEEESD_SD_SD_jNS0_19identity_decomposerENS1_16block_id_wrapperIjLb0EEEEE10hipError_tT1_PNSt15iterator_traitsISI_E10value_typeET2_T3_PNSJ_ISO_E10value_typeET4_T5_PST_SU_PNS1_23onesweep_lookback_stateEbbT6_jjT7_P12ihipStream_tbENKUlT_T0_SI_SN_E_clISD_PiSD_S15_EEDaS11_S12_SI_SN_EUlS11_E_NS1_11comp_targetILNS1_3genE10ELNS1_11target_archE1201ELNS1_3gpuE5ELNS1_3repE0EEENS1_47radix_sort_onesweep_sort_config_static_selectorELNS0_4arch9wavefront6targetE1EEEvSI_,@function
_ZN7rocprim17ROCPRIM_400000_NS6detail17trampoline_kernelINS0_14default_configENS1_35radix_sort_onesweep_config_selectorIiiEEZZNS1_29radix_sort_onesweep_iterationIS3_Lb0EN6thrust23THRUST_200600_302600_NS6detail15normal_iteratorINS8_10device_ptrIiEEEESD_SD_SD_jNS0_19identity_decomposerENS1_16block_id_wrapperIjLb0EEEEE10hipError_tT1_PNSt15iterator_traitsISI_E10value_typeET2_T3_PNSJ_ISO_E10value_typeET4_T5_PST_SU_PNS1_23onesweep_lookback_stateEbbT6_jjT7_P12ihipStream_tbENKUlT_T0_SI_SN_E_clISD_PiSD_S15_EEDaS11_S12_SI_SN_EUlS11_E_NS1_11comp_targetILNS1_3genE10ELNS1_11target_archE1201ELNS1_3gpuE5ELNS1_3repE0EEENS1_47radix_sort_onesweep_sort_config_static_selectorELNS0_4arch9wavefront6targetE1EEEvSI_: ; @_ZN7rocprim17ROCPRIM_400000_NS6detail17trampoline_kernelINS0_14default_configENS1_35radix_sort_onesweep_config_selectorIiiEEZZNS1_29radix_sort_onesweep_iterationIS3_Lb0EN6thrust23THRUST_200600_302600_NS6detail15normal_iteratorINS8_10device_ptrIiEEEESD_SD_SD_jNS0_19identity_decomposerENS1_16block_id_wrapperIjLb0EEEEE10hipError_tT1_PNSt15iterator_traitsISI_E10value_typeET2_T3_PNSJ_ISO_E10value_typeET4_T5_PST_SU_PNS1_23onesweep_lookback_stateEbbT6_jjT7_P12ihipStream_tbENKUlT_T0_SI_SN_E_clISD_PiSD_S15_EEDaS11_S12_SI_SN_EUlS11_E_NS1_11comp_targetILNS1_3genE10ELNS1_11target_archE1201ELNS1_3gpuE5ELNS1_3repE0EEENS1_47radix_sort_onesweep_sort_config_static_selectorELNS0_4arch9wavefront6targetE1EEEvSI_
; %bb.0:
	.section	.rodata,"a",@progbits
	.p2align	6, 0x0
	.amdhsa_kernel _ZN7rocprim17ROCPRIM_400000_NS6detail17trampoline_kernelINS0_14default_configENS1_35radix_sort_onesweep_config_selectorIiiEEZZNS1_29radix_sort_onesweep_iterationIS3_Lb0EN6thrust23THRUST_200600_302600_NS6detail15normal_iteratorINS8_10device_ptrIiEEEESD_SD_SD_jNS0_19identity_decomposerENS1_16block_id_wrapperIjLb0EEEEE10hipError_tT1_PNSt15iterator_traitsISI_E10value_typeET2_T3_PNSJ_ISO_E10value_typeET4_T5_PST_SU_PNS1_23onesweep_lookback_stateEbbT6_jjT7_P12ihipStream_tbENKUlT_T0_SI_SN_E_clISD_PiSD_S15_EEDaS11_S12_SI_SN_EUlS11_E_NS1_11comp_targetILNS1_3genE10ELNS1_11target_archE1201ELNS1_3gpuE5ELNS1_3repE0EEENS1_47radix_sort_onesweep_sort_config_static_selectorELNS0_4arch9wavefront6targetE1EEEvSI_
		.amdhsa_group_segment_fixed_size 0
		.amdhsa_private_segment_fixed_size 0
		.amdhsa_kernarg_size 88
		.amdhsa_user_sgpr_count 2
		.amdhsa_user_sgpr_dispatch_ptr 0
		.amdhsa_user_sgpr_queue_ptr 0
		.amdhsa_user_sgpr_kernarg_segment_ptr 1
		.amdhsa_user_sgpr_dispatch_id 0
		.amdhsa_user_sgpr_kernarg_preload_length 0
		.amdhsa_user_sgpr_kernarg_preload_offset 0
		.amdhsa_user_sgpr_private_segment_size 0
		.amdhsa_uses_dynamic_stack 0
		.amdhsa_enable_private_segment 0
		.amdhsa_system_sgpr_workgroup_id_x 1
		.amdhsa_system_sgpr_workgroup_id_y 0
		.amdhsa_system_sgpr_workgroup_id_z 0
		.amdhsa_system_sgpr_workgroup_info 0
		.amdhsa_system_vgpr_workitem_id 0
		.amdhsa_next_free_vgpr 1
		.amdhsa_next_free_sgpr 0
		.amdhsa_accum_offset 4
		.amdhsa_reserve_vcc 0
		.amdhsa_float_round_mode_32 0
		.amdhsa_float_round_mode_16_64 0
		.amdhsa_float_denorm_mode_32 3
		.amdhsa_float_denorm_mode_16_64 3
		.amdhsa_dx10_clamp 1
		.amdhsa_ieee_mode 1
		.amdhsa_fp16_overflow 0
		.amdhsa_tg_split 0
		.amdhsa_exception_fp_ieee_invalid_op 0
		.amdhsa_exception_fp_denorm_src 0
		.amdhsa_exception_fp_ieee_div_zero 0
		.amdhsa_exception_fp_ieee_overflow 0
		.amdhsa_exception_fp_ieee_underflow 0
		.amdhsa_exception_fp_ieee_inexact 0
		.amdhsa_exception_int_div_zero 0
	.end_amdhsa_kernel
	.section	.text._ZN7rocprim17ROCPRIM_400000_NS6detail17trampoline_kernelINS0_14default_configENS1_35radix_sort_onesweep_config_selectorIiiEEZZNS1_29radix_sort_onesweep_iterationIS3_Lb0EN6thrust23THRUST_200600_302600_NS6detail15normal_iteratorINS8_10device_ptrIiEEEESD_SD_SD_jNS0_19identity_decomposerENS1_16block_id_wrapperIjLb0EEEEE10hipError_tT1_PNSt15iterator_traitsISI_E10value_typeET2_T3_PNSJ_ISO_E10value_typeET4_T5_PST_SU_PNS1_23onesweep_lookback_stateEbbT6_jjT7_P12ihipStream_tbENKUlT_T0_SI_SN_E_clISD_PiSD_S15_EEDaS11_S12_SI_SN_EUlS11_E_NS1_11comp_targetILNS1_3genE10ELNS1_11target_archE1201ELNS1_3gpuE5ELNS1_3repE0EEENS1_47radix_sort_onesweep_sort_config_static_selectorELNS0_4arch9wavefront6targetE1EEEvSI_,"axG",@progbits,_ZN7rocprim17ROCPRIM_400000_NS6detail17trampoline_kernelINS0_14default_configENS1_35radix_sort_onesweep_config_selectorIiiEEZZNS1_29radix_sort_onesweep_iterationIS3_Lb0EN6thrust23THRUST_200600_302600_NS6detail15normal_iteratorINS8_10device_ptrIiEEEESD_SD_SD_jNS0_19identity_decomposerENS1_16block_id_wrapperIjLb0EEEEE10hipError_tT1_PNSt15iterator_traitsISI_E10value_typeET2_T3_PNSJ_ISO_E10value_typeET4_T5_PST_SU_PNS1_23onesweep_lookback_stateEbbT6_jjT7_P12ihipStream_tbENKUlT_T0_SI_SN_E_clISD_PiSD_S15_EEDaS11_S12_SI_SN_EUlS11_E_NS1_11comp_targetILNS1_3genE10ELNS1_11target_archE1201ELNS1_3gpuE5ELNS1_3repE0EEENS1_47radix_sort_onesweep_sort_config_static_selectorELNS0_4arch9wavefront6targetE1EEEvSI_,comdat
.Lfunc_end864:
	.size	_ZN7rocprim17ROCPRIM_400000_NS6detail17trampoline_kernelINS0_14default_configENS1_35radix_sort_onesweep_config_selectorIiiEEZZNS1_29radix_sort_onesweep_iterationIS3_Lb0EN6thrust23THRUST_200600_302600_NS6detail15normal_iteratorINS8_10device_ptrIiEEEESD_SD_SD_jNS0_19identity_decomposerENS1_16block_id_wrapperIjLb0EEEEE10hipError_tT1_PNSt15iterator_traitsISI_E10value_typeET2_T3_PNSJ_ISO_E10value_typeET4_T5_PST_SU_PNS1_23onesweep_lookback_stateEbbT6_jjT7_P12ihipStream_tbENKUlT_T0_SI_SN_E_clISD_PiSD_S15_EEDaS11_S12_SI_SN_EUlS11_E_NS1_11comp_targetILNS1_3genE10ELNS1_11target_archE1201ELNS1_3gpuE5ELNS1_3repE0EEENS1_47radix_sort_onesweep_sort_config_static_selectorELNS0_4arch9wavefront6targetE1EEEvSI_, .Lfunc_end864-_ZN7rocprim17ROCPRIM_400000_NS6detail17trampoline_kernelINS0_14default_configENS1_35radix_sort_onesweep_config_selectorIiiEEZZNS1_29radix_sort_onesweep_iterationIS3_Lb0EN6thrust23THRUST_200600_302600_NS6detail15normal_iteratorINS8_10device_ptrIiEEEESD_SD_SD_jNS0_19identity_decomposerENS1_16block_id_wrapperIjLb0EEEEE10hipError_tT1_PNSt15iterator_traitsISI_E10value_typeET2_T3_PNSJ_ISO_E10value_typeET4_T5_PST_SU_PNS1_23onesweep_lookback_stateEbbT6_jjT7_P12ihipStream_tbENKUlT_T0_SI_SN_E_clISD_PiSD_S15_EEDaS11_S12_SI_SN_EUlS11_E_NS1_11comp_targetILNS1_3genE10ELNS1_11target_archE1201ELNS1_3gpuE5ELNS1_3repE0EEENS1_47radix_sort_onesweep_sort_config_static_selectorELNS0_4arch9wavefront6targetE1EEEvSI_
                                        ; -- End function
	.set _ZN7rocprim17ROCPRIM_400000_NS6detail17trampoline_kernelINS0_14default_configENS1_35radix_sort_onesweep_config_selectorIiiEEZZNS1_29radix_sort_onesweep_iterationIS3_Lb0EN6thrust23THRUST_200600_302600_NS6detail15normal_iteratorINS8_10device_ptrIiEEEESD_SD_SD_jNS0_19identity_decomposerENS1_16block_id_wrapperIjLb0EEEEE10hipError_tT1_PNSt15iterator_traitsISI_E10value_typeET2_T3_PNSJ_ISO_E10value_typeET4_T5_PST_SU_PNS1_23onesweep_lookback_stateEbbT6_jjT7_P12ihipStream_tbENKUlT_T0_SI_SN_E_clISD_PiSD_S15_EEDaS11_S12_SI_SN_EUlS11_E_NS1_11comp_targetILNS1_3genE10ELNS1_11target_archE1201ELNS1_3gpuE5ELNS1_3repE0EEENS1_47radix_sort_onesweep_sort_config_static_selectorELNS0_4arch9wavefront6targetE1EEEvSI_.num_vgpr, 0
	.set _ZN7rocprim17ROCPRIM_400000_NS6detail17trampoline_kernelINS0_14default_configENS1_35radix_sort_onesweep_config_selectorIiiEEZZNS1_29radix_sort_onesweep_iterationIS3_Lb0EN6thrust23THRUST_200600_302600_NS6detail15normal_iteratorINS8_10device_ptrIiEEEESD_SD_SD_jNS0_19identity_decomposerENS1_16block_id_wrapperIjLb0EEEEE10hipError_tT1_PNSt15iterator_traitsISI_E10value_typeET2_T3_PNSJ_ISO_E10value_typeET4_T5_PST_SU_PNS1_23onesweep_lookback_stateEbbT6_jjT7_P12ihipStream_tbENKUlT_T0_SI_SN_E_clISD_PiSD_S15_EEDaS11_S12_SI_SN_EUlS11_E_NS1_11comp_targetILNS1_3genE10ELNS1_11target_archE1201ELNS1_3gpuE5ELNS1_3repE0EEENS1_47radix_sort_onesweep_sort_config_static_selectorELNS0_4arch9wavefront6targetE1EEEvSI_.num_agpr, 0
	.set _ZN7rocprim17ROCPRIM_400000_NS6detail17trampoline_kernelINS0_14default_configENS1_35radix_sort_onesweep_config_selectorIiiEEZZNS1_29radix_sort_onesweep_iterationIS3_Lb0EN6thrust23THRUST_200600_302600_NS6detail15normal_iteratorINS8_10device_ptrIiEEEESD_SD_SD_jNS0_19identity_decomposerENS1_16block_id_wrapperIjLb0EEEEE10hipError_tT1_PNSt15iterator_traitsISI_E10value_typeET2_T3_PNSJ_ISO_E10value_typeET4_T5_PST_SU_PNS1_23onesweep_lookback_stateEbbT6_jjT7_P12ihipStream_tbENKUlT_T0_SI_SN_E_clISD_PiSD_S15_EEDaS11_S12_SI_SN_EUlS11_E_NS1_11comp_targetILNS1_3genE10ELNS1_11target_archE1201ELNS1_3gpuE5ELNS1_3repE0EEENS1_47radix_sort_onesweep_sort_config_static_selectorELNS0_4arch9wavefront6targetE1EEEvSI_.numbered_sgpr, 0
	.set _ZN7rocprim17ROCPRIM_400000_NS6detail17trampoline_kernelINS0_14default_configENS1_35radix_sort_onesweep_config_selectorIiiEEZZNS1_29radix_sort_onesweep_iterationIS3_Lb0EN6thrust23THRUST_200600_302600_NS6detail15normal_iteratorINS8_10device_ptrIiEEEESD_SD_SD_jNS0_19identity_decomposerENS1_16block_id_wrapperIjLb0EEEEE10hipError_tT1_PNSt15iterator_traitsISI_E10value_typeET2_T3_PNSJ_ISO_E10value_typeET4_T5_PST_SU_PNS1_23onesweep_lookback_stateEbbT6_jjT7_P12ihipStream_tbENKUlT_T0_SI_SN_E_clISD_PiSD_S15_EEDaS11_S12_SI_SN_EUlS11_E_NS1_11comp_targetILNS1_3genE10ELNS1_11target_archE1201ELNS1_3gpuE5ELNS1_3repE0EEENS1_47radix_sort_onesweep_sort_config_static_selectorELNS0_4arch9wavefront6targetE1EEEvSI_.num_named_barrier, 0
	.set _ZN7rocprim17ROCPRIM_400000_NS6detail17trampoline_kernelINS0_14default_configENS1_35radix_sort_onesweep_config_selectorIiiEEZZNS1_29radix_sort_onesweep_iterationIS3_Lb0EN6thrust23THRUST_200600_302600_NS6detail15normal_iteratorINS8_10device_ptrIiEEEESD_SD_SD_jNS0_19identity_decomposerENS1_16block_id_wrapperIjLb0EEEEE10hipError_tT1_PNSt15iterator_traitsISI_E10value_typeET2_T3_PNSJ_ISO_E10value_typeET4_T5_PST_SU_PNS1_23onesweep_lookback_stateEbbT6_jjT7_P12ihipStream_tbENKUlT_T0_SI_SN_E_clISD_PiSD_S15_EEDaS11_S12_SI_SN_EUlS11_E_NS1_11comp_targetILNS1_3genE10ELNS1_11target_archE1201ELNS1_3gpuE5ELNS1_3repE0EEENS1_47radix_sort_onesweep_sort_config_static_selectorELNS0_4arch9wavefront6targetE1EEEvSI_.private_seg_size, 0
	.set _ZN7rocprim17ROCPRIM_400000_NS6detail17trampoline_kernelINS0_14default_configENS1_35radix_sort_onesweep_config_selectorIiiEEZZNS1_29radix_sort_onesweep_iterationIS3_Lb0EN6thrust23THRUST_200600_302600_NS6detail15normal_iteratorINS8_10device_ptrIiEEEESD_SD_SD_jNS0_19identity_decomposerENS1_16block_id_wrapperIjLb0EEEEE10hipError_tT1_PNSt15iterator_traitsISI_E10value_typeET2_T3_PNSJ_ISO_E10value_typeET4_T5_PST_SU_PNS1_23onesweep_lookback_stateEbbT6_jjT7_P12ihipStream_tbENKUlT_T0_SI_SN_E_clISD_PiSD_S15_EEDaS11_S12_SI_SN_EUlS11_E_NS1_11comp_targetILNS1_3genE10ELNS1_11target_archE1201ELNS1_3gpuE5ELNS1_3repE0EEENS1_47radix_sort_onesweep_sort_config_static_selectorELNS0_4arch9wavefront6targetE1EEEvSI_.uses_vcc, 0
	.set _ZN7rocprim17ROCPRIM_400000_NS6detail17trampoline_kernelINS0_14default_configENS1_35radix_sort_onesweep_config_selectorIiiEEZZNS1_29radix_sort_onesweep_iterationIS3_Lb0EN6thrust23THRUST_200600_302600_NS6detail15normal_iteratorINS8_10device_ptrIiEEEESD_SD_SD_jNS0_19identity_decomposerENS1_16block_id_wrapperIjLb0EEEEE10hipError_tT1_PNSt15iterator_traitsISI_E10value_typeET2_T3_PNSJ_ISO_E10value_typeET4_T5_PST_SU_PNS1_23onesweep_lookback_stateEbbT6_jjT7_P12ihipStream_tbENKUlT_T0_SI_SN_E_clISD_PiSD_S15_EEDaS11_S12_SI_SN_EUlS11_E_NS1_11comp_targetILNS1_3genE10ELNS1_11target_archE1201ELNS1_3gpuE5ELNS1_3repE0EEENS1_47radix_sort_onesweep_sort_config_static_selectorELNS0_4arch9wavefront6targetE1EEEvSI_.uses_flat_scratch, 0
	.set _ZN7rocprim17ROCPRIM_400000_NS6detail17trampoline_kernelINS0_14default_configENS1_35radix_sort_onesweep_config_selectorIiiEEZZNS1_29radix_sort_onesweep_iterationIS3_Lb0EN6thrust23THRUST_200600_302600_NS6detail15normal_iteratorINS8_10device_ptrIiEEEESD_SD_SD_jNS0_19identity_decomposerENS1_16block_id_wrapperIjLb0EEEEE10hipError_tT1_PNSt15iterator_traitsISI_E10value_typeET2_T3_PNSJ_ISO_E10value_typeET4_T5_PST_SU_PNS1_23onesweep_lookback_stateEbbT6_jjT7_P12ihipStream_tbENKUlT_T0_SI_SN_E_clISD_PiSD_S15_EEDaS11_S12_SI_SN_EUlS11_E_NS1_11comp_targetILNS1_3genE10ELNS1_11target_archE1201ELNS1_3gpuE5ELNS1_3repE0EEENS1_47radix_sort_onesweep_sort_config_static_selectorELNS0_4arch9wavefront6targetE1EEEvSI_.has_dyn_sized_stack, 0
	.set _ZN7rocprim17ROCPRIM_400000_NS6detail17trampoline_kernelINS0_14default_configENS1_35radix_sort_onesweep_config_selectorIiiEEZZNS1_29radix_sort_onesweep_iterationIS3_Lb0EN6thrust23THRUST_200600_302600_NS6detail15normal_iteratorINS8_10device_ptrIiEEEESD_SD_SD_jNS0_19identity_decomposerENS1_16block_id_wrapperIjLb0EEEEE10hipError_tT1_PNSt15iterator_traitsISI_E10value_typeET2_T3_PNSJ_ISO_E10value_typeET4_T5_PST_SU_PNS1_23onesweep_lookback_stateEbbT6_jjT7_P12ihipStream_tbENKUlT_T0_SI_SN_E_clISD_PiSD_S15_EEDaS11_S12_SI_SN_EUlS11_E_NS1_11comp_targetILNS1_3genE10ELNS1_11target_archE1201ELNS1_3gpuE5ELNS1_3repE0EEENS1_47radix_sort_onesweep_sort_config_static_selectorELNS0_4arch9wavefront6targetE1EEEvSI_.has_recursion, 0
	.set _ZN7rocprim17ROCPRIM_400000_NS6detail17trampoline_kernelINS0_14default_configENS1_35radix_sort_onesweep_config_selectorIiiEEZZNS1_29radix_sort_onesweep_iterationIS3_Lb0EN6thrust23THRUST_200600_302600_NS6detail15normal_iteratorINS8_10device_ptrIiEEEESD_SD_SD_jNS0_19identity_decomposerENS1_16block_id_wrapperIjLb0EEEEE10hipError_tT1_PNSt15iterator_traitsISI_E10value_typeET2_T3_PNSJ_ISO_E10value_typeET4_T5_PST_SU_PNS1_23onesweep_lookback_stateEbbT6_jjT7_P12ihipStream_tbENKUlT_T0_SI_SN_E_clISD_PiSD_S15_EEDaS11_S12_SI_SN_EUlS11_E_NS1_11comp_targetILNS1_3genE10ELNS1_11target_archE1201ELNS1_3gpuE5ELNS1_3repE0EEENS1_47radix_sort_onesweep_sort_config_static_selectorELNS0_4arch9wavefront6targetE1EEEvSI_.has_indirect_call, 0
	.section	.AMDGPU.csdata,"",@progbits
; Kernel info:
; codeLenInByte = 0
; TotalNumSgprs: 6
; NumVgprs: 0
; NumAgprs: 0
; TotalNumVgprs: 0
; ScratchSize: 0
; MemoryBound: 0
; FloatMode: 240
; IeeeMode: 1
; LDSByteSize: 0 bytes/workgroup (compile time only)
; SGPRBlocks: 0
; VGPRBlocks: 0
; NumSGPRsForWavesPerEU: 6
; NumVGPRsForWavesPerEU: 1
; AccumOffset: 4
; Occupancy: 8
; WaveLimiterHint : 0
; COMPUTE_PGM_RSRC2:SCRATCH_EN: 0
; COMPUTE_PGM_RSRC2:USER_SGPR: 2
; COMPUTE_PGM_RSRC2:TRAP_HANDLER: 0
; COMPUTE_PGM_RSRC2:TGID_X_EN: 1
; COMPUTE_PGM_RSRC2:TGID_Y_EN: 0
; COMPUTE_PGM_RSRC2:TGID_Z_EN: 0
; COMPUTE_PGM_RSRC2:TIDIG_COMP_CNT: 0
; COMPUTE_PGM_RSRC3_GFX90A:ACCUM_OFFSET: 0
; COMPUTE_PGM_RSRC3_GFX90A:TG_SPLIT: 0
	.section	.text._ZN7rocprim17ROCPRIM_400000_NS6detail17trampoline_kernelINS0_14default_configENS1_35radix_sort_onesweep_config_selectorIiiEEZZNS1_29radix_sort_onesweep_iterationIS3_Lb0EN6thrust23THRUST_200600_302600_NS6detail15normal_iteratorINS8_10device_ptrIiEEEESD_SD_SD_jNS0_19identity_decomposerENS1_16block_id_wrapperIjLb0EEEEE10hipError_tT1_PNSt15iterator_traitsISI_E10value_typeET2_T3_PNSJ_ISO_E10value_typeET4_T5_PST_SU_PNS1_23onesweep_lookback_stateEbbT6_jjT7_P12ihipStream_tbENKUlT_T0_SI_SN_E_clISD_PiSD_S15_EEDaS11_S12_SI_SN_EUlS11_E_NS1_11comp_targetILNS1_3genE9ELNS1_11target_archE1100ELNS1_3gpuE3ELNS1_3repE0EEENS1_47radix_sort_onesweep_sort_config_static_selectorELNS0_4arch9wavefront6targetE1EEEvSI_,"axG",@progbits,_ZN7rocprim17ROCPRIM_400000_NS6detail17trampoline_kernelINS0_14default_configENS1_35radix_sort_onesweep_config_selectorIiiEEZZNS1_29radix_sort_onesweep_iterationIS3_Lb0EN6thrust23THRUST_200600_302600_NS6detail15normal_iteratorINS8_10device_ptrIiEEEESD_SD_SD_jNS0_19identity_decomposerENS1_16block_id_wrapperIjLb0EEEEE10hipError_tT1_PNSt15iterator_traitsISI_E10value_typeET2_T3_PNSJ_ISO_E10value_typeET4_T5_PST_SU_PNS1_23onesweep_lookback_stateEbbT6_jjT7_P12ihipStream_tbENKUlT_T0_SI_SN_E_clISD_PiSD_S15_EEDaS11_S12_SI_SN_EUlS11_E_NS1_11comp_targetILNS1_3genE9ELNS1_11target_archE1100ELNS1_3gpuE3ELNS1_3repE0EEENS1_47radix_sort_onesweep_sort_config_static_selectorELNS0_4arch9wavefront6targetE1EEEvSI_,comdat
	.protected	_ZN7rocprim17ROCPRIM_400000_NS6detail17trampoline_kernelINS0_14default_configENS1_35radix_sort_onesweep_config_selectorIiiEEZZNS1_29radix_sort_onesweep_iterationIS3_Lb0EN6thrust23THRUST_200600_302600_NS6detail15normal_iteratorINS8_10device_ptrIiEEEESD_SD_SD_jNS0_19identity_decomposerENS1_16block_id_wrapperIjLb0EEEEE10hipError_tT1_PNSt15iterator_traitsISI_E10value_typeET2_T3_PNSJ_ISO_E10value_typeET4_T5_PST_SU_PNS1_23onesweep_lookback_stateEbbT6_jjT7_P12ihipStream_tbENKUlT_T0_SI_SN_E_clISD_PiSD_S15_EEDaS11_S12_SI_SN_EUlS11_E_NS1_11comp_targetILNS1_3genE9ELNS1_11target_archE1100ELNS1_3gpuE3ELNS1_3repE0EEENS1_47radix_sort_onesweep_sort_config_static_selectorELNS0_4arch9wavefront6targetE1EEEvSI_ ; -- Begin function _ZN7rocprim17ROCPRIM_400000_NS6detail17trampoline_kernelINS0_14default_configENS1_35radix_sort_onesweep_config_selectorIiiEEZZNS1_29radix_sort_onesweep_iterationIS3_Lb0EN6thrust23THRUST_200600_302600_NS6detail15normal_iteratorINS8_10device_ptrIiEEEESD_SD_SD_jNS0_19identity_decomposerENS1_16block_id_wrapperIjLb0EEEEE10hipError_tT1_PNSt15iterator_traitsISI_E10value_typeET2_T3_PNSJ_ISO_E10value_typeET4_T5_PST_SU_PNS1_23onesweep_lookback_stateEbbT6_jjT7_P12ihipStream_tbENKUlT_T0_SI_SN_E_clISD_PiSD_S15_EEDaS11_S12_SI_SN_EUlS11_E_NS1_11comp_targetILNS1_3genE9ELNS1_11target_archE1100ELNS1_3gpuE3ELNS1_3repE0EEENS1_47radix_sort_onesweep_sort_config_static_selectorELNS0_4arch9wavefront6targetE1EEEvSI_
	.globl	_ZN7rocprim17ROCPRIM_400000_NS6detail17trampoline_kernelINS0_14default_configENS1_35radix_sort_onesweep_config_selectorIiiEEZZNS1_29radix_sort_onesweep_iterationIS3_Lb0EN6thrust23THRUST_200600_302600_NS6detail15normal_iteratorINS8_10device_ptrIiEEEESD_SD_SD_jNS0_19identity_decomposerENS1_16block_id_wrapperIjLb0EEEEE10hipError_tT1_PNSt15iterator_traitsISI_E10value_typeET2_T3_PNSJ_ISO_E10value_typeET4_T5_PST_SU_PNS1_23onesweep_lookback_stateEbbT6_jjT7_P12ihipStream_tbENKUlT_T0_SI_SN_E_clISD_PiSD_S15_EEDaS11_S12_SI_SN_EUlS11_E_NS1_11comp_targetILNS1_3genE9ELNS1_11target_archE1100ELNS1_3gpuE3ELNS1_3repE0EEENS1_47radix_sort_onesweep_sort_config_static_selectorELNS0_4arch9wavefront6targetE1EEEvSI_
	.p2align	8
	.type	_ZN7rocprim17ROCPRIM_400000_NS6detail17trampoline_kernelINS0_14default_configENS1_35radix_sort_onesweep_config_selectorIiiEEZZNS1_29radix_sort_onesweep_iterationIS3_Lb0EN6thrust23THRUST_200600_302600_NS6detail15normal_iteratorINS8_10device_ptrIiEEEESD_SD_SD_jNS0_19identity_decomposerENS1_16block_id_wrapperIjLb0EEEEE10hipError_tT1_PNSt15iterator_traitsISI_E10value_typeET2_T3_PNSJ_ISO_E10value_typeET4_T5_PST_SU_PNS1_23onesweep_lookback_stateEbbT6_jjT7_P12ihipStream_tbENKUlT_T0_SI_SN_E_clISD_PiSD_S15_EEDaS11_S12_SI_SN_EUlS11_E_NS1_11comp_targetILNS1_3genE9ELNS1_11target_archE1100ELNS1_3gpuE3ELNS1_3repE0EEENS1_47radix_sort_onesweep_sort_config_static_selectorELNS0_4arch9wavefront6targetE1EEEvSI_,@function
_ZN7rocprim17ROCPRIM_400000_NS6detail17trampoline_kernelINS0_14default_configENS1_35radix_sort_onesweep_config_selectorIiiEEZZNS1_29radix_sort_onesweep_iterationIS3_Lb0EN6thrust23THRUST_200600_302600_NS6detail15normal_iteratorINS8_10device_ptrIiEEEESD_SD_SD_jNS0_19identity_decomposerENS1_16block_id_wrapperIjLb0EEEEE10hipError_tT1_PNSt15iterator_traitsISI_E10value_typeET2_T3_PNSJ_ISO_E10value_typeET4_T5_PST_SU_PNS1_23onesweep_lookback_stateEbbT6_jjT7_P12ihipStream_tbENKUlT_T0_SI_SN_E_clISD_PiSD_S15_EEDaS11_S12_SI_SN_EUlS11_E_NS1_11comp_targetILNS1_3genE9ELNS1_11target_archE1100ELNS1_3gpuE3ELNS1_3repE0EEENS1_47radix_sort_onesweep_sort_config_static_selectorELNS0_4arch9wavefront6targetE1EEEvSI_: ; @_ZN7rocprim17ROCPRIM_400000_NS6detail17trampoline_kernelINS0_14default_configENS1_35radix_sort_onesweep_config_selectorIiiEEZZNS1_29radix_sort_onesweep_iterationIS3_Lb0EN6thrust23THRUST_200600_302600_NS6detail15normal_iteratorINS8_10device_ptrIiEEEESD_SD_SD_jNS0_19identity_decomposerENS1_16block_id_wrapperIjLb0EEEEE10hipError_tT1_PNSt15iterator_traitsISI_E10value_typeET2_T3_PNSJ_ISO_E10value_typeET4_T5_PST_SU_PNS1_23onesweep_lookback_stateEbbT6_jjT7_P12ihipStream_tbENKUlT_T0_SI_SN_E_clISD_PiSD_S15_EEDaS11_S12_SI_SN_EUlS11_E_NS1_11comp_targetILNS1_3genE9ELNS1_11target_archE1100ELNS1_3gpuE3ELNS1_3repE0EEENS1_47radix_sort_onesweep_sort_config_static_selectorELNS0_4arch9wavefront6targetE1EEEvSI_
; %bb.0:
	.section	.rodata,"a",@progbits
	.p2align	6, 0x0
	.amdhsa_kernel _ZN7rocprim17ROCPRIM_400000_NS6detail17trampoline_kernelINS0_14default_configENS1_35radix_sort_onesweep_config_selectorIiiEEZZNS1_29radix_sort_onesweep_iterationIS3_Lb0EN6thrust23THRUST_200600_302600_NS6detail15normal_iteratorINS8_10device_ptrIiEEEESD_SD_SD_jNS0_19identity_decomposerENS1_16block_id_wrapperIjLb0EEEEE10hipError_tT1_PNSt15iterator_traitsISI_E10value_typeET2_T3_PNSJ_ISO_E10value_typeET4_T5_PST_SU_PNS1_23onesweep_lookback_stateEbbT6_jjT7_P12ihipStream_tbENKUlT_T0_SI_SN_E_clISD_PiSD_S15_EEDaS11_S12_SI_SN_EUlS11_E_NS1_11comp_targetILNS1_3genE9ELNS1_11target_archE1100ELNS1_3gpuE3ELNS1_3repE0EEENS1_47radix_sort_onesweep_sort_config_static_selectorELNS0_4arch9wavefront6targetE1EEEvSI_
		.amdhsa_group_segment_fixed_size 0
		.amdhsa_private_segment_fixed_size 0
		.amdhsa_kernarg_size 88
		.amdhsa_user_sgpr_count 2
		.amdhsa_user_sgpr_dispatch_ptr 0
		.amdhsa_user_sgpr_queue_ptr 0
		.amdhsa_user_sgpr_kernarg_segment_ptr 1
		.amdhsa_user_sgpr_dispatch_id 0
		.amdhsa_user_sgpr_kernarg_preload_length 0
		.amdhsa_user_sgpr_kernarg_preload_offset 0
		.amdhsa_user_sgpr_private_segment_size 0
		.amdhsa_uses_dynamic_stack 0
		.amdhsa_enable_private_segment 0
		.amdhsa_system_sgpr_workgroup_id_x 1
		.amdhsa_system_sgpr_workgroup_id_y 0
		.amdhsa_system_sgpr_workgroup_id_z 0
		.amdhsa_system_sgpr_workgroup_info 0
		.amdhsa_system_vgpr_workitem_id 0
		.amdhsa_next_free_vgpr 1
		.amdhsa_next_free_sgpr 0
		.amdhsa_accum_offset 4
		.amdhsa_reserve_vcc 0
		.amdhsa_float_round_mode_32 0
		.amdhsa_float_round_mode_16_64 0
		.amdhsa_float_denorm_mode_32 3
		.amdhsa_float_denorm_mode_16_64 3
		.amdhsa_dx10_clamp 1
		.amdhsa_ieee_mode 1
		.amdhsa_fp16_overflow 0
		.amdhsa_tg_split 0
		.amdhsa_exception_fp_ieee_invalid_op 0
		.amdhsa_exception_fp_denorm_src 0
		.amdhsa_exception_fp_ieee_div_zero 0
		.amdhsa_exception_fp_ieee_overflow 0
		.amdhsa_exception_fp_ieee_underflow 0
		.amdhsa_exception_fp_ieee_inexact 0
		.amdhsa_exception_int_div_zero 0
	.end_amdhsa_kernel
	.section	.text._ZN7rocprim17ROCPRIM_400000_NS6detail17trampoline_kernelINS0_14default_configENS1_35radix_sort_onesweep_config_selectorIiiEEZZNS1_29radix_sort_onesweep_iterationIS3_Lb0EN6thrust23THRUST_200600_302600_NS6detail15normal_iteratorINS8_10device_ptrIiEEEESD_SD_SD_jNS0_19identity_decomposerENS1_16block_id_wrapperIjLb0EEEEE10hipError_tT1_PNSt15iterator_traitsISI_E10value_typeET2_T3_PNSJ_ISO_E10value_typeET4_T5_PST_SU_PNS1_23onesweep_lookback_stateEbbT6_jjT7_P12ihipStream_tbENKUlT_T0_SI_SN_E_clISD_PiSD_S15_EEDaS11_S12_SI_SN_EUlS11_E_NS1_11comp_targetILNS1_3genE9ELNS1_11target_archE1100ELNS1_3gpuE3ELNS1_3repE0EEENS1_47radix_sort_onesweep_sort_config_static_selectorELNS0_4arch9wavefront6targetE1EEEvSI_,"axG",@progbits,_ZN7rocprim17ROCPRIM_400000_NS6detail17trampoline_kernelINS0_14default_configENS1_35radix_sort_onesweep_config_selectorIiiEEZZNS1_29radix_sort_onesweep_iterationIS3_Lb0EN6thrust23THRUST_200600_302600_NS6detail15normal_iteratorINS8_10device_ptrIiEEEESD_SD_SD_jNS0_19identity_decomposerENS1_16block_id_wrapperIjLb0EEEEE10hipError_tT1_PNSt15iterator_traitsISI_E10value_typeET2_T3_PNSJ_ISO_E10value_typeET4_T5_PST_SU_PNS1_23onesweep_lookback_stateEbbT6_jjT7_P12ihipStream_tbENKUlT_T0_SI_SN_E_clISD_PiSD_S15_EEDaS11_S12_SI_SN_EUlS11_E_NS1_11comp_targetILNS1_3genE9ELNS1_11target_archE1100ELNS1_3gpuE3ELNS1_3repE0EEENS1_47radix_sort_onesweep_sort_config_static_selectorELNS0_4arch9wavefront6targetE1EEEvSI_,comdat
.Lfunc_end865:
	.size	_ZN7rocprim17ROCPRIM_400000_NS6detail17trampoline_kernelINS0_14default_configENS1_35radix_sort_onesweep_config_selectorIiiEEZZNS1_29radix_sort_onesweep_iterationIS3_Lb0EN6thrust23THRUST_200600_302600_NS6detail15normal_iteratorINS8_10device_ptrIiEEEESD_SD_SD_jNS0_19identity_decomposerENS1_16block_id_wrapperIjLb0EEEEE10hipError_tT1_PNSt15iterator_traitsISI_E10value_typeET2_T3_PNSJ_ISO_E10value_typeET4_T5_PST_SU_PNS1_23onesweep_lookback_stateEbbT6_jjT7_P12ihipStream_tbENKUlT_T0_SI_SN_E_clISD_PiSD_S15_EEDaS11_S12_SI_SN_EUlS11_E_NS1_11comp_targetILNS1_3genE9ELNS1_11target_archE1100ELNS1_3gpuE3ELNS1_3repE0EEENS1_47radix_sort_onesweep_sort_config_static_selectorELNS0_4arch9wavefront6targetE1EEEvSI_, .Lfunc_end865-_ZN7rocprim17ROCPRIM_400000_NS6detail17trampoline_kernelINS0_14default_configENS1_35radix_sort_onesweep_config_selectorIiiEEZZNS1_29radix_sort_onesweep_iterationIS3_Lb0EN6thrust23THRUST_200600_302600_NS6detail15normal_iteratorINS8_10device_ptrIiEEEESD_SD_SD_jNS0_19identity_decomposerENS1_16block_id_wrapperIjLb0EEEEE10hipError_tT1_PNSt15iterator_traitsISI_E10value_typeET2_T3_PNSJ_ISO_E10value_typeET4_T5_PST_SU_PNS1_23onesweep_lookback_stateEbbT6_jjT7_P12ihipStream_tbENKUlT_T0_SI_SN_E_clISD_PiSD_S15_EEDaS11_S12_SI_SN_EUlS11_E_NS1_11comp_targetILNS1_3genE9ELNS1_11target_archE1100ELNS1_3gpuE3ELNS1_3repE0EEENS1_47radix_sort_onesweep_sort_config_static_selectorELNS0_4arch9wavefront6targetE1EEEvSI_
                                        ; -- End function
	.set _ZN7rocprim17ROCPRIM_400000_NS6detail17trampoline_kernelINS0_14default_configENS1_35radix_sort_onesweep_config_selectorIiiEEZZNS1_29radix_sort_onesweep_iterationIS3_Lb0EN6thrust23THRUST_200600_302600_NS6detail15normal_iteratorINS8_10device_ptrIiEEEESD_SD_SD_jNS0_19identity_decomposerENS1_16block_id_wrapperIjLb0EEEEE10hipError_tT1_PNSt15iterator_traitsISI_E10value_typeET2_T3_PNSJ_ISO_E10value_typeET4_T5_PST_SU_PNS1_23onesweep_lookback_stateEbbT6_jjT7_P12ihipStream_tbENKUlT_T0_SI_SN_E_clISD_PiSD_S15_EEDaS11_S12_SI_SN_EUlS11_E_NS1_11comp_targetILNS1_3genE9ELNS1_11target_archE1100ELNS1_3gpuE3ELNS1_3repE0EEENS1_47radix_sort_onesweep_sort_config_static_selectorELNS0_4arch9wavefront6targetE1EEEvSI_.num_vgpr, 0
	.set _ZN7rocprim17ROCPRIM_400000_NS6detail17trampoline_kernelINS0_14default_configENS1_35radix_sort_onesweep_config_selectorIiiEEZZNS1_29radix_sort_onesweep_iterationIS3_Lb0EN6thrust23THRUST_200600_302600_NS6detail15normal_iteratorINS8_10device_ptrIiEEEESD_SD_SD_jNS0_19identity_decomposerENS1_16block_id_wrapperIjLb0EEEEE10hipError_tT1_PNSt15iterator_traitsISI_E10value_typeET2_T3_PNSJ_ISO_E10value_typeET4_T5_PST_SU_PNS1_23onesweep_lookback_stateEbbT6_jjT7_P12ihipStream_tbENKUlT_T0_SI_SN_E_clISD_PiSD_S15_EEDaS11_S12_SI_SN_EUlS11_E_NS1_11comp_targetILNS1_3genE9ELNS1_11target_archE1100ELNS1_3gpuE3ELNS1_3repE0EEENS1_47radix_sort_onesweep_sort_config_static_selectorELNS0_4arch9wavefront6targetE1EEEvSI_.num_agpr, 0
	.set _ZN7rocprim17ROCPRIM_400000_NS6detail17trampoline_kernelINS0_14default_configENS1_35radix_sort_onesweep_config_selectorIiiEEZZNS1_29radix_sort_onesweep_iterationIS3_Lb0EN6thrust23THRUST_200600_302600_NS6detail15normal_iteratorINS8_10device_ptrIiEEEESD_SD_SD_jNS0_19identity_decomposerENS1_16block_id_wrapperIjLb0EEEEE10hipError_tT1_PNSt15iterator_traitsISI_E10value_typeET2_T3_PNSJ_ISO_E10value_typeET4_T5_PST_SU_PNS1_23onesweep_lookback_stateEbbT6_jjT7_P12ihipStream_tbENKUlT_T0_SI_SN_E_clISD_PiSD_S15_EEDaS11_S12_SI_SN_EUlS11_E_NS1_11comp_targetILNS1_3genE9ELNS1_11target_archE1100ELNS1_3gpuE3ELNS1_3repE0EEENS1_47radix_sort_onesweep_sort_config_static_selectorELNS0_4arch9wavefront6targetE1EEEvSI_.numbered_sgpr, 0
	.set _ZN7rocprim17ROCPRIM_400000_NS6detail17trampoline_kernelINS0_14default_configENS1_35radix_sort_onesweep_config_selectorIiiEEZZNS1_29radix_sort_onesweep_iterationIS3_Lb0EN6thrust23THRUST_200600_302600_NS6detail15normal_iteratorINS8_10device_ptrIiEEEESD_SD_SD_jNS0_19identity_decomposerENS1_16block_id_wrapperIjLb0EEEEE10hipError_tT1_PNSt15iterator_traitsISI_E10value_typeET2_T3_PNSJ_ISO_E10value_typeET4_T5_PST_SU_PNS1_23onesweep_lookback_stateEbbT6_jjT7_P12ihipStream_tbENKUlT_T0_SI_SN_E_clISD_PiSD_S15_EEDaS11_S12_SI_SN_EUlS11_E_NS1_11comp_targetILNS1_3genE9ELNS1_11target_archE1100ELNS1_3gpuE3ELNS1_3repE0EEENS1_47radix_sort_onesweep_sort_config_static_selectorELNS0_4arch9wavefront6targetE1EEEvSI_.num_named_barrier, 0
	.set _ZN7rocprim17ROCPRIM_400000_NS6detail17trampoline_kernelINS0_14default_configENS1_35radix_sort_onesweep_config_selectorIiiEEZZNS1_29radix_sort_onesweep_iterationIS3_Lb0EN6thrust23THRUST_200600_302600_NS6detail15normal_iteratorINS8_10device_ptrIiEEEESD_SD_SD_jNS0_19identity_decomposerENS1_16block_id_wrapperIjLb0EEEEE10hipError_tT1_PNSt15iterator_traitsISI_E10value_typeET2_T3_PNSJ_ISO_E10value_typeET4_T5_PST_SU_PNS1_23onesweep_lookback_stateEbbT6_jjT7_P12ihipStream_tbENKUlT_T0_SI_SN_E_clISD_PiSD_S15_EEDaS11_S12_SI_SN_EUlS11_E_NS1_11comp_targetILNS1_3genE9ELNS1_11target_archE1100ELNS1_3gpuE3ELNS1_3repE0EEENS1_47radix_sort_onesweep_sort_config_static_selectorELNS0_4arch9wavefront6targetE1EEEvSI_.private_seg_size, 0
	.set _ZN7rocprim17ROCPRIM_400000_NS6detail17trampoline_kernelINS0_14default_configENS1_35radix_sort_onesweep_config_selectorIiiEEZZNS1_29radix_sort_onesweep_iterationIS3_Lb0EN6thrust23THRUST_200600_302600_NS6detail15normal_iteratorINS8_10device_ptrIiEEEESD_SD_SD_jNS0_19identity_decomposerENS1_16block_id_wrapperIjLb0EEEEE10hipError_tT1_PNSt15iterator_traitsISI_E10value_typeET2_T3_PNSJ_ISO_E10value_typeET4_T5_PST_SU_PNS1_23onesweep_lookback_stateEbbT6_jjT7_P12ihipStream_tbENKUlT_T0_SI_SN_E_clISD_PiSD_S15_EEDaS11_S12_SI_SN_EUlS11_E_NS1_11comp_targetILNS1_3genE9ELNS1_11target_archE1100ELNS1_3gpuE3ELNS1_3repE0EEENS1_47radix_sort_onesweep_sort_config_static_selectorELNS0_4arch9wavefront6targetE1EEEvSI_.uses_vcc, 0
	.set _ZN7rocprim17ROCPRIM_400000_NS6detail17trampoline_kernelINS0_14default_configENS1_35radix_sort_onesweep_config_selectorIiiEEZZNS1_29radix_sort_onesweep_iterationIS3_Lb0EN6thrust23THRUST_200600_302600_NS6detail15normal_iteratorINS8_10device_ptrIiEEEESD_SD_SD_jNS0_19identity_decomposerENS1_16block_id_wrapperIjLb0EEEEE10hipError_tT1_PNSt15iterator_traitsISI_E10value_typeET2_T3_PNSJ_ISO_E10value_typeET4_T5_PST_SU_PNS1_23onesweep_lookback_stateEbbT6_jjT7_P12ihipStream_tbENKUlT_T0_SI_SN_E_clISD_PiSD_S15_EEDaS11_S12_SI_SN_EUlS11_E_NS1_11comp_targetILNS1_3genE9ELNS1_11target_archE1100ELNS1_3gpuE3ELNS1_3repE0EEENS1_47radix_sort_onesweep_sort_config_static_selectorELNS0_4arch9wavefront6targetE1EEEvSI_.uses_flat_scratch, 0
	.set _ZN7rocprim17ROCPRIM_400000_NS6detail17trampoline_kernelINS0_14default_configENS1_35radix_sort_onesweep_config_selectorIiiEEZZNS1_29radix_sort_onesweep_iterationIS3_Lb0EN6thrust23THRUST_200600_302600_NS6detail15normal_iteratorINS8_10device_ptrIiEEEESD_SD_SD_jNS0_19identity_decomposerENS1_16block_id_wrapperIjLb0EEEEE10hipError_tT1_PNSt15iterator_traitsISI_E10value_typeET2_T3_PNSJ_ISO_E10value_typeET4_T5_PST_SU_PNS1_23onesweep_lookback_stateEbbT6_jjT7_P12ihipStream_tbENKUlT_T0_SI_SN_E_clISD_PiSD_S15_EEDaS11_S12_SI_SN_EUlS11_E_NS1_11comp_targetILNS1_3genE9ELNS1_11target_archE1100ELNS1_3gpuE3ELNS1_3repE0EEENS1_47radix_sort_onesweep_sort_config_static_selectorELNS0_4arch9wavefront6targetE1EEEvSI_.has_dyn_sized_stack, 0
	.set _ZN7rocprim17ROCPRIM_400000_NS6detail17trampoline_kernelINS0_14default_configENS1_35radix_sort_onesweep_config_selectorIiiEEZZNS1_29radix_sort_onesweep_iterationIS3_Lb0EN6thrust23THRUST_200600_302600_NS6detail15normal_iteratorINS8_10device_ptrIiEEEESD_SD_SD_jNS0_19identity_decomposerENS1_16block_id_wrapperIjLb0EEEEE10hipError_tT1_PNSt15iterator_traitsISI_E10value_typeET2_T3_PNSJ_ISO_E10value_typeET4_T5_PST_SU_PNS1_23onesweep_lookback_stateEbbT6_jjT7_P12ihipStream_tbENKUlT_T0_SI_SN_E_clISD_PiSD_S15_EEDaS11_S12_SI_SN_EUlS11_E_NS1_11comp_targetILNS1_3genE9ELNS1_11target_archE1100ELNS1_3gpuE3ELNS1_3repE0EEENS1_47radix_sort_onesweep_sort_config_static_selectorELNS0_4arch9wavefront6targetE1EEEvSI_.has_recursion, 0
	.set _ZN7rocprim17ROCPRIM_400000_NS6detail17trampoline_kernelINS0_14default_configENS1_35radix_sort_onesweep_config_selectorIiiEEZZNS1_29radix_sort_onesweep_iterationIS3_Lb0EN6thrust23THRUST_200600_302600_NS6detail15normal_iteratorINS8_10device_ptrIiEEEESD_SD_SD_jNS0_19identity_decomposerENS1_16block_id_wrapperIjLb0EEEEE10hipError_tT1_PNSt15iterator_traitsISI_E10value_typeET2_T3_PNSJ_ISO_E10value_typeET4_T5_PST_SU_PNS1_23onesweep_lookback_stateEbbT6_jjT7_P12ihipStream_tbENKUlT_T0_SI_SN_E_clISD_PiSD_S15_EEDaS11_S12_SI_SN_EUlS11_E_NS1_11comp_targetILNS1_3genE9ELNS1_11target_archE1100ELNS1_3gpuE3ELNS1_3repE0EEENS1_47radix_sort_onesweep_sort_config_static_selectorELNS0_4arch9wavefront6targetE1EEEvSI_.has_indirect_call, 0
	.section	.AMDGPU.csdata,"",@progbits
; Kernel info:
; codeLenInByte = 0
; TotalNumSgprs: 6
; NumVgprs: 0
; NumAgprs: 0
; TotalNumVgprs: 0
; ScratchSize: 0
; MemoryBound: 0
; FloatMode: 240
; IeeeMode: 1
; LDSByteSize: 0 bytes/workgroup (compile time only)
; SGPRBlocks: 0
; VGPRBlocks: 0
; NumSGPRsForWavesPerEU: 6
; NumVGPRsForWavesPerEU: 1
; AccumOffset: 4
; Occupancy: 8
; WaveLimiterHint : 0
; COMPUTE_PGM_RSRC2:SCRATCH_EN: 0
; COMPUTE_PGM_RSRC2:USER_SGPR: 2
; COMPUTE_PGM_RSRC2:TRAP_HANDLER: 0
; COMPUTE_PGM_RSRC2:TGID_X_EN: 1
; COMPUTE_PGM_RSRC2:TGID_Y_EN: 0
; COMPUTE_PGM_RSRC2:TGID_Z_EN: 0
; COMPUTE_PGM_RSRC2:TIDIG_COMP_CNT: 0
; COMPUTE_PGM_RSRC3_GFX90A:ACCUM_OFFSET: 0
; COMPUTE_PGM_RSRC3_GFX90A:TG_SPLIT: 0
	.section	.text._ZN7rocprim17ROCPRIM_400000_NS6detail17trampoline_kernelINS0_14default_configENS1_35radix_sort_onesweep_config_selectorIiiEEZZNS1_29radix_sort_onesweep_iterationIS3_Lb0EN6thrust23THRUST_200600_302600_NS6detail15normal_iteratorINS8_10device_ptrIiEEEESD_SD_SD_jNS0_19identity_decomposerENS1_16block_id_wrapperIjLb0EEEEE10hipError_tT1_PNSt15iterator_traitsISI_E10value_typeET2_T3_PNSJ_ISO_E10value_typeET4_T5_PST_SU_PNS1_23onesweep_lookback_stateEbbT6_jjT7_P12ihipStream_tbENKUlT_T0_SI_SN_E_clISD_PiSD_S15_EEDaS11_S12_SI_SN_EUlS11_E_NS1_11comp_targetILNS1_3genE8ELNS1_11target_archE1030ELNS1_3gpuE2ELNS1_3repE0EEENS1_47radix_sort_onesweep_sort_config_static_selectorELNS0_4arch9wavefront6targetE1EEEvSI_,"axG",@progbits,_ZN7rocprim17ROCPRIM_400000_NS6detail17trampoline_kernelINS0_14default_configENS1_35radix_sort_onesweep_config_selectorIiiEEZZNS1_29radix_sort_onesweep_iterationIS3_Lb0EN6thrust23THRUST_200600_302600_NS6detail15normal_iteratorINS8_10device_ptrIiEEEESD_SD_SD_jNS0_19identity_decomposerENS1_16block_id_wrapperIjLb0EEEEE10hipError_tT1_PNSt15iterator_traitsISI_E10value_typeET2_T3_PNSJ_ISO_E10value_typeET4_T5_PST_SU_PNS1_23onesweep_lookback_stateEbbT6_jjT7_P12ihipStream_tbENKUlT_T0_SI_SN_E_clISD_PiSD_S15_EEDaS11_S12_SI_SN_EUlS11_E_NS1_11comp_targetILNS1_3genE8ELNS1_11target_archE1030ELNS1_3gpuE2ELNS1_3repE0EEENS1_47radix_sort_onesweep_sort_config_static_selectorELNS0_4arch9wavefront6targetE1EEEvSI_,comdat
	.protected	_ZN7rocprim17ROCPRIM_400000_NS6detail17trampoline_kernelINS0_14default_configENS1_35radix_sort_onesweep_config_selectorIiiEEZZNS1_29radix_sort_onesweep_iterationIS3_Lb0EN6thrust23THRUST_200600_302600_NS6detail15normal_iteratorINS8_10device_ptrIiEEEESD_SD_SD_jNS0_19identity_decomposerENS1_16block_id_wrapperIjLb0EEEEE10hipError_tT1_PNSt15iterator_traitsISI_E10value_typeET2_T3_PNSJ_ISO_E10value_typeET4_T5_PST_SU_PNS1_23onesweep_lookback_stateEbbT6_jjT7_P12ihipStream_tbENKUlT_T0_SI_SN_E_clISD_PiSD_S15_EEDaS11_S12_SI_SN_EUlS11_E_NS1_11comp_targetILNS1_3genE8ELNS1_11target_archE1030ELNS1_3gpuE2ELNS1_3repE0EEENS1_47radix_sort_onesweep_sort_config_static_selectorELNS0_4arch9wavefront6targetE1EEEvSI_ ; -- Begin function _ZN7rocprim17ROCPRIM_400000_NS6detail17trampoline_kernelINS0_14default_configENS1_35radix_sort_onesweep_config_selectorIiiEEZZNS1_29radix_sort_onesweep_iterationIS3_Lb0EN6thrust23THRUST_200600_302600_NS6detail15normal_iteratorINS8_10device_ptrIiEEEESD_SD_SD_jNS0_19identity_decomposerENS1_16block_id_wrapperIjLb0EEEEE10hipError_tT1_PNSt15iterator_traitsISI_E10value_typeET2_T3_PNSJ_ISO_E10value_typeET4_T5_PST_SU_PNS1_23onesweep_lookback_stateEbbT6_jjT7_P12ihipStream_tbENKUlT_T0_SI_SN_E_clISD_PiSD_S15_EEDaS11_S12_SI_SN_EUlS11_E_NS1_11comp_targetILNS1_3genE8ELNS1_11target_archE1030ELNS1_3gpuE2ELNS1_3repE0EEENS1_47radix_sort_onesweep_sort_config_static_selectorELNS0_4arch9wavefront6targetE1EEEvSI_
	.globl	_ZN7rocprim17ROCPRIM_400000_NS6detail17trampoline_kernelINS0_14default_configENS1_35radix_sort_onesweep_config_selectorIiiEEZZNS1_29radix_sort_onesweep_iterationIS3_Lb0EN6thrust23THRUST_200600_302600_NS6detail15normal_iteratorINS8_10device_ptrIiEEEESD_SD_SD_jNS0_19identity_decomposerENS1_16block_id_wrapperIjLb0EEEEE10hipError_tT1_PNSt15iterator_traitsISI_E10value_typeET2_T3_PNSJ_ISO_E10value_typeET4_T5_PST_SU_PNS1_23onesweep_lookback_stateEbbT6_jjT7_P12ihipStream_tbENKUlT_T0_SI_SN_E_clISD_PiSD_S15_EEDaS11_S12_SI_SN_EUlS11_E_NS1_11comp_targetILNS1_3genE8ELNS1_11target_archE1030ELNS1_3gpuE2ELNS1_3repE0EEENS1_47radix_sort_onesweep_sort_config_static_selectorELNS0_4arch9wavefront6targetE1EEEvSI_
	.p2align	8
	.type	_ZN7rocprim17ROCPRIM_400000_NS6detail17trampoline_kernelINS0_14default_configENS1_35radix_sort_onesweep_config_selectorIiiEEZZNS1_29radix_sort_onesweep_iterationIS3_Lb0EN6thrust23THRUST_200600_302600_NS6detail15normal_iteratorINS8_10device_ptrIiEEEESD_SD_SD_jNS0_19identity_decomposerENS1_16block_id_wrapperIjLb0EEEEE10hipError_tT1_PNSt15iterator_traitsISI_E10value_typeET2_T3_PNSJ_ISO_E10value_typeET4_T5_PST_SU_PNS1_23onesweep_lookback_stateEbbT6_jjT7_P12ihipStream_tbENKUlT_T0_SI_SN_E_clISD_PiSD_S15_EEDaS11_S12_SI_SN_EUlS11_E_NS1_11comp_targetILNS1_3genE8ELNS1_11target_archE1030ELNS1_3gpuE2ELNS1_3repE0EEENS1_47radix_sort_onesweep_sort_config_static_selectorELNS0_4arch9wavefront6targetE1EEEvSI_,@function
_ZN7rocprim17ROCPRIM_400000_NS6detail17trampoline_kernelINS0_14default_configENS1_35radix_sort_onesweep_config_selectorIiiEEZZNS1_29radix_sort_onesweep_iterationIS3_Lb0EN6thrust23THRUST_200600_302600_NS6detail15normal_iteratorINS8_10device_ptrIiEEEESD_SD_SD_jNS0_19identity_decomposerENS1_16block_id_wrapperIjLb0EEEEE10hipError_tT1_PNSt15iterator_traitsISI_E10value_typeET2_T3_PNSJ_ISO_E10value_typeET4_T5_PST_SU_PNS1_23onesweep_lookback_stateEbbT6_jjT7_P12ihipStream_tbENKUlT_T0_SI_SN_E_clISD_PiSD_S15_EEDaS11_S12_SI_SN_EUlS11_E_NS1_11comp_targetILNS1_3genE8ELNS1_11target_archE1030ELNS1_3gpuE2ELNS1_3repE0EEENS1_47radix_sort_onesweep_sort_config_static_selectorELNS0_4arch9wavefront6targetE1EEEvSI_: ; @_ZN7rocprim17ROCPRIM_400000_NS6detail17trampoline_kernelINS0_14default_configENS1_35radix_sort_onesweep_config_selectorIiiEEZZNS1_29radix_sort_onesweep_iterationIS3_Lb0EN6thrust23THRUST_200600_302600_NS6detail15normal_iteratorINS8_10device_ptrIiEEEESD_SD_SD_jNS0_19identity_decomposerENS1_16block_id_wrapperIjLb0EEEEE10hipError_tT1_PNSt15iterator_traitsISI_E10value_typeET2_T3_PNSJ_ISO_E10value_typeET4_T5_PST_SU_PNS1_23onesweep_lookback_stateEbbT6_jjT7_P12ihipStream_tbENKUlT_T0_SI_SN_E_clISD_PiSD_S15_EEDaS11_S12_SI_SN_EUlS11_E_NS1_11comp_targetILNS1_3genE8ELNS1_11target_archE1030ELNS1_3gpuE2ELNS1_3repE0EEENS1_47radix_sort_onesweep_sort_config_static_selectorELNS0_4arch9wavefront6targetE1EEEvSI_
; %bb.0:
	.section	.rodata,"a",@progbits
	.p2align	6, 0x0
	.amdhsa_kernel _ZN7rocprim17ROCPRIM_400000_NS6detail17trampoline_kernelINS0_14default_configENS1_35radix_sort_onesweep_config_selectorIiiEEZZNS1_29radix_sort_onesweep_iterationIS3_Lb0EN6thrust23THRUST_200600_302600_NS6detail15normal_iteratorINS8_10device_ptrIiEEEESD_SD_SD_jNS0_19identity_decomposerENS1_16block_id_wrapperIjLb0EEEEE10hipError_tT1_PNSt15iterator_traitsISI_E10value_typeET2_T3_PNSJ_ISO_E10value_typeET4_T5_PST_SU_PNS1_23onesweep_lookback_stateEbbT6_jjT7_P12ihipStream_tbENKUlT_T0_SI_SN_E_clISD_PiSD_S15_EEDaS11_S12_SI_SN_EUlS11_E_NS1_11comp_targetILNS1_3genE8ELNS1_11target_archE1030ELNS1_3gpuE2ELNS1_3repE0EEENS1_47radix_sort_onesweep_sort_config_static_selectorELNS0_4arch9wavefront6targetE1EEEvSI_
		.amdhsa_group_segment_fixed_size 0
		.amdhsa_private_segment_fixed_size 0
		.amdhsa_kernarg_size 88
		.amdhsa_user_sgpr_count 2
		.amdhsa_user_sgpr_dispatch_ptr 0
		.amdhsa_user_sgpr_queue_ptr 0
		.amdhsa_user_sgpr_kernarg_segment_ptr 1
		.amdhsa_user_sgpr_dispatch_id 0
		.amdhsa_user_sgpr_kernarg_preload_length 0
		.amdhsa_user_sgpr_kernarg_preload_offset 0
		.amdhsa_user_sgpr_private_segment_size 0
		.amdhsa_uses_dynamic_stack 0
		.amdhsa_enable_private_segment 0
		.amdhsa_system_sgpr_workgroup_id_x 1
		.amdhsa_system_sgpr_workgroup_id_y 0
		.amdhsa_system_sgpr_workgroup_id_z 0
		.amdhsa_system_sgpr_workgroup_info 0
		.amdhsa_system_vgpr_workitem_id 0
		.amdhsa_next_free_vgpr 1
		.amdhsa_next_free_sgpr 0
		.amdhsa_accum_offset 4
		.amdhsa_reserve_vcc 0
		.amdhsa_float_round_mode_32 0
		.amdhsa_float_round_mode_16_64 0
		.amdhsa_float_denorm_mode_32 3
		.amdhsa_float_denorm_mode_16_64 3
		.amdhsa_dx10_clamp 1
		.amdhsa_ieee_mode 1
		.amdhsa_fp16_overflow 0
		.amdhsa_tg_split 0
		.amdhsa_exception_fp_ieee_invalid_op 0
		.amdhsa_exception_fp_denorm_src 0
		.amdhsa_exception_fp_ieee_div_zero 0
		.amdhsa_exception_fp_ieee_overflow 0
		.amdhsa_exception_fp_ieee_underflow 0
		.amdhsa_exception_fp_ieee_inexact 0
		.amdhsa_exception_int_div_zero 0
	.end_amdhsa_kernel
	.section	.text._ZN7rocprim17ROCPRIM_400000_NS6detail17trampoline_kernelINS0_14default_configENS1_35radix_sort_onesweep_config_selectorIiiEEZZNS1_29radix_sort_onesweep_iterationIS3_Lb0EN6thrust23THRUST_200600_302600_NS6detail15normal_iteratorINS8_10device_ptrIiEEEESD_SD_SD_jNS0_19identity_decomposerENS1_16block_id_wrapperIjLb0EEEEE10hipError_tT1_PNSt15iterator_traitsISI_E10value_typeET2_T3_PNSJ_ISO_E10value_typeET4_T5_PST_SU_PNS1_23onesweep_lookback_stateEbbT6_jjT7_P12ihipStream_tbENKUlT_T0_SI_SN_E_clISD_PiSD_S15_EEDaS11_S12_SI_SN_EUlS11_E_NS1_11comp_targetILNS1_3genE8ELNS1_11target_archE1030ELNS1_3gpuE2ELNS1_3repE0EEENS1_47radix_sort_onesweep_sort_config_static_selectorELNS0_4arch9wavefront6targetE1EEEvSI_,"axG",@progbits,_ZN7rocprim17ROCPRIM_400000_NS6detail17trampoline_kernelINS0_14default_configENS1_35radix_sort_onesweep_config_selectorIiiEEZZNS1_29radix_sort_onesweep_iterationIS3_Lb0EN6thrust23THRUST_200600_302600_NS6detail15normal_iteratorINS8_10device_ptrIiEEEESD_SD_SD_jNS0_19identity_decomposerENS1_16block_id_wrapperIjLb0EEEEE10hipError_tT1_PNSt15iterator_traitsISI_E10value_typeET2_T3_PNSJ_ISO_E10value_typeET4_T5_PST_SU_PNS1_23onesweep_lookback_stateEbbT6_jjT7_P12ihipStream_tbENKUlT_T0_SI_SN_E_clISD_PiSD_S15_EEDaS11_S12_SI_SN_EUlS11_E_NS1_11comp_targetILNS1_3genE8ELNS1_11target_archE1030ELNS1_3gpuE2ELNS1_3repE0EEENS1_47radix_sort_onesweep_sort_config_static_selectorELNS0_4arch9wavefront6targetE1EEEvSI_,comdat
.Lfunc_end866:
	.size	_ZN7rocprim17ROCPRIM_400000_NS6detail17trampoline_kernelINS0_14default_configENS1_35radix_sort_onesweep_config_selectorIiiEEZZNS1_29radix_sort_onesweep_iterationIS3_Lb0EN6thrust23THRUST_200600_302600_NS6detail15normal_iteratorINS8_10device_ptrIiEEEESD_SD_SD_jNS0_19identity_decomposerENS1_16block_id_wrapperIjLb0EEEEE10hipError_tT1_PNSt15iterator_traitsISI_E10value_typeET2_T3_PNSJ_ISO_E10value_typeET4_T5_PST_SU_PNS1_23onesweep_lookback_stateEbbT6_jjT7_P12ihipStream_tbENKUlT_T0_SI_SN_E_clISD_PiSD_S15_EEDaS11_S12_SI_SN_EUlS11_E_NS1_11comp_targetILNS1_3genE8ELNS1_11target_archE1030ELNS1_3gpuE2ELNS1_3repE0EEENS1_47radix_sort_onesweep_sort_config_static_selectorELNS0_4arch9wavefront6targetE1EEEvSI_, .Lfunc_end866-_ZN7rocprim17ROCPRIM_400000_NS6detail17trampoline_kernelINS0_14default_configENS1_35radix_sort_onesweep_config_selectorIiiEEZZNS1_29radix_sort_onesweep_iterationIS3_Lb0EN6thrust23THRUST_200600_302600_NS6detail15normal_iteratorINS8_10device_ptrIiEEEESD_SD_SD_jNS0_19identity_decomposerENS1_16block_id_wrapperIjLb0EEEEE10hipError_tT1_PNSt15iterator_traitsISI_E10value_typeET2_T3_PNSJ_ISO_E10value_typeET4_T5_PST_SU_PNS1_23onesweep_lookback_stateEbbT6_jjT7_P12ihipStream_tbENKUlT_T0_SI_SN_E_clISD_PiSD_S15_EEDaS11_S12_SI_SN_EUlS11_E_NS1_11comp_targetILNS1_3genE8ELNS1_11target_archE1030ELNS1_3gpuE2ELNS1_3repE0EEENS1_47radix_sort_onesweep_sort_config_static_selectorELNS0_4arch9wavefront6targetE1EEEvSI_
                                        ; -- End function
	.set _ZN7rocprim17ROCPRIM_400000_NS6detail17trampoline_kernelINS0_14default_configENS1_35radix_sort_onesweep_config_selectorIiiEEZZNS1_29radix_sort_onesweep_iterationIS3_Lb0EN6thrust23THRUST_200600_302600_NS6detail15normal_iteratorINS8_10device_ptrIiEEEESD_SD_SD_jNS0_19identity_decomposerENS1_16block_id_wrapperIjLb0EEEEE10hipError_tT1_PNSt15iterator_traitsISI_E10value_typeET2_T3_PNSJ_ISO_E10value_typeET4_T5_PST_SU_PNS1_23onesweep_lookback_stateEbbT6_jjT7_P12ihipStream_tbENKUlT_T0_SI_SN_E_clISD_PiSD_S15_EEDaS11_S12_SI_SN_EUlS11_E_NS1_11comp_targetILNS1_3genE8ELNS1_11target_archE1030ELNS1_3gpuE2ELNS1_3repE0EEENS1_47radix_sort_onesweep_sort_config_static_selectorELNS0_4arch9wavefront6targetE1EEEvSI_.num_vgpr, 0
	.set _ZN7rocprim17ROCPRIM_400000_NS6detail17trampoline_kernelINS0_14default_configENS1_35radix_sort_onesweep_config_selectorIiiEEZZNS1_29radix_sort_onesweep_iterationIS3_Lb0EN6thrust23THRUST_200600_302600_NS6detail15normal_iteratorINS8_10device_ptrIiEEEESD_SD_SD_jNS0_19identity_decomposerENS1_16block_id_wrapperIjLb0EEEEE10hipError_tT1_PNSt15iterator_traitsISI_E10value_typeET2_T3_PNSJ_ISO_E10value_typeET4_T5_PST_SU_PNS1_23onesweep_lookback_stateEbbT6_jjT7_P12ihipStream_tbENKUlT_T0_SI_SN_E_clISD_PiSD_S15_EEDaS11_S12_SI_SN_EUlS11_E_NS1_11comp_targetILNS1_3genE8ELNS1_11target_archE1030ELNS1_3gpuE2ELNS1_3repE0EEENS1_47radix_sort_onesweep_sort_config_static_selectorELNS0_4arch9wavefront6targetE1EEEvSI_.num_agpr, 0
	.set _ZN7rocprim17ROCPRIM_400000_NS6detail17trampoline_kernelINS0_14default_configENS1_35radix_sort_onesweep_config_selectorIiiEEZZNS1_29radix_sort_onesweep_iterationIS3_Lb0EN6thrust23THRUST_200600_302600_NS6detail15normal_iteratorINS8_10device_ptrIiEEEESD_SD_SD_jNS0_19identity_decomposerENS1_16block_id_wrapperIjLb0EEEEE10hipError_tT1_PNSt15iterator_traitsISI_E10value_typeET2_T3_PNSJ_ISO_E10value_typeET4_T5_PST_SU_PNS1_23onesweep_lookback_stateEbbT6_jjT7_P12ihipStream_tbENKUlT_T0_SI_SN_E_clISD_PiSD_S15_EEDaS11_S12_SI_SN_EUlS11_E_NS1_11comp_targetILNS1_3genE8ELNS1_11target_archE1030ELNS1_3gpuE2ELNS1_3repE0EEENS1_47radix_sort_onesweep_sort_config_static_selectorELNS0_4arch9wavefront6targetE1EEEvSI_.numbered_sgpr, 0
	.set _ZN7rocprim17ROCPRIM_400000_NS6detail17trampoline_kernelINS0_14default_configENS1_35radix_sort_onesweep_config_selectorIiiEEZZNS1_29radix_sort_onesweep_iterationIS3_Lb0EN6thrust23THRUST_200600_302600_NS6detail15normal_iteratorINS8_10device_ptrIiEEEESD_SD_SD_jNS0_19identity_decomposerENS1_16block_id_wrapperIjLb0EEEEE10hipError_tT1_PNSt15iterator_traitsISI_E10value_typeET2_T3_PNSJ_ISO_E10value_typeET4_T5_PST_SU_PNS1_23onesweep_lookback_stateEbbT6_jjT7_P12ihipStream_tbENKUlT_T0_SI_SN_E_clISD_PiSD_S15_EEDaS11_S12_SI_SN_EUlS11_E_NS1_11comp_targetILNS1_3genE8ELNS1_11target_archE1030ELNS1_3gpuE2ELNS1_3repE0EEENS1_47radix_sort_onesweep_sort_config_static_selectorELNS0_4arch9wavefront6targetE1EEEvSI_.num_named_barrier, 0
	.set _ZN7rocprim17ROCPRIM_400000_NS6detail17trampoline_kernelINS0_14default_configENS1_35radix_sort_onesweep_config_selectorIiiEEZZNS1_29radix_sort_onesweep_iterationIS3_Lb0EN6thrust23THRUST_200600_302600_NS6detail15normal_iteratorINS8_10device_ptrIiEEEESD_SD_SD_jNS0_19identity_decomposerENS1_16block_id_wrapperIjLb0EEEEE10hipError_tT1_PNSt15iterator_traitsISI_E10value_typeET2_T3_PNSJ_ISO_E10value_typeET4_T5_PST_SU_PNS1_23onesweep_lookback_stateEbbT6_jjT7_P12ihipStream_tbENKUlT_T0_SI_SN_E_clISD_PiSD_S15_EEDaS11_S12_SI_SN_EUlS11_E_NS1_11comp_targetILNS1_3genE8ELNS1_11target_archE1030ELNS1_3gpuE2ELNS1_3repE0EEENS1_47radix_sort_onesweep_sort_config_static_selectorELNS0_4arch9wavefront6targetE1EEEvSI_.private_seg_size, 0
	.set _ZN7rocprim17ROCPRIM_400000_NS6detail17trampoline_kernelINS0_14default_configENS1_35radix_sort_onesweep_config_selectorIiiEEZZNS1_29radix_sort_onesweep_iterationIS3_Lb0EN6thrust23THRUST_200600_302600_NS6detail15normal_iteratorINS8_10device_ptrIiEEEESD_SD_SD_jNS0_19identity_decomposerENS1_16block_id_wrapperIjLb0EEEEE10hipError_tT1_PNSt15iterator_traitsISI_E10value_typeET2_T3_PNSJ_ISO_E10value_typeET4_T5_PST_SU_PNS1_23onesweep_lookback_stateEbbT6_jjT7_P12ihipStream_tbENKUlT_T0_SI_SN_E_clISD_PiSD_S15_EEDaS11_S12_SI_SN_EUlS11_E_NS1_11comp_targetILNS1_3genE8ELNS1_11target_archE1030ELNS1_3gpuE2ELNS1_3repE0EEENS1_47radix_sort_onesweep_sort_config_static_selectorELNS0_4arch9wavefront6targetE1EEEvSI_.uses_vcc, 0
	.set _ZN7rocprim17ROCPRIM_400000_NS6detail17trampoline_kernelINS0_14default_configENS1_35radix_sort_onesweep_config_selectorIiiEEZZNS1_29radix_sort_onesweep_iterationIS3_Lb0EN6thrust23THRUST_200600_302600_NS6detail15normal_iteratorINS8_10device_ptrIiEEEESD_SD_SD_jNS0_19identity_decomposerENS1_16block_id_wrapperIjLb0EEEEE10hipError_tT1_PNSt15iterator_traitsISI_E10value_typeET2_T3_PNSJ_ISO_E10value_typeET4_T5_PST_SU_PNS1_23onesweep_lookback_stateEbbT6_jjT7_P12ihipStream_tbENKUlT_T0_SI_SN_E_clISD_PiSD_S15_EEDaS11_S12_SI_SN_EUlS11_E_NS1_11comp_targetILNS1_3genE8ELNS1_11target_archE1030ELNS1_3gpuE2ELNS1_3repE0EEENS1_47radix_sort_onesweep_sort_config_static_selectorELNS0_4arch9wavefront6targetE1EEEvSI_.uses_flat_scratch, 0
	.set _ZN7rocprim17ROCPRIM_400000_NS6detail17trampoline_kernelINS0_14default_configENS1_35radix_sort_onesweep_config_selectorIiiEEZZNS1_29radix_sort_onesweep_iterationIS3_Lb0EN6thrust23THRUST_200600_302600_NS6detail15normal_iteratorINS8_10device_ptrIiEEEESD_SD_SD_jNS0_19identity_decomposerENS1_16block_id_wrapperIjLb0EEEEE10hipError_tT1_PNSt15iterator_traitsISI_E10value_typeET2_T3_PNSJ_ISO_E10value_typeET4_T5_PST_SU_PNS1_23onesweep_lookback_stateEbbT6_jjT7_P12ihipStream_tbENKUlT_T0_SI_SN_E_clISD_PiSD_S15_EEDaS11_S12_SI_SN_EUlS11_E_NS1_11comp_targetILNS1_3genE8ELNS1_11target_archE1030ELNS1_3gpuE2ELNS1_3repE0EEENS1_47radix_sort_onesweep_sort_config_static_selectorELNS0_4arch9wavefront6targetE1EEEvSI_.has_dyn_sized_stack, 0
	.set _ZN7rocprim17ROCPRIM_400000_NS6detail17trampoline_kernelINS0_14default_configENS1_35radix_sort_onesweep_config_selectorIiiEEZZNS1_29radix_sort_onesweep_iterationIS3_Lb0EN6thrust23THRUST_200600_302600_NS6detail15normal_iteratorINS8_10device_ptrIiEEEESD_SD_SD_jNS0_19identity_decomposerENS1_16block_id_wrapperIjLb0EEEEE10hipError_tT1_PNSt15iterator_traitsISI_E10value_typeET2_T3_PNSJ_ISO_E10value_typeET4_T5_PST_SU_PNS1_23onesweep_lookback_stateEbbT6_jjT7_P12ihipStream_tbENKUlT_T0_SI_SN_E_clISD_PiSD_S15_EEDaS11_S12_SI_SN_EUlS11_E_NS1_11comp_targetILNS1_3genE8ELNS1_11target_archE1030ELNS1_3gpuE2ELNS1_3repE0EEENS1_47radix_sort_onesweep_sort_config_static_selectorELNS0_4arch9wavefront6targetE1EEEvSI_.has_recursion, 0
	.set _ZN7rocprim17ROCPRIM_400000_NS6detail17trampoline_kernelINS0_14default_configENS1_35radix_sort_onesweep_config_selectorIiiEEZZNS1_29radix_sort_onesweep_iterationIS3_Lb0EN6thrust23THRUST_200600_302600_NS6detail15normal_iteratorINS8_10device_ptrIiEEEESD_SD_SD_jNS0_19identity_decomposerENS1_16block_id_wrapperIjLb0EEEEE10hipError_tT1_PNSt15iterator_traitsISI_E10value_typeET2_T3_PNSJ_ISO_E10value_typeET4_T5_PST_SU_PNS1_23onesweep_lookback_stateEbbT6_jjT7_P12ihipStream_tbENKUlT_T0_SI_SN_E_clISD_PiSD_S15_EEDaS11_S12_SI_SN_EUlS11_E_NS1_11comp_targetILNS1_3genE8ELNS1_11target_archE1030ELNS1_3gpuE2ELNS1_3repE0EEENS1_47radix_sort_onesweep_sort_config_static_selectorELNS0_4arch9wavefront6targetE1EEEvSI_.has_indirect_call, 0
	.section	.AMDGPU.csdata,"",@progbits
; Kernel info:
; codeLenInByte = 0
; TotalNumSgprs: 6
; NumVgprs: 0
; NumAgprs: 0
; TotalNumVgprs: 0
; ScratchSize: 0
; MemoryBound: 0
; FloatMode: 240
; IeeeMode: 1
; LDSByteSize: 0 bytes/workgroup (compile time only)
; SGPRBlocks: 0
; VGPRBlocks: 0
; NumSGPRsForWavesPerEU: 6
; NumVGPRsForWavesPerEU: 1
; AccumOffset: 4
; Occupancy: 8
; WaveLimiterHint : 0
; COMPUTE_PGM_RSRC2:SCRATCH_EN: 0
; COMPUTE_PGM_RSRC2:USER_SGPR: 2
; COMPUTE_PGM_RSRC2:TRAP_HANDLER: 0
; COMPUTE_PGM_RSRC2:TGID_X_EN: 1
; COMPUTE_PGM_RSRC2:TGID_Y_EN: 0
; COMPUTE_PGM_RSRC2:TGID_Z_EN: 0
; COMPUTE_PGM_RSRC2:TIDIG_COMP_CNT: 0
; COMPUTE_PGM_RSRC3_GFX90A:ACCUM_OFFSET: 0
; COMPUTE_PGM_RSRC3_GFX90A:TG_SPLIT: 0
	.section	.text._ZN7rocprim17ROCPRIM_400000_NS6detail17trampoline_kernelINS0_14default_configENS1_35radix_sort_onesweep_config_selectorIiiEEZZNS1_29radix_sort_onesweep_iterationIS3_Lb0EN6thrust23THRUST_200600_302600_NS6detail15normal_iteratorINS8_10device_ptrIiEEEESD_SD_SD_jNS0_19identity_decomposerENS1_16block_id_wrapperIjLb0EEEEE10hipError_tT1_PNSt15iterator_traitsISI_E10value_typeET2_T3_PNSJ_ISO_E10value_typeET4_T5_PST_SU_PNS1_23onesweep_lookback_stateEbbT6_jjT7_P12ihipStream_tbENKUlT_T0_SI_SN_E_clIPiSD_S15_SD_EEDaS11_S12_SI_SN_EUlS11_E_NS1_11comp_targetILNS1_3genE0ELNS1_11target_archE4294967295ELNS1_3gpuE0ELNS1_3repE0EEENS1_47radix_sort_onesweep_sort_config_static_selectorELNS0_4arch9wavefront6targetE1EEEvSI_,"axG",@progbits,_ZN7rocprim17ROCPRIM_400000_NS6detail17trampoline_kernelINS0_14default_configENS1_35radix_sort_onesweep_config_selectorIiiEEZZNS1_29radix_sort_onesweep_iterationIS3_Lb0EN6thrust23THRUST_200600_302600_NS6detail15normal_iteratorINS8_10device_ptrIiEEEESD_SD_SD_jNS0_19identity_decomposerENS1_16block_id_wrapperIjLb0EEEEE10hipError_tT1_PNSt15iterator_traitsISI_E10value_typeET2_T3_PNSJ_ISO_E10value_typeET4_T5_PST_SU_PNS1_23onesweep_lookback_stateEbbT6_jjT7_P12ihipStream_tbENKUlT_T0_SI_SN_E_clIPiSD_S15_SD_EEDaS11_S12_SI_SN_EUlS11_E_NS1_11comp_targetILNS1_3genE0ELNS1_11target_archE4294967295ELNS1_3gpuE0ELNS1_3repE0EEENS1_47radix_sort_onesweep_sort_config_static_selectorELNS0_4arch9wavefront6targetE1EEEvSI_,comdat
	.protected	_ZN7rocprim17ROCPRIM_400000_NS6detail17trampoline_kernelINS0_14default_configENS1_35radix_sort_onesweep_config_selectorIiiEEZZNS1_29radix_sort_onesweep_iterationIS3_Lb0EN6thrust23THRUST_200600_302600_NS6detail15normal_iteratorINS8_10device_ptrIiEEEESD_SD_SD_jNS0_19identity_decomposerENS1_16block_id_wrapperIjLb0EEEEE10hipError_tT1_PNSt15iterator_traitsISI_E10value_typeET2_T3_PNSJ_ISO_E10value_typeET4_T5_PST_SU_PNS1_23onesweep_lookback_stateEbbT6_jjT7_P12ihipStream_tbENKUlT_T0_SI_SN_E_clIPiSD_S15_SD_EEDaS11_S12_SI_SN_EUlS11_E_NS1_11comp_targetILNS1_3genE0ELNS1_11target_archE4294967295ELNS1_3gpuE0ELNS1_3repE0EEENS1_47radix_sort_onesweep_sort_config_static_selectorELNS0_4arch9wavefront6targetE1EEEvSI_ ; -- Begin function _ZN7rocprim17ROCPRIM_400000_NS6detail17trampoline_kernelINS0_14default_configENS1_35radix_sort_onesweep_config_selectorIiiEEZZNS1_29radix_sort_onesweep_iterationIS3_Lb0EN6thrust23THRUST_200600_302600_NS6detail15normal_iteratorINS8_10device_ptrIiEEEESD_SD_SD_jNS0_19identity_decomposerENS1_16block_id_wrapperIjLb0EEEEE10hipError_tT1_PNSt15iterator_traitsISI_E10value_typeET2_T3_PNSJ_ISO_E10value_typeET4_T5_PST_SU_PNS1_23onesweep_lookback_stateEbbT6_jjT7_P12ihipStream_tbENKUlT_T0_SI_SN_E_clIPiSD_S15_SD_EEDaS11_S12_SI_SN_EUlS11_E_NS1_11comp_targetILNS1_3genE0ELNS1_11target_archE4294967295ELNS1_3gpuE0ELNS1_3repE0EEENS1_47radix_sort_onesweep_sort_config_static_selectorELNS0_4arch9wavefront6targetE1EEEvSI_
	.globl	_ZN7rocprim17ROCPRIM_400000_NS6detail17trampoline_kernelINS0_14default_configENS1_35radix_sort_onesweep_config_selectorIiiEEZZNS1_29radix_sort_onesweep_iterationIS3_Lb0EN6thrust23THRUST_200600_302600_NS6detail15normal_iteratorINS8_10device_ptrIiEEEESD_SD_SD_jNS0_19identity_decomposerENS1_16block_id_wrapperIjLb0EEEEE10hipError_tT1_PNSt15iterator_traitsISI_E10value_typeET2_T3_PNSJ_ISO_E10value_typeET4_T5_PST_SU_PNS1_23onesweep_lookback_stateEbbT6_jjT7_P12ihipStream_tbENKUlT_T0_SI_SN_E_clIPiSD_S15_SD_EEDaS11_S12_SI_SN_EUlS11_E_NS1_11comp_targetILNS1_3genE0ELNS1_11target_archE4294967295ELNS1_3gpuE0ELNS1_3repE0EEENS1_47radix_sort_onesweep_sort_config_static_selectorELNS0_4arch9wavefront6targetE1EEEvSI_
	.p2align	8
	.type	_ZN7rocprim17ROCPRIM_400000_NS6detail17trampoline_kernelINS0_14default_configENS1_35radix_sort_onesweep_config_selectorIiiEEZZNS1_29radix_sort_onesweep_iterationIS3_Lb0EN6thrust23THRUST_200600_302600_NS6detail15normal_iteratorINS8_10device_ptrIiEEEESD_SD_SD_jNS0_19identity_decomposerENS1_16block_id_wrapperIjLb0EEEEE10hipError_tT1_PNSt15iterator_traitsISI_E10value_typeET2_T3_PNSJ_ISO_E10value_typeET4_T5_PST_SU_PNS1_23onesweep_lookback_stateEbbT6_jjT7_P12ihipStream_tbENKUlT_T0_SI_SN_E_clIPiSD_S15_SD_EEDaS11_S12_SI_SN_EUlS11_E_NS1_11comp_targetILNS1_3genE0ELNS1_11target_archE4294967295ELNS1_3gpuE0ELNS1_3repE0EEENS1_47radix_sort_onesweep_sort_config_static_selectorELNS0_4arch9wavefront6targetE1EEEvSI_,@function
_ZN7rocprim17ROCPRIM_400000_NS6detail17trampoline_kernelINS0_14default_configENS1_35radix_sort_onesweep_config_selectorIiiEEZZNS1_29radix_sort_onesweep_iterationIS3_Lb0EN6thrust23THRUST_200600_302600_NS6detail15normal_iteratorINS8_10device_ptrIiEEEESD_SD_SD_jNS0_19identity_decomposerENS1_16block_id_wrapperIjLb0EEEEE10hipError_tT1_PNSt15iterator_traitsISI_E10value_typeET2_T3_PNSJ_ISO_E10value_typeET4_T5_PST_SU_PNS1_23onesweep_lookback_stateEbbT6_jjT7_P12ihipStream_tbENKUlT_T0_SI_SN_E_clIPiSD_S15_SD_EEDaS11_S12_SI_SN_EUlS11_E_NS1_11comp_targetILNS1_3genE0ELNS1_11target_archE4294967295ELNS1_3gpuE0ELNS1_3repE0EEENS1_47radix_sort_onesweep_sort_config_static_selectorELNS0_4arch9wavefront6targetE1EEEvSI_: ; @_ZN7rocprim17ROCPRIM_400000_NS6detail17trampoline_kernelINS0_14default_configENS1_35radix_sort_onesweep_config_selectorIiiEEZZNS1_29radix_sort_onesweep_iterationIS3_Lb0EN6thrust23THRUST_200600_302600_NS6detail15normal_iteratorINS8_10device_ptrIiEEEESD_SD_SD_jNS0_19identity_decomposerENS1_16block_id_wrapperIjLb0EEEEE10hipError_tT1_PNSt15iterator_traitsISI_E10value_typeET2_T3_PNSJ_ISO_E10value_typeET4_T5_PST_SU_PNS1_23onesweep_lookback_stateEbbT6_jjT7_P12ihipStream_tbENKUlT_T0_SI_SN_E_clIPiSD_S15_SD_EEDaS11_S12_SI_SN_EUlS11_E_NS1_11comp_targetILNS1_3genE0ELNS1_11target_archE4294967295ELNS1_3gpuE0ELNS1_3repE0EEENS1_47radix_sort_onesweep_sort_config_static_selectorELNS0_4arch9wavefront6targetE1EEEvSI_
; %bb.0:
	.section	.rodata,"a",@progbits
	.p2align	6, 0x0
	.amdhsa_kernel _ZN7rocprim17ROCPRIM_400000_NS6detail17trampoline_kernelINS0_14default_configENS1_35radix_sort_onesweep_config_selectorIiiEEZZNS1_29radix_sort_onesweep_iterationIS3_Lb0EN6thrust23THRUST_200600_302600_NS6detail15normal_iteratorINS8_10device_ptrIiEEEESD_SD_SD_jNS0_19identity_decomposerENS1_16block_id_wrapperIjLb0EEEEE10hipError_tT1_PNSt15iterator_traitsISI_E10value_typeET2_T3_PNSJ_ISO_E10value_typeET4_T5_PST_SU_PNS1_23onesweep_lookback_stateEbbT6_jjT7_P12ihipStream_tbENKUlT_T0_SI_SN_E_clIPiSD_S15_SD_EEDaS11_S12_SI_SN_EUlS11_E_NS1_11comp_targetILNS1_3genE0ELNS1_11target_archE4294967295ELNS1_3gpuE0ELNS1_3repE0EEENS1_47radix_sort_onesweep_sort_config_static_selectorELNS0_4arch9wavefront6targetE1EEEvSI_
		.amdhsa_group_segment_fixed_size 0
		.amdhsa_private_segment_fixed_size 0
		.amdhsa_kernarg_size 88
		.amdhsa_user_sgpr_count 2
		.amdhsa_user_sgpr_dispatch_ptr 0
		.amdhsa_user_sgpr_queue_ptr 0
		.amdhsa_user_sgpr_kernarg_segment_ptr 1
		.amdhsa_user_sgpr_dispatch_id 0
		.amdhsa_user_sgpr_kernarg_preload_length 0
		.amdhsa_user_sgpr_kernarg_preload_offset 0
		.amdhsa_user_sgpr_private_segment_size 0
		.amdhsa_uses_dynamic_stack 0
		.amdhsa_enable_private_segment 0
		.amdhsa_system_sgpr_workgroup_id_x 1
		.amdhsa_system_sgpr_workgroup_id_y 0
		.amdhsa_system_sgpr_workgroup_id_z 0
		.amdhsa_system_sgpr_workgroup_info 0
		.amdhsa_system_vgpr_workitem_id 0
		.amdhsa_next_free_vgpr 1
		.amdhsa_next_free_sgpr 0
		.amdhsa_accum_offset 4
		.amdhsa_reserve_vcc 0
		.amdhsa_float_round_mode_32 0
		.amdhsa_float_round_mode_16_64 0
		.amdhsa_float_denorm_mode_32 3
		.amdhsa_float_denorm_mode_16_64 3
		.amdhsa_dx10_clamp 1
		.amdhsa_ieee_mode 1
		.amdhsa_fp16_overflow 0
		.amdhsa_tg_split 0
		.amdhsa_exception_fp_ieee_invalid_op 0
		.amdhsa_exception_fp_denorm_src 0
		.amdhsa_exception_fp_ieee_div_zero 0
		.amdhsa_exception_fp_ieee_overflow 0
		.amdhsa_exception_fp_ieee_underflow 0
		.amdhsa_exception_fp_ieee_inexact 0
		.amdhsa_exception_int_div_zero 0
	.end_amdhsa_kernel
	.section	.text._ZN7rocprim17ROCPRIM_400000_NS6detail17trampoline_kernelINS0_14default_configENS1_35radix_sort_onesweep_config_selectorIiiEEZZNS1_29radix_sort_onesweep_iterationIS3_Lb0EN6thrust23THRUST_200600_302600_NS6detail15normal_iteratorINS8_10device_ptrIiEEEESD_SD_SD_jNS0_19identity_decomposerENS1_16block_id_wrapperIjLb0EEEEE10hipError_tT1_PNSt15iterator_traitsISI_E10value_typeET2_T3_PNSJ_ISO_E10value_typeET4_T5_PST_SU_PNS1_23onesweep_lookback_stateEbbT6_jjT7_P12ihipStream_tbENKUlT_T0_SI_SN_E_clIPiSD_S15_SD_EEDaS11_S12_SI_SN_EUlS11_E_NS1_11comp_targetILNS1_3genE0ELNS1_11target_archE4294967295ELNS1_3gpuE0ELNS1_3repE0EEENS1_47radix_sort_onesweep_sort_config_static_selectorELNS0_4arch9wavefront6targetE1EEEvSI_,"axG",@progbits,_ZN7rocprim17ROCPRIM_400000_NS6detail17trampoline_kernelINS0_14default_configENS1_35radix_sort_onesweep_config_selectorIiiEEZZNS1_29radix_sort_onesweep_iterationIS3_Lb0EN6thrust23THRUST_200600_302600_NS6detail15normal_iteratorINS8_10device_ptrIiEEEESD_SD_SD_jNS0_19identity_decomposerENS1_16block_id_wrapperIjLb0EEEEE10hipError_tT1_PNSt15iterator_traitsISI_E10value_typeET2_T3_PNSJ_ISO_E10value_typeET4_T5_PST_SU_PNS1_23onesweep_lookback_stateEbbT6_jjT7_P12ihipStream_tbENKUlT_T0_SI_SN_E_clIPiSD_S15_SD_EEDaS11_S12_SI_SN_EUlS11_E_NS1_11comp_targetILNS1_3genE0ELNS1_11target_archE4294967295ELNS1_3gpuE0ELNS1_3repE0EEENS1_47radix_sort_onesweep_sort_config_static_selectorELNS0_4arch9wavefront6targetE1EEEvSI_,comdat
.Lfunc_end867:
	.size	_ZN7rocprim17ROCPRIM_400000_NS6detail17trampoline_kernelINS0_14default_configENS1_35radix_sort_onesweep_config_selectorIiiEEZZNS1_29radix_sort_onesweep_iterationIS3_Lb0EN6thrust23THRUST_200600_302600_NS6detail15normal_iteratorINS8_10device_ptrIiEEEESD_SD_SD_jNS0_19identity_decomposerENS1_16block_id_wrapperIjLb0EEEEE10hipError_tT1_PNSt15iterator_traitsISI_E10value_typeET2_T3_PNSJ_ISO_E10value_typeET4_T5_PST_SU_PNS1_23onesweep_lookback_stateEbbT6_jjT7_P12ihipStream_tbENKUlT_T0_SI_SN_E_clIPiSD_S15_SD_EEDaS11_S12_SI_SN_EUlS11_E_NS1_11comp_targetILNS1_3genE0ELNS1_11target_archE4294967295ELNS1_3gpuE0ELNS1_3repE0EEENS1_47radix_sort_onesweep_sort_config_static_selectorELNS0_4arch9wavefront6targetE1EEEvSI_, .Lfunc_end867-_ZN7rocprim17ROCPRIM_400000_NS6detail17trampoline_kernelINS0_14default_configENS1_35radix_sort_onesweep_config_selectorIiiEEZZNS1_29radix_sort_onesweep_iterationIS3_Lb0EN6thrust23THRUST_200600_302600_NS6detail15normal_iteratorINS8_10device_ptrIiEEEESD_SD_SD_jNS0_19identity_decomposerENS1_16block_id_wrapperIjLb0EEEEE10hipError_tT1_PNSt15iterator_traitsISI_E10value_typeET2_T3_PNSJ_ISO_E10value_typeET4_T5_PST_SU_PNS1_23onesweep_lookback_stateEbbT6_jjT7_P12ihipStream_tbENKUlT_T0_SI_SN_E_clIPiSD_S15_SD_EEDaS11_S12_SI_SN_EUlS11_E_NS1_11comp_targetILNS1_3genE0ELNS1_11target_archE4294967295ELNS1_3gpuE0ELNS1_3repE0EEENS1_47radix_sort_onesweep_sort_config_static_selectorELNS0_4arch9wavefront6targetE1EEEvSI_
                                        ; -- End function
	.set _ZN7rocprim17ROCPRIM_400000_NS6detail17trampoline_kernelINS0_14default_configENS1_35radix_sort_onesweep_config_selectorIiiEEZZNS1_29radix_sort_onesweep_iterationIS3_Lb0EN6thrust23THRUST_200600_302600_NS6detail15normal_iteratorINS8_10device_ptrIiEEEESD_SD_SD_jNS0_19identity_decomposerENS1_16block_id_wrapperIjLb0EEEEE10hipError_tT1_PNSt15iterator_traitsISI_E10value_typeET2_T3_PNSJ_ISO_E10value_typeET4_T5_PST_SU_PNS1_23onesweep_lookback_stateEbbT6_jjT7_P12ihipStream_tbENKUlT_T0_SI_SN_E_clIPiSD_S15_SD_EEDaS11_S12_SI_SN_EUlS11_E_NS1_11comp_targetILNS1_3genE0ELNS1_11target_archE4294967295ELNS1_3gpuE0ELNS1_3repE0EEENS1_47radix_sort_onesweep_sort_config_static_selectorELNS0_4arch9wavefront6targetE1EEEvSI_.num_vgpr, 0
	.set _ZN7rocprim17ROCPRIM_400000_NS6detail17trampoline_kernelINS0_14default_configENS1_35radix_sort_onesweep_config_selectorIiiEEZZNS1_29radix_sort_onesweep_iterationIS3_Lb0EN6thrust23THRUST_200600_302600_NS6detail15normal_iteratorINS8_10device_ptrIiEEEESD_SD_SD_jNS0_19identity_decomposerENS1_16block_id_wrapperIjLb0EEEEE10hipError_tT1_PNSt15iterator_traitsISI_E10value_typeET2_T3_PNSJ_ISO_E10value_typeET4_T5_PST_SU_PNS1_23onesweep_lookback_stateEbbT6_jjT7_P12ihipStream_tbENKUlT_T0_SI_SN_E_clIPiSD_S15_SD_EEDaS11_S12_SI_SN_EUlS11_E_NS1_11comp_targetILNS1_3genE0ELNS1_11target_archE4294967295ELNS1_3gpuE0ELNS1_3repE0EEENS1_47radix_sort_onesweep_sort_config_static_selectorELNS0_4arch9wavefront6targetE1EEEvSI_.num_agpr, 0
	.set _ZN7rocprim17ROCPRIM_400000_NS6detail17trampoline_kernelINS0_14default_configENS1_35radix_sort_onesweep_config_selectorIiiEEZZNS1_29radix_sort_onesweep_iterationIS3_Lb0EN6thrust23THRUST_200600_302600_NS6detail15normal_iteratorINS8_10device_ptrIiEEEESD_SD_SD_jNS0_19identity_decomposerENS1_16block_id_wrapperIjLb0EEEEE10hipError_tT1_PNSt15iterator_traitsISI_E10value_typeET2_T3_PNSJ_ISO_E10value_typeET4_T5_PST_SU_PNS1_23onesweep_lookback_stateEbbT6_jjT7_P12ihipStream_tbENKUlT_T0_SI_SN_E_clIPiSD_S15_SD_EEDaS11_S12_SI_SN_EUlS11_E_NS1_11comp_targetILNS1_3genE0ELNS1_11target_archE4294967295ELNS1_3gpuE0ELNS1_3repE0EEENS1_47radix_sort_onesweep_sort_config_static_selectorELNS0_4arch9wavefront6targetE1EEEvSI_.numbered_sgpr, 0
	.set _ZN7rocprim17ROCPRIM_400000_NS6detail17trampoline_kernelINS0_14default_configENS1_35radix_sort_onesweep_config_selectorIiiEEZZNS1_29radix_sort_onesweep_iterationIS3_Lb0EN6thrust23THRUST_200600_302600_NS6detail15normal_iteratorINS8_10device_ptrIiEEEESD_SD_SD_jNS0_19identity_decomposerENS1_16block_id_wrapperIjLb0EEEEE10hipError_tT1_PNSt15iterator_traitsISI_E10value_typeET2_T3_PNSJ_ISO_E10value_typeET4_T5_PST_SU_PNS1_23onesweep_lookback_stateEbbT6_jjT7_P12ihipStream_tbENKUlT_T0_SI_SN_E_clIPiSD_S15_SD_EEDaS11_S12_SI_SN_EUlS11_E_NS1_11comp_targetILNS1_3genE0ELNS1_11target_archE4294967295ELNS1_3gpuE0ELNS1_3repE0EEENS1_47radix_sort_onesweep_sort_config_static_selectorELNS0_4arch9wavefront6targetE1EEEvSI_.num_named_barrier, 0
	.set _ZN7rocprim17ROCPRIM_400000_NS6detail17trampoline_kernelINS0_14default_configENS1_35radix_sort_onesweep_config_selectorIiiEEZZNS1_29radix_sort_onesweep_iterationIS3_Lb0EN6thrust23THRUST_200600_302600_NS6detail15normal_iteratorINS8_10device_ptrIiEEEESD_SD_SD_jNS0_19identity_decomposerENS1_16block_id_wrapperIjLb0EEEEE10hipError_tT1_PNSt15iterator_traitsISI_E10value_typeET2_T3_PNSJ_ISO_E10value_typeET4_T5_PST_SU_PNS1_23onesweep_lookback_stateEbbT6_jjT7_P12ihipStream_tbENKUlT_T0_SI_SN_E_clIPiSD_S15_SD_EEDaS11_S12_SI_SN_EUlS11_E_NS1_11comp_targetILNS1_3genE0ELNS1_11target_archE4294967295ELNS1_3gpuE0ELNS1_3repE0EEENS1_47radix_sort_onesweep_sort_config_static_selectorELNS0_4arch9wavefront6targetE1EEEvSI_.private_seg_size, 0
	.set _ZN7rocprim17ROCPRIM_400000_NS6detail17trampoline_kernelINS0_14default_configENS1_35radix_sort_onesweep_config_selectorIiiEEZZNS1_29radix_sort_onesweep_iterationIS3_Lb0EN6thrust23THRUST_200600_302600_NS6detail15normal_iteratorINS8_10device_ptrIiEEEESD_SD_SD_jNS0_19identity_decomposerENS1_16block_id_wrapperIjLb0EEEEE10hipError_tT1_PNSt15iterator_traitsISI_E10value_typeET2_T3_PNSJ_ISO_E10value_typeET4_T5_PST_SU_PNS1_23onesweep_lookback_stateEbbT6_jjT7_P12ihipStream_tbENKUlT_T0_SI_SN_E_clIPiSD_S15_SD_EEDaS11_S12_SI_SN_EUlS11_E_NS1_11comp_targetILNS1_3genE0ELNS1_11target_archE4294967295ELNS1_3gpuE0ELNS1_3repE0EEENS1_47radix_sort_onesweep_sort_config_static_selectorELNS0_4arch9wavefront6targetE1EEEvSI_.uses_vcc, 0
	.set _ZN7rocprim17ROCPRIM_400000_NS6detail17trampoline_kernelINS0_14default_configENS1_35radix_sort_onesweep_config_selectorIiiEEZZNS1_29radix_sort_onesweep_iterationIS3_Lb0EN6thrust23THRUST_200600_302600_NS6detail15normal_iteratorINS8_10device_ptrIiEEEESD_SD_SD_jNS0_19identity_decomposerENS1_16block_id_wrapperIjLb0EEEEE10hipError_tT1_PNSt15iterator_traitsISI_E10value_typeET2_T3_PNSJ_ISO_E10value_typeET4_T5_PST_SU_PNS1_23onesweep_lookback_stateEbbT6_jjT7_P12ihipStream_tbENKUlT_T0_SI_SN_E_clIPiSD_S15_SD_EEDaS11_S12_SI_SN_EUlS11_E_NS1_11comp_targetILNS1_3genE0ELNS1_11target_archE4294967295ELNS1_3gpuE0ELNS1_3repE0EEENS1_47radix_sort_onesweep_sort_config_static_selectorELNS0_4arch9wavefront6targetE1EEEvSI_.uses_flat_scratch, 0
	.set _ZN7rocprim17ROCPRIM_400000_NS6detail17trampoline_kernelINS0_14default_configENS1_35radix_sort_onesweep_config_selectorIiiEEZZNS1_29radix_sort_onesweep_iterationIS3_Lb0EN6thrust23THRUST_200600_302600_NS6detail15normal_iteratorINS8_10device_ptrIiEEEESD_SD_SD_jNS0_19identity_decomposerENS1_16block_id_wrapperIjLb0EEEEE10hipError_tT1_PNSt15iterator_traitsISI_E10value_typeET2_T3_PNSJ_ISO_E10value_typeET4_T5_PST_SU_PNS1_23onesweep_lookback_stateEbbT6_jjT7_P12ihipStream_tbENKUlT_T0_SI_SN_E_clIPiSD_S15_SD_EEDaS11_S12_SI_SN_EUlS11_E_NS1_11comp_targetILNS1_3genE0ELNS1_11target_archE4294967295ELNS1_3gpuE0ELNS1_3repE0EEENS1_47radix_sort_onesweep_sort_config_static_selectorELNS0_4arch9wavefront6targetE1EEEvSI_.has_dyn_sized_stack, 0
	.set _ZN7rocprim17ROCPRIM_400000_NS6detail17trampoline_kernelINS0_14default_configENS1_35radix_sort_onesweep_config_selectorIiiEEZZNS1_29radix_sort_onesweep_iterationIS3_Lb0EN6thrust23THRUST_200600_302600_NS6detail15normal_iteratorINS8_10device_ptrIiEEEESD_SD_SD_jNS0_19identity_decomposerENS1_16block_id_wrapperIjLb0EEEEE10hipError_tT1_PNSt15iterator_traitsISI_E10value_typeET2_T3_PNSJ_ISO_E10value_typeET4_T5_PST_SU_PNS1_23onesweep_lookback_stateEbbT6_jjT7_P12ihipStream_tbENKUlT_T0_SI_SN_E_clIPiSD_S15_SD_EEDaS11_S12_SI_SN_EUlS11_E_NS1_11comp_targetILNS1_3genE0ELNS1_11target_archE4294967295ELNS1_3gpuE0ELNS1_3repE0EEENS1_47radix_sort_onesweep_sort_config_static_selectorELNS0_4arch9wavefront6targetE1EEEvSI_.has_recursion, 0
	.set _ZN7rocprim17ROCPRIM_400000_NS6detail17trampoline_kernelINS0_14default_configENS1_35radix_sort_onesweep_config_selectorIiiEEZZNS1_29radix_sort_onesweep_iterationIS3_Lb0EN6thrust23THRUST_200600_302600_NS6detail15normal_iteratorINS8_10device_ptrIiEEEESD_SD_SD_jNS0_19identity_decomposerENS1_16block_id_wrapperIjLb0EEEEE10hipError_tT1_PNSt15iterator_traitsISI_E10value_typeET2_T3_PNSJ_ISO_E10value_typeET4_T5_PST_SU_PNS1_23onesweep_lookback_stateEbbT6_jjT7_P12ihipStream_tbENKUlT_T0_SI_SN_E_clIPiSD_S15_SD_EEDaS11_S12_SI_SN_EUlS11_E_NS1_11comp_targetILNS1_3genE0ELNS1_11target_archE4294967295ELNS1_3gpuE0ELNS1_3repE0EEENS1_47radix_sort_onesweep_sort_config_static_selectorELNS0_4arch9wavefront6targetE1EEEvSI_.has_indirect_call, 0
	.section	.AMDGPU.csdata,"",@progbits
; Kernel info:
; codeLenInByte = 0
; TotalNumSgprs: 6
; NumVgprs: 0
; NumAgprs: 0
; TotalNumVgprs: 0
; ScratchSize: 0
; MemoryBound: 0
; FloatMode: 240
; IeeeMode: 1
; LDSByteSize: 0 bytes/workgroup (compile time only)
; SGPRBlocks: 0
; VGPRBlocks: 0
; NumSGPRsForWavesPerEU: 6
; NumVGPRsForWavesPerEU: 1
; AccumOffset: 4
; Occupancy: 8
; WaveLimiterHint : 0
; COMPUTE_PGM_RSRC2:SCRATCH_EN: 0
; COMPUTE_PGM_RSRC2:USER_SGPR: 2
; COMPUTE_PGM_RSRC2:TRAP_HANDLER: 0
; COMPUTE_PGM_RSRC2:TGID_X_EN: 1
; COMPUTE_PGM_RSRC2:TGID_Y_EN: 0
; COMPUTE_PGM_RSRC2:TGID_Z_EN: 0
; COMPUTE_PGM_RSRC2:TIDIG_COMP_CNT: 0
; COMPUTE_PGM_RSRC3_GFX90A:ACCUM_OFFSET: 0
; COMPUTE_PGM_RSRC3_GFX90A:TG_SPLIT: 0
	.section	.text._ZN7rocprim17ROCPRIM_400000_NS6detail17trampoline_kernelINS0_14default_configENS1_35radix_sort_onesweep_config_selectorIiiEEZZNS1_29radix_sort_onesweep_iterationIS3_Lb0EN6thrust23THRUST_200600_302600_NS6detail15normal_iteratorINS8_10device_ptrIiEEEESD_SD_SD_jNS0_19identity_decomposerENS1_16block_id_wrapperIjLb0EEEEE10hipError_tT1_PNSt15iterator_traitsISI_E10value_typeET2_T3_PNSJ_ISO_E10value_typeET4_T5_PST_SU_PNS1_23onesweep_lookback_stateEbbT6_jjT7_P12ihipStream_tbENKUlT_T0_SI_SN_E_clIPiSD_S15_SD_EEDaS11_S12_SI_SN_EUlS11_E_NS1_11comp_targetILNS1_3genE6ELNS1_11target_archE950ELNS1_3gpuE13ELNS1_3repE0EEENS1_47radix_sort_onesweep_sort_config_static_selectorELNS0_4arch9wavefront6targetE1EEEvSI_,"axG",@progbits,_ZN7rocprim17ROCPRIM_400000_NS6detail17trampoline_kernelINS0_14default_configENS1_35radix_sort_onesweep_config_selectorIiiEEZZNS1_29radix_sort_onesweep_iterationIS3_Lb0EN6thrust23THRUST_200600_302600_NS6detail15normal_iteratorINS8_10device_ptrIiEEEESD_SD_SD_jNS0_19identity_decomposerENS1_16block_id_wrapperIjLb0EEEEE10hipError_tT1_PNSt15iterator_traitsISI_E10value_typeET2_T3_PNSJ_ISO_E10value_typeET4_T5_PST_SU_PNS1_23onesweep_lookback_stateEbbT6_jjT7_P12ihipStream_tbENKUlT_T0_SI_SN_E_clIPiSD_S15_SD_EEDaS11_S12_SI_SN_EUlS11_E_NS1_11comp_targetILNS1_3genE6ELNS1_11target_archE950ELNS1_3gpuE13ELNS1_3repE0EEENS1_47radix_sort_onesweep_sort_config_static_selectorELNS0_4arch9wavefront6targetE1EEEvSI_,comdat
	.protected	_ZN7rocprim17ROCPRIM_400000_NS6detail17trampoline_kernelINS0_14default_configENS1_35radix_sort_onesweep_config_selectorIiiEEZZNS1_29radix_sort_onesweep_iterationIS3_Lb0EN6thrust23THRUST_200600_302600_NS6detail15normal_iteratorINS8_10device_ptrIiEEEESD_SD_SD_jNS0_19identity_decomposerENS1_16block_id_wrapperIjLb0EEEEE10hipError_tT1_PNSt15iterator_traitsISI_E10value_typeET2_T3_PNSJ_ISO_E10value_typeET4_T5_PST_SU_PNS1_23onesweep_lookback_stateEbbT6_jjT7_P12ihipStream_tbENKUlT_T0_SI_SN_E_clIPiSD_S15_SD_EEDaS11_S12_SI_SN_EUlS11_E_NS1_11comp_targetILNS1_3genE6ELNS1_11target_archE950ELNS1_3gpuE13ELNS1_3repE0EEENS1_47radix_sort_onesweep_sort_config_static_selectorELNS0_4arch9wavefront6targetE1EEEvSI_ ; -- Begin function _ZN7rocprim17ROCPRIM_400000_NS6detail17trampoline_kernelINS0_14default_configENS1_35radix_sort_onesweep_config_selectorIiiEEZZNS1_29radix_sort_onesweep_iterationIS3_Lb0EN6thrust23THRUST_200600_302600_NS6detail15normal_iteratorINS8_10device_ptrIiEEEESD_SD_SD_jNS0_19identity_decomposerENS1_16block_id_wrapperIjLb0EEEEE10hipError_tT1_PNSt15iterator_traitsISI_E10value_typeET2_T3_PNSJ_ISO_E10value_typeET4_T5_PST_SU_PNS1_23onesweep_lookback_stateEbbT6_jjT7_P12ihipStream_tbENKUlT_T0_SI_SN_E_clIPiSD_S15_SD_EEDaS11_S12_SI_SN_EUlS11_E_NS1_11comp_targetILNS1_3genE6ELNS1_11target_archE950ELNS1_3gpuE13ELNS1_3repE0EEENS1_47radix_sort_onesweep_sort_config_static_selectorELNS0_4arch9wavefront6targetE1EEEvSI_
	.globl	_ZN7rocprim17ROCPRIM_400000_NS6detail17trampoline_kernelINS0_14default_configENS1_35radix_sort_onesweep_config_selectorIiiEEZZNS1_29radix_sort_onesweep_iterationIS3_Lb0EN6thrust23THRUST_200600_302600_NS6detail15normal_iteratorINS8_10device_ptrIiEEEESD_SD_SD_jNS0_19identity_decomposerENS1_16block_id_wrapperIjLb0EEEEE10hipError_tT1_PNSt15iterator_traitsISI_E10value_typeET2_T3_PNSJ_ISO_E10value_typeET4_T5_PST_SU_PNS1_23onesweep_lookback_stateEbbT6_jjT7_P12ihipStream_tbENKUlT_T0_SI_SN_E_clIPiSD_S15_SD_EEDaS11_S12_SI_SN_EUlS11_E_NS1_11comp_targetILNS1_3genE6ELNS1_11target_archE950ELNS1_3gpuE13ELNS1_3repE0EEENS1_47radix_sort_onesweep_sort_config_static_selectorELNS0_4arch9wavefront6targetE1EEEvSI_
	.p2align	8
	.type	_ZN7rocprim17ROCPRIM_400000_NS6detail17trampoline_kernelINS0_14default_configENS1_35radix_sort_onesweep_config_selectorIiiEEZZNS1_29radix_sort_onesweep_iterationIS3_Lb0EN6thrust23THRUST_200600_302600_NS6detail15normal_iteratorINS8_10device_ptrIiEEEESD_SD_SD_jNS0_19identity_decomposerENS1_16block_id_wrapperIjLb0EEEEE10hipError_tT1_PNSt15iterator_traitsISI_E10value_typeET2_T3_PNSJ_ISO_E10value_typeET4_T5_PST_SU_PNS1_23onesweep_lookback_stateEbbT6_jjT7_P12ihipStream_tbENKUlT_T0_SI_SN_E_clIPiSD_S15_SD_EEDaS11_S12_SI_SN_EUlS11_E_NS1_11comp_targetILNS1_3genE6ELNS1_11target_archE950ELNS1_3gpuE13ELNS1_3repE0EEENS1_47radix_sort_onesweep_sort_config_static_selectorELNS0_4arch9wavefront6targetE1EEEvSI_,@function
_ZN7rocprim17ROCPRIM_400000_NS6detail17trampoline_kernelINS0_14default_configENS1_35radix_sort_onesweep_config_selectorIiiEEZZNS1_29radix_sort_onesweep_iterationIS3_Lb0EN6thrust23THRUST_200600_302600_NS6detail15normal_iteratorINS8_10device_ptrIiEEEESD_SD_SD_jNS0_19identity_decomposerENS1_16block_id_wrapperIjLb0EEEEE10hipError_tT1_PNSt15iterator_traitsISI_E10value_typeET2_T3_PNSJ_ISO_E10value_typeET4_T5_PST_SU_PNS1_23onesweep_lookback_stateEbbT6_jjT7_P12ihipStream_tbENKUlT_T0_SI_SN_E_clIPiSD_S15_SD_EEDaS11_S12_SI_SN_EUlS11_E_NS1_11comp_targetILNS1_3genE6ELNS1_11target_archE950ELNS1_3gpuE13ELNS1_3repE0EEENS1_47radix_sort_onesweep_sort_config_static_selectorELNS0_4arch9wavefront6targetE1EEEvSI_: ; @_ZN7rocprim17ROCPRIM_400000_NS6detail17trampoline_kernelINS0_14default_configENS1_35radix_sort_onesweep_config_selectorIiiEEZZNS1_29radix_sort_onesweep_iterationIS3_Lb0EN6thrust23THRUST_200600_302600_NS6detail15normal_iteratorINS8_10device_ptrIiEEEESD_SD_SD_jNS0_19identity_decomposerENS1_16block_id_wrapperIjLb0EEEEE10hipError_tT1_PNSt15iterator_traitsISI_E10value_typeET2_T3_PNSJ_ISO_E10value_typeET4_T5_PST_SU_PNS1_23onesweep_lookback_stateEbbT6_jjT7_P12ihipStream_tbENKUlT_T0_SI_SN_E_clIPiSD_S15_SD_EEDaS11_S12_SI_SN_EUlS11_E_NS1_11comp_targetILNS1_3genE6ELNS1_11target_archE950ELNS1_3gpuE13ELNS1_3repE0EEENS1_47radix_sort_onesweep_sort_config_static_selectorELNS0_4arch9wavefront6targetE1EEEvSI_
; %bb.0:
	s_load_dwordx8 s[52:59], s[0:1], 0x0
	s_load_dwordx4 s[64:67], s[0:1], 0x44
	s_load_dwordx4 s[60:63], s[0:1], 0x28
	s_load_dwordx2 s[50:51], s[0:1], 0x38
	s_mov_b64 s[4:5], -1
	v_mbcnt_lo_u32_b32 v1, -1, 0
	s_waitcnt lgkmcnt(0)
	s_cmp_ge_u32 s2, s66
	s_cbranch_scc0 .LBB868_204
; %bb.1:
	s_load_dword s3, s[0:1], 0x20
	s_lshl_b32 s6, s66, 14
	s_lshl_b32 s4, s2, 14
	s_mov_b32 s5, 0
	v_and_b32_e32 v2, 0x3ff, v0
	s_waitcnt lgkmcnt(0)
	s_sub_i32 s3, s3, s6
	s_lshl_b64 s[66:67], s[4:5], 2
	v_mbcnt_hi_u32_b32 v12, -1, v1
	s_add_u32 s4, s52, s66
	v_and_b32_e32 v10, 63, v12
	v_lshlrev_b32_e32 v4, 4, v2
	s_addc_u32 s5, s53, s67
	v_and_b32_e32 v11, 0x3c00, v4
	v_mov_b32_e32 v5, 0
	v_lshlrev_b32_e32 v4, 2, v10
	v_lshl_add_u64 v[8:9], s[4:5], 0, v[4:5]
	v_lshlrev_b32_e32 v6, 2, v11
	v_mov_b32_e32 v7, v5
	v_or_b32_e32 v10, v10, v11
	v_mov_b32_e32 v3, -1
	v_lshl_add_u64 v[8:9], v[8:9], 0, v[6:7]
	v_cmp_gt_u32_e32 vcc, s3, v10
	v_mov_b32_e32 v5, -1
	s_and_saveexec_b64 s[4:5], vcc
	s_cbranch_execz .LBB868_3
; %bb.2:
	global_load_dword v5, v[8:9], off
	s_waitcnt vmcnt(0)
	v_xor_b32_e32 v5, 0x80000000, v5
.LBB868_3:
	s_or_b64 exec, exec, s[4:5]
	v_or_b32_e32 v7, 64, v10
	v_cmp_gt_u32_e64 s[42:43], s3, v7
	s_and_saveexec_b64 s[4:5], s[42:43]
	s_cbranch_execz .LBB868_5
; %bb.4:
	global_load_dword v3, v[8:9], off offset:256
	s_waitcnt vmcnt(0)
	v_xor_b32_e32 v3, 0x80000000, v3
.LBB868_5:
	s_or_b64 exec, exec, s[4:5]
	v_or_b32_e32 v7, 0x80, v10
	v_cmp_gt_u32_e64 s[4:5], s3, v7
	v_mov_b32_e32 v7, -1
	v_mov_b32_e32 v14, -1
	s_and_saveexec_b64 s[6:7], s[4:5]
	s_cbranch_execz .LBB868_7
; %bb.6:
	global_load_dword v11, v[8:9], off offset:512
	s_waitcnt vmcnt(0)
	v_xor_b32_e32 v14, 0x80000000, v11
.LBB868_7:
	s_or_b64 exec, exec, s[6:7]
	v_or_b32_e32 v11, 0xc0, v10
	v_cmp_gt_u32_e64 s[6:7], s3, v11
	s_and_saveexec_b64 s[8:9], s[6:7]
	s_cbranch_execz .LBB868_9
; %bb.8:
	global_load_dword v7, v[8:9], off offset:768
	s_waitcnt vmcnt(0)
	v_xor_b32_e32 v7, 0x80000000, v7
.LBB868_9:
	s_or_b64 exec, exec, s[8:9]
	v_or_b32_e32 v11, 0x100, v10
	v_cmp_gt_u32_e64 s[8:9], s3, v11
	v_mov_b32_e32 v15, -1
	v_mov_b32_e32 v16, -1
	s_and_saveexec_b64 s[10:11], s[8:9]
	s_cbranch_execz .LBB868_11
; %bb.10:
	global_load_dword v11, v[8:9], off offset:1024
	s_waitcnt vmcnt(0)
	v_xor_b32_e32 v16, 0x80000000, v11
.LBB868_11:
	;; [unrolled: 22-line block ×7, first 2 shown]
	s_or_b64 exec, exec, s[30:31]
	v_or_b32_e32 v10, 0x3c0, v10
	v_cmp_gt_u32_e64 s[30:31], s3, v10
	s_and_saveexec_b64 s[34:35], s[30:31]
	s_cbranch_execz .LBB868_33
; %bb.32:
	global_load_dword v8, v[8:9], off offset:3840
	s_waitcnt vmcnt(0)
	v_xor_b32_e32 v25, 0x80000000, v8
.LBB868_33:
	s_or_b64 exec, exec, s[34:35]
	s_load_dword s34, s[0:1], 0x64
	s_load_dword s33, s[0:1], 0x58
	s_add_u32 s35, s0, 0x58
	s_addc_u32 s36, s1, 0
	v_mov_b32_e32 v9, 0
	s_waitcnt lgkmcnt(0)
	s_lshr_b32 s37, s34, 16
	s_cmp_lt_u32 s2, s33
	s_cselect_b32 s34, 12, 18
	s_add_u32 s34, s35, s34
	s_addc_u32 s35, s36, 0
	global_load_ushort v27, v9, s[34:35]
	v_lshrrev_b32_e32 v29, s64, v5
	s_lshl_b32 s34, -1, s65
	v_bfe_u32 v8, v0, 10, 10
	v_bfe_u32 v11, v0, 20, 10
	v_bitop3_b32 v38, v29, s34, v29 bitop3:0x30
	s_movk_i32 s69, 0x44
	v_mad_u32_u24 v40, v11, s37, v8
	v_and_b32_e32 v8, 1, v38
	v_lshlrev_b32_e32 v11, 30, v38
	v_mov_b32_e32 v10, v9
	v_mov_b32_e32 v30, v9
	s_not_b32 s68, s34
	v_mul_lo_u32 v42, v38, s69
	v_lshlrev_b32_e32 v29, 29, v38
	v_lshlrev_b32_e32 v31, 28, v38
	;; [unrolled: 1-line block ×6, first 2 shown]
	v_lshl_add_u64 v[38:39], v[8:9], 0, -1
	v_cmp_ne_u32_e64 s[34:35], 0, v8
	v_not_b32_e32 v8, v11
	v_mov_b32_e32 v28, v9
	v_mov_b32_e32 v32, v9
	v_cmp_gt_i64_e64 s[36:37], 0, v[10:11]
	v_not_b32_e32 v10, v29
	v_cmp_gt_i64_e64 s[40:41], 0, v[30:31]
	v_not_b32_e32 v11, v31
	v_xor_b32_e32 v31, s35, v39
	v_ashrrev_i32_e32 v8, 31, v8
	v_mov_b32_e32 v34, v9
	v_cmp_gt_i64_e64 s[38:39], 0, v[28:29]
	v_cmp_gt_i64_e64 s[44:45], 0, v[32:33]
	v_not_b32_e32 v28, v33
	v_xor_b32_e32 v32, s34, v38
	v_ashrrev_i32_e32 v10, 31, v10
	v_and_b32_e32 v31, exec_hi, v31
	v_xor_b32_e32 v33, s37, v8
	v_cmp_gt_i64_e64 s[46:47], 0, v[34:35]
	v_ashrrev_i32_e32 v11, 31, v11
	v_and_b32_e32 v32, exec_lo, v32
	v_xor_b32_e32 v8, s36, v8
	v_xor_b32_e32 v34, s39, v10
	v_and_b32_e32 v31, v31, v33
	v_mov_b32_e32 v36, v9
	v_not_b32_e32 v29, v35
	v_ashrrev_i32_e32 v28, 31, v28
	v_xor_b32_e32 v10, s38, v10
	v_xor_b32_e32 v35, s41, v11
	v_and_b32_e32 v8, v32, v8
	v_and_b32_e32 v31, v31, v34
	v_cmp_gt_i64_e64 s[48:49], 0, v[36:37]
	v_not_b32_e32 v30, v37
	v_ashrrev_i32_e32 v29, 31, v29
	v_xor_b32_e32 v36, s45, v28
	v_and_b32_e32 v8, v8, v10
	v_and_b32_e32 v10, v31, v35
	v_ashrrev_i32_e32 v30, 31, v30
	v_xor_b32_e32 v11, s40, v11
	v_xor_b32_e32 v37, s47, v29
	v_and_b32_e32 v10, v10, v36
	v_xor_b32_e32 v28, s44, v28
	v_xor_b32_e32 v38, s49, v30
	v_and_b32_e32 v8, v8, v11
	v_and_b32_e32 v10, v10, v37
	;; [unrolled: 1-line block ×4, first 2 shown]
	v_xor_b32_e32 v29, s46, v29
	v_xor_b32_e32 v30, s48, v30
	v_and_b32_e32 v8, v8, v29
	v_and_b32_e32 v8, v8, v30
	v_mul_u32_u24_e32 v13, 20, v2
	ds_write2_b32 v13, v9, v9 offset0:16 offset1:17
	ds_write2_b32 v13, v9, v9 offset0:18 offset1:19
	ds_write_b32 v13, v9 offset:80
	s_waitcnt lgkmcnt(0)
	s_barrier
	s_waitcnt vmcnt(0)
	; wave barrier
	v_mad_u64_u32 v[10:11], s[34:35], v40, v27, v[2:3]
	v_lshrrev_b32_e32 v38, 6, v10
	v_mov_b32_e32 v40, v9
	v_not_b32_e32 v10, v41
	v_cmp_gt_i64_e64 s[34:35], 0, v[40:41]
	v_ashrrev_i32_e32 v10, 31, v10
	v_lshl_add_u32 v31, v38, 2, v42
	v_xor_b32_e32 v11, s35, v10
	v_xor_b32_e32 v10, s34, v10
	v_and_b32_e32 v10, v8, v10
	v_and_b32_e32 v11, v28, v11
	v_mbcnt_lo_u32_b32 v8, v10, 0
	v_mbcnt_hi_u32_b32 v28, v11, v8
	v_cmp_eq_u32_e64 s[34:35], 0, v28
	v_cmp_ne_u64_e64 s[36:37], 0, v[10:11]
	s_and_b64 s[36:37], s[36:37], s[34:35]
	s_and_saveexec_b64 s[34:35], s[36:37]
; %bb.34:
	v_bcnt_u32_b32 v8, v10, 0
	v_bcnt_u32_b32 v8, v11, v8
	ds_write_b32 v31, v8 offset:64
; %bb.35:
	s_or_b64 exec, exec, s[34:35]
	v_lshrrev_b32_e32 v8, s64, v3
	v_and_b32_e32 v29, s68, v8
	v_mul_lo_u32 v8, v29, s69
	v_lshl_add_u32 v33, v38, 2, v8
	v_and_b32_e32 v8, 1, v29
	v_lshl_add_u64 v[10:11], v[8:9], 0, -1
	v_cmp_ne_u32_e64 s[34:35], 0, v8
	; wave barrier
	s_nop 1
	v_xor_b32_e32 v10, s34, v10
	v_xor_b32_e32 v8, s35, v11
	v_and_b32_e32 v30, exec_lo, v10
	v_lshlrev_b32_e32 v11, 30, v29
	v_mov_b32_e32 v10, v9
	v_cmp_gt_i64_e64 s[34:35], 0, v[10:11]
	v_not_b32_e32 v10, v11
	v_ashrrev_i32_e32 v10, 31, v10
	v_and_b32_e32 v8, exec_hi, v8
	v_xor_b32_e32 v11, s35, v10
	v_xor_b32_e32 v10, s34, v10
	v_and_b32_e32 v8, v8, v11
	v_and_b32_e32 v30, v30, v10
	v_lshlrev_b32_e32 v11, 29, v29
	v_mov_b32_e32 v10, v9
	v_cmp_gt_i64_e64 s[34:35], 0, v[10:11]
	v_not_b32_e32 v10, v11
	v_ashrrev_i32_e32 v10, 31, v10
	v_xor_b32_e32 v11, s35, v10
	v_xor_b32_e32 v10, s34, v10
	v_and_b32_e32 v8, v8, v11
	v_and_b32_e32 v30, v30, v10
	v_lshlrev_b32_e32 v11, 28, v29
	v_mov_b32_e32 v10, v9
	v_cmp_gt_i64_e64 s[34:35], 0, v[10:11]
	v_not_b32_e32 v10, v11
	v_ashrrev_i32_e32 v10, 31, v10
	;; [unrolled: 9-line block ×5, first 2 shown]
	v_xor_b32_e32 v11, s35, v10
	v_xor_b32_e32 v10, s34, v10
	v_and_b32_e32 v8, v8, v11
	v_lshlrev_b32_e32 v11, 24, v29
	v_and_b32_e32 v30, v30, v10
	v_mov_b32_e32 v10, v9
	v_not_b32_e32 v9, v11
	v_cmp_gt_i64_e64 s[34:35], 0, v[10:11]
	v_ashrrev_i32_e32 v9, 31, v9
	ds_read_b32 v27, v33 offset:64
	v_xor_b32_e32 v10, s35, v9
	v_xor_b32_e32 v11, s34, v9
	v_and_b32_e32 v9, v8, v10
	v_and_b32_e32 v8, v30, v11
	v_mbcnt_lo_u32_b32 v10, v8, 0
	v_mbcnt_hi_u32_b32 v29, v9, v10
	v_cmp_eq_u32_e64 s[34:35], 0, v29
	v_cmp_ne_u64_e64 s[36:37], 0, v[8:9]
	s_and_b64 s[36:37], s[36:37], s[34:35]
	; wave barrier
	s_and_saveexec_b64 s[34:35], s[36:37]
	s_cbranch_execz .LBB868_37
; %bb.36:
	v_bcnt_u32_b32 v8, v8, 0
	v_bcnt_u32_b32 v8, v9, v8
	s_waitcnt lgkmcnt(0)
	v_add_u32_e32 v8, v27, v8
	ds_write_b32 v33, v8 offset:64
.LBB868_37:
	s_or_b64 exec, exec, s[34:35]
	v_lshrrev_b32_e32 v8, s64, v14
	v_and_b32_e32 v32, s68, v8
	s_movk_i32 s38, 0x44
	v_mul_lo_u32 v8, v32, s38
	v_lshl_add_u32 v36, v38, 2, v8
	v_and_b32_e32 v8, 1, v32
	v_mov_b32_e32 v9, 0
	v_lshl_add_u64 v[10:11], v[8:9], 0, -1
	v_cmp_ne_u32_e64 s[34:35], 0, v8
	; wave barrier
	s_nop 1
	v_xor_b32_e32 v10, s34, v10
	v_xor_b32_e32 v8, s35, v11
	v_and_b32_e32 v34, exec_lo, v10
	v_lshlrev_b32_e32 v11, 30, v32
	v_mov_b32_e32 v10, v9
	v_cmp_gt_i64_e64 s[34:35], 0, v[10:11]
	v_not_b32_e32 v10, v11
	v_ashrrev_i32_e32 v10, 31, v10
	v_and_b32_e32 v8, exec_hi, v8
	v_xor_b32_e32 v11, s35, v10
	v_xor_b32_e32 v10, s34, v10
	v_and_b32_e32 v8, v8, v11
	v_and_b32_e32 v34, v34, v10
	v_lshlrev_b32_e32 v11, 29, v32
	v_mov_b32_e32 v10, v9
	v_cmp_gt_i64_e64 s[34:35], 0, v[10:11]
	v_not_b32_e32 v10, v11
	v_ashrrev_i32_e32 v10, 31, v10
	v_xor_b32_e32 v11, s35, v10
	v_xor_b32_e32 v10, s34, v10
	v_and_b32_e32 v8, v8, v11
	v_and_b32_e32 v34, v34, v10
	v_lshlrev_b32_e32 v11, 28, v32
	v_mov_b32_e32 v10, v9
	v_cmp_gt_i64_e64 s[34:35], 0, v[10:11]
	v_not_b32_e32 v10, v11
	v_ashrrev_i32_e32 v10, 31, v10
	;; [unrolled: 9-line block ×6, first 2 shown]
	v_xor_b32_e32 v11, s35, v10
	v_xor_b32_e32 v10, s34, v10
	ds_read_b32 v30, v36 offset:64
	v_and_b32_e32 v10, v34, v10
	v_and_b32_e32 v11, v8, v11
	v_mbcnt_lo_u32_b32 v8, v10, 0
	v_mbcnt_hi_u32_b32 v32, v11, v8
	v_cmp_eq_u32_e64 s[34:35], 0, v32
	v_cmp_ne_u64_e64 s[36:37], 0, v[10:11]
	s_and_b64 s[36:37], s[36:37], s[34:35]
	; wave barrier
	s_and_saveexec_b64 s[34:35], s[36:37]
	s_cbranch_execz .LBB868_39
; %bb.38:
	v_bcnt_u32_b32 v8, v10, 0
	v_bcnt_u32_b32 v8, v11, v8
	s_waitcnt lgkmcnt(0)
	v_add_u32_e32 v8, v30, v8
	ds_write_b32 v36, v8 offset:64
.LBB868_39:
	s_or_b64 exec, exec, s[34:35]
	v_lshrrev_b32_e32 v8, s64, v7
	v_and_b32_e32 v35, s68, v8
	v_mul_lo_u32 v8, v35, s38
	v_lshl_add_u32 v40, v38, 2, v8
	v_and_b32_e32 v8, 1, v35
	v_lshl_add_u64 v[10:11], v[8:9], 0, -1
	v_cmp_ne_u32_e64 s[34:35], 0, v8
	; wave barrier
	s_nop 1
	v_xor_b32_e32 v10, s34, v10
	v_xor_b32_e32 v8, s35, v11
	v_and_b32_e32 v37, exec_lo, v10
	v_lshlrev_b32_e32 v11, 30, v35
	v_mov_b32_e32 v10, v9
	v_cmp_gt_i64_e64 s[34:35], 0, v[10:11]
	v_not_b32_e32 v10, v11
	v_ashrrev_i32_e32 v10, 31, v10
	v_and_b32_e32 v8, exec_hi, v8
	v_xor_b32_e32 v11, s35, v10
	v_xor_b32_e32 v10, s34, v10
	v_and_b32_e32 v8, v8, v11
	v_and_b32_e32 v37, v37, v10
	v_lshlrev_b32_e32 v11, 29, v35
	v_mov_b32_e32 v10, v9
	v_cmp_gt_i64_e64 s[34:35], 0, v[10:11]
	v_not_b32_e32 v10, v11
	v_ashrrev_i32_e32 v10, 31, v10
	v_xor_b32_e32 v11, s35, v10
	v_xor_b32_e32 v10, s34, v10
	v_and_b32_e32 v8, v8, v11
	v_and_b32_e32 v37, v37, v10
	v_lshlrev_b32_e32 v11, 28, v35
	v_mov_b32_e32 v10, v9
	v_cmp_gt_i64_e64 s[34:35], 0, v[10:11]
	v_not_b32_e32 v10, v11
	v_ashrrev_i32_e32 v10, 31, v10
	;; [unrolled: 9-line block ×5, first 2 shown]
	v_xor_b32_e32 v11, s35, v10
	v_xor_b32_e32 v10, s34, v10
	v_and_b32_e32 v8, v8, v11
	v_lshlrev_b32_e32 v11, 24, v35
	v_and_b32_e32 v37, v37, v10
	v_mov_b32_e32 v10, v9
	v_not_b32_e32 v9, v11
	v_cmp_gt_i64_e64 s[34:35], 0, v[10:11]
	v_ashrrev_i32_e32 v9, 31, v9
	ds_read_b32 v34, v40 offset:64
	v_xor_b32_e32 v10, s35, v9
	v_xor_b32_e32 v11, s34, v9
	v_and_b32_e32 v9, v8, v10
	v_and_b32_e32 v8, v37, v11
	v_mbcnt_lo_u32_b32 v10, v8, 0
	v_mbcnt_hi_u32_b32 v35, v9, v10
	v_cmp_eq_u32_e64 s[34:35], 0, v35
	v_cmp_ne_u64_e64 s[36:37], 0, v[8:9]
	s_and_b64 s[36:37], s[36:37], s[34:35]
	; wave barrier
	s_and_saveexec_b64 s[34:35], s[36:37]
	s_cbranch_execz .LBB868_41
; %bb.40:
	v_bcnt_u32_b32 v8, v8, 0
	v_bcnt_u32_b32 v8, v9, v8
	s_waitcnt lgkmcnt(0)
	v_add_u32_e32 v8, v34, v8
	ds_write_b32 v40, v8 offset:64
.LBB868_41:
	s_or_b64 exec, exec, s[34:35]
	v_lshrrev_b32_e32 v8, s64, v16
	v_and_b32_e32 v39, s68, v8
	v_mul_lo_u32 v8, v39, s38
	v_lshl_add_u32 v43, v38, 2, v8
	v_and_b32_e32 v8, 1, v39
	v_mov_b32_e32 v9, 0
	v_lshl_add_u64 v[10:11], v[8:9], 0, -1
	v_cmp_ne_u32_e64 s[34:35], 0, v8
	; wave barrier
	s_nop 1
	v_xor_b32_e32 v10, s34, v10
	v_xor_b32_e32 v8, s35, v11
	v_and_b32_e32 v41, exec_lo, v10
	v_lshlrev_b32_e32 v11, 30, v39
	v_mov_b32_e32 v10, v9
	v_cmp_gt_i64_e64 s[34:35], 0, v[10:11]
	v_not_b32_e32 v10, v11
	v_ashrrev_i32_e32 v10, 31, v10
	v_and_b32_e32 v8, exec_hi, v8
	v_xor_b32_e32 v11, s35, v10
	v_xor_b32_e32 v10, s34, v10
	v_and_b32_e32 v8, v8, v11
	v_and_b32_e32 v41, v41, v10
	v_lshlrev_b32_e32 v11, 29, v39
	v_mov_b32_e32 v10, v9
	v_cmp_gt_i64_e64 s[34:35], 0, v[10:11]
	v_not_b32_e32 v10, v11
	v_ashrrev_i32_e32 v10, 31, v10
	v_xor_b32_e32 v11, s35, v10
	v_xor_b32_e32 v10, s34, v10
	v_and_b32_e32 v8, v8, v11
	v_and_b32_e32 v41, v41, v10
	v_lshlrev_b32_e32 v11, 28, v39
	v_mov_b32_e32 v10, v9
	v_cmp_gt_i64_e64 s[34:35], 0, v[10:11]
	v_not_b32_e32 v10, v11
	v_ashrrev_i32_e32 v10, 31, v10
	;; [unrolled: 9-line block ×6, first 2 shown]
	v_xor_b32_e32 v11, s35, v10
	v_xor_b32_e32 v10, s34, v10
	ds_read_b32 v37, v43 offset:64
	v_and_b32_e32 v10, v41, v10
	v_and_b32_e32 v11, v8, v11
	v_mbcnt_lo_u32_b32 v8, v10, 0
	v_mbcnt_hi_u32_b32 v39, v11, v8
	v_cmp_eq_u32_e64 s[34:35], 0, v39
	v_cmp_ne_u64_e64 s[36:37], 0, v[10:11]
	s_and_b64 s[36:37], s[36:37], s[34:35]
	; wave barrier
	s_and_saveexec_b64 s[34:35], s[36:37]
	s_cbranch_execz .LBB868_43
; %bb.42:
	v_bcnt_u32_b32 v8, v10, 0
	v_bcnt_u32_b32 v8, v11, v8
	s_waitcnt lgkmcnt(0)
	v_add_u32_e32 v8, v37, v8
	ds_write_b32 v43, v8 offset:64
.LBB868_43:
	s_or_b64 exec, exec, s[34:35]
	v_lshrrev_b32_e32 v8, s64, v15
	v_and_b32_e32 v42, s68, v8
	v_mul_lo_u32 v8, v42, s38
	v_lshl_add_u32 v45, v38, 2, v8
	v_and_b32_e32 v8, 1, v42
	v_lshl_add_u64 v[10:11], v[8:9], 0, -1
	v_cmp_ne_u32_e64 s[34:35], 0, v8
	; wave barrier
	s_nop 1
	v_xor_b32_e32 v10, s34, v10
	v_xor_b32_e32 v8, s35, v11
	v_and_b32_e32 v44, exec_lo, v10
	v_lshlrev_b32_e32 v11, 30, v42
	v_mov_b32_e32 v10, v9
	v_cmp_gt_i64_e64 s[34:35], 0, v[10:11]
	v_not_b32_e32 v10, v11
	v_ashrrev_i32_e32 v10, 31, v10
	v_and_b32_e32 v8, exec_hi, v8
	v_xor_b32_e32 v11, s35, v10
	v_xor_b32_e32 v10, s34, v10
	v_and_b32_e32 v8, v8, v11
	v_and_b32_e32 v44, v44, v10
	v_lshlrev_b32_e32 v11, 29, v42
	v_mov_b32_e32 v10, v9
	v_cmp_gt_i64_e64 s[34:35], 0, v[10:11]
	v_not_b32_e32 v10, v11
	v_ashrrev_i32_e32 v10, 31, v10
	v_xor_b32_e32 v11, s35, v10
	v_xor_b32_e32 v10, s34, v10
	v_and_b32_e32 v8, v8, v11
	v_and_b32_e32 v44, v44, v10
	v_lshlrev_b32_e32 v11, 28, v42
	v_mov_b32_e32 v10, v9
	v_cmp_gt_i64_e64 s[34:35], 0, v[10:11]
	v_not_b32_e32 v10, v11
	v_ashrrev_i32_e32 v10, 31, v10
	;; [unrolled: 9-line block ×5, first 2 shown]
	v_xor_b32_e32 v11, s35, v10
	v_xor_b32_e32 v10, s34, v10
	v_and_b32_e32 v8, v8, v11
	v_lshlrev_b32_e32 v11, 24, v42
	v_and_b32_e32 v44, v44, v10
	v_mov_b32_e32 v10, v9
	v_not_b32_e32 v9, v11
	v_cmp_gt_i64_e64 s[34:35], 0, v[10:11]
	v_ashrrev_i32_e32 v9, 31, v9
	ds_read_b32 v41, v45 offset:64
	v_xor_b32_e32 v10, s35, v9
	v_xor_b32_e32 v11, s34, v9
	v_and_b32_e32 v9, v8, v10
	v_and_b32_e32 v8, v44, v11
	v_mbcnt_lo_u32_b32 v10, v8, 0
	v_mbcnt_hi_u32_b32 v42, v9, v10
	v_cmp_eq_u32_e64 s[34:35], 0, v42
	v_cmp_ne_u64_e64 s[36:37], 0, v[8:9]
	s_and_b64 s[36:37], s[36:37], s[34:35]
	; wave barrier
	s_and_saveexec_b64 s[34:35], s[36:37]
	s_cbranch_execz .LBB868_45
; %bb.44:
	v_bcnt_u32_b32 v8, v8, 0
	v_bcnt_u32_b32 v8, v9, v8
	s_waitcnt lgkmcnt(0)
	v_add_u32_e32 v8, v41, v8
	ds_write_b32 v45, v8 offset:64
.LBB868_45:
	s_or_b64 exec, exec, s[34:35]
	v_lshrrev_b32_e32 v8, s64, v18
	v_and_b32_e32 v46, s68, v8
	v_mul_lo_u32 v8, v46, s38
	v_lshl_add_u32 v48, v38, 2, v8
	v_and_b32_e32 v8, 1, v46
	v_mov_b32_e32 v9, 0
	v_lshl_add_u64 v[10:11], v[8:9], 0, -1
	v_cmp_ne_u32_e64 s[34:35], 0, v8
	; wave barrier
	s_nop 1
	v_xor_b32_e32 v10, s34, v10
	v_xor_b32_e32 v8, s35, v11
	v_and_b32_e32 v47, exec_lo, v10
	v_lshlrev_b32_e32 v11, 30, v46
	v_mov_b32_e32 v10, v9
	v_cmp_gt_i64_e64 s[34:35], 0, v[10:11]
	v_not_b32_e32 v10, v11
	v_ashrrev_i32_e32 v10, 31, v10
	v_and_b32_e32 v8, exec_hi, v8
	v_xor_b32_e32 v11, s35, v10
	v_xor_b32_e32 v10, s34, v10
	v_and_b32_e32 v8, v8, v11
	v_and_b32_e32 v47, v47, v10
	v_lshlrev_b32_e32 v11, 29, v46
	v_mov_b32_e32 v10, v9
	v_cmp_gt_i64_e64 s[34:35], 0, v[10:11]
	v_not_b32_e32 v10, v11
	v_ashrrev_i32_e32 v10, 31, v10
	v_xor_b32_e32 v11, s35, v10
	v_xor_b32_e32 v10, s34, v10
	v_and_b32_e32 v8, v8, v11
	v_and_b32_e32 v47, v47, v10
	v_lshlrev_b32_e32 v11, 28, v46
	v_mov_b32_e32 v10, v9
	v_cmp_gt_i64_e64 s[34:35], 0, v[10:11]
	v_not_b32_e32 v10, v11
	v_ashrrev_i32_e32 v10, 31, v10
	;; [unrolled: 9-line block ×6, first 2 shown]
	v_xor_b32_e32 v11, s35, v10
	v_xor_b32_e32 v10, s34, v10
	ds_read_b32 v44, v48 offset:64
	v_and_b32_e32 v10, v47, v10
	v_and_b32_e32 v11, v8, v11
	v_mbcnt_lo_u32_b32 v8, v10, 0
	v_mbcnt_hi_u32_b32 v46, v11, v8
	v_cmp_eq_u32_e64 s[34:35], 0, v46
	v_cmp_ne_u64_e64 s[36:37], 0, v[10:11]
	s_and_b64 s[36:37], s[36:37], s[34:35]
	; wave barrier
	s_and_saveexec_b64 s[34:35], s[36:37]
	s_cbranch_execz .LBB868_47
; %bb.46:
	v_bcnt_u32_b32 v8, v10, 0
	v_bcnt_u32_b32 v8, v11, v8
	s_waitcnt lgkmcnt(0)
	v_add_u32_e32 v8, v44, v8
	ds_write_b32 v48, v8 offset:64
.LBB868_47:
	s_or_b64 exec, exec, s[34:35]
	v_lshrrev_b32_e32 v8, s64, v17
	v_and_b32_e32 v49, s68, v8
	v_mul_lo_u32 v8, v49, s38
	v_lshl_add_u32 v51, v38, 2, v8
	v_and_b32_e32 v8, 1, v49
	v_lshl_add_u64 v[10:11], v[8:9], 0, -1
	v_cmp_ne_u32_e64 s[34:35], 0, v8
	; wave barrier
	s_nop 1
	v_xor_b32_e32 v10, s34, v10
	v_xor_b32_e32 v8, s35, v11
	v_and_b32_e32 v50, exec_lo, v10
	v_lshlrev_b32_e32 v11, 30, v49
	v_mov_b32_e32 v10, v9
	v_cmp_gt_i64_e64 s[34:35], 0, v[10:11]
	v_not_b32_e32 v10, v11
	v_ashrrev_i32_e32 v10, 31, v10
	v_and_b32_e32 v8, exec_hi, v8
	v_xor_b32_e32 v11, s35, v10
	v_xor_b32_e32 v10, s34, v10
	v_and_b32_e32 v8, v8, v11
	v_and_b32_e32 v50, v50, v10
	v_lshlrev_b32_e32 v11, 29, v49
	v_mov_b32_e32 v10, v9
	v_cmp_gt_i64_e64 s[34:35], 0, v[10:11]
	v_not_b32_e32 v10, v11
	v_ashrrev_i32_e32 v10, 31, v10
	v_xor_b32_e32 v11, s35, v10
	v_xor_b32_e32 v10, s34, v10
	v_and_b32_e32 v8, v8, v11
	v_and_b32_e32 v50, v50, v10
	v_lshlrev_b32_e32 v11, 28, v49
	v_mov_b32_e32 v10, v9
	v_cmp_gt_i64_e64 s[34:35], 0, v[10:11]
	v_not_b32_e32 v10, v11
	v_ashrrev_i32_e32 v10, 31, v10
	v_xor_b32_e32 v11, s35, v10
	v_xor_b32_e32 v10, s34, v10
	v_and_b32_e32 v8, v8, v11
	v_and_b32_e32 v50, v50, v10
	v_lshlrev_b32_e32 v11, 27, v49
	v_mov_b32_e32 v10, v9
	v_cmp_gt_i64_e64 s[34:35], 0, v[10:11]
	v_not_b32_e32 v10, v11
	v_ashrrev_i32_e32 v10, 31, v10
	v_xor_b32_e32 v11, s35, v10
	v_xor_b32_e32 v10, s34, v10
	v_and_b32_e32 v8, v8, v11
	v_and_b32_e32 v50, v50, v10
	v_lshlrev_b32_e32 v11, 26, v49
	v_mov_b32_e32 v10, v9
	v_cmp_gt_i64_e64 s[34:35], 0, v[10:11]
	v_not_b32_e32 v10, v11
	v_ashrrev_i32_e32 v10, 31, v10
	v_xor_b32_e32 v11, s35, v10
	v_xor_b32_e32 v10, s34, v10
	v_and_b32_e32 v8, v8, v11
	v_and_b32_e32 v50, v50, v10
	v_lshlrev_b32_e32 v11, 25, v49
	v_mov_b32_e32 v10, v9
	v_cmp_gt_i64_e64 s[34:35], 0, v[10:11]
	v_not_b32_e32 v10, v11
	v_ashrrev_i32_e32 v10, 31, v10
	v_xor_b32_e32 v11, s35, v10
	v_xor_b32_e32 v10, s34, v10
	v_and_b32_e32 v8, v8, v11
	v_lshlrev_b32_e32 v11, 24, v49
	v_and_b32_e32 v50, v50, v10
	v_mov_b32_e32 v10, v9
	v_not_b32_e32 v9, v11
	v_cmp_gt_i64_e64 s[34:35], 0, v[10:11]
	v_ashrrev_i32_e32 v9, 31, v9
	ds_read_b32 v47, v51 offset:64
	v_xor_b32_e32 v10, s35, v9
	v_xor_b32_e32 v11, s34, v9
	v_and_b32_e32 v9, v8, v10
	v_and_b32_e32 v8, v50, v11
	v_mbcnt_lo_u32_b32 v10, v8, 0
	v_mbcnt_hi_u32_b32 v49, v9, v10
	v_cmp_eq_u32_e64 s[34:35], 0, v49
	v_cmp_ne_u64_e64 s[36:37], 0, v[8:9]
	s_and_b64 s[36:37], s[36:37], s[34:35]
	; wave barrier
	s_and_saveexec_b64 s[34:35], s[36:37]
	s_cbranch_execz .LBB868_49
; %bb.48:
	v_bcnt_u32_b32 v8, v8, 0
	v_bcnt_u32_b32 v8, v9, v8
	s_waitcnt lgkmcnt(0)
	v_add_u32_e32 v8, v47, v8
	ds_write_b32 v51, v8 offset:64
.LBB868_49:
	s_or_b64 exec, exec, s[34:35]
	v_lshrrev_b32_e32 v8, s64, v20
	v_and_b32_e32 v52, s68, v8
	v_mul_lo_u32 v8, v52, s38
	v_lshl_add_u32 v54, v38, 2, v8
	v_and_b32_e32 v8, 1, v52
	v_mov_b32_e32 v9, 0
	v_lshl_add_u64 v[10:11], v[8:9], 0, -1
	v_cmp_ne_u32_e64 s[34:35], 0, v8
	; wave barrier
	s_nop 1
	v_xor_b32_e32 v10, s34, v10
	v_xor_b32_e32 v8, s35, v11
	v_and_b32_e32 v53, exec_lo, v10
	v_lshlrev_b32_e32 v11, 30, v52
	v_mov_b32_e32 v10, v9
	v_cmp_gt_i64_e64 s[34:35], 0, v[10:11]
	v_not_b32_e32 v10, v11
	v_ashrrev_i32_e32 v10, 31, v10
	v_and_b32_e32 v8, exec_hi, v8
	v_xor_b32_e32 v11, s35, v10
	v_xor_b32_e32 v10, s34, v10
	v_and_b32_e32 v8, v8, v11
	v_and_b32_e32 v53, v53, v10
	v_lshlrev_b32_e32 v11, 29, v52
	v_mov_b32_e32 v10, v9
	v_cmp_gt_i64_e64 s[34:35], 0, v[10:11]
	v_not_b32_e32 v10, v11
	v_ashrrev_i32_e32 v10, 31, v10
	v_xor_b32_e32 v11, s35, v10
	v_xor_b32_e32 v10, s34, v10
	v_and_b32_e32 v8, v8, v11
	v_and_b32_e32 v53, v53, v10
	v_lshlrev_b32_e32 v11, 28, v52
	v_mov_b32_e32 v10, v9
	v_cmp_gt_i64_e64 s[34:35], 0, v[10:11]
	v_not_b32_e32 v10, v11
	v_ashrrev_i32_e32 v10, 31, v10
	;; [unrolled: 9-line block ×6, first 2 shown]
	v_xor_b32_e32 v11, s35, v10
	v_xor_b32_e32 v10, s34, v10
	ds_read_b32 v50, v54 offset:64
	v_and_b32_e32 v10, v53, v10
	v_and_b32_e32 v11, v8, v11
	v_mbcnt_lo_u32_b32 v8, v10, 0
	v_mbcnt_hi_u32_b32 v52, v11, v8
	v_cmp_eq_u32_e64 s[34:35], 0, v52
	v_cmp_ne_u64_e64 s[36:37], 0, v[10:11]
	s_and_b64 s[36:37], s[36:37], s[34:35]
	; wave barrier
	s_and_saveexec_b64 s[34:35], s[36:37]
	s_cbranch_execz .LBB868_51
; %bb.50:
	v_bcnt_u32_b32 v8, v10, 0
	v_bcnt_u32_b32 v8, v11, v8
	s_waitcnt lgkmcnt(0)
	v_add_u32_e32 v8, v50, v8
	ds_write_b32 v54, v8 offset:64
.LBB868_51:
	s_or_b64 exec, exec, s[34:35]
	v_lshrrev_b32_e32 v8, s64, v19
	v_and_b32_e32 v55, s68, v8
	v_mul_lo_u32 v8, v55, s38
	v_lshl_add_u32 v57, v38, 2, v8
	v_and_b32_e32 v8, 1, v55
	v_lshl_add_u64 v[10:11], v[8:9], 0, -1
	v_cmp_ne_u32_e64 s[34:35], 0, v8
	; wave barrier
	s_nop 1
	v_xor_b32_e32 v10, s34, v10
	v_xor_b32_e32 v8, s35, v11
	v_and_b32_e32 v56, exec_lo, v10
	v_lshlrev_b32_e32 v11, 30, v55
	v_mov_b32_e32 v10, v9
	v_cmp_gt_i64_e64 s[34:35], 0, v[10:11]
	v_not_b32_e32 v10, v11
	v_ashrrev_i32_e32 v10, 31, v10
	v_and_b32_e32 v8, exec_hi, v8
	v_xor_b32_e32 v11, s35, v10
	v_xor_b32_e32 v10, s34, v10
	v_and_b32_e32 v8, v8, v11
	v_and_b32_e32 v56, v56, v10
	v_lshlrev_b32_e32 v11, 29, v55
	v_mov_b32_e32 v10, v9
	v_cmp_gt_i64_e64 s[34:35], 0, v[10:11]
	v_not_b32_e32 v10, v11
	v_ashrrev_i32_e32 v10, 31, v10
	v_xor_b32_e32 v11, s35, v10
	v_xor_b32_e32 v10, s34, v10
	v_and_b32_e32 v8, v8, v11
	v_and_b32_e32 v56, v56, v10
	v_lshlrev_b32_e32 v11, 28, v55
	v_mov_b32_e32 v10, v9
	v_cmp_gt_i64_e64 s[34:35], 0, v[10:11]
	v_not_b32_e32 v10, v11
	v_ashrrev_i32_e32 v10, 31, v10
	;; [unrolled: 9-line block ×5, first 2 shown]
	v_xor_b32_e32 v11, s35, v10
	v_xor_b32_e32 v10, s34, v10
	v_and_b32_e32 v8, v8, v11
	v_lshlrev_b32_e32 v11, 24, v55
	v_and_b32_e32 v56, v56, v10
	v_mov_b32_e32 v10, v9
	v_not_b32_e32 v9, v11
	v_cmp_gt_i64_e64 s[34:35], 0, v[10:11]
	v_ashrrev_i32_e32 v9, 31, v9
	ds_read_b32 v53, v57 offset:64
	v_xor_b32_e32 v10, s35, v9
	v_xor_b32_e32 v11, s34, v9
	v_and_b32_e32 v9, v8, v10
	v_and_b32_e32 v8, v56, v11
	v_mbcnt_lo_u32_b32 v10, v8, 0
	v_mbcnt_hi_u32_b32 v55, v9, v10
	v_cmp_eq_u32_e64 s[34:35], 0, v55
	v_cmp_ne_u64_e64 s[36:37], 0, v[8:9]
	s_and_b64 s[36:37], s[36:37], s[34:35]
	; wave barrier
	s_and_saveexec_b64 s[34:35], s[36:37]
	s_cbranch_execz .LBB868_53
; %bb.52:
	v_bcnt_u32_b32 v8, v8, 0
	v_bcnt_u32_b32 v8, v9, v8
	s_waitcnt lgkmcnt(0)
	v_add_u32_e32 v8, v53, v8
	ds_write_b32 v57, v8 offset:64
.LBB868_53:
	s_or_b64 exec, exec, s[34:35]
	v_lshrrev_b32_e32 v8, s64, v22
	v_and_b32_e32 v58, s68, v8
	v_mul_lo_u32 v8, v58, s38
	v_lshl_add_u32 v60, v38, 2, v8
	v_and_b32_e32 v8, 1, v58
	v_mov_b32_e32 v9, 0
	v_lshl_add_u64 v[10:11], v[8:9], 0, -1
	v_cmp_ne_u32_e64 s[34:35], 0, v8
	; wave barrier
	s_nop 1
	v_xor_b32_e32 v10, s34, v10
	v_xor_b32_e32 v8, s35, v11
	v_and_b32_e32 v59, exec_lo, v10
	v_lshlrev_b32_e32 v11, 30, v58
	v_mov_b32_e32 v10, v9
	v_cmp_gt_i64_e64 s[34:35], 0, v[10:11]
	v_not_b32_e32 v10, v11
	v_ashrrev_i32_e32 v10, 31, v10
	v_and_b32_e32 v8, exec_hi, v8
	v_xor_b32_e32 v11, s35, v10
	v_xor_b32_e32 v10, s34, v10
	v_and_b32_e32 v8, v8, v11
	v_and_b32_e32 v59, v59, v10
	v_lshlrev_b32_e32 v11, 29, v58
	v_mov_b32_e32 v10, v9
	v_cmp_gt_i64_e64 s[34:35], 0, v[10:11]
	v_not_b32_e32 v10, v11
	v_ashrrev_i32_e32 v10, 31, v10
	v_xor_b32_e32 v11, s35, v10
	v_xor_b32_e32 v10, s34, v10
	v_and_b32_e32 v8, v8, v11
	v_and_b32_e32 v59, v59, v10
	v_lshlrev_b32_e32 v11, 28, v58
	v_mov_b32_e32 v10, v9
	v_cmp_gt_i64_e64 s[34:35], 0, v[10:11]
	v_not_b32_e32 v10, v11
	v_ashrrev_i32_e32 v10, 31, v10
	;; [unrolled: 9-line block ×6, first 2 shown]
	v_xor_b32_e32 v11, s35, v10
	v_xor_b32_e32 v10, s34, v10
	ds_read_b32 v56, v60 offset:64
	v_and_b32_e32 v10, v59, v10
	v_and_b32_e32 v11, v8, v11
	v_mbcnt_lo_u32_b32 v8, v10, 0
	v_mbcnt_hi_u32_b32 v58, v11, v8
	v_cmp_eq_u32_e64 s[34:35], 0, v58
	v_cmp_ne_u64_e64 s[36:37], 0, v[10:11]
	s_and_b64 s[36:37], s[36:37], s[34:35]
	; wave barrier
	s_and_saveexec_b64 s[34:35], s[36:37]
	s_cbranch_execz .LBB868_55
; %bb.54:
	v_bcnt_u32_b32 v8, v10, 0
	v_bcnt_u32_b32 v8, v11, v8
	s_waitcnt lgkmcnt(0)
	v_add_u32_e32 v8, v56, v8
	ds_write_b32 v60, v8 offset:64
.LBB868_55:
	s_or_b64 exec, exec, s[34:35]
	v_lshrrev_b32_e32 v8, s64, v21
	v_and_b32_e32 v61, s68, v8
	v_mul_lo_u32 v8, v61, s38
	v_lshl_add_u32 v63, v38, 2, v8
	v_and_b32_e32 v8, 1, v61
	v_lshl_add_u64 v[10:11], v[8:9], 0, -1
	v_cmp_ne_u32_e64 s[34:35], 0, v8
	; wave barrier
	s_nop 1
	v_xor_b32_e32 v10, s34, v10
	v_xor_b32_e32 v8, s35, v11
	v_and_b32_e32 v62, exec_lo, v10
	v_lshlrev_b32_e32 v11, 30, v61
	v_mov_b32_e32 v10, v9
	v_cmp_gt_i64_e64 s[34:35], 0, v[10:11]
	v_not_b32_e32 v10, v11
	v_ashrrev_i32_e32 v10, 31, v10
	v_and_b32_e32 v8, exec_hi, v8
	v_xor_b32_e32 v11, s35, v10
	v_xor_b32_e32 v10, s34, v10
	v_and_b32_e32 v8, v8, v11
	v_and_b32_e32 v62, v62, v10
	v_lshlrev_b32_e32 v11, 29, v61
	v_mov_b32_e32 v10, v9
	v_cmp_gt_i64_e64 s[34:35], 0, v[10:11]
	v_not_b32_e32 v10, v11
	v_ashrrev_i32_e32 v10, 31, v10
	v_xor_b32_e32 v11, s35, v10
	v_xor_b32_e32 v10, s34, v10
	v_and_b32_e32 v8, v8, v11
	v_and_b32_e32 v62, v62, v10
	v_lshlrev_b32_e32 v11, 28, v61
	v_mov_b32_e32 v10, v9
	v_cmp_gt_i64_e64 s[34:35], 0, v[10:11]
	v_not_b32_e32 v10, v11
	v_ashrrev_i32_e32 v10, 31, v10
	;; [unrolled: 9-line block ×5, first 2 shown]
	v_xor_b32_e32 v11, s35, v10
	v_xor_b32_e32 v10, s34, v10
	v_and_b32_e32 v8, v8, v11
	v_lshlrev_b32_e32 v11, 24, v61
	v_and_b32_e32 v62, v62, v10
	v_mov_b32_e32 v10, v9
	v_not_b32_e32 v9, v11
	v_cmp_gt_i64_e64 s[34:35], 0, v[10:11]
	v_ashrrev_i32_e32 v9, 31, v9
	ds_read_b32 v59, v63 offset:64
	v_xor_b32_e32 v10, s35, v9
	v_xor_b32_e32 v11, s34, v9
	v_and_b32_e32 v9, v8, v10
	v_and_b32_e32 v8, v62, v11
	v_mbcnt_lo_u32_b32 v10, v8, 0
	v_mbcnt_hi_u32_b32 v61, v9, v10
	v_cmp_eq_u32_e64 s[34:35], 0, v61
	v_cmp_ne_u64_e64 s[36:37], 0, v[8:9]
	s_and_b64 s[36:37], s[36:37], s[34:35]
	; wave barrier
	s_and_saveexec_b64 s[34:35], s[36:37]
	s_cbranch_execz .LBB868_57
; %bb.56:
	v_bcnt_u32_b32 v8, v8, 0
	v_bcnt_u32_b32 v8, v9, v8
	s_waitcnt lgkmcnt(0)
	v_add_u32_e32 v8, v59, v8
	ds_write_b32 v63, v8 offset:64
.LBB868_57:
	s_or_b64 exec, exec, s[34:35]
	v_lshrrev_b32_e32 v8, s64, v24
	v_and_b32_e32 v64, s68, v8
	v_mul_lo_u32 v8, v64, s38
	v_lshl_add_u32 v66, v38, 2, v8
	v_and_b32_e32 v8, 1, v64
	v_mov_b32_e32 v9, 0
	v_lshl_add_u64 v[10:11], v[8:9], 0, -1
	v_cmp_ne_u32_e64 s[34:35], 0, v8
	; wave barrier
	s_nop 1
	v_xor_b32_e32 v10, s34, v10
	v_xor_b32_e32 v8, s35, v11
	v_and_b32_e32 v65, exec_lo, v10
	v_lshlrev_b32_e32 v11, 30, v64
	v_mov_b32_e32 v10, v9
	v_cmp_gt_i64_e64 s[34:35], 0, v[10:11]
	v_not_b32_e32 v10, v11
	v_ashrrev_i32_e32 v10, 31, v10
	v_and_b32_e32 v8, exec_hi, v8
	v_xor_b32_e32 v11, s35, v10
	v_xor_b32_e32 v10, s34, v10
	v_and_b32_e32 v8, v8, v11
	v_and_b32_e32 v65, v65, v10
	v_lshlrev_b32_e32 v11, 29, v64
	v_mov_b32_e32 v10, v9
	v_cmp_gt_i64_e64 s[34:35], 0, v[10:11]
	v_not_b32_e32 v10, v11
	v_ashrrev_i32_e32 v10, 31, v10
	v_xor_b32_e32 v11, s35, v10
	v_xor_b32_e32 v10, s34, v10
	v_and_b32_e32 v8, v8, v11
	v_and_b32_e32 v65, v65, v10
	v_lshlrev_b32_e32 v11, 28, v64
	v_mov_b32_e32 v10, v9
	v_cmp_gt_i64_e64 s[34:35], 0, v[10:11]
	v_not_b32_e32 v10, v11
	v_ashrrev_i32_e32 v10, 31, v10
	;; [unrolled: 9-line block ×6, first 2 shown]
	v_xor_b32_e32 v11, s35, v10
	v_xor_b32_e32 v10, s34, v10
	ds_read_b32 v62, v66 offset:64
	v_and_b32_e32 v10, v65, v10
	v_and_b32_e32 v11, v8, v11
	v_mbcnt_lo_u32_b32 v8, v10, 0
	v_mbcnt_hi_u32_b32 v64, v11, v8
	v_cmp_eq_u32_e64 s[34:35], 0, v64
	v_cmp_ne_u64_e64 s[36:37], 0, v[10:11]
	s_and_b64 s[36:37], s[36:37], s[34:35]
	; wave barrier
	s_and_saveexec_b64 s[34:35], s[36:37]
	s_cbranch_execz .LBB868_59
; %bb.58:
	v_bcnt_u32_b32 v8, v10, 0
	v_bcnt_u32_b32 v8, v11, v8
	s_waitcnt lgkmcnt(0)
	v_add_u32_e32 v8, v62, v8
	ds_write_b32 v66, v8 offset:64
.LBB868_59:
	s_or_b64 exec, exec, s[34:35]
	v_lshrrev_b32_e32 v8, s64, v23
	v_and_b32_e32 v67, s68, v8
	v_mul_lo_u32 v8, v67, s38
	v_lshl_add_u32 v69, v38, 2, v8
	v_and_b32_e32 v8, 1, v67
	v_lshl_add_u64 v[10:11], v[8:9], 0, -1
	v_cmp_ne_u32_e64 s[34:35], 0, v8
	; wave barrier
	s_nop 1
	v_xor_b32_e32 v10, s34, v10
	v_xor_b32_e32 v8, s35, v11
	v_and_b32_e32 v68, exec_lo, v10
	v_lshlrev_b32_e32 v11, 30, v67
	v_mov_b32_e32 v10, v9
	v_cmp_gt_i64_e64 s[34:35], 0, v[10:11]
	v_not_b32_e32 v10, v11
	v_ashrrev_i32_e32 v10, 31, v10
	v_and_b32_e32 v8, exec_hi, v8
	v_xor_b32_e32 v11, s35, v10
	v_xor_b32_e32 v10, s34, v10
	v_and_b32_e32 v8, v8, v11
	v_and_b32_e32 v68, v68, v10
	v_lshlrev_b32_e32 v11, 29, v67
	v_mov_b32_e32 v10, v9
	v_cmp_gt_i64_e64 s[34:35], 0, v[10:11]
	v_not_b32_e32 v10, v11
	v_ashrrev_i32_e32 v10, 31, v10
	v_xor_b32_e32 v11, s35, v10
	v_xor_b32_e32 v10, s34, v10
	v_and_b32_e32 v8, v8, v11
	v_and_b32_e32 v68, v68, v10
	v_lshlrev_b32_e32 v11, 28, v67
	v_mov_b32_e32 v10, v9
	v_cmp_gt_i64_e64 s[34:35], 0, v[10:11]
	v_not_b32_e32 v10, v11
	v_ashrrev_i32_e32 v10, 31, v10
	;; [unrolled: 9-line block ×5, first 2 shown]
	v_xor_b32_e32 v11, s35, v10
	v_xor_b32_e32 v10, s34, v10
	v_and_b32_e32 v8, v8, v11
	v_lshlrev_b32_e32 v11, 24, v67
	v_and_b32_e32 v68, v68, v10
	v_mov_b32_e32 v10, v9
	v_not_b32_e32 v9, v11
	v_cmp_gt_i64_e64 s[34:35], 0, v[10:11]
	v_ashrrev_i32_e32 v9, 31, v9
	ds_read_b32 v65, v69 offset:64
	v_xor_b32_e32 v10, s35, v9
	v_xor_b32_e32 v11, s34, v9
	v_and_b32_e32 v9, v8, v10
	v_and_b32_e32 v8, v68, v11
	v_mbcnt_lo_u32_b32 v10, v8, 0
	v_mbcnt_hi_u32_b32 v67, v9, v10
	v_cmp_eq_u32_e64 s[34:35], 0, v67
	v_cmp_ne_u64_e64 s[36:37], 0, v[8:9]
	s_and_b64 s[36:37], s[36:37], s[34:35]
	; wave barrier
	s_and_saveexec_b64 s[34:35], s[36:37]
	s_cbranch_execz .LBB868_61
; %bb.60:
	v_bcnt_u32_b32 v8, v8, 0
	v_bcnt_u32_b32 v8, v9, v8
	s_waitcnt lgkmcnt(0)
	v_add_u32_e32 v8, v65, v8
	ds_write_b32 v69, v8 offset:64
.LBB868_61:
	s_or_b64 exec, exec, s[34:35]
	v_lshrrev_b32_e32 v8, s64, v26
	v_and_b32_e32 v70, s68, v8
	v_mul_lo_u32 v8, v70, s38
	v_lshl_add_u32 v72, v38, 2, v8
	v_and_b32_e32 v8, 1, v70
	v_mov_b32_e32 v9, 0
	v_lshl_add_u64 v[10:11], v[8:9], 0, -1
	v_cmp_ne_u32_e64 s[34:35], 0, v8
	; wave barrier
	s_nop 1
	v_xor_b32_e32 v10, s34, v10
	v_xor_b32_e32 v8, s35, v11
	v_and_b32_e32 v71, exec_lo, v10
	v_lshlrev_b32_e32 v11, 30, v70
	v_mov_b32_e32 v10, v9
	v_cmp_gt_i64_e64 s[34:35], 0, v[10:11]
	v_not_b32_e32 v10, v11
	v_ashrrev_i32_e32 v10, 31, v10
	v_and_b32_e32 v8, exec_hi, v8
	v_xor_b32_e32 v11, s35, v10
	v_xor_b32_e32 v10, s34, v10
	v_and_b32_e32 v8, v8, v11
	v_and_b32_e32 v71, v71, v10
	v_lshlrev_b32_e32 v11, 29, v70
	v_mov_b32_e32 v10, v9
	v_cmp_gt_i64_e64 s[34:35], 0, v[10:11]
	v_not_b32_e32 v10, v11
	v_ashrrev_i32_e32 v10, 31, v10
	v_xor_b32_e32 v11, s35, v10
	v_xor_b32_e32 v10, s34, v10
	v_and_b32_e32 v8, v8, v11
	v_and_b32_e32 v71, v71, v10
	v_lshlrev_b32_e32 v11, 28, v70
	v_mov_b32_e32 v10, v9
	v_cmp_gt_i64_e64 s[34:35], 0, v[10:11]
	v_not_b32_e32 v10, v11
	v_ashrrev_i32_e32 v10, 31, v10
	v_xor_b32_e32 v11, s35, v10
	v_xor_b32_e32 v10, s34, v10
	v_and_b32_e32 v8, v8, v11
	v_and_b32_e32 v71, v71, v10
	v_lshlrev_b32_e32 v11, 27, v70
	v_mov_b32_e32 v10, v9
	v_cmp_gt_i64_e64 s[34:35], 0, v[10:11]
	v_not_b32_e32 v10, v11
	v_ashrrev_i32_e32 v10, 31, v10
	v_xor_b32_e32 v11, s35, v10
	v_xor_b32_e32 v10, s34, v10
	v_and_b32_e32 v8, v8, v11
	v_and_b32_e32 v71, v71, v10
	v_lshlrev_b32_e32 v11, 26, v70
	v_mov_b32_e32 v10, v9
	v_cmp_gt_i64_e64 s[34:35], 0, v[10:11]
	v_not_b32_e32 v10, v11
	v_ashrrev_i32_e32 v10, 31, v10
	v_xor_b32_e32 v11, s35, v10
	v_xor_b32_e32 v10, s34, v10
	v_and_b32_e32 v8, v8, v11
	v_and_b32_e32 v71, v71, v10
	v_lshlrev_b32_e32 v11, 25, v70
	v_mov_b32_e32 v10, v9
	v_cmp_gt_i64_e64 s[34:35], 0, v[10:11]
	v_not_b32_e32 v10, v11
	v_ashrrev_i32_e32 v10, 31, v10
	v_xor_b32_e32 v11, s35, v10
	v_xor_b32_e32 v10, s34, v10
	v_and_b32_e32 v8, v8, v11
	v_and_b32_e32 v71, v71, v10
	v_lshlrev_b32_e32 v11, 24, v70
	v_mov_b32_e32 v10, v9
	v_cmp_gt_i64_e64 s[34:35], 0, v[10:11]
	v_not_b32_e32 v10, v11
	v_ashrrev_i32_e32 v10, 31, v10
	v_xor_b32_e32 v11, s35, v10
	v_xor_b32_e32 v10, s34, v10
	ds_read_b32 v68, v72 offset:64
	v_and_b32_e32 v10, v71, v10
	v_and_b32_e32 v11, v8, v11
	v_mbcnt_lo_u32_b32 v8, v10, 0
	v_mbcnt_hi_u32_b32 v70, v11, v8
	v_cmp_eq_u32_e64 s[34:35], 0, v70
	v_cmp_ne_u64_e64 s[36:37], 0, v[10:11]
	s_and_b64 s[36:37], s[36:37], s[34:35]
	; wave barrier
	s_and_saveexec_b64 s[34:35], s[36:37]
	s_cbranch_execz .LBB868_63
; %bb.62:
	v_bcnt_u32_b32 v8, v10, 0
	v_bcnt_u32_b32 v8, v11, v8
	s_waitcnt lgkmcnt(0)
	v_add_u32_e32 v8, v68, v8
	ds_write_b32 v72, v8 offset:64
.LBB868_63:
	s_or_b64 exec, exec, s[34:35]
	v_lshrrev_b32_e32 v8, s64, v25
	v_and_b32_e32 v73, s68, v8
	v_mul_lo_u32 v8, v73, s38
	v_lshl_add_u32 v74, v38, 2, v8
	v_and_b32_e32 v8, 1, v73
	v_lshl_add_u64 v[10:11], v[8:9], 0, -1
	v_cmp_ne_u32_e64 s[34:35], 0, v8
	; wave barrier
	s_nop 1
	v_xor_b32_e32 v10, s34, v10
	v_xor_b32_e32 v8, s35, v11
	v_and_b32_e32 v38, exec_lo, v10
	v_lshlrev_b32_e32 v11, 30, v73
	v_mov_b32_e32 v10, v9
	v_cmp_gt_i64_e64 s[34:35], 0, v[10:11]
	v_not_b32_e32 v10, v11
	v_ashrrev_i32_e32 v10, 31, v10
	v_and_b32_e32 v8, exec_hi, v8
	v_xor_b32_e32 v11, s35, v10
	v_xor_b32_e32 v10, s34, v10
	v_and_b32_e32 v8, v8, v11
	v_and_b32_e32 v38, v38, v10
	v_lshlrev_b32_e32 v11, 29, v73
	v_mov_b32_e32 v10, v9
	v_cmp_gt_i64_e64 s[34:35], 0, v[10:11]
	v_not_b32_e32 v10, v11
	v_ashrrev_i32_e32 v10, 31, v10
	v_xor_b32_e32 v11, s35, v10
	v_xor_b32_e32 v10, s34, v10
	v_and_b32_e32 v8, v8, v11
	v_and_b32_e32 v38, v38, v10
	v_lshlrev_b32_e32 v11, 28, v73
	v_mov_b32_e32 v10, v9
	v_cmp_gt_i64_e64 s[34:35], 0, v[10:11]
	v_not_b32_e32 v10, v11
	v_ashrrev_i32_e32 v10, 31, v10
	;; [unrolled: 9-line block ×5, first 2 shown]
	v_xor_b32_e32 v11, s35, v10
	v_xor_b32_e32 v10, s34, v10
	v_and_b32_e32 v8, v8, v11
	v_lshlrev_b32_e32 v11, 24, v73
	v_and_b32_e32 v38, v38, v10
	v_mov_b32_e32 v10, v9
	v_not_b32_e32 v9, v11
	v_cmp_gt_i64_e64 s[34:35], 0, v[10:11]
	v_ashrrev_i32_e32 v9, 31, v9
	ds_read_b32 v71, v74 offset:64
	v_xor_b32_e32 v10, s35, v9
	v_xor_b32_e32 v11, s34, v9
	v_and_b32_e32 v9, v8, v10
	v_and_b32_e32 v8, v38, v11
	v_mbcnt_lo_u32_b32 v10, v8, 0
	v_mbcnt_hi_u32_b32 v73, v9, v10
	v_cmp_eq_u32_e64 s[34:35], 0, v73
	v_cmp_ne_u64_e64 s[36:37], 0, v[8:9]
	s_and_b64 s[36:37], s[36:37], s[34:35]
	; wave barrier
	s_and_saveexec_b64 s[34:35], s[36:37]
	s_cbranch_execz .LBB868_65
; %bb.64:
	v_bcnt_u32_b32 v8, v8, 0
	v_bcnt_u32_b32 v8, v9, v8
	s_waitcnt lgkmcnt(0)
	v_add_u32_e32 v8, v71, v8
	ds_write_b32 v74, v8 offset:64
.LBB868_65:
	s_or_b64 exec, exec, s[34:35]
	; wave barrier
	s_waitcnt lgkmcnt(0)
	s_barrier
	ds_read2_b32 v[10:11], v13 offset0:16 offset1:17
	ds_read2_b32 v[8:9], v13 offset0:18 offset1:19
	ds_read_b32 v38, v13 offset:80
	v_cmp_lt_u32_e64 s[44:45], 31, v12
	s_waitcnt lgkmcnt(1)
	v_add3_u32 v75, v11, v10, v8
	s_waitcnt lgkmcnt(0)
	v_add3_u32 v38, v75, v9, v38
	v_and_b32_e32 v75, 15, v12
	v_cmp_eq_u32_e64 s[34:35], 0, v75
	v_mov_b32_dpp v76, v38 row_shr:1 row_mask:0xf bank_mask:0xf
	v_cmp_lt_u32_e64 s[36:37], 1, v75
	v_cndmask_b32_e64 v76, v76, 0, s[34:35]
	v_add_u32_e32 v38, v76, v38
	v_cmp_lt_u32_e64 s[38:39], 3, v75
	v_cmp_lt_u32_e64 s[40:41], 7, v75
	v_mov_b32_dpp v76, v38 row_shr:2 row_mask:0xf bank_mask:0xf
	v_cndmask_b32_e64 v76, 0, v76, s[36:37]
	v_add_u32_e32 v38, v38, v76
	s_nop 1
	v_mov_b32_dpp v76, v38 row_shr:4 row_mask:0xf bank_mask:0xf
	v_cndmask_b32_e64 v76, 0, v76, s[38:39]
	v_add_u32_e32 v38, v38, v76
	s_nop 1
	v_mov_b32_dpp v76, v38 row_shr:8 row_mask:0xf bank_mask:0xf
	v_cndmask_b32_e64 v75, 0, v76, s[40:41]
	v_add_u32_e32 v38, v38, v75
	v_bfe_i32 v76, v12, 4, 1
	s_nop 0
	v_mov_b32_dpp v75, v38 row_bcast:15 row_mask:0xf bank_mask:0xf
	v_and_b32_e32 v75, v76, v75
	v_add_u32_e32 v38, v38, v75
	v_lshrrev_b32_e32 v76, 6, v2
	s_nop 0
	v_mov_b32_dpp v75, v38 row_bcast:31 row_mask:0xf bank_mask:0xf
	v_cndmask_b32_e64 v75, 0, v75, s[44:45]
	v_add_u32_e32 v75, v38, v75
	v_and_b32_e32 v38, 63, v2
	v_cmp_eq_u32_e64 s[44:45], 63, v38
	s_and_saveexec_b64 s[46:47], s[44:45]
; %bb.66:
	v_lshlrev_b32_e32 v38, 2, v76
	ds_write_b32 v38, v75
; %bb.67:
	s_or_b64 exec, exec, s[46:47]
	v_cmp_gt_u32_e64 s[44:45], 16, v2
	v_lshlrev_b32_e32 v38, 2, v2
	s_waitcnt lgkmcnt(0)
	s_barrier
	s_and_saveexec_b64 s[46:47], s[44:45]
	s_cbranch_execz .LBB868_69
; %bb.68:
	ds_read_b32 v77, v38
	s_waitcnt lgkmcnt(0)
	s_nop 0
	v_mov_b32_dpp v78, v77 row_shr:1 row_mask:0xf bank_mask:0xf
	v_cndmask_b32_e64 v78, v78, 0, s[34:35]
	v_add_u32_e32 v77, v78, v77
	s_nop 1
	v_mov_b32_dpp v78, v77 row_shr:2 row_mask:0xf bank_mask:0xf
	v_cndmask_b32_e64 v78, 0, v78, s[36:37]
	v_add_u32_e32 v77, v77, v78
	;; [unrolled: 4-line block ×4, first 2 shown]
	ds_write_b32 v38, v77
.LBB868_69:
	s_or_b64 exec, exec, s[46:47]
	v_cmp_lt_u32_e64 s[34:35], 63, v2
	v_mov_b32_e32 v77, 0
	s_waitcnt lgkmcnt(0)
	s_barrier
	s_and_saveexec_b64 s[36:37], s[34:35]
; %bb.70:
	v_lshl_add_u32 v76, v76, 2, -4
	ds_read_b32 v77, v76
; %bb.71:
	s_or_b64 exec, exec, s[36:37]
	v_subrev_co_u32_e64 v76, s[34:35], 1, v12
	v_and_b32_e32 v78, 64, v12
	v_cmp_lt_i32_e64 s[36:37], v76, v78
	s_waitcnt lgkmcnt(0)
	v_add_u32_e32 v75, v77, v75
	s_movk_i32 s38, 0x100
	v_cndmask_b32_e64 v12, v76, v12, s[36:37]
	v_lshlrev_b32_e32 v12, 2, v12
	ds_bpermute_b32 v12, v12, v75
	v_cmp_gt_u32_e64 s[36:37], s38, v2
	s_waitcnt lgkmcnt(0)
	v_cndmask_b32_e64 v12, v12, v77, s[34:35]
	v_cmp_ne_u32_e64 s[34:35], 0, v2
	s_nop 1
	v_cndmask_b32_e64 v12, 0, v12, s[34:35]
	v_add_u32_e32 v10, v12, v10
	v_add_u32_e32 v11, v10, v11
	;; [unrolled: 1-line block ×4, first 2 shown]
	ds_write2_b32 v13, v12, v10 offset0:16 offset1:17
	ds_write2_b32 v13, v11, v8 offset0:18 offset1:19
	ds_write_b32 v13, v9 offset:80
	s_waitcnt lgkmcnt(0)
	s_barrier
	ds_read_b32 v84, v31 offset:64
	ds_read_b32 v75, v33 offset:64
	;; [unrolled: 1-line block ×16, first 2 shown]
	s_movk_i32 s34, 0xff
	v_cmp_lt_u32_e64 s[34:35], s34, v2
                                        ; implicit-def: $vgpr31
                                        ; implicit-def: $vgpr33
	s_and_saveexec_b64 s[40:41], s[36:37]
	s_cbranch_execz .LBB868_75
; %bb.72:
	v_mul_u32_u24_e32 v8, 0x44, v2
	ds_read_b32 v31, v8 offset:64
	v_add_u32_e32 v9, 1, v2
	v_cmp_ne_u32_e64 s[38:39], s38, v9
	v_mov_b32_e32 v8, 0x4000
	s_and_saveexec_b64 s[44:45], s[38:39]
; %bb.73:
	v_mul_u32_u24_e32 v8, 0x44, v9
	ds_read_b32 v8, v8 offset:64
; %bb.74:
	s_or_b64 exec, exec, s[44:45]
	s_waitcnt lgkmcnt(0)
	v_sub_u32_e32 v33, v8, v31
.LBB868_75:
	s_or_b64 exec, exec, s[40:41]
	v_mov_b32_e32 v9, 0
	s_waitcnt lgkmcnt(0)
	s_barrier
	s_and_saveexec_b64 s[38:39], s[36:37]
	s_cbranch_execz .LBB868_85
; %bb.76:
	v_lshl_add_u32 v8, s2, 8, v2
	v_lshl_add_u64 v[10:11], v[8:9], 2, s[50:51]
	v_or_b32_e32 v8, 2.0, v33
	s_mov_b64 s[40:41], 0
	s_brev_b32 s48, -4
	s_mov_b32 s49, s2
	v_mov_b32_e32 v48, 0
	global_store_dword v[10:11], v8, off sc1
                                        ; implicit-def: $sgpr36_sgpr37
	s_branch .LBB868_79
.LBB868_77:                             ;   in Loop: Header=BB868_79 Depth=1
	s_or_b64 exec, exec, s[46:47]
.LBB868_78:                             ;   in Loop: Header=BB868_79 Depth=1
	s_or_b64 exec, exec, s[44:45]
	v_and_b32_e32 v12, 0x3fffffff, v8
	v_add_u32_e32 v48, v12, v48
	v_cmp_gt_i32_e64 s[36:37], -2.0, v8
	s_and_b64 s[44:45], exec, s[36:37]
	s_or_b64 s[40:41], s[44:45], s[40:41]
	s_andn2_b64 exec, exec, s[40:41]
	s_cbranch_execz .LBB868_84
.LBB868_79:                             ; =>This Loop Header: Depth=1
                                        ;     Child Loop BB868_82 Depth 2
	s_or_b64 s[36:37], s[36:37], exec
	s_cmp_eq_u32 s49, 0
	s_cbranch_scc1 .LBB868_83
; %bb.80:                               ;   in Loop: Header=BB868_79 Depth=1
	s_add_i32 s49, s49, -1
	v_lshl_or_b32 v8, s49, 8, v2
	v_lshl_add_u64 v[12:13], v[8:9], 2, s[50:51]
	global_load_dword v8, v[12:13], off sc1
	s_waitcnt vmcnt(0)
	v_cmp_gt_u32_e64 s[36:37], 2.0, v8
	s_and_saveexec_b64 s[44:45], s[36:37]
	s_cbranch_execz .LBB868_78
; %bb.81:                               ;   in Loop: Header=BB868_79 Depth=1
	s_mov_b64 s[46:47], 0
.LBB868_82:                             ;   Parent Loop BB868_79 Depth=1
                                        ; =>  This Inner Loop Header: Depth=2
	global_load_dword v8, v[12:13], off sc1
	s_waitcnt vmcnt(0)
	v_cmp_lt_u32_e64 s[36:37], s48, v8
	s_or_b64 s[46:47], s[36:37], s[46:47]
	s_andn2_b64 exec, exec, s[46:47]
	s_cbranch_execnz .LBB868_82
	s_branch .LBB868_77
.LBB868_83:                             ;   in Loop: Header=BB868_79 Depth=1
                                        ; implicit-def: $sgpr49
	s_and_b64 s[44:45], exec, s[36:37]
	s_or_b64 s[40:41], s[44:45], s[40:41]
	s_andn2_b64 exec, exec, s[40:41]
	s_cbranch_execnz .LBB868_79
.LBB868_84:
	s_or_b64 exec, exec, s[40:41]
	v_add_u32_e32 v8, v48, v33
	v_or_b32_e32 v8, 0x80000000, v8
	global_store_dword v[10:11], v8, off sc1
	global_load_dword v8, v38, s[60:61]
	v_sub_u32_e32 v9, v48, v31
	s_waitcnt vmcnt(0)
	v_add_u32_e32 v8, v9, v8
	ds_write_b32 v38, v8
.LBB868_85:
	s_or_b64 exec, exec, s[38:39]
	v_add_u32_e32 v10, v84, v28
	v_add3_u32 v8, v29, v27, v75
	v_add3_u32 v9, v32, v30, v76
	;; [unrolled: 1-line block ×15, first 2 shown]
	v_mov_b32_e32 v87, 0x400
	s_movk_i32 s40, 0x400
	v_lshl_add_u32 v11, v11, 2, v87
	v_add3_u32 v12, v73, v43, v71
	v_lshl_add_u32 v13, v13, 2, v87
	v_add3_u32 v28, v70, v36, v68
	;; [unrolled: 2-line block ×15, first 2 shown]
	v_lshl_add_u32 v29, v10, 2, v87
	s_mov_b32 s41, 0
	s_mov_b32 s44, 0
	s_movk_i32 s45, 0x1000
	v_mov_b32_e32 v9, 0
	s_movk_i32 s46, 0x800
	s_movk_i32 s47, 0xc00
	v_mov_b32_e32 v58, v2
	s_mov_b32 s48, 0
	s_branch .LBB868_87
.LBB868_86:                             ;   in Loop: Header=BB868_87 Depth=1
	s_or_b64 exec, exec, s[38:39]
	s_addk_i32 s48, 0xc000
	s_add_i32 s41, s41, 16
	s_addk_i32 s44, 0xf000
	s_cmp_eq_u32 s48, 0xffff0000
	v_add_u32_e32 v58, 0x1000, v58
	s_barrier
	s_cbranch_scc1 .LBB868_127
.LBB868_87:                             ; =>This Inner Loop Header: Depth=1
	v_add_u32_e32 v8, s44, v10
	v_cmp_gt_u32_e64 s[36:37], s45, v8
	s_and_saveexec_b64 s[38:39], s[36:37]
; %bb.88:                               ;   in Loop: Header=BB868_87 Depth=1
	v_add_u32_e32 v8, s48, v29
	ds_write_b32 v8, v5
; %bb.89:                               ;   in Loop: Header=BB868_87 Depth=1
	s_or_b64 exec, exec, s[38:39]
	v_add_u32_e32 v8, s44, v27
	v_cmp_gt_u32_e64 s[36:37], s45, v8
	s_and_saveexec_b64 s[38:39], s[36:37]
; %bb.90:                               ;   in Loop: Header=BB868_87 Depth=1
	v_add_u32_e32 v8, s48, v32
	ds_write_b32 v8, v3
; %bb.91:                               ;   in Loop: Header=BB868_87 Depth=1
	s_or_b64 exec, exec, s[38:39]
	;; [unrolled: 8-line block ×6, first 2 shown]
	v_add_u32_e32 v8, s44, v44
	v_cmp_gt_u32_e64 s[36:37], s45, v8
	s_and_saveexec_b64 s[38:39], s[36:37]
; %bb.100:                              ;   in Loop: Header=BB868_87 Depth=1
	v_add_u32_e32 v8, s48, v49
	ds_write_b32 v8, v18
; %bb.101:                              ;   in Loop: Header=BB868_87 Depth=1
	s_or_b64 exec, exec, s[38:39]
	v_add_u32_e32 v8, s44, v47
	v_cmp_gt_u32_e64 s[36:37], s45, v8
	s_and_saveexec_b64 s[38:39], s[36:37]
; %bb.102:                              ;   in Loop: Header=BB868_87 Depth=1
	v_add_u32_e32 v8, s48, v52
	ds_write_b32 v8, v17
; %bb.103:                              ;   in Loop: Header=BB868_87 Depth=1
	s_or_b64 exec, exec, s[38:39]
	v_add_u32_e32 v8, s44, v50
	v_cmp_gt_u32_e64 s[36:37], s45, v8
	s_and_saveexec_b64 s[38:39], s[36:37]
; %bb.104:                              ;   in Loop: Header=BB868_87 Depth=1
	v_add_u32_e32 v8, s48, v55
	ds_write_b32 v8, v20
; %bb.105:                              ;   in Loop: Header=BB868_87 Depth=1
	s_or_b64 exec, exec, s[38:39]
	v_add_u32_e32 v8, s44, v53
	v_cmp_gt_u32_e64 s[36:37], s45, v8
	s_and_saveexec_b64 s[38:39], s[36:37]
; %bb.106:                              ;   in Loop: Header=BB868_87 Depth=1
	v_add_u32_e32 v8, s48, v57
	ds_write_b32 v8, v19
; %bb.107:                              ;   in Loop: Header=BB868_87 Depth=1
	s_or_b64 exec, exec, s[38:39]
	v_add_u32_e32 v8, s44, v56
	v_cmp_gt_u32_e64 s[36:37], s45, v8
	s_and_saveexec_b64 s[38:39], s[36:37]
; %bb.108:                              ;   in Loop: Header=BB868_87 Depth=1
	v_add_u32_e32 v8, s48, v54
	ds_write_b32 v8, v22
; %bb.109:                              ;   in Loop: Header=BB868_87 Depth=1
	s_or_b64 exec, exec, s[38:39]
	v_add_u32_e32 v8, s44, v51
	v_cmp_gt_u32_e64 s[36:37], s45, v8
	s_and_saveexec_b64 s[38:39], s[36:37]
; %bb.110:                              ;   in Loop: Header=BB868_87 Depth=1
	v_add_u32_e32 v8, s48, v48
	ds_write_b32 v8, v21
; %bb.111:                              ;   in Loop: Header=BB868_87 Depth=1
	s_or_b64 exec, exec, s[38:39]
	v_add_u32_e32 v8, s44, v45
	v_cmp_gt_u32_e64 s[36:37], s45, v8
	s_and_saveexec_b64 s[38:39], s[36:37]
; %bb.112:                              ;   in Loop: Header=BB868_87 Depth=1
	v_add_u32_e32 v8, s48, v43
	ds_write_b32 v8, v24
; %bb.113:                              ;   in Loop: Header=BB868_87 Depth=1
	s_or_b64 exec, exec, s[38:39]
	v_add_u32_e32 v8, s44, v40
	v_cmp_gt_u32_e64 s[36:37], s45, v8
	s_and_saveexec_b64 s[38:39], s[36:37]
; %bb.114:                              ;   in Loop: Header=BB868_87 Depth=1
	v_add_u32_e32 v8, s48, v36
	ds_write_b32 v8, v23
; %bb.115:                              ;   in Loop: Header=BB868_87 Depth=1
	s_or_b64 exec, exec, s[38:39]
	v_add_u32_e32 v8, s44, v28
	v_cmp_gt_u32_e64 s[36:37], s45, v8
	s_and_saveexec_b64 s[38:39], s[36:37]
; %bb.116:                              ;   in Loop: Header=BB868_87 Depth=1
	v_add_u32_e32 v8, s48, v13
	ds_write_b32 v8, v26
; %bb.117:                              ;   in Loop: Header=BB868_87 Depth=1
	s_or_b64 exec, exec, s[38:39]
	v_add_u32_e32 v8, s44, v12
	v_cmp_gt_u32_e64 s[36:37], s45, v8
	s_and_saveexec_b64 s[38:39], s[36:37]
; %bb.118:                              ;   in Loop: Header=BB868_87 Depth=1
	v_add_u32_e32 v8, s48, v11
	ds_write_b32 v8, v25
; %bb.119:                              ;   in Loop: Header=BB868_87 Depth=1
	s_or_b64 exec, exec, s[38:39]
	v_cmp_gt_u32_e64 s[36:37], s3, v58
	s_waitcnt lgkmcnt(0)
	s_barrier
	s_and_saveexec_b64 s[38:39], s[36:37]
	s_cbranch_execz .LBB868_121
; %bb.120:                              ;   in Loop: Header=BB868_87 Depth=1
	ds_read_b32 v8, v38 offset:1024
	s_waitcnt lgkmcnt(0)
	v_lshrrev_b32_e32 v59, s64, v8
	v_and_b32_e32 v59, s68, v59
	v_lshlrev_b32_e32 v60, 2, v59
	ds_read_b32 v60, v60
	v_xor_b32_e32 v62, 0x80000000, v8
	s_waitcnt lgkmcnt(0)
	v_add_u32_e32 v8, v58, v60
	v_lshl_add_u64 v[60:61], v[8:9], 2, s[54:55]
	global_store_dword v[60:61], v62, off
	scratch_store_dword off, v59, s41
.LBB868_121:                            ;   in Loop: Header=BB868_87 Depth=1
	s_or_b64 exec, exec, s[38:39]
	v_add_u32_e32 v8, 0x400, v58
	v_cmp_gt_u32_e64 s[36:37], s3, v8
	s_and_saveexec_b64 s[38:39], s[36:37]
	s_cbranch_execz .LBB868_123
; %bb.122:                              ;   in Loop: Header=BB868_87 Depth=1
	ds_read_b32 v8, v38 offset:5120
	s_add_i32 s36, s41, 4
	s_waitcnt lgkmcnt(0)
	v_lshrrev_b32_e32 v59, s64, v8
	v_and_b32_e32 v59, s68, v59
	v_lshlrev_b32_e32 v60, 2, v59
	ds_read_b32 v60, v60
	v_xor_b32_e32 v62, 0x80000000, v8
	s_waitcnt lgkmcnt(0)
	v_add3_u32 v8, v58, v60, s40
	v_lshl_add_u64 v[60:61], v[8:9], 2, s[54:55]
	global_store_dword v[60:61], v62, off
	scratch_store_dword off, v59, s36
.LBB868_123:                            ;   in Loop: Header=BB868_87 Depth=1
	s_or_b64 exec, exec, s[38:39]
	v_add_u32_e32 v8, 0x800, v58
	v_cmp_gt_u32_e64 s[36:37], s3, v8
	s_and_saveexec_b64 s[38:39], s[36:37]
	s_cbranch_execz .LBB868_125
; %bb.124:                              ;   in Loop: Header=BB868_87 Depth=1
	ds_read_b32 v8, v38 offset:9216
	s_add_i32 s36, s41, 8
	s_waitcnt lgkmcnt(0)
	v_lshrrev_b32_e32 v59, s64, v8
	v_and_b32_e32 v59, s68, v59
	v_lshlrev_b32_e32 v60, 2, v59
	ds_read_b32 v60, v60
	v_xor_b32_e32 v62, 0x80000000, v8
	s_waitcnt lgkmcnt(0)
	v_add3_u32 v8, v58, v60, s46
	v_lshl_add_u64 v[60:61], v[8:9], 2, s[54:55]
	global_store_dword v[60:61], v62, off
	scratch_store_dword off, v59, s36
.LBB868_125:                            ;   in Loop: Header=BB868_87 Depth=1
	s_or_b64 exec, exec, s[38:39]
	v_add_u32_e32 v8, 0xc00, v58
	v_cmp_gt_u32_e64 s[36:37], s3, v8
	s_and_saveexec_b64 s[38:39], s[36:37]
	s_cbranch_execz .LBB868_86
; %bb.126:                              ;   in Loop: Header=BB868_87 Depth=1
	ds_read_b32 v8, v38 offset:13312
	s_add_i32 s36, s41, 12
	s_waitcnt lgkmcnt(0)
	v_lshrrev_b32_e32 v59, s64, v8
	v_and_b32_e32 v59, s68, v59
	v_lshlrev_b32_e32 v60, 2, v59
	ds_read_b32 v60, v60
	v_xor_b32_e32 v62, 0x80000000, v8
	s_waitcnt lgkmcnt(0)
	v_add3_u32 v8, v58, v60, s47
	v_lshl_add_u64 v[60:61], v[8:9], 2, s[54:55]
	global_store_dword v[60:61], v62, off
	scratch_store_dword off, v59, s36
	s_branch .LBB868_86
.LBB868_127:
	s_add_u32 s36, s56, s66
	s_addc_u32 s37, s57, s67
	v_mov_b32_e32 v5, 0
	v_lshl_add_u64 v[8:9], s[36:37], 0, v[4:5]
	v_mov_b32_e32 v7, v5
	v_lshl_add_u64 v[4:5], v[8:9], 0, v[6:7]
                                        ; implicit-def: $vgpr3
	s_and_saveexec_b64 s[36:37], vcc
	s_cbranch_execz .LBB868_143
; %bb.128:
	global_load_dword v3, v[4:5], off
	s_or_b64 exec, exec, s[36:37]
                                        ; implicit-def: $vgpr6
	s_and_saveexec_b64 s[36:37], s[42:43]
	s_cbranch_execnz .LBB868_144
.LBB868_129:
	s_or_b64 exec, exec, s[36:37]
                                        ; implicit-def: $vgpr7
	s_and_saveexec_b64 s[36:37], s[4:5]
	s_cbranch_execz .LBB868_145
.LBB868_130:
	global_load_dword v7, v[4:5], off offset:512
	s_or_b64 exec, exec, s[36:37]
                                        ; implicit-def: $vgpr8
	s_and_saveexec_b64 s[4:5], s[6:7]
	s_cbranch_execnz .LBB868_146
.LBB868_131:
	s_or_b64 exec, exec, s[4:5]
                                        ; implicit-def: $vgpr9
	s_and_saveexec_b64 s[4:5], s[8:9]
	s_cbranch_execz .LBB868_147
.LBB868_132:
	global_load_dword v9, v[4:5], off offset:1024
	s_or_b64 exec, exec, s[4:5]
                                        ; implicit-def: $vgpr14
	s_and_saveexec_b64 s[4:5], s[10:11]
	s_cbranch_execnz .LBB868_148
.LBB868_133:
	s_or_b64 exec, exec, s[4:5]
                                        ; implicit-def: $vgpr15
	s_and_saveexec_b64 s[4:5], s[12:13]
	s_cbranch_execz .LBB868_149
.LBB868_134:
	global_load_dword v15, v[4:5], off offset:1536
	s_or_b64 exec, exec, s[4:5]
                                        ; implicit-def: $vgpr16
	s_and_saveexec_b64 s[4:5], s[14:15]
	s_cbranch_execnz .LBB868_150
.LBB868_135:
	s_or_b64 exec, exec, s[4:5]
                                        ; implicit-def: $vgpr17
	s_and_saveexec_b64 s[4:5], s[16:17]
	s_cbranch_execz .LBB868_151
.LBB868_136:
	global_load_dword v17, v[4:5], off offset:2048
	s_or_b64 exec, exec, s[4:5]
                                        ; implicit-def: $vgpr18
	s_and_saveexec_b64 s[4:5], s[18:19]
	s_cbranch_execnz .LBB868_152
.LBB868_137:
	s_or_b64 exec, exec, s[4:5]
                                        ; implicit-def: $vgpr19
	s_and_saveexec_b64 s[4:5], s[20:21]
	s_cbranch_execz .LBB868_153
.LBB868_138:
	global_load_dword v19, v[4:5], off offset:2560
	s_or_b64 exec, exec, s[4:5]
                                        ; implicit-def: $vgpr20
	s_and_saveexec_b64 s[4:5], s[22:23]
	s_cbranch_execnz .LBB868_154
.LBB868_139:
	s_or_b64 exec, exec, s[4:5]
                                        ; implicit-def: $vgpr21
	s_and_saveexec_b64 s[4:5], s[24:25]
	s_cbranch_execz .LBB868_155
.LBB868_140:
	global_load_dword v21, v[4:5], off offset:3072
	s_or_b64 exec, exec, s[4:5]
                                        ; implicit-def: $vgpr22
	s_and_saveexec_b64 s[4:5], s[26:27]
	s_cbranch_execnz .LBB868_156
.LBB868_141:
	s_or_b64 exec, exec, s[4:5]
                                        ; implicit-def: $vgpr23
	s_and_saveexec_b64 s[4:5], s[28:29]
	s_cbranch_execz .LBB868_157
.LBB868_142:
	global_load_dword v23, v[4:5], off offset:3584
	s_or_b64 exec, exec, s[4:5]
                                        ; implicit-def: $vgpr24
	s_and_saveexec_b64 s[4:5], s[30:31]
	s_cbranch_execnz .LBB868_158
	s_branch .LBB868_159
.LBB868_143:
	s_or_b64 exec, exec, s[36:37]
                                        ; implicit-def: $vgpr6
	s_and_saveexec_b64 s[36:37], s[42:43]
	s_cbranch_execz .LBB868_129
.LBB868_144:
	global_load_dword v6, v[4:5], off offset:256
	s_or_b64 exec, exec, s[36:37]
                                        ; implicit-def: $vgpr7
	s_and_saveexec_b64 s[36:37], s[4:5]
	s_cbranch_execnz .LBB868_130
.LBB868_145:
	s_or_b64 exec, exec, s[36:37]
                                        ; implicit-def: $vgpr8
	s_and_saveexec_b64 s[4:5], s[6:7]
	s_cbranch_execz .LBB868_131
.LBB868_146:
	global_load_dword v8, v[4:5], off offset:768
	s_or_b64 exec, exec, s[4:5]
                                        ; implicit-def: $vgpr9
	s_and_saveexec_b64 s[4:5], s[8:9]
	s_cbranch_execnz .LBB868_132
.LBB868_147:
	s_or_b64 exec, exec, s[4:5]
                                        ; implicit-def: $vgpr14
	s_and_saveexec_b64 s[4:5], s[10:11]
	s_cbranch_execz .LBB868_133
.LBB868_148:
	global_load_dword v14, v[4:5], off offset:1280
	s_or_b64 exec, exec, s[4:5]
                                        ; implicit-def: $vgpr15
	s_and_saveexec_b64 s[4:5], s[12:13]
	s_cbranch_execnz .LBB868_134
.LBB868_149:
	s_or_b64 exec, exec, s[4:5]
                                        ; implicit-def: $vgpr16
	s_and_saveexec_b64 s[4:5], s[14:15]
	s_cbranch_execz .LBB868_135
.LBB868_150:
	global_load_dword v16, v[4:5], off offset:1792
	s_or_b64 exec, exec, s[4:5]
                                        ; implicit-def: $vgpr17
	s_and_saveexec_b64 s[4:5], s[16:17]
	s_cbranch_execnz .LBB868_136
.LBB868_151:
	s_or_b64 exec, exec, s[4:5]
                                        ; implicit-def: $vgpr18
	s_and_saveexec_b64 s[4:5], s[18:19]
	s_cbranch_execz .LBB868_137
.LBB868_152:
	global_load_dword v18, v[4:5], off offset:2304
	s_or_b64 exec, exec, s[4:5]
                                        ; implicit-def: $vgpr19
	s_and_saveexec_b64 s[4:5], s[20:21]
	s_cbranch_execnz .LBB868_138
.LBB868_153:
	s_or_b64 exec, exec, s[4:5]
                                        ; implicit-def: $vgpr20
	s_and_saveexec_b64 s[4:5], s[22:23]
	s_cbranch_execz .LBB868_139
.LBB868_154:
	global_load_dword v20, v[4:5], off offset:2816
	s_or_b64 exec, exec, s[4:5]
                                        ; implicit-def: $vgpr21
	s_and_saveexec_b64 s[4:5], s[24:25]
	s_cbranch_execnz .LBB868_140
.LBB868_155:
	s_or_b64 exec, exec, s[4:5]
                                        ; implicit-def: $vgpr22
	s_and_saveexec_b64 s[4:5], s[26:27]
	s_cbranch_execz .LBB868_141
.LBB868_156:
	global_load_dword v22, v[4:5], off offset:3328
	s_or_b64 exec, exec, s[4:5]
                                        ; implicit-def: $vgpr23
	s_and_saveexec_b64 s[4:5], s[28:29]
	s_cbranch_execnz .LBB868_142
.LBB868_157:
	s_or_b64 exec, exec, s[4:5]
                                        ; implicit-def: $vgpr24
	s_and_saveexec_b64 s[4:5], s[30:31]
	s_cbranch_execz .LBB868_159
.LBB868_158:
	global_load_dword v24, v[4:5], off offset:3840
.LBB868_159:
	s_or_b64 exec, exec, s[4:5]
	s_mov_b32 s6, 0
	s_mov_b32 s7, 0
	s_movk_i32 s8, 0x1000
	v_mov_b32_e32 v5, 0
	s_movk_i32 s9, 0x400
	s_movk_i32 s10, 0x800
	;; [unrolled: 1-line block ×3, first 2 shown]
	s_mov_b32 s12, 0
	s_branch .LBB868_161
.LBB868_160:                            ;   in Loop: Header=BB868_161 Depth=1
	s_or_b64 exec, exec, s[4:5]
	s_addk_i32 s12, 0xc000
	s_addk_i32 s7, 0xf000
	s_add_i32 s6, s6, 16
	s_cmp_eq_u32 s12, 0xffff0000
	v_add_u32_e32 v2, 0x1000, v2
	s_barrier
	s_cbranch_scc1 .LBB868_201
.LBB868_161:                            ; =>This Inner Loop Header: Depth=1
	v_add_u32_e32 v4, s7, v10
	v_cmp_gt_u32_e32 vcc, s8, v4
	s_and_saveexec_b64 s[4:5], vcc
	s_cbranch_execz .LBB868_163
; %bb.162:                              ;   in Loop: Header=BB868_161 Depth=1
	v_add_u32_e32 v4, s12, v29
	s_waitcnt vmcnt(0)
	ds_write_b32 v4, v3
.LBB868_163:                            ;   in Loop: Header=BB868_161 Depth=1
	s_or_b64 exec, exec, s[4:5]
	v_add_u32_e32 v4, s7, v27
	v_cmp_gt_u32_e32 vcc, s8, v4
	s_and_saveexec_b64 s[4:5], vcc
	s_cbranch_execz .LBB868_165
; %bb.164:                              ;   in Loop: Header=BB868_161 Depth=1
	v_add_u32_e32 v4, s12, v32
	s_waitcnt vmcnt(0)
	ds_write_b32 v4, v6
.LBB868_165:                            ;   in Loop: Header=BB868_161 Depth=1
	s_or_b64 exec, exec, s[4:5]
	;; [unrolled: 10-line block ×16, first 2 shown]
	v_cmp_gt_u32_e32 vcc, s3, v2
	s_waitcnt lgkmcnt(0)
	s_barrier
	s_and_saveexec_b64 s[4:5], vcc
	s_cbranch_execz .LBB868_195
; %bb.194:                              ;   in Loop: Header=BB868_161 Depth=1
	scratch_load_dword v4, off, s6
	s_waitcnt vmcnt(0)
	v_lshlrev_b32_e32 v4, 2, v4
	ds_read_b32 v4, v4
	ds_read_b32 v25, v38 offset:1024
	s_waitcnt lgkmcnt(1)
	v_add_u32_e32 v4, v2, v4
	v_lshl_add_u64 v[58:59], v[4:5], 2, s[58:59]
	s_waitcnt lgkmcnt(0)
	global_store_dword v[58:59], v25, off
.LBB868_195:                            ;   in Loop: Header=BB868_161 Depth=1
	s_or_b64 exec, exec, s[4:5]
	v_add_u32_e32 v4, 0x400, v2
	v_cmp_gt_u32_e32 vcc, s3, v4
	s_and_saveexec_b64 s[4:5], vcc
	s_cbranch_execz .LBB868_197
; %bb.196:                              ;   in Loop: Header=BB868_161 Depth=1
	s_add_i32 s13, s6, 4
	scratch_load_dword v4, off, s13
	s_waitcnt vmcnt(0)
	v_lshlrev_b32_e32 v4, 2, v4
	ds_read_b32 v4, v4
	ds_read_b32 v25, v38 offset:5120
	s_waitcnt lgkmcnt(1)
	v_add3_u32 v4, v2, v4, s9
	v_lshl_add_u64 v[58:59], v[4:5], 2, s[58:59]
	s_waitcnt lgkmcnt(0)
	global_store_dword v[58:59], v25, off
.LBB868_197:                            ;   in Loop: Header=BB868_161 Depth=1
	s_or_b64 exec, exec, s[4:5]
	v_add_u32_e32 v4, 0x800, v2
	v_cmp_gt_u32_e32 vcc, s3, v4
	s_and_saveexec_b64 s[4:5], vcc
	s_cbranch_execz .LBB868_199
; %bb.198:                              ;   in Loop: Header=BB868_161 Depth=1
	s_add_i32 s13, s6, 8
	scratch_load_dword v4, off, s13
	s_waitcnt vmcnt(0)
	v_lshlrev_b32_e32 v4, 2, v4
	ds_read_b32 v4, v4
	ds_read_b32 v25, v38 offset:9216
	s_waitcnt lgkmcnt(1)
	v_add3_u32 v4, v2, v4, s10
	v_lshl_add_u64 v[58:59], v[4:5], 2, s[58:59]
	s_waitcnt lgkmcnt(0)
	global_store_dword v[58:59], v25, off
.LBB868_199:                            ;   in Loop: Header=BB868_161 Depth=1
	s_or_b64 exec, exec, s[4:5]
	v_add_u32_e32 v4, 0xc00, v2
	v_cmp_gt_u32_e32 vcc, s3, v4
	s_and_saveexec_b64 s[4:5], vcc
	s_cbranch_execz .LBB868_160
; %bb.200:                              ;   in Loop: Header=BB868_161 Depth=1
	s_add_i32 s13, s6, 12
	scratch_load_dword v4, off, s13
	s_waitcnt vmcnt(0)
	v_lshlrev_b32_e32 v4, 2, v4
	ds_read_b32 v4, v4
	ds_read_b32 v25, v38 offset:13312
	s_waitcnt lgkmcnt(1)
	v_add3_u32 v4, v2, v4, s11
	v_lshl_add_u64 v[58:59], v[4:5], 2, s[58:59]
	s_waitcnt lgkmcnt(0)
	global_store_dword v[58:59], v25, off
	s_branch .LBB868_160
.LBB868_201:
	s_add_i32 s33, s33, -1
	s_cmp_eq_u32 s2, s33
	s_cselect_b64 s[4:5], -1, 0
	s_xor_b64 s[6:7], s[34:35], -1
	s_and_b64 s[6:7], s[6:7], s[4:5]
	s_and_saveexec_b64 s[4:5], s[6:7]
	s_cbranch_execz .LBB868_203
; %bb.202:
	ds_read_b32 v2, v38
	s_waitcnt lgkmcnt(0)
	v_add3_u32 v2, v31, v33, v2
	global_store_dword v38, v2, s[62:63]
.LBB868_203:
	s_or_b64 exec, exec, s[4:5]
	s_mov_b64 s[4:5], 0
.LBB868_204:
	s_and_b64 vcc, exec, s[4:5]
	s_cbranch_vccz .LBB868_327
; %bb.205:
	v_and_b32_e32 v2, 0x3ff, v0
	s_lshl_b32 s4, s2, 14
	s_mov_b32 s5, 0
	s_lshl_b64 s[10:11], s[4:5], 2
	v_mbcnt_hi_u32_b32 v10, -1, v1
	v_lshlrev_b32_e32 v1, 4, v2
	s_add_u32 s4, s52, s10
	s_waitcnt vmcnt(0)
	v_and_b32_e32 v3, 63, v10
	v_and_b32_e32 v6, 0x3c00, v1
	v_mov_b32_e32 v1, 0
	s_addc_u32 s5, s53, s11
	v_lshlrev_b32_e32 v4, 2, v3
	v_mov_b32_e32 v5, v1
	v_lshl_add_u64 v[8:9], s[4:5], 0, v[4:5]
	s_load_dword s3, s[0:1], 0x58
	s_load_dword s4, s[0:1], 0x64
	v_lshlrev_b32_e32 v6, 2, v6
	v_mov_b32_e32 v7, v1
	s_add_u32 s0, s0, 0x58
	v_lshl_add_u64 v[8:9], v[8:9], 0, v[6:7]
	s_addc_u32 s1, s1, 0
	s_waitcnt lgkmcnt(0)
	s_lshr_b32 s4, s4, 16
	global_load_dword v3, v[8:9], off
	s_cmp_lt_u32 s2, s3
	s_cselect_b32 s5, 12, 18
	s_add_u32 s0, s0, s5
	s_addc_u32 s1, s1, 0
	global_load_ushort v13, v1, s[0:1]
	v_mul_u32_u24_e32 v11, 20, v2
	ds_write2_b32 v11, v1, v1 offset0:16 offset1:17
	ds_write2_b32 v11, v1, v1 offset0:18 offset1:19
	ds_write_b32 v11, v1 offset:80
	global_load_dword v5, v[8:9], off offset:256
	global_load_dword v7, v[8:9], off offset:512
	;; [unrolled: 1-line block ×15, first 2 shown]
	v_bfe_u32 v14, v0, 10, 10
	v_bfe_u32 v0, v0, 20, 10
	v_mad_u32_u24 v8, v0, s4, v14
	s_lshl_b32 s0, -1, s65
	v_mov_b32_e32 v16, v1
	s_not_b32 s14, s0
	v_mov_b32_e32 v20, v1
	v_mov_b32_e32 v26, v1
	s_movk_i32 s8, 0x44
	s_waitcnt lgkmcnt(0)
	s_barrier
	s_waitcnt vmcnt(16)
	; wave barrier
	v_xor_b32_e32 v3, 0x80000000, v3
	v_lshrrev_b32_e32 v0, s64, v3
	v_bitop3_b32 v14, v0, s0, v0 bitop3:0x30
	v_and_b32_e32 v0, 1, v14
	v_lshlrev_b32_e32 v17, 30, v14
	v_lshlrev_b32_e32 v21, 29, v14
	s_waitcnt vmcnt(15)
	v_mad_u64_u32 v[8:9], s[0:1], v8, v13, v[2:3]
	v_lshl_add_u64 v[32:33], v[0:1], 0, -1
	v_cmp_ne_u32_e32 vcc, 0, v0
	v_not_b32_e32 v0, v17
	v_lshlrev_b32_e32 v27, 28, v14
	v_cmp_gt_i64_e64 s[0:1], 0, v[16:17]
	v_not_b32_e32 v9, v21
	v_lshrrev_b32_e32 v28, 6, v8
	v_xor_b32_e32 v8, vcc_hi, v33
	v_xor_b32_e32 v16, vcc_lo, v32
	v_ashrrev_i32_e32 v0, 31, v0
	v_cmp_gt_i64_e64 s[4:5], 0, v[20:21]
	v_not_b32_e32 v13, v27
	v_ashrrev_i32_e32 v9, 31, v9
	v_and_b32_e32 v8, exec_hi, v8
	v_and_b32_e32 v16, exec_lo, v16
	v_xor_b32_e32 v17, s1, v0
	v_xor_b32_e32 v0, s0, v0
	v_cmp_gt_i64_e64 s[6:7], 0, v[26:27]
	v_ashrrev_i32_e32 v13, 31, v13
	v_xor_b32_e32 v20, s5, v9
	v_xor_b32_e32 v9, s4, v9
	v_and_b32_e32 v8, v8, v17
	v_and_b32_e32 v0, v16, v0
	v_xor_b32_e32 v21, s7, v13
	v_and_b32_e32 v8, v8, v20
	v_and_b32_e32 v0, v0, v9
	;; [unrolled: 3-line block ×3, first 2 shown]
	v_lshlrev_b32_e32 v9, 27, v14
	v_mov_b32_e32 v8, v1
	v_cmp_gt_i64_e32 vcc, 0, v[8:9]
	v_not_b32_e32 v8, v9
	v_ashrrev_i32_e32 v8, 31, v8
	v_xor_b32_e32 v9, vcc_hi, v8
	v_xor_b32_e32 v8, vcc_lo, v8
	v_and_b32_e32 v13, v13, v9
	v_and_b32_e32 v0, v0, v8
	v_lshlrev_b32_e32 v9, 26, v14
	v_mov_b32_e32 v8, v1
	v_cmp_gt_i64_e32 vcc, 0, v[8:9]
	v_not_b32_e32 v8, v9
	v_ashrrev_i32_e32 v8, 31, v8
	v_xor_b32_e32 v9, vcc_hi, v8
	v_xor_b32_e32 v8, vcc_lo, v8
	v_and_b32_e32 v13, v13, v9
	v_and_b32_e32 v0, v0, v8
	;; [unrolled: 9-line block ×4, first 2 shown]
	v_mbcnt_lo_u32_b32 v0, v8, 0
	v_mul_lo_u32 v18, v14, s8
	v_mbcnt_hi_u32_b32 v14, v9, v0
	v_cmp_eq_u32_e32 vcc, 0, v14
	v_cmp_ne_u64_e64 s[0:1], 0, v[8:9]
	v_lshl_add_u32 v18, v28, 2, v18
	s_and_b64 s[4:5], s[0:1], vcc
	s_and_saveexec_b64 s[0:1], s[4:5]
; %bb.206:
	v_bcnt_u32_b32 v0, v8, 0
	v_bcnt_u32_b32 v0, v9, v0
	ds_write_b32 v18, v0 offset:64
; %bb.207:
	s_or_b64 exec, exec, s[0:1]
	s_waitcnt vmcnt(14)
	v_xor_b32_e32 v5, 0x80000000, v5
	v_lshrrev_b32_e32 v0, s64, v5
	v_and_b32_e32 v16, s14, v0
	v_mul_lo_u32 v0, v16, s8
	v_lshl_add_u32 v21, v28, 2, v0
	v_and_b32_e32 v0, 1, v16
	v_lshl_add_u64 v[8:9], v[0:1], 0, -1
	v_cmp_ne_u32_e32 vcc, 0, v0
	; wave barrier
	s_nop 1
	v_xor_b32_e32 v8, vcc_lo, v8
	v_xor_b32_e32 v0, vcc_hi, v9
	v_and_b32_e32 v17, exec_lo, v8
	v_lshlrev_b32_e32 v9, 30, v16
	v_mov_b32_e32 v8, v1
	v_cmp_gt_i64_e32 vcc, 0, v[8:9]
	v_not_b32_e32 v8, v9
	v_ashrrev_i32_e32 v8, 31, v8
	v_and_b32_e32 v0, exec_hi, v0
	v_xor_b32_e32 v9, vcc_hi, v8
	v_xor_b32_e32 v8, vcc_lo, v8
	v_and_b32_e32 v0, v0, v9
	v_and_b32_e32 v17, v17, v8
	v_lshlrev_b32_e32 v9, 29, v16
	v_mov_b32_e32 v8, v1
	v_cmp_gt_i64_e32 vcc, 0, v[8:9]
	v_not_b32_e32 v8, v9
	v_ashrrev_i32_e32 v8, 31, v8
	v_xor_b32_e32 v9, vcc_hi, v8
	v_xor_b32_e32 v8, vcc_lo, v8
	v_and_b32_e32 v0, v0, v9
	v_and_b32_e32 v17, v17, v8
	v_lshlrev_b32_e32 v9, 28, v16
	v_mov_b32_e32 v8, v1
	v_cmp_gt_i64_e32 vcc, 0, v[8:9]
	v_not_b32_e32 v8, v9
	v_ashrrev_i32_e32 v8, 31, v8
	;; [unrolled: 9-line block ×5, first 2 shown]
	v_xor_b32_e32 v9, vcc_hi, v8
	v_xor_b32_e32 v8, vcc_lo, v8
	v_and_b32_e32 v0, v0, v9
	v_lshlrev_b32_e32 v9, 24, v16
	v_and_b32_e32 v17, v17, v8
	v_mov_b32_e32 v8, v1
	v_not_b32_e32 v1, v9
	v_cmp_gt_i64_e32 vcc, 0, v[8:9]
	v_ashrrev_i32_e32 v1, 31, v1
	ds_read_b32 v13, v21 offset:64
	v_xor_b32_e32 v8, vcc_hi, v1
	v_xor_b32_e32 v9, vcc_lo, v1
	v_and_b32_e32 v1, v0, v8
	v_and_b32_e32 v0, v17, v9
	v_mbcnt_lo_u32_b32 v8, v0, 0
	v_mbcnt_hi_u32_b32 v16, v1, v8
	v_cmp_eq_u32_e32 vcc, 0, v16
	v_cmp_ne_u64_e64 s[0:1], 0, v[0:1]
	s_and_b64 s[4:5], s[0:1], vcc
	; wave barrier
	s_and_saveexec_b64 s[0:1], s[4:5]
	s_cbranch_execz .LBB868_209
; %bb.208:
	v_bcnt_u32_b32 v0, v0, 0
	v_bcnt_u32_b32 v0, v1, v0
	s_waitcnt lgkmcnt(0)
	v_add_u32_e32 v0, v13, v0
	ds_write_b32 v21, v0 offset:64
.LBB868_209:
	s_or_b64 exec, exec, s[0:1]
	s_waitcnt vmcnt(13)
	v_xor_b32_e32 v7, 0x80000000, v7
	v_lshrrev_b32_e32 v0, s64, v7
	v_and_b32_e32 v20, s14, v0
	s_movk_i32 s4, 0x44
	v_mul_lo_u32 v0, v20, s4
	v_lshl_add_u32 v26, v28, 2, v0
	v_and_b32_e32 v0, 1, v20
	v_mov_b32_e32 v1, 0
	v_lshl_add_u64 v[8:9], v[0:1], 0, -1
	v_cmp_ne_u32_e32 vcc, 0, v0
	; wave barrier
	s_nop 1
	v_xor_b32_e32 v8, vcc_lo, v8
	v_xor_b32_e32 v0, vcc_hi, v9
	v_and_b32_e32 v22, exec_lo, v8
	v_lshlrev_b32_e32 v9, 30, v20
	v_mov_b32_e32 v8, v1
	v_cmp_gt_i64_e32 vcc, 0, v[8:9]
	v_not_b32_e32 v8, v9
	v_ashrrev_i32_e32 v8, 31, v8
	v_and_b32_e32 v0, exec_hi, v0
	v_xor_b32_e32 v9, vcc_hi, v8
	v_xor_b32_e32 v8, vcc_lo, v8
	v_and_b32_e32 v0, v0, v9
	v_and_b32_e32 v22, v22, v8
	v_lshlrev_b32_e32 v9, 29, v20
	v_mov_b32_e32 v8, v1
	v_cmp_gt_i64_e32 vcc, 0, v[8:9]
	v_not_b32_e32 v8, v9
	v_ashrrev_i32_e32 v8, 31, v8
	v_xor_b32_e32 v9, vcc_hi, v8
	v_xor_b32_e32 v8, vcc_lo, v8
	v_and_b32_e32 v0, v0, v9
	v_and_b32_e32 v22, v22, v8
	v_lshlrev_b32_e32 v9, 28, v20
	v_mov_b32_e32 v8, v1
	v_cmp_gt_i64_e32 vcc, 0, v[8:9]
	v_not_b32_e32 v8, v9
	v_ashrrev_i32_e32 v8, 31, v8
	;; [unrolled: 9-line block ×6, first 2 shown]
	v_xor_b32_e32 v9, vcc_hi, v8
	v_xor_b32_e32 v8, vcc_lo, v8
	ds_read_b32 v17, v26 offset:64
	v_and_b32_e32 v8, v22, v8
	v_and_b32_e32 v9, v0, v9
	v_mbcnt_lo_u32_b32 v0, v8, 0
	v_mbcnt_hi_u32_b32 v20, v9, v0
	v_cmp_eq_u32_e32 vcc, 0, v20
	v_cmp_ne_u64_e64 s[0:1], 0, v[8:9]
	s_and_b64 s[6:7], s[0:1], vcc
	; wave barrier
	s_and_saveexec_b64 s[0:1], s[6:7]
	s_cbranch_execz .LBB868_211
; %bb.210:
	v_bcnt_u32_b32 v0, v8, 0
	v_bcnt_u32_b32 v0, v9, v0
	s_waitcnt lgkmcnt(0)
	v_add_u32_e32 v0, v17, v0
	ds_write_b32 v26, v0 offset:64
.LBB868_211:
	s_or_b64 exec, exec, s[0:1]
	s_waitcnt vmcnt(12)
	v_xor_b32_e32 v12, 0x80000000, v12
	v_lshrrev_b32_e32 v0, s64, v12
	v_and_b32_e32 v24, s14, v0
	v_mul_lo_u32 v0, v24, s4
	v_lshl_add_u32 v32, v28, 2, v0
	v_and_b32_e32 v0, 1, v24
	v_lshl_add_u64 v[8:9], v[0:1], 0, -1
	v_cmp_ne_u32_e32 vcc, 0, v0
	; wave barrier
	s_nop 1
	v_xor_b32_e32 v8, vcc_lo, v8
	v_xor_b32_e32 v0, vcc_hi, v9
	v_and_b32_e32 v27, exec_lo, v8
	v_lshlrev_b32_e32 v9, 30, v24
	v_mov_b32_e32 v8, v1
	v_cmp_gt_i64_e32 vcc, 0, v[8:9]
	v_not_b32_e32 v8, v9
	v_ashrrev_i32_e32 v8, 31, v8
	v_and_b32_e32 v0, exec_hi, v0
	v_xor_b32_e32 v9, vcc_hi, v8
	v_xor_b32_e32 v8, vcc_lo, v8
	v_and_b32_e32 v0, v0, v9
	v_and_b32_e32 v27, v27, v8
	v_lshlrev_b32_e32 v9, 29, v24
	v_mov_b32_e32 v8, v1
	v_cmp_gt_i64_e32 vcc, 0, v[8:9]
	v_not_b32_e32 v8, v9
	v_ashrrev_i32_e32 v8, 31, v8
	v_xor_b32_e32 v9, vcc_hi, v8
	v_xor_b32_e32 v8, vcc_lo, v8
	v_and_b32_e32 v0, v0, v9
	v_and_b32_e32 v27, v27, v8
	v_lshlrev_b32_e32 v9, 28, v24
	v_mov_b32_e32 v8, v1
	v_cmp_gt_i64_e32 vcc, 0, v[8:9]
	v_not_b32_e32 v8, v9
	v_ashrrev_i32_e32 v8, 31, v8
	v_xor_b32_e32 v9, vcc_hi, v8
	v_xor_b32_e32 v8, vcc_lo, v8
	v_and_b32_e32 v0, v0, v9
	v_and_b32_e32 v27, v27, v8
	v_lshlrev_b32_e32 v9, 27, v24
	v_mov_b32_e32 v8, v1
	v_cmp_gt_i64_e32 vcc, 0, v[8:9]
	v_not_b32_e32 v8, v9
	v_ashrrev_i32_e32 v8, 31, v8
	v_xor_b32_e32 v9, vcc_hi, v8
	v_xor_b32_e32 v8, vcc_lo, v8
	v_and_b32_e32 v0, v0, v9
	v_and_b32_e32 v27, v27, v8
	v_lshlrev_b32_e32 v9, 26, v24
	v_mov_b32_e32 v8, v1
	v_cmp_gt_i64_e32 vcc, 0, v[8:9]
	v_not_b32_e32 v8, v9
	v_ashrrev_i32_e32 v8, 31, v8
	v_xor_b32_e32 v9, vcc_hi, v8
	v_xor_b32_e32 v8, vcc_lo, v8
	v_and_b32_e32 v0, v0, v9
	v_and_b32_e32 v27, v27, v8
	v_lshlrev_b32_e32 v9, 25, v24
	v_mov_b32_e32 v8, v1
	v_cmp_gt_i64_e32 vcc, 0, v[8:9]
	v_not_b32_e32 v8, v9
	v_ashrrev_i32_e32 v8, 31, v8
	v_xor_b32_e32 v9, vcc_hi, v8
	v_xor_b32_e32 v8, vcc_lo, v8
	v_and_b32_e32 v0, v0, v9
	v_lshlrev_b32_e32 v9, 24, v24
	v_and_b32_e32 v27, v27, v8
	v_mov_b32_e32 v8, v1
	v_not_b32_e32 v1, v9
	v_cmp_gt_i64_e32 vcc, 0, v[8:9]
	v_ashrrev_i32_e32 v1, 31, v1
	ds_read_b32 v22, v32 offset:64
	v_xor_b32_e32 v8, vcc_hi, v1
	v_xor_b32_e32 v9, vcc_lo, v1
	v_and_b32_e32 v1, v0, v8
	v_and_b32_e32 v0, v27, v9
	v_mbcnt_lo_u32_b32 v8, v0, 0
	v_mbcnt_hi_u32_b32 v24, v1, v8
	v_cmp_eq_u32_e32 vcc, 0, v24
	v_cmp_ne_u64_e64 s[0:1], 0, v[0:1]
	s_and_b64 s[4:5], s[0:1], vcc
	; wave barrier
	s_and_saveexec_b64 s[0:1], s[4:5]
	s_cbranch_execz .LBB868_213
; %bb.212:
	v_bcnt_u32_b32 v0, v0, 0
	v_bcnt_u32_b32 v0, v1, v0
	s_waitcnt lgkmcnt(0)
	v_add_u32_e32 v0, v22, v0
	ds_write_b32 v32, v0 offset:64
.LBB868_213:
	s_or_b64 exec, exec, s[0:1]
	s_waitcnt vmcnt(11)
	v_xor_b32_e32 v15, 0x80000000, v15
	v_lshrrev_b32_e32 v0, s64, v15
	v_and_b32_e32 v30, s14, v0
	s_movk_i32 s4, 0x44
	v_mul_lo_u32 v0, v30, s4
	v_lshl_add_u32 v37, v28, 2, v0
	v_and_b32_e32 v0, 1, v30
	v_mov_b32_e32 v1, 0
	v_lshl_add_u64 v[8:9], v[0:1], 0, -1
	v_cmp_ne_u32_e32 vcc, 0, v0
	; wave barrier
	s_nop 1
	v_xor_b32_e32 v8, vcc_lo, v8
	v_xor_b32_e32 v0, vcc_hi, v9
	v_and_b32_e32 v33, exec_lo, v8
	v_lshlrev_b32_e32 v9, 30, v30
	v_mov_b32_e32 v8, v1
	v_cmp_gt_i64_e32 vcc, 0, v[8:9]
	v_not_b32_e32 v8, v9
	v_ashrrev_i32_e32 v8, 31, v8
	v_and_b32_e32 v0, exec_hi, v0
	v_xor_b32_e32 v9, vcc_hi, v8
	v_xor_b32_e32 v8, vcc_lo, v8
	v_and_b32_e32 v0, v0, v9
	v_and_b32_e32 v33, v33, v8
	v_lshlrev_b32_e32 v9, 29, v30
	v_mov_b32_e32 v8, v1
	v_cmp_gt_i64_e32 vcc, 0, v[8:9]
	v_not_b32_e32 v8, v9
	v_ashrrev_i32_e32 v8, 31, v8
	v_xor_b32_e32 v9, vcc_hi, v8
	v_xor_b32_e32 v8, vcc_lo, v8
	v_and_b32_e32 v0, v0, v9
	v_and_b32_e32 v33, v33, v8
	v_lshlrev_b32_e32 v9, 28, v30
	v_mov_b32_e32 v8, v1
	v_cmp_gt_i64_e32 vcc, 0, v[8:9]
	v_not_b32_e32 v8, v9
	v_ashrrev_i32_e32 v8, 31, v8
	;; [unrolled: 9-line block ×6, first 2 shown]
	v_xor_b32_e32 v9, vcc_hi, v8
	v_xor_b32_e32 v8, vcc_lo, v8
	ds_read_b32 v27, v37 offset:64
	v_and_b32_e32 v8, v33, v8
	v_and_b32_e32 v9, v0, v9
	v_mbcnt_lo_u32_b32 v0, v8, 0
	v_mbcnt_hi_u32_b32 v30, v9, v0
	v_cmp_eq_u32_e32 vcc, 0, v30
	v_cmp_ne_u64_e64 s[0:1], 0, v[8:9]
	s_and_b64 s[6:7], s[0:1], vcc
	; wave barrier
	s_and_saveexec_b64 s[0:1], s[6:7]
	s_cbranch_execz .LBB868_215
; %bb.214:
	v_bcnt_u32_b32 v0, v8, 0
	v_bcnt_u32_b32 v0, v9, v0
	s_waitcnt lgkmcnt(0)
	v_add_u32_e32 v0, v27, v0
	ds_write_b32 v37, v0 offset:64
.LBB868_215:
	s_or_b64 exec, exec, s[0:1]
	s_waitcnt vmcnt(10)
	v_xor_b32_e32 v19, 0x80000000, v19
	v_lshrrev_b32_e32 v0, s64, v19
	v_and_b32_e32 v35, s14, v0
	v_mul_lo_u32 v0, v35, s4
	v_lshl_add_u32 v41, v28, 2, v0
	v_and_b32_e32 v0, 1, v35
	v_lshl_add_u64 v[8:9], v[0:1], 0, -1
	v_cmp_ne_u32_e32 vcc, 0, v0
	; wave barrier
	s_nop 1
	v_xor_b32_e32 v8, vcc_lo, v8
	v_xor_b32_e32 v0, vcc_hi, v9
	v_and_b32_e32 v38, exec_lo, v8
	v_lshlrev_b32_e32 v9, 30, v35
	v_mov_b32_e32 v8, v1
	v_cmp_gt_i64_e32 vcc, 0, v[8:9]
	v_not_b32_e32 v8, v9
	v_ashrrev_i32_e32 v8, 31, v8
	v_and_b32_e32 v0, exec_hi, v0
	v_xor_b32_e32 v9, vcc_hi, v8
	v_xor_b32_e32 v8, vcc_lo, v8
	v_and_b32_e32 v0, v0, v9
	v_and_b32_e32 v38, v38, v8
	v_lshlrev_b32_e32 v9, 29, v35
	v_mov_b32_e32 v8, v1
	v_cmp_gt_i64_e32 vcc, 0, v[8:9]
	v_not_b32_e32 v8, v9
	v_ashrrev_i32_e32 v8, 31, v8
	v_xor_b32_e32 v9, vcc_hi, v8
	v_xor_b32_e32 v8, vcc_lo, v8
	v_and_b32_e32 v0, v0, v9
	v_and_b32_e32 v38, v38, v8
	v_lshlrev_b32_e32 v9, 28, v35
	v_mov_b32_e32 v8, v1
	v_cmp_gt_i64_e32 vcc, 0, v[8:9]
	v_not_b32_e32 v8, v9
	v_ashrrev_i32_e32 v8, 31, v8
	;; [unrolled: 9-line block ×5, first 2 shown]
	v_xor_b32_e32 v9, vcc_hi, v8
	v_xor_b32_e32 v8, vcc_lo, v8
	v_and_b32_e32 v0, v0, v9
	v_lshlrev_b32_e32 v9, 24, v35
	v_and_b32_e32 v38, v38, v8
	v_mov_b32_e32 v8, v1
	v_not_b32_e32 v1, v9
	v_cmp_gt_i64_e32 vcc, 0, v[8:9]
	v_ashrrev_i32_e32 v1, 31, v1
	ds_read_b32 v33, v41 offset:64
	v_xor_b32_e32 v8, vcc_hi, v1
	v_xor_b32_e32 v9, vcc_lo, v1
	v_and_b32_e32 v1, v0, v8
	v_and_b32_e32 v0, v38, v9
	v_mbcnt_lo_u32_b32 v8, v0, 0
	v_mbcnt_hi_u32_b32 v35, v1, v8
	v_cmp_eq_u32_e32 vcc, 0, v35
	v_cmp_ne_u64_e64 s[0:1], 0, v[0:1]
	s_and_b64 s[4:5], s[0:1], vcc
	; wave barrier
	s_and_saveexec_b64 s[0:1], s[4:5]
	s_cbranch_execz .LBB868_217
; %bb.216:
	v_bcnt_u32_b32 v0, v0, 0
	v_bcnt_u32_b32 v0, v1, v0
	s_waitcnt lgkmcnt(0)
	v_add_u32_e32 v0, v33, v0
	ds_write_b32 v41, v0 offset:64
.LBB868_217:
	s_or_b64 exec, exec, s[0:1]
	s_waitcnt vmcnt(9)
	v_xor_b32_e32 v23, 0x80000000, v23
	v_lshrrev_b32_e32 v0, s64, v23
	v_and_b32_e32 v42, s14, v0
	s_movk_i32 s4, 0x44
	v_mul_lo_u32 v0, v42, s4
	v_lshl_add_u32 v46, v28, 2, v0
	v_and_b32_e32 v0, 1, v42
	v_mov_b32_e32 v1, 0
	v_lshl_add_u64 v[8:9], v[0:1], 0, -1
	v_cmp_ne_u32_e32 vcc, 0, v0
	; wave barrier
	s_nop 1
	v_xor_b32_e32 v8, vcc_lo, v8
	v_xor_b32_e32 v0, vcc_hi, v9
	v_and_b32_e32 v43, exec_lo, v8
	v_lshlrev_b32_e32 v9, 30, v42
	v_mov_b32_e32 v8, v1
	v_cmp_gt_i64_e32 vcc, 0, v[8:9]
	v_not_b32_e32 v8, v9
	v_ashrrev_i32_e32 v8, 31, v8
	v_and_b32_e32 v0, exec_hi, v0
	v_xor_b32_e32 v9, vcc_hi, v8
	v_xor_b32_e32 v8, vcc_lo, v8
	v_and_b32_e32 v0, v0, v9
	v_and_b32_e32 v43, v43, v8
	v_lshlrev_b32_e32 v9, 29, v42
	v_mov_b32_e32 v8, v1
	v_cmp_gt_i64_e32 vcc, 0, v[8:9]
	v_not_b32_e32 v8, v9
	v_ashrrev_i32_e32 v8, 31, v8
	v_xor_b32_e32 v9, vcc_hi, v8
	v_xor_b32_e32 v8, vcc_lo, v8
	v_and_b32_e32 v0, v0, v9
	v_and_b32_e32 v43, v43, v8
	v_lshlrev_b32_e32 v9, 28, v42
	v_mov_b32_e32 v8, v1
	v_cmp_gt_i64_e32 vcc, 0, v[8:9]
	v_not_b32_e32 v8, v9
	v_ashrrev_i32_e32 v8, 31, v8
	;; [unrolled: 9-line block ×6, first 2 shown]
	v_xor_b32_e32 v9, vcc_hi, v8
	v_xor_b32_e32 v8, vcc_lo, v8
	ds_read_b32 v38, v46 offset:64
	v_and_b32_e32 v8, v43, v8
	v_and_b32_e32 v9, v0, v9
	v_mbcnt_lo_u32_b32 v0, v8, 0
	v_mbcnt_hi_u32_b32 v42, v9, v0
	v_cmp_eq_u32_e32 vcc, 0, v42
	v_cmp_ne_u64_e64 s[0:1], 0, v[8:9]
	s_and_b64 s[6:7], s[0:1], vcc
	; wave barrier
	s_and_saveexec_b64 s[0:1], s[6:7]
	s_cbranch_execz .LBB868_219
; %bb.218:
	v_bcnt_u32_b32 v0, v8, 0
	v_bcnt_u32_b32 v0, v9, v0
	s_waitcnt lgkmcnt(0)
	v_add_u32_e32 v0, v38, v0
	ds_write_b32 v46, v0 offset:64
.LBB868_219:
	s_or_b64 exec, exec, s[0:1]
	s_waitcnt vmcnt(8)
	v_xor_b32_e32 v29, 0x80000000, v29
	v_lshrrev_b32_e32 v0, s64, v29
	v_and_b32_e32 v47, s14, v0
	v_mul_lo_u32 v0, v47, s4
	v_lshl_add_u32 v49, v28, 2, v0
	v_and_b32_e32 v0, 1, v47
	v_lshl_add_u64 v[8:9], v[0:1], 0, -1
	v_cmp_ne_u32_e32 vcc, 0, v0
	; wave barrier
	s_nop 1
	v_xor_b32_e32 v8, vcc_lo, v8
	v_xor_b32_e32 v0, vcc_hi, v9
	v_and_b32_e32 v48, exec_lo, v8
	v_lshlrev_b32_e32 v9, 30, v47
	v_mov_b32_e32 v8, v1
	v_cmp_gt_i64_e32 vcc, 0, v[8:9]
	v_not_b32_e32 v8, v9
	v_ashrrev_i32_e32 v8, 31, v8
	v_and_b32_e32 v0, exec_hi, v0
	v_xor_b32_e32 v9, vcc_hi, v8
	v_xor_b32_e32 v8, vcc_lo, v8
	v_and_b32_e32 v0, v0, v9
	v_and_b32_e32 v48, v48, v8
	v_lshlrev_b32_e32 v9, 29, v47
	v_mov_b32_e32 v8, v1
	v_cmp_gt_i64_e32 vcc, 0, v[8:9]
	v_not_b32_e32 v8, v9
	v_ashrrev_i32_e32 v8, 31, v8
	v_xor_b32_e32 v9, vcc_hi, v8
	v_xor_b32_e32 v8, vcc_lo, v8
	v_and_b32_e32 v0, v0, v9
	v_and_b32_e32 v48, v48, v8
	v_lshlrev_b32_e32 v9, 28, v47
	v_mov_b32_e32 v8, v1
	v_cmp_gt_i64_e32 vcc, 0, v[8:9]
	v_not_b32_e32 v8, v9
	v_ashrrev_i32_e32 v8, 31, v8
	;; [unrolled: 9-line block ×5, first 2 shown]
	v_xor_b32_e32 v9, vcc_hi, v8
	v_xor_b32_e32 v8, vcc_lo, v8
	v_and_b32_e32 v0, v0, v9
	v_lshlrev_b32_e32 v9, 24, v47
	v_and_b32_e32 v48, v48, v8
	v_mov_b32_e32 v8, v1
	v_not_b32_e32 v1, v9
	v_cmp_gt_i64_e32 vcc, 0, v[8:9]
	v_ashrrev_i32_e32 v1, 31, v1
	ds_read_b32 v43, v49 offset:64
	v_xor_b32_e32 v8, vcc_hi, v1
	v_xor_b32_e32 v9, vcc_lo, v1
	v_and_b32_e32 v1, v0, v8
	v_and_b32_e32 v0, v48, v9
	v_mbcnt_lo_u32_b32 v8, v0, 0
	v_mbcnt_hi_u32_b32 v47, v1, v8
	v_cmp_eq_u32_e32 vcc, 0, v47
	v_cmp_ne_u64_e64 s[0:1], 0, v[0:1]
	s_and_b64 s[4:5], s[0:1], vcc
	; wave barrier
	s_and_saveexec_b64 s[0:1], s[4:5]
	s_cbranch_execz .LBB868_221
; %bb.220:
	v_bcnt_u32_b32 v0, v0, 0
	v_bcnt_u32_b32 v0, v1, v0
	s_waitcnt lgkmcnt(0)
	v_add_u32_e32 v0, v43, v0
	ds_write_b32 v49, v0 offset:64
.LBB868_221:
	s_or_b64 exec, exec, s[0:1]
	s_waitcnt vmcnt(7)
	v_xor_b32_e32 v34, 0x80000000, v34
	v_lshrrev_b32_e32 v0, s64, v34
	v_and_b32_e32 v50, s14, v0
	s_movk_i32 s4, 0x44
	v_mul_lo_u32 v0, v50, s4
	v_lshl_add_u32 v52, v28, 2, v0
	v_and_b32_e32 v0, 1, v50
	v_mov_b32_e32 v1, 0
	v_lshl_add_u64 v[8:9], v[0:1], 0, -1
	v_cmp_ne_u32_e32 vcc, 0, v0
	; wave barrier
	s_nop 1
	v_xor_b32_e32 v8, vcc_lo, v8
	v_xor_b32_e32 v0, vcc_hi, v9
	v_and_b32_e32 v51, exec_lo, v8
	v_lshlrev_b32_e32 v9, 30, v50
	v_mov_b32_e32 v8, v1
	v_cmp_gt_i64_e32 vcc, 0, v[8:9]
	v_not_b32_e32 v8, v9
	v_ashrrev_i32_e32 v8, 31, v8
	v_and_b32_e32 v0, exec_hi, v0
	v_xor_b32_e32 v9, vcc_hi, v8
	v_xor_b32_e32 v8, vcc_lo, v8
	v_and_b32_e32 v0, v0, v9
	v_and_b32_e32 v51, v51, v8
	v_lshlrev_b32_e32 v9, 29, v50
	v_mov_b32_e32 v8, v1
	v_cmp_gt_i64_e32 vcc, 0, v[8:9]
	v_not_b32_e32 v8, v9
	v_ashrrev_i32_e32 v8, 31, v8
	v_xor_b32_e32 v9, vcc_hi, v8
	v_xor_b32_e32 v8, vcc_lo, v8
	v_and_b32_e32 v0, v0, v9
	v_and_b32_e32 v51, v51, v8
	v_lshlrev_b32_e32 v9, 28, v50
	v_mov_b32_e32 v8, v1
	v_cmp_gt_i64_e32 vcc, 0, v[8:9]
	v_not_b32_e32 v8, v9
	v_ashrrev_i32_e32 v8, 31, v8
	;; [unrolled: 9-line block ×6, first 2 shown]
	v_xor_b32_e32 v9, vcc_hi, v8
	v_xor_b32_e32 v8, vcc_lo, v8
	ds_read_b32 v48, v52 offset:64
	v_and_b32_e32 v8, v51, v8
	v_and_b32_e32 v9, v0, v9
	v_mbcnt_lo_u32_b32 v0, v8, 0
	v_mbcnt_hi_u32_b32 v50, v9, v0
	v_cmp_eq_u32_e32 vcc, 0, v50
	v_cmp_ne_u64_e64 s[0:1], 0, v[8:9]
	s_and_b64 s[6:7], s[0:1], vcc
	; wave barrier
	s_and_saveexec_b64 s[0:1], s[6:7]
	s_cbranch_execz .LBB868_223
; %bb.222:
	v_bcnt_u32_b32 v0, v8, 0
	v_bcnt_u32_b32 v0, v9, v0
	s_waitcnt lgkmcnt(0)
	v_add_u32_e32 v0, v48, v0
	ds_write_b32 v52, v0 offset:64
.LBB868_223:
	s_or_b64 exec, exec, s[0:1]
	s_waitcnt vmcnt(6)
	v_xor_b32_e32 v39, 0x80000000, v39
	v_lshrrev_b32_e32 v0, s64, v39
	v_and_b32_e32 v53, s14, v0
	v_mul_lo_u32 v0, v53, s4
	v_lshl_add_u32 v55, v28, 2, v0
	v_and_b32_e32 v0, 1, v53
	v_lshl_add_u64 v[8:9], v[0:1], 0, -1
	v_cmp_ne_u32_e32 vcc, 0, v0
	; wave barrier
	s_nop 1
	v_xor_b32_e32 v8, vcc_lo, v8
	v_xor_b32_e32 v0, vcc_hi, v9
	v_and_b32_e32 v54, exec_lo, v8
	v_lshlrev_b32_e32 v9, 30, v53
	v_mov_b32_e32 v8, v1
	v_cmp_gt_i64_e32 vcc, 0, v[8:9]
	v_not_b32_e32 v8, v9
	v_ashrrev_i32_e32 v8, 31, v8
	v_and_b32_e32 v0, exec_hi, v0
	v_xor_b32_e32 v9, vcc_hi, v8
	v_xor_b32_e32 v8, vcc_lo, v8
	v_and_b32_e32 v0, v0, v9
	v_and_b32_e32 v54, v54, v8
	v_lshlrev_b32_e32 v9, 29, v53
	v_mov_b32_e32 v8, v1
	v_cmp_gt_i64_e32 vcc, 0, v[8:9]
	v_not_b32_e32 v8, v9
	v_ashrrev_i32_e32 v8, 31, v8
	v_xor_b32_e32 v9, vcc_hi, v8
	v_xor_b32_e32 v8, vcc_lo, v8
	v_and_b32_e32 v0, v0, v9
	v_and_b32_e32 v54, v54, v8
	v_lshlrev_b32_e32 v9, 28, v53
	v_mov_b32_e32 v8, v1
	v_cmp_gt_i64_e32 vcc, 0, v[8:9]
	v_not_b32_e32 v8, v9
	v_ashrrev_i32_e32 v8, 31, v8
	;; [unrolled: 9-line block ×5, first 2 shown]
	v_xor_b32_e32 v9, vcc_hi, v8
	v_xor_b32_e32 v8, vcc_lo, v8
	v_and_b32_e32 v0, v0, v9
	v_lshlrev_b32_e32 v9, 24, v53
	v_and_b32_e32 v54, v54, v8
	v_mov_b32_e32 v8, v1
	v_not_b32_e32 v1, v9
	v_cmp_gt_i64_e32 vcc, 0, v[8:9]
	v_ashrrev_i32_e32 v1, 31, v1
	ds_read_b32 v51, v55 offset:64
	v_xor_b32_e32 v8, vcc_hi, v1
	v_xor_b32_e32 v9, vcc_lo, v1
	v_and_b32_e32 v1, v0, v8
	v_and_b32_e32 v0, v54, v9
	v_mbcnt_lo_u32_b32 v8, v0, 0
	v_mbcnt_hi_u32_b32 v53, v1, v8
	v_cmp_eq_u32_e32 vcc, 0, v53
	v_cmp_ne_u64_e64 s[0:1], 0, v[0:1]
	s_and_b64 s[4:5], s[0:1], vcc
	; wave barrier
	s_and_saveexec_b64 s[0:1], s[4:5]
	s_cbranch_execz .LBB868_225
; %bb.224:
	v_bcnt_u32_b32 v0, v0, 0
	v_bcnt_u32_b32 v0, v1, v0
	s_waitcnt lgkmcnt(0)
	v_add_u32_e32 v0, v51, v0
	ds_write_b32 v55, v0 offset:64
.LBB868_225:
	s_or_b64 exec, exec, s[0:1]
	s_waitcnt vmcnt(5)
	v_xor_b32_e32 v44, 0x80000000, v44
	v_lshrrev_b32_e32 v0, s64, v44
	v_and_b32_e32 v56, s14, v0
	s_movk_i32 s4, 0x44
	v_mul_lo_u32 v0, v56, s4
	v_lshl_add_u32 v58, v28, 2, v0
	v_and_b32_e32 v0, 1, v56
	v_mov_b32_e32 v1, 0
	v_lshl_add_u64 v[8:9], v[0:1], 0, -1
	v_cmp_ne_u32_e32 vcc, 0, v0
	; wave barrier
	s_nop 1
	v_xor_b32_e32 v8, vcc_lo, v8
	v_xor_b32_e32 v0, vcc_hi, v9
	v_and_b32_e32 v57, exec_lo, v8
	v_lshlrev_b32_e32 v9, 30, v56
	v_mov_b32_e32 v8, v1
	v_cmp_gt_i64_e32 vcc, 0, v[8:9]
	v_not_b32_e32 v8, v9
	v_ashrrev_i32_e32 v8, 31, v8
	v_and_b32_e32 v0, exec_hi, v0
	v_xor_b32_e32 v9, vcc_hi, v8
	v_xor_b32_e32 v8, vcc_lo, v8
	v_and_b32_e32 v0, v0, v9
	v_and_b32_e32 v57, v57, v8
	v_lshlrev_b32_e32 v9, 29, v56
	v_mov_b32_e32 v8, v1
	v_cmp_gt_i64_e32 vcc, 0, v[8:9]
	v_not_b32_e32 v8, v9
	v_ashrrev_i32_e32 v8, 31, v8
	v_xor_b32_e32 v9, vcc_hi, v8
	v_xor_b32_e32 v8, vcc_lo, v8
	v_and_b32_e32 v0, v0, v9
	v_and_b32_e32 v57, v57, v8
	v_lshlrev_b32_e32 v9, 28, v56
	v_mov_b32_e32 v8, v1
	v_cmp_gt_i64_e32 vcc, 0, v[8:9]
	v_not_b32_e32 v8, v9
	v_ashrrev_i32_e32 v8, 31, v8
	;; [unrolled: 9-line block ×6, first 2 shown]
	v_xor_b32_e32 v9, vcc_hi, v8
	v_xor_b32_e32 v8, vcc_lo, v8
	ds_read_b32 v54, v58 offset:64
	v_and_b32_e32 v8, v57, v8
	v_and_b32_e32 v9, v0, v9
	v_mbcnt_lo_u32_b32 v0, v8, 0
	v_mbcnt_hi_u32_b32 v56, v9, v0
	v_cmp_eq_u32_e32 vcc, 0, v56
	v_cmp_ne_u64_e64 s[0:1], 0, v[8:9]
	s_and_b64 s[6:7], s[0:1], vcc
	; wave barrier
	s_and_saveexec_b64 s[0:1], s[6:7]
	s_cbranch_execz .LBB868_227
; %bb.226:
	v_bcnt_u32_b32 v0, v8, 0
	v_bcnt_u32_b32 v0, v9, v0
	s_waitcnt lgkmcnt(0)
	v_add_u32_e32 v0, v54, v0
	ds_write_b32 v58, v0 offset:64
.LBB868_227:
	s_or_b64 exec, exec, s[0:1]
	s_waitcnt vmcnt(4)
	v_xor_b32_e32 v45, 0x80000000, v45
	v_lshrrev_b32_e32 v0, s64, v45
	v_and_b32_e32 v59, s14, v0
	v_mul_lo_u32 v0, v59, s4
	v_lshl_add_u32 v62, v28, 2, v0
	v_and_b32_e32 v0, 1, v59
	v_lshl_add_u64 v[8:9], v[0:1], 0, -1
	v_cmp_ne_u32_e32 vcc, 0, v0
	; wave barrier
	s_nop 1
	v_xor_b32_e32 v8, vcc_lo, v8
	v_xor_b32_e32 v0, vcc_hi, v9
	v_and_b32_e32 v60, exec_lo, v8
	v_lshlrev_b32_e32 v9, 30, v59
	v_mov_b32_e32 v8, v1
	v_cmp_gt_i64_e32 vcc, 0, v[8:9]
	v_not_b32_e32 v8, v9
	v_ashrrev_i32_e32 v8, 31, v8
	v_and_b32_e32 v0, exec_hi, v0
	v_xor_b32_e32 v9, vcc_hi, v8
	v_xor_b32_e32 v8, vcc_lo, v8
	v_and_b32_e32 v0, v0, v9
	v_and_b32_e32 v60, v60, v8
	v_lshlrev_b32_e32 v9, 29, v59
	v_mov_b32_e32 v8, v1
	v_cmp_gt_i64_e32 vcc, 0, v[8:9]
	v_not_b32_e32 v8, v9
	v_ashrrev_i32_e32 v8, 31, v8
	v_xor_b32_e32 v9, vcc_hi, v8
	v_xor_b32_e32 v8, vcc_lo, v8
	v_and_b32_e32 v0, v0, v9
	v_and_b32_e32 v60, v60, v8
	v_lshlrev_b32_e32 v9, 28, v59
	v_mov_b32_e32 v8, v1
	v_cmp_gt_i64_e32 vcc, 0, v[8:9]
	v_not_b32_e32 v8, v9
	v_ashrrev_i32_e32 v8, 31, v8
	;; [unrolled: 9-line block ×5, first 2 shown]
	v_xor_b32_e32 v9, vcc_hi, v8
	v_xor_b32_e32 v8, vcc_lo, v8
	v_and_b32_e32 v0, v0, v9
	v_lshlrev_b32_e32 v9, 24, v59
	v_and_b32_e32 v60, v60, v8
	v_mov_b32_e32 v8, v1
	v_not_b32_e32 v1, v9
	v_cmp_gt_i64_e32 vcc, 0, v[8:9]
	v_ashrrev_i32_e32 v1, 31, v1
	ds_read_b32 v57, v62 offset:64
	v_xor_b32_e32 v8, vcc_hi, v1
	v_xor_b32_e32 v9, vcc_lo, v1
	v_and_b32_e32 v1, v0, v8
	v_and_b32_e32 v0, v60, v9
	v_mbcnt_lo_u32_b32 v8, v0, 0
	v_mbcnt_hi_u32_b32 v59, v1, v8
	v_cmp_eq_u32_e32 vcc, 0, v59
	v_cmp_ne_u64_e64 s[0:1], 0, v[0:1]
	s_and_b64 s[4:5], s[0:1], vcc
	; wave barrier
	s_and_saveexec_b64 s[0:1], s[4:5]
	s_cbranch_execz .LBB868_229
; %bb.228:
	v_bcnt_u32_b32 v0, v0, 0
	v_bcnt_u32_b32 v0, v1, v0
	s_waitcnt lgkmcnt(0)
	v_add_u32_e32 v0, v57, v0
	ds_write_b32 v62, v0 offset:64
.LBB868_229:
	s_or_b64 exec, exec, s[0:1]
	s_waitcnt vmcnt(3)
	v_xor_b32_e32 v40, 0x80000000, v40
	v_lshrrev_b32_e32 v0, s64, v40
	v_and_b32_e32 v61, s14, v0
	s_movk_i32 s4, 0x44
	v_mul_lo_u32 v0, v61, s4
	v_lshl_add_u32 v65, v28, 2, v0
	v_and_b32_e32 v0, 1, v61
	v_mov_b32_e32 v1, 0
	v_lshl_add_u64 v[8:9], v[0:1], 0, -1
	v_cmp_ne_u32_e32 vcc, 0, v0
	; wave barrier
	s_nop 1
	v_xor_b32_e32 v8, vcc_lo, v8
	v_xor_b32_e32 v0, vcc_hi, v9
	v_and_b32_e32 v63, exec_lo, v8
	v_lshlrev_b32_e32 v9, 30, v61
	v_mov_b32_e32 v8, v1
	v_cmp_gt_i64_e32 vcc, 0, v[8:9]
	v_not_b32_e32 v8, v9
	v_ashrrev_i32_e32 v8, 31, v8
	v_and_b32_e32 v0, exec_hi, v0
	v_xor_b32_e32 v9, vcc_hi, v8
	v_xor_b32_e32 v8, vcc_lo, v8
	v_and_b32_e32 v0, v0, v9
	v_and_b32_e32 v63, v63, v8
	v_lshlrev_b32_e32 v9, 29, v61
	v_mov_b32_e32 v8, v1
	v_cmp_gt_i64_e32 vcc, 0, v[8:9]
	v_not_b32_e32 v8, v9
	v_ashrrev_i32_e32 v8, 31, v8
	v_xor_b32_e32 v9, vcc_hi, v8
	v_xor_b32_e32 v8, vcc_lo, v8
	v_and_b32_e32 v0, v0, v9
	v_and_b32_e32 v63, v63, v8
	v_lshlrev_b32_e32 v9, 28, v61
	v_mov_b32_e32 v8, v1
	v_cmp_gt_i64_e32 vcc, 0, v[8:9]
	v_not_b32_e32 v8, v9
	v_ashrrev_i32_e32 v8, 31, v8
	;; [unrolled: 9-line block ×6, first 2 shown]
	v_xor_b32_e32 v9, vcc_hi, v8
	v_xor_b32_e32 v8, vcc_lo, v8
	ds_read_b32 v60, v65 offset:64
	v_and_b32_e32 v8, v63, v8
	v_and_b32_e32 v9, v0, v9
	v_mbcnt_lo_u32_b32 v0, v8, 0
	v_mbcnt_hi_u32_b32 v63, v9, v0
	v_cmp_eq_u32_e32 vcc, 0, v63
	v_cmp_ne_u64_e64 s[0:1], 0, v[8:9]
	s_and_b64 s[6:7], s[0:1], vcc
	; wave barrier
	s_and_saveexec_b64 s[0:1], s[6:7]
	s_cbranch_execz .LBB868_231
; %bb.230:
	v_bcnt_u32_b32 v0, v8, 0
	v_bcnt_u32_b32 v0, v9, v0
	s_waitcnt lgkmcnt(0)
	v_add_u32_e32 v0, v60, v0
	ds_write_b32 v65, v0 offset:64
.LBB868_231:
	s_or_b64 exec, exec, s[0:1]
	s_waitcnt vmcnt(2)
	v_xor_b32_e32 v36, 0x80000000, v36
	v_lshrrev_b32_e32 v0, s64, v36
	v_and_b32_e32 v61, s14, v0
	v_mul_lo_u32 v0, v61, s4
	v_lshl_add_u32 v68, v28, 2, v0
	v_and_b32_e32 v0, 1, v61
	v_lshl_add_u64 v[8:9], v[0:1], 0, -1
	v_cmp_ne_u32_e32 vcc, 0, v0
	; wave barrier
	s_nop 1
	v_xor_b32_e32 v8, vcc_lo, v8
	v_xor_b32_e32 v0, vcc_hi, v9
	v_and_b32_e32 v66, exec_lo, v8
	v_lshlrev_b32_e32 v9, 30, v61
	v_mov_b32_e32 v8, v1
	v_cmp_gt_i64_e32 vcc, 0, v[8:9]
	v_not_b32_e32 v8, v9
	v_ashrrev_i32_e32 v8, 31, v8
	v_and_b32_e32 v0, exec_hi, v0
	v_xor_b32_e32 v9, vcc_hi, v8
	v_xor_b32_e32 v8, vcc_lo, v8
	v_and_b32_e32 v0, v0, v9
	v_and_b32_e32 v66, v66, v8
	v_lshlrev_b32_e32 v9, 29, v61
	v_mov_b32_e32 v8, v1
	v_cmp_gt_i64_e32 vcc, 0, v[8:9]
	v_not_b32_e32 v8, v9
	v_ashrrev_i32_e32 v8, 31, v8
	v_xor_b32_e32 v9, vcc_hi, v8
	v_xor_b32_e32 v8, vcc_lo, v8
	v_and_b32_e32 v0, v0, v9
	v_and_b32_e32 v66, v66, v8
	v_lshlrev_b32_e32 v9, 28, v61
	v_mov_b32_e32 v8, v1
	v_cmp_gt_i64_e32 vcc, 0, v[8:9]
	v_not_b32_e32 v8, v9
	v_ashrrev_i32_e32 v8, 31, v8
	;; [unrolled: 9-line block ×5, first 2 shown]
	v_xor_b32_e32 v9, vcc_hi, v8
	v_xor_b32_e32 v8, vcc_lo, v8
	v_and_b32_e32 v0, v0, v9
	v_lshlrev_b32_e32 v9, 24, v61
	v_and_b32_e32 v66, v66, v8
	v_mov_b32_e32 v8, v1
	v_not_b32_e32 v1, v9
	v_cmp_gt_i64_e32 vcc, 0, v[8:9]
	v_ashrrev_i32_e32 v1, 31, v1
	ds_read_b32 v64, v68 offset:64
	v_xor_b32_e32 v8, vcc_hi, v1
	v_xor_b32_e32 v9, vcc_lo, v1
	v_and_b32_e32 v1, v0, v8
	v_and_b32_e32 v0, v66, v9
	v_mbcnt_lo_u32_b32 v8, v0, 0
	v_mbcnt_hi_u32_b32 v66, v1, v8
	v_cmp_eq_u32_e32 vcc, 0, v66
	v_cmp_ne_u64_e64 s[0:1], 0, v[0:1]
	s_and_b64 s[4:5], s[0:1], vcc
	; wave barrier
	s_and_saveexec_b64 s[0:1], s[4:5]
	s_cbranch_execz .LBB868_233
; %bb.232:
	v_bcnt_u32_b32 v0, v0, 0
	v_bcnt_u32_b32 v0, v1, v0
	s_waitcnt lgkmcnt(0)
	v_add_u32_e32 v0, v64, v0
	ds_write_b32 v68, v0 offset:64
.LBB868_233:
	s_or_b64 exec, exec, s[0:1]
	s_waitcnt vmcnt(1)
	v_xor_b32_e32 v31, 0x80000000, v31
	v_lshrrev_b32_e32 v0, s64, v31
	v_and_b32_e32 v61, s14, v0
	s_movk_i32 s4, 0x44
	v_mul_lo_u32 v0, v61, s4
	v_lshl_add_u32 v70, v28, 2, v0
	v_and_b32_e32 v0, 1, v61
	v_mov_b32_e32 v1, 0
	v_lshl_add_u64 v[8:9], v[0:1], 0, -1
	v_cmp_ne_u32_e32 vcc, 0, v0
	; wave barrier
	s_nop 1
	v_xor_b32_e32 v8, vcc_lo, v8
	v_xor_b32_e32 v0, vcc_hi, v9
	v_and_b32_e32 v69, exec_lo, v8
	v_lshlrev_b32_e32 v9, 30, v61
	v_mov_b32_e32 v8, v1
	v_cmp_gt_i64_e32 vcc, 0, v[8:9]
	v_not_b32_e32 v8, v9
	v_ashrrev_i32_e32 v8, 31, v8
	v_and_b32_e32 v0, exec_hi, v0
	v_xor_b32_e32 v9, vcc_hi, v8
	v_xor_b32_e32 v8, vcc_lo, v8
	v_and_b32_e32 v0, v0, v9
	v_and_b32_e32 v69, v69, v8
	v_lshlrev_b32_e32 v9, 29, v61
	v_mov_b32_e32 v8, v1
	v_cmp_gt_i64_e32 vcc, 0, v[8:9]
	v_not_b32_e32 v8, v9
	v_ashrrev_i32_e32 v8, 31, v8
	v_xor_b32_e32 v9, vcc_hi, v8
	v_xor_b32_e32 v8, vcc_lo, v8
	v_and_b32_e32 v0, v0, v9
	v_and_b32_e32 v69, v69, v8
	v_lshlrev_b32_e32 v9, 28, v61
	v_mov_b32_e32 v8, v1
	v_cmp_gt_i64_e32 vcc, 0, v[8:9]
	v_not_b32_e32 v8, v9
	v_ashrrev_i32_e32 v8, 31, v8
	;; [unrolled: 9-line block ×6, first 2 shown]
	v_xor_b32_e32 v9, vcc_hi, v8
	v_xor_b32_e32 v8, vcc_lo, v8
	ds_read_b32 v67, v70 offset:64
	v_and_b32_e32 v8, v69, v8
	v_and_b32_e32 v9, v0, v9
	v_mbcnt_lo_u32_b32 v0, v8, 0
	v_mbcnt_hi_u32_b32 v69, v9, v0
	v_cmp_eq_u32_e32 vcc, 0, v69
	v_cmp_ne_u64_e64 s[0:1], 0, v[8:9]
	s_and_b64 s[6:7], s[0:1], vcc
	; wave barrier
	s_and_saveexec_b64 s[0:1], s[6:7]
	s_cbranch_execz .LBB868_235
; %bb.234:
	v_bcnt_u32_b32 v0, v8, 0
	v_bcnt_u32_b32 v0, v9, v0
	s_waitcnt lgkmcnt(0)
	v_add_u32_e32 v0, v67, v0
	ds_write_b32 v70, v0 offset:64
.LBB868_235:
	s_or_b64 exec, exec, s[0:1]
	s_waitcnt vmcnt(0)
	v_xor_b32_e32 v61, 0x80000000, v25
	v_lshrrev_b32_e32 v0, s64, v61
	v_and_b32_e32 v25, s14, v0
	v_mul_lo_u32 v0, v25, s4
	v_lshl_add_u32 v72, v28, 2, v0
	v_and_b32_e32 v0, 1, v25
	v_lshl_add_u64 v[8:9], v[0:1], 0, -1
	v_cmp_ne_u32_e32 vcc, 0, v0
	; wave barrier
	s_nop 1
	v_xor_b32_e32 v8, vcc_lo, v8
	v_xor_b32_e32 v0, vcc_hi, v9
	v_and_b32_e32 v71, exec_lo, v8
	v_lshlrev_b32_e32 v9, 30, v25
	v_mov_b32_e32 v8, v1
	v_cmp_gt_i64_e32 vcc, 0, v[8:9]
	v_not_b32_e32 v8, v9
	v_ashrrev_i32_e32 v8, 31, v8
	v_and_b32_e32 v0, exec_hi, v0
	v_xor_b32_e32 v9, vcc_hi, v8
	v_xor_b32_e32 v8, vcc_lo, v8
	v_and_b32_e32 v0, v0, v9
	v_and_b32_e32 v71, v71, v8
	v_lshlrev_b32_e32 v9, 29, v25
	v_mov_b32_e32 v8, v1
	v_cmp_gt_i64_e32 vcc, 0, v[8:9]
	v_not_b32_e32 v8, v9
	v_ashrrev_i32_e32 v8, 31, v8
	v_xor_b32_e32 v9, vcc_hi, v8
	v_xor_b32_e32 v8, vcc_lo, v8
	v_and_b32_e32 v0, v0, v9
	v_and_b32_e32 v71, v71, v8
	v_lshlrev_b32_e32 v9, 28, v25
	v_mov_b32_e32 v8, v1
	v_cmp_gt_i64_e32 vcc, 0, v[8:9]
	v_not_b32_e32 v8, v9
	v_ashrrev_i32_e32 v8, 31, v8
	v_xor_b32_e32 v9, vcc_hi, v8
	v_xor_b32_e32 v8, vcc_lo, v8
	v_and_b32_e32 v0, v0, v9
	v_and_b32_e32 v71, v71, v8
	v_lshlrev_b32_e32 v9, 27, v25
	v_mov_b32_e32 v8, v1
	v_cmp_gt_i64_e32 vcc, 0, v[8:9]
	v_not_b32_e32 v8, v9
	v_ashrrev_i32_e32 v8, 31, v8
	v_xor_b32_e32 v9, vcc_hi, v8
	v_xor_b32_e32 v8, vcc_lo, v8
	v_and_b32_e32 v0, v0, v9
	v_and_b32_e32 v71, v71, v8
	v_lshlrev_b32_e32 v9, 26, v25
	v_mov_b32_e32 v8, v1
	v_cmp_gt_i64_e32 vcc, 0, v[8:9]
	v_not_b32_e32 v8, v9
	v_ashrrev_i32_e32 v8, 31, v8
	v_xor_b32_e32 v9, vcc_hi, v8
	v_xor_b32_e32 v8, vcc_lo, v8
	v_and_b32_e32 v0, v0, v9
	v_and_b32_e32 v71, v71, v8
	v_lshlrev_b32_e32 v9, 25, v25
	v_mov_b32_e32 v8, v1
	v_cmp_gt_i64_e32 vcc, 0, v[8:9]
	v_not_b32_e32 v8, v9
	v_ashrrev_i32_e32 v8, 31, v8
	v_xor_b32_e32 v9, vcc_hi, v8
	v_xor_b32_e32 v8, vcc_lo, v8
	v_and_b32_e32 v0, v0, v9
	v_lshlrev_b32_e32 v9, 24, v25
	v_and_b32_e32 v71, v71, v8
	v_mov_b32_e32 v8, v1
	v_not_b32_e32 v1, v9
	v_cmp_gt_i64_e32 vcc, 0, v[8:9]
	v_ashrrev_i32_e32 v1, 31, v1
	ds_read_b32 v28, v72 offset:64
	v_xor_b32_e32 v8, vcc_hi, v1
	v_xor_b32_e32 v9, vcc_lo, v1
	v_and_b32_e32 v1, v0, v8
	v_and_b32_e32 v0, v71, v9
	v_mbcnt_lo_u32_b32 v8, v0, 0
	v_mbcnt_hi_u32_b32 v71, v1, v8
	v_cmp_eq_u32_e32 vcc, 0, v71
	v_cmp_ne_u64_e64 s[0:1], 0, v[0:1]
	s_and_b64 s[4:5], s[0:1], vcc
	; wave barrier
	s_and_saveexec_b64 s[0:1], s[4:5]
	s_cbranch_execz .LBB868_237
; %bb.236:
	v_bcnt_u32_b32 v0, v0, 0
	v_bcnt_u32_b32 v0, v1, v0
	s_waitcnt lgkmcnt(0)
	v_add_u32_e32 v0, v28, v0
	ds_write_b32 v72, v0 offset:64
.LBB868_237:
	s_or_b64 exec, exec, s[0:1]
	; wave barrier
	s_waitcnt lgkmcnt(0)
	s_barrier
	ds_read2_b32 v[8:9], v11 offset0:16 offset1:17
	ds_read2_b32 v[0:1], v11 offset0:18 offset1:19
	ds_read_b32 v25, v11 offset:80
	v_cmp_lt_u32_e64 s[8:9], 31, v10
	s_waitcnt lgkmcnt(1)
	v_add3_u32 v73, v9, v8, v0
	s_waitcnt lgkmcnt(0)
	v_add3_u32 v25, v73, v1, v25
	v_and_b32_e32 v73, 15, v10
	v_cmp_eq_u32_e32 vcc, 0, v73
	v_mov_b32_dpp v74, v25 row_shr:1 row_mask:0xf bank_mask:0xf
	v_cmp_lt_u32_e64 s[0:1], 1, v73
	v_cndmask_b32_e64 v74, v74, 0, vcc
	v_add_u32_e32 v25, v74, v25
	v_cmp_lt_u32_e64 s[6:7], 3, v73
	v_cmp_lt_u32_e64 s[4:5], 7, v73
	v_mov_b32_dpp v74, v25 row_shr:2 row_mask:0xf bank_mask:0xf
	v_cndmask_b32_e64 v74, 0, v74, s[0:1]
	v_add_u32_e32 v25, v25, v74
	s_nop 1
	v_mov_b32_dpp v74, v25 row_shr:4 row_mask:0xf bank_mask:0xf
	v_cndmask_b32_e64 v74, 0, v74, s[6:7]
	v_add_u32_e32 v25, v25, v74
	s_nop 1
	v_mov_b32_dpp v74, v25 row_shr:8 row_mask:0xf bank_mask:0xf
	v_cndmask_b32_e64 v73, 0, v74, s[4:5]
	v_add_u32_e32 v25, v25, v73
	v_bfe_i32 v74, v10, 4, 1
	s_nop 0
	v_mov_b32_dpp v73, v25 row_bcast:15 row_mask:0xf bank_mask:0xf
	v_and_b32_e32 v73, v74, v73
	v_add_u32_e32 v25, v25, v73
	v_lshrrev_b32_e32 v74, 6, v2
	s_nop 0
	v_mov_b32_dpp v73, v25 row_bcast:31 row_mask:0xf bank_mask:0xf
	v_cndmask_b32_e64 v73, 0, v73, s[8:9]
	v_add_u32_e32 v73, v25, v73
	v_and_b32_e32 v25, 63, v2
	v_cmp_eq_u32_e64 s[8:9], 63, v25
	s_and_saveexec_b64 s[12:13], s[8:9]
; %bb.238:
	v_lshlrev_b32_e32 v25, 2, v74
	ds_write_b32 v25, v73
; %bb.239:
	s_or_b64 exec, exec, s[12:13]
	v_cmp_gt_u32_e64 s[8:9], 16, v2
	v_lshlrev_b32_e32 v25, 2, v2
	s_waitcnt lgkmcnt(0)
	s_barrier
	s_and_saveexec_b64 s[12:13], s[8:9]
	s_cbranch_execz .LBB868_241
; %bb.240:
	ds_read_b32 v75, v25
	s_waitcnt lgkmcnt(0)
	s_nop 0
	v_mov_b32_dpp v76, v75 row_shr:1 row_mask:0xf bank_mask:0xf
	v_cndmask_b32_e64 v76, v76, 0, vcc
	v_add_u32_e32 v75, v76, v75
	s_nop 1
	v_mov_b32_dpp v76, v75 row_shr:2 row_mask:0xf bank_mask:0xf
	v_cndmask_b32_e64 v76, 0, v76, s[0:1]
	v_add_u32_e32 v75, v75, v76
	s_nop 1
	v_mov_b32_dpp v76, v75 row_shr:4 row_mask:0xf bank_mask:0xf
	v_cndmask_b32_e64 v76, 0, v76, s[6:7]
	;; [unrolled: 4-line block ×3, first 2 shown]
	v_add_u32_e32 v75, v75, v76
	ds_write_b32 v25, v75
.LBB868_241:
	s_or_b64 exec, exec, s[12:13]
	v_cmp_lt_u32_e32 vcc, 63, v2
	v_mov_b32_e32 v75, 0
	s_waitcnt lgkmcnt(0)
	s_barrier
	s_and_saveexec_b64 s[0:1], vcc
; %bb.242:
	v_lshl_add_u32 v74, v74, 2, -4
	ds_read_b32 v75, v74
; %bb.243:
	s_or_b64 exec, exec, s[0:1]
	v_subrev_co_u32_e32 v74, vcc, 1, v10
	v_and_b32_e32 v76, 64, v10
	v_cmp_lt_i32_e64 s[0:1], v74, v76
	s_waitcnt lgkmcnt(0)
	v_add_u32_e32 v73, v75, v73
	s_movk_i32 s4, 0x100
	v_cndmask_b32_e64 v10, v74, v10, s[0:1]
	v_lshlrev_b32_e32 v10, 2, v10
	ds_bpermute_b32 v10, v10, v73
	s_movk_i32 s0, 0xff
	s_waitcnt lgkmcnt(0)
	v_cndmask_b32_e32 v10, v10, v75, vcc
	v_cmp_ne_u32_e32 vcc, 0, v2
	s_nop 1
	v_cndmask_b32_e32 v10, 0, v10, vcc
	v_add_u32_e32 v8, v10, v8
	v_add_u32_e32 v9, v8, v9
	;; [unrolled: 1-line block ×4, first 2 shown]
	ds_write2_b32 v11, v10, v8 offset0:16 offset1:17
	ds_write2_b32 v11, v9, v0 offset0:18 offset1:19
	ds_write_b32 v11, v1 offset:80
	s_waitcnt lgkmcnt(0)
	s_barrier
	ds_read_b32 v81, v18 offset:64
	ds_read_b32 v73, v21 offset:64
	;; [unrolled: 1-line block ×16, first 2 shown]
	v_cmp_lt_u32_e32 vcc, s0, v2
	v_cmp_gt_u32_e64 s[0:1], s4, v2
                                        ; implicit-def: $vgpr18
                                        ; implicit-def: $vgpr21
	s_and_saveexec_b64 s[6:7], s[0:1]
	s_cbranch_execz .LBB868_247
; %bb.244:
	v_mul_u32_u24_e32 v0, 0x44, v2
	ds_read_b32 v18, v0 offset:64
	v_add_u32_e32 v1, 1, v2
	v_cmp_ne_u32_e64 s[4:5], s4, v1
	v_mov_b32_e32 v0, 0x4000
	s_and_saveexec_b64 s[8:9], s[4:5]
; %bb.245:
	v_mul_u32_u24_e32 v0, 0x44, v1
	ds_read_b32 v0, v0 offset:64
; %bb.246:
	s_or_b64 exec, exec, s[8:9]
	s_waitcnt lgkmcnt(0)
	v_sub_u32_e32 v21, v0, v18
.LBB868_247:
	s_or_b64 exec, exec, s[6:7]
	v_mov_b32_e32 v1, 0
	s_waitcnt lgkmcnt(0)
	s_barrier
	s_and_saveexec_b64 s[4:5], s[0:1]
	s_cbranch_execz .LBB868_257
; %bb.248:
	v_lshl_add_u32 v0, s2, 8, v2
	v_lshl_add_u64 v[8:9], v[0:1], 2, s[50:51]
	v_or_b32_e32 v0, 2.0, v21
	s_mov_b64 s[6:7], 0
	s_brev_b32 s15, -4
	s_mov_b32 s16, s2
	v_mov_b32_e32 v49, 0
	global_store_dword v[8:9], v0, off sc1
                                        ; implicit-def: $sgpr0_sgpr1
	s_branch .LBB868_251
.LBB868_249:                            ;   in Loop: Header=BB868_251 Depth=1
	s_or_b64 exec, exec, s[12:13]
.LBB868_250:                            ;   in Loop: Header=BB868_251 Depth=1
	s_or_b64 exec, exec, s[8:9]
	v_and_b32_e32 v10, 0x3fffffff, v0
	v_add_u32_e32 v49, v10, v49
	v_cmp_gt_i32_e64 s[0:1], -2.0, v0
	s_and_b64 s[8:9], exec, s[0:1]
	s_or_b64 s[6:7], s[8:9], s[6:7]
	s_andn2_b64 exec, exec, s[6:7]
	s_cbranch_execz .LBB868_256
.LBB868_251:                            ; =>This Loop Header: Depth=1
                                        ;     Child Loop BB868_254 Depth 2
	s_or_b64 s[0:1], s[0:1], exec
	s_cmp_eq_u32 s16, 0
	s_cbranch_scc1 .LBB868_255
; %bb.252:                              ;   in Loop: Header=BB868_251 Depth=1
	s_add_i32 s16, s16, -1
	v_lshl_or_b32 v0, s16, 8, v2
	v_lshl_add_u64 v[10:11], v[0:1], 2, s[50:51]
	global_load_dword v0, v[10:11], off sc1
	s_waitcnt vmcnt(0)
	v_cmp_gt_u32_e64 s[0:1], 2.0, v0
	s_and_saveexec_b64 s[8:9], s[0:1]
	s_cbranch_execz .LBB868_250
; %bb.253:                              ;   in Loop: Header=BB868_251 Depth=1
	s_mov_b64 s[12:13], 0
.LBB868_254:                            ;   Parent Loop BB868_251 Depth=1
                                        ; =>  This Inner Loop Header: Depth=2
	global_load_dword v0, v[10:11], off sc1
	s_waitcnt vmcnt(0)
	v_cmp_lt_u32_e64 s[0:1], s15, v0
	s_or_b64 s[12:13], s[0:1], s[12:13]
	s_andn2_b64 exec, exec, s[12:13]
	s_cbranch_execnz .LBB868_254
	s_branch .LBB868_249
.LBB868_255:                            ;   in Loop: Header=BB868_251 Depth=1
                                        ; implicit-def: $sgpr16
	s_and_b64 s[8:9], exec, s[0:1]
	s_or_b64 s[6:7], s[8:9], s[6:7]
	s_andn2_b64 exec, exec, s[6:7]
	s_cbranch_execnz .LBB868_251
.LBB868_256:
	s_or_b64 exec, exec, s[6:7]
	v_add_u32_e32 v0, v49, v21
	v_or_b32_e32 v0, 0x80000000, v0
	global_store_dword v[8:9], v0, off sc1
	global_load_dword v0, v25, s[60:61]
	v_sub_u32_e32 v1, v49, v18
	s_waitcnt vmcnt(0)
	v_add_u32_e32 v0, v1, v0
	ds_write_b32 v25, v0
.LBB868_257:
	s_or_b64 exec, exec, s[4:5]
	v_add_u32_e32 v8, v81, v14
	v_add3_u32 v0, v16, v13, v73
	v_add3_u32 v1, v20, v17, v74
	;; [unrolled: 1-line block ×15, first 2 shown]
	v_mov_b32_e32 v85, 0x400
	s_mov_b32 s6, s64
	s_mov_b32 s7, s14
	s_movk_i32 s8, 0x400
	v_lshl_add_u32 v9, v9, 2, v85
	v_add3_u32 v10, v71, v41, v28
	v_lshl_add_u32 v11, v11, 2, v85
	v_add3_u32 v14, v69, v26, v67
	;; [unrolled: 2-line block ×15, first 2 shown]
	v_lshl_add_u32 v16, v8, 2, v85
	s_mov_b32 s9, 0
	s_mov_b32 s12, 0
	s_movk_i32 s13, 0x1000
	v_mov_b32_e32 v1, 0
	s_movk_i32 s15, 0x800
	s_movk_i32 s16, 0xc00
	v_mov_b32_e32 v55, v2
	s_mov_b32 s17, 0
	s_branch .LBB868_259
.LBB868_258:                            ;   in Loop: Header=BB868_259 Depth=1
	s_or_b64 exec, exec, s[4:5]
	s_waitcnt lgkmcnt(0)
	s_barrier
	ds_read2st64_b32 v[56:57], v25 offset0:4 offset1:20
	ds_read2st64_b32 v[62:63], v25 offset0:36 offset1:52
	s_addk_i32 s17, 0xc000
	s_addk_i32 s12, 0xf000
	s_waitcnt lgkmcnt(1)
	v_xor_b32_e32 v60, 0x80000000, v56
	v_lshrrev_b32_e32 v56, s64, v56
	v_lshrrev_b32_e32 v0, s6, v57
	v_and_b32_e32 v56, s14, v56
	v_xor_b32_e32 v66, 0x80000000, v57
	v_and_b32_e32 v57, s7, v0
	v_lshlrev_b32_e32 v0, 2, v56
	ds_read_b32 v0, v0
	s_waitcnt lgkmcnt(1)
	v_lshrrev_b32_e32 v58, s6, v63
	v_lshrrev_b32_e32 v65, s64, v62
	v_and_b32_e32 v59, s7, v58
	v_lshlrev_b32_e32 v64, 2, v57
	v_and_b32_e32 v58, s14, v65
	v_lshlrev_b32_e32 v67, 2, v59
	v_lshlrev_b32_e32 v65, 2, v58
	ds_read_b32 v68, v64
	ds_read_b32 v69, v65
	;; [unrolled: 1-line block ×3, first 2 shown]
	s_waitcnt lgkmcnt(3)
	v_add_u32_e32 v0, v55, v0
	v_lshl_add_u64 v[64:65], v[0:1], 2, s[54:55]
	s_waitcnt lgkmcnt(2)
	v_add3_u32 v0, v55, v68, s8
	global_store_dword v[64:65], v60, off
	v_lshl_add_u64 v[64:65], v[0:1], 2, s[54:55]
	s_waitcnt lgkmcnt(1)
	v_add3_u32 v0, v55, v69, s15
	global_store_dword v[64:65], v66, off
	v_xor_b32_e32 v60, 0x80000000, v62
	v_xor_b32_e32 v64, 0x80000000, v63
	v_lshl_add_u64 v[62:63], v[0:1], 2, s[54:55]
	s_waitcnt lgkmcnt(0)
	v_add3_u32 v0, v55, v67, s16
	global_store_dword v[62:63], v60, off
	v_lshl_add_u64 v[62:63], v[0:1], 2, s[54:55]
	global_store_dword v[62:63], v64, off
	scratch_store_dwordx4 off, v[56:59], s9
	s_add_i32 s9, s9, 16
	s_cmp_eq_u32 s17, 0xffff0000
	v_add_u32_e32 v55, 0x1000, v55
	s_barrier
	s_cbranch_scc1 .LBB868_291
.LBB868_259:                            ; =>This Inner Loop Header: Depth=1
	v_add_u32_e32 v0, s12, v8
	v_cmp_gt_u32_e64 s[0:1], s13, v0
	s_and_saveexec_b64 s[4:5], s[0:1]
; %bb.260:                              ;   in Loop: Header=BB868_259 Depth=1
	v_add_u32_e32 v0, s17, v16
	ds_write_b32 v0, v3
; %bb.261:                              ;   in Loop: Header=BB868_259 Depth=1
	s_or_b64 exec, exec, s[4:5]
	v_add_u32_e32 v0, s12, v13
	v_cmp_gt_u32_e64 s[0:1], s13, v0
	s_and_saveexec_b64 s[4:5], s[0:1]
; %bb.262:                              ;   in Loop: Header=BB868_259 Depth=1
	v_add_u32_e32 v0, s17, v20
	ds_write_b32 v0, v5
; %bb.263:                              ;   in Loop: Header=BB868_259 Depth=1
	s_or_b64 exec, exec, s[4:5]
	;; [unrolled: 8-line block ×15, first 2 shown]
	v_add_u32_e32 v0, s12, v10
	v_cmp_gt_u32_e64 s[0:1], s13, v0
	s_and_saveexec_b64 s[4:5], s[0:1]
	s_cbranch_execz .LBB868_258
; %bb.290:                              ;   in Loop: Header=BB868_259 Depth=1
	v_add_u32_e32 v0, s17, v9
	ds_write_b32 v0, v61
	s_branch .LBB868_258
.LBB868_291:
	s_add_u32 s0, s56, s10
	s_addc_u32 s1, s57, s11
	v_mov_b32_e32 v5, 0
	v_lshl_add_u64 v[0:1], s[0:1], 0, v[4:5]
	v_mov_b32_e32 v7, v5
	v_lshl_add_u64 v[44:45], v[0:1], 0, v[6:7]
	global_load_dword v0, v[44:45], off
	global_load_dword v1, v[44:45], off offset:256
	global_load_dword v3, v[44:45], off offset:512
	;; [unrolled: 1-line block ×14, first 2 shown]
	s_nop 0
	global_load_dword v44, v[44:45], off offset:3840
	s_mov_b32 s6, 0
	s_mov_b32 s7, 0
	s_movk_i32 s8, 0x1000
	s_movk_i32 s9, 0x400
	;; [unrolled: 1-line block ×4, first 2 shown]
	s_mov_b32 s12, 0
	s_branch .LBB868_293
.LBB868_292:                            ;   in Loop: Header=BB868_293 Depth=1
	s_or_b64 exec, exec, s[4:5]
	s_waitcnt lgkmcnt(0)
	s_barrier
	scratch_load_dwordx4 v[56:59], off, s6
	ds_read2st64_b32 v[60:61], v25 offset0:4 offset1:20
	ds_read2st64_b32 v[62:63], v25 offset0:36 offset1:52
	s_addk_i32 s12, 0xc000
	s_addk_i32 s7, 0xf000
	s_add_i32 s6, s6, 16
	s_cmp_eq_u32 s12, 0xffff0000
	s_waitcnt vmcnt(0)
	v_lshlrev_b32_e32 v4, 2, v56
	ds_read_b32 v4, v4
	v_lshlrev_b32_e32 v45, 2, v57
	v_lshlrev_b32_e32 v55, 2, v58
	;; [unrolled: 1-line block ×3, first 2 shown]
	ds_read_b32 v45, v45
	ds_read_b32 v55, v55
	;; [unrolled: 1-line block ×3, first 2 shown]
	s_waitcnt lgkmcnt(3)
	v_add_u32_e32 v4, v2, v4
	v_lshl_add_u64 v[56:57], v[4:5], 2, s[58:59]
	s_waitcnt lgkmcnt(2)
	v_add3_u32 v4, v2, v45, s9
	global_store_dword v[56:57], v60, off
	v_lshl_add_u64 v[56:57], v[4:5], 2, s[58:59]
	s_waitcnt lgkmcnt(1)
	v_add3_u32 v4, v2, v55, s10
	global_store_dword v[56:57], v61, off
	;; [unrolled: 4-line block ×3, first 2 shown]
	v_lshl_add_u64 v[56:57], v[4:5], 2, s[58:59]
	v_add_u32_e32 v2, 0x1000, v2
	global_store_dword v[56:57], v63, off
	s_barrier
	s_cbranch_scc1 .LBB868_325
.LBB868_293:                            ; =>This Inner Loop Header: Depth=1
	v_add_u32_e32 v4, s7, v8
	v_cmp_gt_u32_e64 s[0:1], s8, v4
	s_and_saveexec_b64 s[4:5], s[0:1]
	s_cbranch_execz .LBB868_295
; %bb.294:                              ;   in Loop: Header=BB868_293 Depth=1
	v_add_u32_e32 v4, s12, v16
	s_waitcnt vmcnt(15)
	ds_write_b32 v4, v0
.LBB868_295:                            ;   in Loop: Header=BB868_293 Depth=1
	s_or_b64 exec, exec, s[4:5]
	v_add_u32_e32 v4, s7, v13
	v_cmp_gt_u32_e64 s[0:1], s8, v4
	s_and_saveexec_b64 s[4:5], s[0:1]
	s_cbranch_execz .LBB868_297
; %bb.296:                              ;   in Loop: Header=BB868_293 Depth=1
	v_add_u32_e32 v4, s12, v20
	s_waitcnt vmcnt(14)
	ds_write_b32 v4, v1
.LBB868_297:                            ;   in Loop: Header=BB868_293 Depth=1
	s_or_b64 exec, exec, s[4:5]
	;; [unrolled: 10-line block ×15, first 2 shown]
	v_add_u32_e32 v4, s7, v10
	v_cmp_gt_u32_e64 s[0:1], s8, v4
	s_and_saveexec_b64 s[4:5], s[0:1]
	s_cbranch_execz .LBB868_292
; %bb.324:                              ;   in Loop: Header=BB868_293 Depth=1
	v_add_u32_e32 v4, s12, v9
	s_waitcnt vmcnt(0)
	ds_write_b32 v4, v44
	s_branch .LBB868_292
.LBB868_325:
	s_add_i32 s3, s3, -1
	s_cmp_eq_u32 s2, s3
	s_cselect_b64 s[0:1], -1, 0
	s_xor_b64 s[2:3], vcc, -1
	s_and_b64 s[0:1], s[2:3], s[0:1]
	s_and_saveexec_b64 s[2:3], s[0:1]
	s_cbranch_execz .LBB868_327
; %bb.326:
	ds_read_b32 v0, v25
	s_waitcnt lgkmcnt(0)
	v_add3_u32 v0, v18, v21, v0
	global_store_dword v25, v0, s[62:63]
.LBB868_327:
	s_endpgm
	.section	.rodata,"a",@progbits
	.p2align	6, 0x0
	.amdhsa_kernel _ZN7rocprim17ROCPRIM_400000_NS6detail17trampoline_kernelINS0_14default_configENS1_35radix_sort_onesweep_config_selectorIiiEEZZNS1_29radix_sort_onesweep_iterationIS3_Lb0EN6thrust23THRUST_200600_302600_NS6detail15normal_iteratorINS8_10device_ptrIiEEEESD_SD_SD_jNS0_19identity_decomposerENS1_16block_id_wrapperIjLb0EEEEE10hipError_tT1_PNSt15iterator_traitsISI_E10value_typeET2_T3_PNSJ_ISO_E10value_typeET4_T5_PST_SU_PNS1_23onesweep_lookback_stateEbbT6_jjT7_P12ihipStream_tbENKUlT_T0_SI_SN_E_clIPiSD_S15_SD_EEDaS11_S12_SI_SN_EUlS11_E_NS1_11comp_targetILNS1_3genE6ELNS1_11target_archE950ELNS1_3gpuE13ELNS1_3repE0EEENS1_47radix_sort_onesweep_sort_config_static_selectorELNS0_4arch9wavefront6targetE1EEEvSI_
		.amdhsa_group_segment_fixed_size 20552
		.amdhsa_private_segment_fixed_size 80
		.amdhsa_kernarg_size 344
		.amdhsa_user_sgpr_count 2
		.amdhsa_user_sgpr_dispatch_ptr 0
		.amdhsa_user_sgpr_queue_ptr 0
		.amdhsa_user_sgpr_kernarg_segment_ptr 1
		.amdhsa_user_sgpr_dispatch_id 0
		.amdhsa_user_sgpr_kernarg_preload_length 0
		.amdhsa_user_sgpr_kernarg_preload_offset 0
		.amdhsa_user_sgpr_private_segment_size 0
		.amdhsa_uses_dynamic_stack 0
		.amdhsa_enable_private_segment 1
		.amdhsa_system_sgpr_workgroup_id_x 1
		.amdhsa_system_sgpr_workgroup_id_y 0
		.amdhsa_system_sgpr_workgroup_id_z 0
		.amdhsa_system_sgpr_workgroup_info 0
		.amdhsa_system_vgpr_workitem_id 2
		.amdhsa_next_free_vgpr 88
		.amdhsa_next_free_sgpr 70
		.amdhsa_accum_offset 88
		.amdhsa_reserve_vcc 1
		.amdhsa_float_round_mode_32 0
		.amdhsa_float_round_mode_16_64 0
		.amdhsa_float_denorm_mode_32 3
		.amdhsa_float_denorm_mode_16_64 3
		.amdhsa_dx10_clamp 1
		.amdhsa_ieee_mode 1
		.amdhsa_fp16_overflow 0
		.amdhsa_tg_split 0
		.amdhsa_exception_fp_ieee_invalid_op 0
		.amdhsa_exception_fp_denorm_src 0
		.amdhsa_exception_fp_ieee_div_zero 0
		.amdhsa_exception_fp_ieee_overflow 0
		.amdhsa_exception_fp_ieee_underflow 0
		.amdhsa_exception_fp_ieee_inexact 0
		.amdhsa_exception_int_div_zero 0
	.end_amdhsa_kernel
	.section	.text._ZN7rocprim17ROCPRIM_400000_NS6detail17trampoline_kernelINS0_14default_configENS1_35radix_sort_onesweep_config_selectorIiiEEZZNS1_29radix_sort_onesweep_iterationIS3_Lb0EN6thrust23THRUST_200600_302600_NS6detail15normal_iteratorINS8_10device_ptrIiEEEESD_SD_SD_jNS0_19identity_decomposerENS1_16block_id_wrapperIjLb0EEEEE10hipError_tT1_PNSt15iterator_traitsISI_E10value_typeET2_T3_PNSJ_ISO_E10value_typeET4_T5_PST_SU_PNS1_23onesweep_lookback_stateEbbT6_jjT7_P12ihipStream_tbENKUlT_T0_SI_SN_E_clIPiSD_S15_SD_EEDaS11_S12_SI_SN_EUlS11_E_NS1_11comp_targetILNS1_3genE6ELNS1_11target_archE950ELNS1_3gpuE13ELNS1_3repE0EEENS1_47radix_sort_onesweep_sort_config_static_selectorELNS0_4arch9wavefront6targetE1EEEvSI_,"axG",@progbits,_ZN7rocprim17ROCPRIM_400000_NS6detail17trampoline_kernelINS0_14default_configENS1_35radix_sort_onesweep_config_selectorIiiEEZZNS1_29radix_sort_onesweep_iterationIS3_Lb0EN6thrust23THRUST_200600_302600_NS6detail15normal_iteratorINS8_10device_ptrIiEEEESD_SD_SD_jNS0_19identity_decomposerENS1_16block_id_wrapperIjLb0EEEEE10hipError_tT1_PNSt15iterator_traitsISI_E10value_typeET2_T3_PNSJ_ISO_E10value_typeET4_T5_PST_SU_PNS1_23onesweep_lookback_stateEbbT6_jjT7_P12ihipStream_tbENKUlT_T0_SI_SN_E_clIPiSD_S15_SD_EEDaS11_S12_SI_SN_EUlS11_E_NS1_11comp_targetILNS1_3genE6ELNS1_11target_archE950ELNS1_3gpuE13ELNS1_3repE0EEENS1_47radix_sort_onesweep_sort_config_static_selectorELNS0_4arch9wavefront6targetE1EEEvSI_,comdat
.Lfunc_end868:
	.size	_ZN7rocprim17ROCPRIM_400000_NS6detail17trampoline_kernelINS0_14default_configENS1_35radix_sort_onesweep_config_selectorIiiEEZZNS1_29radix_sort_onesweep_iterationIS3_Lb0EN6thrust23THRUST_200600_302600_NS6detail15normal_iteratorINS8_10device_ptrIiEEEESD_SD_SD_jNS0_19identity_decomposerENS1_16block_id_wrapperIjLb0EEEEE10hipError_tT1_PNSt15iterator_traitsISI_E10value_typeET2_T3_PNSJ_ISO_E10value_typeET4_T5_PST_SU_PNS1_23onesweep_lookback_stateEbbT6_jjT7_P12ihipStream_tbENKUlT_T0_SI_SN_E_clIPiSD_S15_SD_EEDaS11_S12_SI_SN_EUlS11_E_NS1_11comp_targetILNS1_3genE6ELNS1_11target_archE950ELNS1_3gpuE13ELNS1_3repE0EEENS1_47radix_sort_onesweep_sort_config_static_selectorELNS0_4arch9wavefront6targetE1EEEvSI_, .Lfunc_end868-_ZN7rocprim17ROCPRIM_400000_NS6detail17trampoline_kernelINS0_14default_configENS1_35radix_sort_onesweep_config_selectorIiiEEZZNS1_29radix_sort_onesweep_iterationIS3_Lb0EN6thrust23THRUST_200600_302600_NS6detail15normal_iteratorINS8_10device_ptrIiEEEESD_SD_SD_jNS0_19identity_decomposerENS1_16block_id_wrapperIjLb0EEEEE10hipError_tT1_PNSt15iterator_traitsISI_E10value_typeET2_T3_PNSJ_ISO_E10value_typeET4_T5_PST_SU_PNS1_23onesweep_lookback_stateEbbT6_jjT7_P12ihipStream_tbENKUlT_T0_SI_SN_E_clIPiSD_S15_SD_EEDaS11_S12_SI_SN_EUlS11_E_NS1_11comp_targetILNS1_3genE6ELNS1_11target_archE950ELNS1_3gpuE13ELNS1_3repE0EEENS1_47radix_sort_onesweep_sort_config_static_selectorELNS0_4arch9wavefront6targetE1EEEvSI_
                                        ; -- End function
	.set _ZN7rocprim17ROCPRIM_400000_NS6detail17trampoline_kernelINS0_14default_configENS1_35radix_sort_onesweep_config_selectorIiiEEZZNS1_29radix_sort_onesweep_iterationIS3_Lb0EN6thrust23THRUST_200600_302600_NS6detail15normal_iteratorINS8_10device_ptrIiEEEESD_SD_SD_jNS0_19identity_decomposerENS1_16block_id_wrapperIjLb0EEEEE10hipError_tT1_PNSt15iterator_traitsISI_E10value_typeET2_T3_PNSJ_ISO_E10value_typeET4_T5_PST_SU_PNS1_23onesweep_lookback_stateEbbT6_jjT7_P12ihipStream_tbENKUlT_T0_SI_SN_E_clIPiSD_S15_SD_EEDaS11_S12_SI_SN_EUlS11_E_NS1_11comp_targetILNS1_3genE6ELNS1_11target_archE950ELNS1_3gpuE13ELNS1_3repE0EEENS1_47radix_sort_onesweep_sort_config_static_selectorELNS0_4arch9wavefront6targetE1EEEvSI_.num_vgpr, 88
	.set _ZN7rocprim17ROCPRIM_400000_NS6detail17trampoline_kernelINS0_14default_configENS1_35radix_sort_onesweep_config_selectorIiiEEZZNS1_29radix_sort_onesweep_iterationIS3_Lb0EN6thrust23THRUST_200600_302600_NS6detail15normal_iteratorINS8_10device_ptrIiEEEESD_SD_SD_jNS0_19identity_decomposerENS1_16block_id_wrapperIjLb0EEEEE10hipError_tT1_PNSt15iterator_traitsISI_E10value_typeET2_T3_PNSJ_ISO_E10value_typeET4_T5_PST_SU_PNS1_23onesweep_lookback_stateEbbT6_jjT7_P12ihipStream_tbENKUlT_T0_SI_SN_E_clIPiSD_S15_SD_EEDaS11_S12_SI_SN_EUlS11_E_NS1_11comp_targetILNS1_3genE6ELNS1_11target_archE950ELNS1_3gpuE13ELNS1_3repE0EEENS1_47radix_sort_onesweep_sort_config_static_selectorELNS0_4arch9wavefront6targetE1EEEvSI_.num_agpr, 0
	.set _ZN7rocprim17ROCPRIM_400000_NS6detail17trampoline_kernelINS0_14default_configENS1_35radix_sort_onesweep_config_selectorIiiEEZZNS1_29radix_sort_onesweep_iterationIS3_Lb0EN6thrust23THRUST_200600_302600_NS6detail15normal_iteratorINS8_10device_ptrIiEEEESD_SD_SD_jNS0_19identity_decomposerENS1_16block_id_wrapperIjLb0EEEEE10hipError_tT1_PNSt15iterator_traitsISI_E10value_typeET2_T3_PNSJ_ISO_E10value_typeET4_T5_PST_SU_PNS1_23onesweep_lookback_stateEbbT6_jjT7_P12ihipStream_tbENKUlT_T0_SI_SN_E_clIPiSD_S15_SD_EEDaS11_S12_SI_SN_EUlS11_E_NS1_11comp_targetILNS1_3genE6ELNS1_11target_archE950ELNS1_3gpuE13ELNS1_3repE0EEENS1_47radix_sort_onesweep_sort_config_static_selectorELNS0_4arch9wavefront6targetE1EEEvSI_.numbered_sgpr, 70
	.set _ZN7rocprim17ROCPRIM_400000_NS6detail17trampoline_kernelINS0_14default_configENS1_35radix_sort_onesweep_config_selectorIiiEEZZNS1_29radix_sort_onesweep_iterationIS3_Lb0EN6thrust23THRUST_200600_302600_NS6detail15normal_iteratorINS8_10device_ptrIiEEEESD_SD_SD_jNS0_19identity_decomposerENS1_16block_id_wrapperIjLb0EEEEE10hipError_tT1_PNSt15iterator_traitsISI_E10value_typeET2_T3_PNSJ_ISO_E10value_typeET4_T5_PST_SU_PNS1_23onesweep_lookback_stateEbbT6_jjT7_P12ihipStream_tbENKUlT_T0_SI_SN_E_clIPiSD_S15_SD_EEDaS11_S12_SI_SN_EUlS11_E_NS1_11comp_targetILNS1_3genE6ELNS1_11target_archE950ELNS1_3gpuE13ELNS1_3repE0EEENS1_47radix_sort_onesweep_sort_config_static_selectorELNS0_4arch9wavefront6targetE1EEEvSI_.num_named_barrier, 0
	.set _ZN7rocprim17ROCPRIM_400000_NS6detail17trampoline_kernelINS0_14default_configENS1_35radix_sort_onesweep_config_selectorIiiEEZZNS1_29radix_sort_onesweep_iterationIS3_Lb0EN6thrust23THRUST_200600_302600_NS6detail15normal_iteratorINS8_10device_ptrIiEEEESD_SD_SD_jNS0_19identity_decomposerENS1_16block_id_wrapperIjLb0EEEEE10hipError_tT1_PNSt15iterator_traitsISI_E10value_typeET2_T3_PNSJ_ISO_E10value_typeET4_T5_PST_SU_PNS1_23onesweep_lookback_stateEbbT6_jjT7_P12ihipStream_tbENKUlT_T0_SI_SN_E_clIPiSD_S15_SD_EEDaS11_S12_SI_SN_EUlS11_E_NS1_11comp_targetILNS1_3genE6ELNS1_11target_archE950ELNS1_3gpuE13ELNS1_3repE0EEENS1_47radix_sort_onesweep_sort_config_static_selectorELNS0_4arch9wavefront6targetE1EEEvSI_.private_seg_size, 80
	.set _ZN7rocprim17ROCPRIM_400000_NS6detail17trampoline_kernelINS0_14default_configENS1_35radix_sort_onesweep_config_selectorIiiEEZZNS1_29radix_sort_onesweep_iterationIS3_Lb0EN6thrust23THRUST_200600_302600_NS6detail15normal_iteratorINS8_10device_ptrIiEEEESD_SD_SD_jNS0_19identity_decomposerENS1_16block_id_wrapperIjLb0EEEEE10hipError_tT1_PNSt15iterator_traitsISI_E10value_typeET2_T3_PNSJ_ISO_E10value_typeET4_T5_PST_SU_PNS1_23onesweep_lookback_stateEbbT6_jjT7_P12ihipStream_tbENKUlT_T0_SI_SN_E_clIPiSD_S15_SD_EEDaS11_S12_SI_SN_EUlS11_E_NS1_11comp_targetILNS1_3genE6ELNS1_11target_archE950ELNS1_3gpuE13ELNS1_3repE0EEENS1_47radix_sort_onesweep_sort_config_static_selectorELNS0_4arch9wavefront6targetE1EEEvSI_.uses_vcc, 1
	.set _ZN7rocprim17ROCPRIM_400000_NS6detail17trampoline_kernelINS0_14default_configENS1_35radix_sort_onesweep_config_selectorIiiEEZZNS1_29radix_sort_onesweep_iterationIS3_Lb0EN6thrust23THRUST_200600_302600_NS6detail15normal_iteratorINS8_10device_ptrIiEEEESD_SD_SD_jNS0_19identity_decomposerENS1_16block_id_wrapperIjLb0EEEEE10hipError_tT1_PNSt15iterator_traitsISI_E10value_typeET2_T3_PNSJ_ISO_E10value_typeET4_T5_PST_SU_PNS1_23onesweep_lookback_stateEbbT6_jjT7_P12ihipStream_tbENKUlT_T0_SI_SN_E_clIPiSD_S15_SD_EEDaS11_S12_SI_SN_EUlS11_E_NS1_11comp_targetILNS1_3genE6ELNS1_11target_archE950ELNS1_3gpuE13ELNS1_3repE0EEENS1_47radix_sort_onesweep_sort_config_static_selectorELNS0_4arch9wavefront6targetE1EEEvSI_.uses_flat_scratch, 0
	.set _ZN7rocprim17ROCPRIM_400000_NS6detail17trampoline_kernelINS0_14default_configENS1_35radix_sort_onesweep_config_selectorIiiEEZZNS1_29radix_sort_onesweep_iterationIS3_Lb0EN6thrust23THRUST_200600_302600_NS6detail15normal_iteratorINS8_10device_ptrIiEEEESD_SD_SD_jNS0_19identity_decomposerENS1_16block_id_wrapperIjLb0EEEEE10hipError_tT1_PNSt15iterator_traitsISI_E10value_typeET2_T3_PNSJ_ISO_E10value_typeET4_T5_PST_SU_PNS1_23onesweep_lookback_stateEbbT6_jjT7_P12ihipStream_tbENKUlT_T0_SI_SN_E_clIPiSD_S15_SD_EEDaS11_S12_SI_SN_EUlS11_E_NS1_11comp_targetILNS1_3genE6ELNS1_11target_archE950ELNS1_3gpuE13ELNS1_3repE0EEENS1_47radix_sort_onesweep_sort_config_static_selectorELNS0_4arch9wavefront6targetE1EEEvSI_.has_dyn_sized_stack, 0
	.set _ZN7rocprim17ROCPRIM_400000_NS6detail17trampoline_kernelINS0_14default_configENS1_35radix_sort_onesweep_config_selectorIiiEEZZNS1_29radix_sort_onesweep_iterationIS3_Lb0EN6thrust23THRUST_200600_302600_NS6detail15normal_iteratorINS8_10device_ptrIiEEEESD_SD_SD_jNS0_19identity_decomposerENS1_16block_id_wrapperIjLb0EEEEE10hipError_tT1_PNSt15iterator_traitsISI_E10value_typeET2_T3_PNSJ_ISO_E10value_typeET4_T5_PST_SU_PNS1_23onesweep_lookback_stateEbbT6_jjT7_P12ihipStream_tbENKUlT_T0_SI_SN_E_clIPiSD_S15_SD_EEDaS11_S12_SI_SN_EUlS11_E_NS1_11comp_targetILNS1_3genE6ELNS1_11target_archE950ELNS1_3gpuE13ELNS1_3repE0EEENS1_47radix_sort_onesweep_sort_config_static_selectorELNS0_4arch9wavefront6targetE1EEEvSI_.has_recursion, 0
	.set _ZN7rocprim17ROCPRIM_400000_NS6detail17trampoline_kernelINS0_14default_configENS1_35radix_sort_onesweep_config_selectorIiiEEZZNS1_29radix_sort_onesweep_iterationIS3_Lb0EN6thrust23THRUST_200600_302600_NS6detail15normal_iteratorINS8_10device_ptrIiEEEESD_SD_SD_jNS0_19identity_decomposerENS1_16block_id_wrapperIjLb0EEEEE10hipError_tT1_PNSt15iterator_traitsISI_E10value_typeET2_T3_PNSJ_ISO_E10value_typeET4_T5_PST_SU_PNS1_23onesweep_lookback_stateEbbT6_jjT7_P12ihipStream_tbENKUlT_T0_SI_SN_E_clIPiSD_S15_SD_EEDaS11_S12_SI_SN_EUlS11_E_NS1_11comp_targetILNS1_3genE6ELNS1_11target_archE950ELNS1_3gpuE13ELNS1_3repE0EEENS1_47radix_sort_onesweep_sort_config_static_selectorELNS0_4arch9wavefront6targetE1EEEvSI_.has_indirect_call, 0
	.section	.AMDGPU.csdata,"",@progbits
; Kernel info:
; codeLenInByte = 22584
; TotalNumSgprs: 76
; NumVgprs: 88
; NumAgprs: 0
; TotalNumVgprs: 88
; ScratchSize: 80
; MemoryBound: 0
; FloatMode: 240
; IeeeMode: 1
; LDSByteSize: 20552 bytes/workgroup (compile time only)
; SGPRBlocks: 9
; VGPRBlocks: 10
; NumSGPRsForWavesPerEU: 76
; NumVGPRsForWavesPerEU: 88
; AccumOffset: 88
; Occupancy: 5
; WaveLimiterHint : 1
; COMPUTE_PGM_RSRC2:SCRATCH_EN: 1
; COMPUTE_PGM_RSRC2:USER_SGPR: 2
; COMPUTE_PGM_RSRC2:TRAP_HANDLER: 0
; COMPUTE_PGM_RSRC2:TGID_X_EN: 1
; COMPUTE_PGM_RSRC2:TGID_Y_EN: 0
; COMPUTE_PGM_RSRC2:TGID_Z_EN: 0
; COMPUTE_PGM_RSRC2:TIDIG_COMP_CNT: 2
; COMPUTE_PGM_RSRC3_GFX90A:ACCUM_OFFSET: 21
; COMPUTE_PGM_RSRC3_GFX90A:TG_SPLIT: 0
	.section	.text._ZN7rocprim17ROCPRIM_400000_NS6detail17trampoline_kernelINS0_14default_configENS1_35radix_sort_onesweep_config_selectorIiiEEZZNS1_29radix_sort_onesweep_iterationIS3_Lb0EN6thrust23THRUST_200600_302600_NS6detail15normal_iteratorINS8_10device_ptrIiEEEESD_SD_SD_jNS0_19identity_decomposerENS1_16block_id_wrapperIjLb0EEEEE10hipError_tT1_PNSt15iterator_traitsISI_E10value_typeET2_T3_PNSJ_ISO_E10value_typeET4_T5_PST_SU_PNS1_23onesweep_lookback_stateEbbT6_jjT7_P12ihipStream_tbENKUlT_T0_SI_SN_E_clIPiSD_S15_SD_EEDaS11_S12_SI_SN_EUlS11_E_NS1_11comp_targetILNS1_3genE5ELNS1_11target_archE942ELNS1_3gpuE9ELNS1_3repE0EEENS1_47radix_sort_onesweep_sort_config_static_selectorELNS0_4arch9wavefront6targetE1EEEvSI_,"axG",@progbits,_ZN7rocprim17ROCPRIM_400000_NS6detail17trampoline_kernelINS0_14default_configENS1_35radix_sort_onesweep_config_selectorIiiEEZZNS1_29radix_sort_onesweep_iterationIS3_Lb0EN6thrust23THRUST_200600_302600_NS6detail15normal_iteratorINS8_10device_ptrIiEEEESD_SD_SD_jNS0_19identity_decomposerENS1_16block_id_wrapperIjLb0EEEEE10hipError_tT1_PNSt15iterator_traitsISI_E10value_typeET2_T3_PNSJ_ISO_E10value_typeET4_T5_PST_SU_PNS1_23onesweep_lookback_stateEbbT6_jjT7_P12ihipStream_tbENKUlT_T0_SI_SN_E_clIPiSD_S15_SD_EEDaS11_S12_SI_SN_EUlS11_E_NS1_11comp_targetILNS1_3genE5ELNS1_11target_archE942ELNS1_3gpuE9ELNS1_3repE0EEENS1_47radix_sort_onesweep_sort_config_static_selectorELNS0_4arch9wavefront6targetE1EEEvSI_,comdat
	.protected	_ZN7rocprim17ROCPRIM_400000_NS6detail17trampoline_kernelINS0_14default_configENS1_35radix_sort_onesweep_config_selectorIiiEEZZNS1_29radix_sort_onesweep_iterationIS3_Lb0EN6thrust23THRUST_200600_302600_NS6detail15normal_iteratorINS8_10device_ptrIiEEEESD_SD_SD_jNS0_19identity_decomposerENS1_16block_id_wrapperIjLb0EEEEE10hipError_tT1_PNSt15iterator_traitsISI_E10value_typeET2_T3_PNSJ_ISO_E10value_typeET4_T5_PST_SU_PNS1_23onesweep_lookback_stateEbbT6_jjT7_P12ihipStream_tbENKUlT_T0_SI_SN_E_clIPiSD_S15_SD_EEDaS11_S12_SI_SN_EUlS11_E_NS1_11comp_targetILNS1_3genE5ELNS1_11target_archE942ELNS1_3gpuE9ELNS1_3repE0EEENS1_47radix_sort_onesweep_sort_config_static_selectorELNS0_4arch9wavefront6targetE1EEEvSI_ ; -- Begin function _ZN7rocprim17ROCPRIM_400000_NS6detail17trampoline_kernelINS0_14default_configENS1_35radix_sort_onesweep_config_selectorIiiEEZZNS1_29radix_sort_onesweep_iterationIS3_Lb0EN6thrust23THRUST_200600_302600_NS6detail15normal_iteratorINS8_10device_ptrIiEEEESD_SD_SD_jNS0_19identity_decomposerENS1_16block_id_wrapperIjLb0EEEEE10hipError_tT1_PNSt15iterator_traitsISI_E10value_typeET2_T3_PNSJ_ISO_E10value_typeET4_T5_PST_SU_PNS1_23onesweep_lookback_stateEbbT6_jjT7_P12ihipStream_tbENKUlT_T0_SI_SN_E_clIPiSD_S15_SD_EEDaS11_S12_SI_SN_EUlS11_E_NS1_11comp_targetILNS1_3genE5ELNS1_11target_archE942ELNS1_3gpuE9ELNS1_3repE0EEENS1_47radix_sort_onesweep_sort_config_static_selectorELNS0_4arch9wavefront6targetE1EEEvSI_
	.globl	_ZN7rocprim17ROCPRIM_400000_NS6detail17trampoline_kernelINS0_14default_configENS1_35radix_sort_onesweep_config_selectorIiiEEZZNS1_29radix_sort_onesweep_iterationIS3_Lb0EN6thrust23THRUST_200600_302600_NS6detail15normal_iteratorINS8_10device_ptrIiEEEESD_SD_SD_jNS0_19identity_decomposerENS1_16block_id_wrapperIjLb0EEEEE10hipError_tT1_PNSt15iterator_traitsISI_E10value_typeET2_T3_PNSJ_ISO_E10value_typeET4_T5_PST_SU_PNS1_23onesweep_lookback_stateEbbT6_jjT7_P12ihipStream_tbENKUlT_T0_SI_SN_E_clIPiSD_S15_SD_EEDaS11_S12_SI_SN_EUlS11_E_NS1_11comp_targetILNS1_3genE5ELNS1_11target_archE942ELNS1_3gpuE9ELNS1_3repE0EEENS1_47radix_sort_onesweep_sort_config_static_selectorELNS0_4arch9wavefront6targetE1EEEvSI_
	.p2align	8
	.type	_ZN7rocprim17ROCPRIM_400000_NS6detail17trampoline_kernelINS0_14default_configENS1_35radix_sort_onesweep_config_selectorIiiEEZZNS1_29radix_sort_onesweep_iterationIS3_Lb0EN6thrust23THRUST_200600_302600_NS6detail15normal_iteratorINS8_10device_ptrIiEEEESD_SD_SD_jNS0_19identity_decomposerENS1_16block_id_wrapperIjLb0EEEEE10hipError_tT1_PNSt15iterator_traitsISI_E10value_typeET2_T3_PNSJ_ISO_E10value_typeET4_T5_PST_SU_PNS1_23onesweep_lookback_stateEbbT6_jjT7_P12ihipStream_tbENKUlT_T0_SI_SN_E_clIPiSD_S15_SD_EEDaS11_S12_SI_SN_EUlS11_E_NS1_11comp_targetILNS1_3genE5ELNS1_11target_archE942ELNS1_3gpuE9ELNS1_3repE0EEENS1_47radix_sort_onesweep_sort_config_static_selectorELNS0_4arch9wavefront6targetE1EEEvSI_,@function
_ZN7rocprim17ROCPRIM_400000_NS6detail17trampoline_kernelINS0_14default_configENS1_35radix_sort_onesweep_config_selectorIiiEEZZNS1_29radix_sort_onesweep_iterationIS3_Lb0EN6thrust23THRUST_200600_302600_NS6detail15normal_iteratorINS8_10device_ptrIiEEEESD_SD_SD_jNS0_19identity_decomposerENS1_16block_id_wrapperIjLb0EEEEE10hipError_tT1_PNSt15iterator_traitsISI_E10value_typeET2_T3_PNSJ_ISO_E10value_typeET4_T5_PST_SU_PNS1_23onesweep_lookback_stateEbbT6_jjT7_P12ihipStream_tbENKUlT_T0_SI_SN_E_clIPiSD_S15_SD_EEDaS11_S12_SI_SN_EUlS11_E_NS1_11comp_targetILNS1_3genE5ELNS1_11target_archE942ELNS1_3gpuE9ELNS1_3repE0EEENS1_47radix_sort_onesweep_sort_config_static_selectorELNS0_4arch9wavefront6targetE1EEEvSI_: ; @_ZN7rocprim17ROCPRIM_400000_NS6detail17trampoline_kernelINS0_14default_configENS1_35radix_sort_onesweep_config_selectorIiiEEZZNS1_29radix_sort_onesweep_iterationIS3_Lb0EN6thrust23THRUST_200600_302600_NS6detail15normal_iteratorINS8_10device_ptrIiEEEESD_SD_SD_jNS0_19identity_decomposerENS1_16block_id_wrapperIjLb0EEEEE10hipError_tT1_PNSt15iterator_traitsISI_E10value_typeET2_T3_PNSJ_ISO_E10value_typeET4_T5_PST_SU_PNS1_23onesweep_lookback_stateEbbT6_jjT7_P12ihipStream_tbENKUlT_T0_SI_SN_E_clIPiSD_S15_SD_EEDaS11_S12_SI_SN_EUlS11_E_NS1_11comp_targetILNS1_3genE5ELNS1_11target_archE942ELNS1_3gpuE9ELNS1_3repE0EEENS1_47radix_sort_onesweep_sort_config_static_selectorELNS0_4arch9wavefront6targetE1EEEvSI_
; %bb.0:
	.section	.rodata,"a",@progbits
	.p2align	6, 0x0
	.amdhsa_kernel _ZN7rocprim17ROCPRIM_400000_NS6detail17trampoline_kernelINS0_14default_configENS1_35radix_sort_onesweep_config_selectorIiiEEZZNS1_29radix_sort_onesweep_iterationIS3_Lb0EN6thrust23THRUST_200600_302600_NS6detail15normal_iteratorINS8_10device_ptrIiEEEESD_SD_SD_jNS0_19identity_decomposerENS1_16block_id_wrapperIjLb0EEEEE10hipError_tT1_PNSt15iterator_traitsISI_E10value_typeET2_T3_PNSJ_ISO_E10value_typeET4_T5_PST_SU_PNS1_23onesweep_lookback_stateEbbT6_jjT7_P12ihipStream_tbENKUlT_T0_SI_SN_E_clIPiSD_S15_SD_EEDaS11_S12_SI_SN_EUlS11_E_NS1_11comp_targetILNS1_3genE5ELNS1_11target_archE942ELNS1_3gpuE9ELNS1_3repE0EEENS1_47radix_sort_onesweep_sort_config_static_selectorELNS0_4arch9wavefront6targetE1EEEvSI_
		.amdhsa_group_segment_fixed_size 0
		.amdhsa_private_segment_fixed_size 0
		.amdhsa_kernarg_size 88
		.amdhsa_user_sgpr_count 2
		.amdhsa_user_sgpr_dispatch_ptr 0
		.amdhsa_user_sgpr_queue_ptr 0
		.amdhsa_user_sgpr_kernarg_segment_ptr 1
		.amdhsa_user_sgpr_dispatch_id 0
		.amdhsa_user_sgpr_kernarg_preload_length 0
		.amdhsa_user_sgpr_kernarg_preload_offset 0
		.amdhsa_user_sgpr_private_segment_size 0
		.amdhsa_uses_dynamic_stack 0
		.amdhsa_enable_private_segment 0
		.amdhsa_system_sgpr_workgroup_id_x 1
		.amdhsa_system_sgpr_workgroup_id_y 0
		.amdhsa_system_sgpr_workgroup_id_z 0
		.amdhsa_system_sgpr_workgroup_info 0
		.amdhsa_system_vgpr_workitem_id 0
		.amdhsa_next_free_vgpr 1
		.amdhsa_next_free_sgpr 0
		.amdhsa_accum_offset 4
		.amdhsa_reserve_vcc 0
		.amdhsa_float_round_mode_32 0
		.amdhsa_float_round_mode_16_64 0
		.amdhsa_float_denorm_mode_32 3
		.amdhsa_float_denorm_mode_16_64 3
		.amdhsa_dx10_clamp 1
		.amdhsa_ieee_mode 1
		.amdhsa_fp16_overflow 0
		.amdhsa_tg_split 0
		.amdhsa_exception_fp_ieee_invalid_op 0
		.amdhsa_exception_fp_denorm_src 0
		.amdhsa_exception_fp_ieee_div_zero 0
		.amdhsa_exception_fp_ieee_overflow 0
		.amdhsa_exception_fp_ieee_underflow 0
		.amdhsa_exception_fp_ieee_inexact 0
		.amdhsa_exception_int_div_zero 0
	.end_amdhsa_kernel
	.section	.text._ZN7rocprim17ROCPRIM_400000_NS6detail17trampoline_kernelINS0_14default_configENS1_35radix_sort_onesweep_config_selectorIiiEEZZNS1_29radix_sort_onesweep_iterationIS3_Lb0EN6thrust23THRUST_200600_302600_NS6detail15normal_iteratorINS8_10device_ptrIiEEEESD_SD_SD_jNS0_19identity_decomposerENS1_16block_id_wrapperIjLb0EEEEE10hipError_tT1_PNSt15iterator_traitsISI_E10value_typeET2_T3_PNSJ_ISO_E10value_typeET4_T5_PST_SU_PNS1_23onesweep_lookback_stateEbbT6_jjT7_P12ihipStream_tbENKUlT_T0_SI_SN_E_clIPiSD_S15_SD_EEDaS11_S12_SI_SN_EUlS11_E_NS1_11comp_targetILNS1_3genE5ELNS1_11target_archE942ELNS1_3gpuE9ELNS1_3repE0EEENS1_47radix_sort_onesweep_sort_config_static_selectorELNS0_4arch9wavefront6targetE1EEEvSI_,"axG",@progbits,_ZN7rocprim17ROCPRIM_400000_NS6detail17trampoline_kernelINS0_14default_configENS1_35radix_sort_onesweep_config_selectorIiiEEZZNS1_29radix_sort_onesweep_iterationIS3_Lb0EN6thrust23THRUST_200600_302600_NS6detail15normal_iteratorINS8_10device_ptrIiEEEESD_SD_SD_jNS0_19identity_decomposerENS1_16block_id_wrapperIjLb0EEEEE10hipError_tT1_PNSt15iterator_traitsISI_E10value_typeET2_T3_PNSJ_ISO_E10value_typeET4_T5_PST_SU_PNS1_23onesweep_lookback_stateEbbT6_jjT7_P12ihipStream_tbENKUlT_T0_SI_SN_E_clIPiSD_S15_SD_EEDaS11_S12_SI_SN_EUlS11_E_NS1_11comp_targetILNS1_3genE5ELNS1_11target_archE942ELNS1_3gpuE9ELNS1_3repE0EEENS1_47radix_sort_onesweep_sort_config_static_selectorELNS0_4arch9wavefront6targetE1EEEvSI_,comdat
.Lfunc_end869:
	.size	_ZN7rocprim17ROCPRIM_400000_NS6detail17trampoline_kernelINS0_14default_configENS1_35radix_sort_onesweep_config_selectorIiiEEZZNS1_29radix_sort_onesweep_iterationIS3_Lb0EN6thrust23THRUST_200600_302600_NS6detail15normal_iteratorINS8_10device_ptrIiEEEESD_SD_SD_jNS0_19identity_decomposerENS1_16block_id_wrapperIjLb0EEEEE10hipError_tT1_PNSt15iterator_traitsISI_E10value_typeET2_T3_PNSJ_ISO_E10value_typeET4_T5_PST_SU_PNS1_23onesweep_lookback_stateEbbT6_jjT7_P12ihipStream_tbENKUlT_T0_SI_SN_E_clIPiSD_S15_SD_EEDaS11_S12_SI_SN_EUlS11_E_NS1_11comp_targetILNS1_3genE5ELNS1_11target_archE942ELNS1_3gpuE9ELNS1_3repE0EEENS1_47radix_sort_onesweep_sort_config_static_selectorELNS0_4arch9wavefront6targetE1EEEvSI_, .Lfunc_end869-_ZN7rocprim17ROCPRIM_400000_NS6detail17trampoline_kernelINS0_14default_configENS1_35radix_sort_onesweep_config_selectorIiiEEZZNS1_29radix_sort_onesweep_iterationIS3_Lb0EN6thrust23THRUST_200600_302600_NS6detail15normal_iteratorINS8_10device_ptrIiEEEESD_SD_SD_jNS0_19identity_decomposerENS1_16block_id_wrapperIjLb0EEEEE10hipError_tT1_PNSt15iterator_traitsISI_E10value_typeET2_T3_PNSJ_ISO_E10value_typeET4_T5_PST_SU_PNS1_23onesweep_lookback_stateEbbT6_jjT7_P12ihipStream_tbENKUlT_T0_SI_SN_E_clIPiSD_S15_SD_EEDaS11_S12_SI_SN_EUlS11_E_NS1_11comp_targetILNS1_3genE5ELNS1_11target_archE942ELNS1_3gpuE9ELNS1_3repE0EEENS1_47radix_sort_onesweep_sort_config_static_selectorELNS0_4arch9wavefront6targetE1EEEvSI_
                                        ; -- End function
	.set _ZN7rocprim17ROCPRIM_400000_NS6detail17trampoline_kernelINS0_14default_configENS1_35radix_sort_onesweep_config_selectorIiiEEZZNS1_29radix_sort_onesweep_iterationIS3_Lb0EN6thrust23THRUST_200600_302600_NS6detail15normal_iteratorINS8_10device_ptrIiEEEESD_SD_SD_jNS0_19identity_decomposerENS1_16block_id_wrapperIjLb0EEEEE10hipError_tT1_PNSt15iterator_traitsISI_E10value_typeET2_T3_PNSJ_ISO_E10value_typeET4_T5_PST_SU_PNS1_23onesweep_lookback_stateEbbT6_jjT7_P12ihipStream_tbENKUlT_T0_SI_SN_E_clIPiSD_S15_SD_EEDaS11_S12_SI_SN_EUlS11_E_NS1_11comp_targetILNS1_3genE5ELNS1_11target_archE942ELNS1_3gpuE9ELNS1_3repE0EEENS1_47radix_sort_onesweep_sort_config_static_selectorELNS0_4arch9wavefront6targetE1EEEvSI_.num_vgpr, 0
	.set _ZN7rocprim17ROCPRIM_400000_NS6detail17trampoline_kernelINS0_14default_configENS1_35radix_sort_onesweep_config_selectorIiiEEZZNS1_29radix_sort_onesweep_iterationIS3_Lb0EN6thrust23THRUST_200600_302600_NS6detail15normal_iteratorINS8_10device_ptrIiEEEESD_SD_SD_jNS0_19identity_decomposerENS1_16block_id_wrapperIjLb0EEEEE10hipError_tT1_PNSt15iterator_traitsISI_E10value_typeET2_T3_PNSJ_ISO_E10value_typeET4_T5_PST_SU_PNS1_23onesweep_lookback_stateEbbT6_jjT7_P12ihipStream_tbENKUlT_T0_SI_SN_E_clIPiSD_S15_SD_EEDaS11_S12_SI_SN_EUlS11_E_NS1_11comp_targetILNS1_3genE5ELNS1_11target_archE942ELNS1_3gpuE9ELNS1_3repE0EEENS1_47radix_sort_onesweep_sort_config_static_selectorELNS0_4arch9wavefront6targetE1EEEvSI_.num_agpr, 0
	.set _ZN7rocprim17ROCPRIM_400000_NS6detail17trampoline_kernelINS0_14default_configENS1_35radix_sort_onesweep_config_selectorIiiEEZZNS1_29radix_sort_onesweep_iterationIS3_Lb0EN6thrust23THRUST_200600_302600_NS6detail15normal_iteratorINS8_10device_ptrIiEEEESD_SD_SD_jNS0_19identity_decomposerENS1_16block_id_wrapperIjLb0EEEEE10hipError_tT1_PNSt15iterator_traitsISI_E10value_typeET2_T3_PNSJ_ISO_E10value_typeET4_T5_PST_SU_PNS1_23onesweep_lookback_stateEbbT6_jjT7_P12ihipStream_tbENKUlT_T0_SI_SN_E_clIPiSD_S15_SD_EEDaS11_S12_SI_SN_EUlS11_E_NS1_11comp_targetILNS1_3genE5ELNS1_11target_archE942ELNS1_3gpuE9ELNS1_3repE0EEENS1_47radix_sort_onesweep_sort_config_static_selectorELNS0_4arch9wavefront6targetE1EEEvSI_.numbered_sgpr, 0
	.set _ZN7rocprim17ROCPRIM_400000_NS6detail17trampoline_kernelINS0_14default_configENS1_35radix_sort_onesweep_config_selectorIiiEEZZNS1_29radix_sort_onesweep_iterationIS3_Lb0EN6thrust23THRUST_200600_302600_NS6detail15normal_iteratorINS8_10device_ptrIiEEEESD_SD_SD_jNS0_19identity_decomposerENS1_16block_id_wrapperIjLb0EEEEE10hipError_tT1_PNSt15iterator_traitsISI_E10value_typeET2_T3_PNSJ_ISO_E10value_typeET4_T5_PST_SU_PNS1_23onesweep_lookback_stateEbbT6_jjT7_P12ihipStream_tbENKUlT_T0_SI_SN_E_clIPiSD_S15_SD_EEDaS11_S12_SI_SN_EUlS11_E_NS1_11comp_targetILNS1_3genE5ELNS1_11target_archE942ELNS1_3gpuE9ELNS1_3repE0EEENS1_47radix_sort_onesweep_sort_config_static_selectorELNS0_4arch9wavefront6targetE1EEEvSI_.num_named_barrier, 0
	.set _ZN7rocprim17ROCPRIM_400000_NS6detail17trampoline_kernelINS0_14default_configENS1_35radix_sort_onesweep_config_selectorIiiEEZZNS1_29radix_sort_onesweep_iterationIS3_Lb0EN6thrust23THRUST_200600_302600_NS6detail15normal_iteratorINS8_10device_ptrIiEEEESD_SD_SD_jNS0_19identity_decomposerENS1_16block_id_wrapperIjLb0EEEEE10hipError_tT1_PNSt15iterator_traitsISI_E10value_typeET2_T3_PNSJ_ISO_E10value_typeET4_T5_PST_SU_PNS1_23onesweep_lookback_stateEbbT6_jjT7_P12ihipStream_tbENKUlT_T0_SI_SN_E_clIPiSD_S15_SD_EEDaS11_S12_SI_SN_EUlS11_E_NS1_11comp_targetILNS1_3genE5ELNS1_11target_archE942ELNS1_3gpuE9ELNS1_3repE0EEENS1_47radix_sort_onesweep_sort_config_static_selectorELNS0_4arch9wavefront6targetE1EEEvSI_.private_seg_size, 0
	.set _ZN7rocprim17ROCPRIM_400000_NS6detail17trampoline_kernelINS0_14default_configENS1_35radix_sort_onesweep_config_selectorIiiEEZZNS1_29radix_sort_onesweep_iterationIS3_Lb0EN6thrust23THRUST_200600_302600_NS6detail15normal_iteratorINS8_10device_ptrIiEEEESD_SD_SD_jNS0_19identity_decomposerENS1_16block_id_wrapperIjLb0EEEEE10hipError_tT1_PNSt15iterator_traitsISI_E10value_typeET2_T3_PNSJ_ISO_E10value_typeET4_T5_PST_SU_PNS1_23onesweep_lookback_stateEbbT6_jjT7_P12ihipStream_tbENKUlT_T0_SI_SN_E_clIPiSD_S15_SD_EEDaS11_S12_SI_SN_EUlS11_E_NS1_11comp_targetILNS1_3genE5ELNS1_11target_archE942ELNS1_3gpuE9ELNS1_3repE0EEENS1_47radix_sort_onesweep_sort_config_static_selectorELNS0_4arch9wavefront6targetE1EEEvSI_.uses_vcc, 0
	.set _ZN7rocprim17ROCPRIM_400000_NS6detail17trampoline_kernelINS0_14default_configENS1_35radix_sort_onesweep_config_selectorIiiEEZZNS1_29radix_sort_onesweep_iterationIS3_Lb0EN6thrust23THRUST_200600_302600_NS6detail15normal_iteratorINS8_10device_ptrIiEEEESD_SD_SD_jNS0_19identity_decomposerENS1_16block_id_wrapperIjLb0EEEEE10hipError_tT1_PNSt15iterator_traitsISI_E10value_typeET2_T3_PNSJ_ISO_E10value_typeET4_T5_PST_SU_PNS1_23onesweep_lookback_stateEbbT6_jjT7_P12ihipStream_tbENKUlT_T0_SI_SN_E_clIPiSD_S15_SD_EEDaS11_S12_SI_SN_EUlS11_E_NS1_11comp_targetILNS1_3genE5ELNS1_11target_archE942ELNS1_3gpuE9ELNS1_3repE0EEENS1_47radix_sort_onesweep_sort_config_static_selectorELNS0_4arch9wavefront6targetE1EEEvSI_.uses_flat_scratch, 0
	.set _ZN7rocprim17ROCPRIM_400000_NS6detail17trampoline_kernelINS0_14default_configENS1_35radix_sort_onesweep_config_selectorIiiEEZZNS1_29radix_sort_onesweep_iterationIS3_Lb0EN6thrust23THRUST_200600_302600_NS6detail15normal_iteratorINS8_10device_ptrIiEEEESD_SD_SD_jNS0_19identity_decomposerENS1_16block_id_wrapperIjLb0EEEEE10hipError_tT1_PNSt15iterator_traitsISI_E10value_typeET2_T3_PNSJ_ISO_E10value_typeET4_T5_PST_SU_PNS1_23onesweep_lookback_stateEbbT6_jjT7_P12ihipStream_tbENKUlT_T0_SI_SN_E_clIPiSD_S15_SD_EEDaS11_S12_SI_SN_EUlS11_E_NS1_11comp_targetILNS1_3genE5ELNS1_11target_archE942ELNS1_3gpuE9ELNS1_3repE0EEENS1_47radix_sort_onesweep_sort_config_static_selectorELNS0_4arch9wavefront6targetE1EEEvSI_.has_dyn_sized_stack, 0
	.set _ZN7rocprim17ROCPRIM_400000_NS6detail17trampoline_kernelINS0_14default_configENS1_35radix_sort_onesweep_config_selectorIiiEEZZNS1_29radix_sort_onesweep_iterationIS3_Lb0EN6thrust23THRUST_200600_302600_NS6detail15normal_iteratorINS8_10device_ptrIiEEEESD_SD_SD_jNS0_19identity_decomposerENS1_16block_id_wrapperIjLb0EEEEE10hipError_tT1_PNSt15iterator_traitsISI_E10value_typeET2_T3_PNSJ_ISO_E10value_typeET4_T5_PST_SU_PNS1_23onesweep_lookback_stateEbbT6_jjT7_P12ihipStream_tbENKUlT_T0_SI_SN_E_clIPiSD_S15_SD_EEDaS11_S12_SI_SN_EUlS11_E_NS1_11comp_targetILNS1_3genE5ELNS1_11target_archE942ELNS1_3gpuE9ELNS1_3repE0EEENS1_47radix_sort_onesweep_sort_config_static_selectorELNS0_4arch9wavefront6targetE1EEEvSI_.has_recursion, 0
	.set _ZN7rocprim17ROCPRIM_400000_NS6detail17trampoline_kernelINS0_14default_configENS1_35radix_sort_onesweep_config_selectorIiiEEZZNS1_29radix_sort_onesweep_iterationIS3_Lb0EN6thrust23THRUST_200600_302600_NS6detail15normal_iteratorINS8_10device_ptrIiEEEESD_SD_SD_jNS0_19identity_decomposerENS1_16block_id_wrapperIjLb0EEEEE10hipError_tT1_PNSt15iterator_traitsISI_E10value_typeET2_T3_PNSJ_ISO_E10value_typeET4_T5_PST_SU_PNS1_23onesweep_lookback_stateEbbT6_jjT7_P12ihipStream_tbENKUlT_T0_SI_SN_E_clIPiSD_S15_SD_EEDaS11_S12_SI_SN_EUlS11_E_NS1_11comp_targetILNS1_3genE5ELNS1_11target_archE942ELNS1_3gpuE9ELNS1_3repE0EEENS1_47radix_sort_onesweep_sort_config_static_selectorELNS0_4arch9wavefront6targetE1EEEvSI_.has_indirect_call, 0
	.section	.AMDGPU.csdata,"",@progbits
; Kernel info:
; codeLenInByte = 0
; TotalNumSgprs: 6
; NumVgprs: 0
; NumAgprs: 0
; TotalNumVgprs: 0
; ScratchSize: 0
; MemoryBound: 0
; FloatMode: 240
; IeeeMode: 1
; LDSByteSize: 0 bytes/workgroup (compile time only)
; SGPRBlocks: 0
; VGPRBlocks: 0
; NumSGPRsForWavesPerEU: 6
; NumVGPRsForWavesPerEU: 1
; AccumOffset: 4
; Occupancy: 8
; WaveLimiterHint : 0
; COMPUTE_PGM_RSRC2:SCRATCH_EN: 0
; COMPUTE_PGM_RSRC2:USER_SGPR: 2
; COMPUTE_PGM_RSRC2:TRAP_HANDLER: 0
; COMPUTE_PGM_RSRC2:TGID_X_EN: 1
; COMPUTE_PGM_RSRC2:TGID_Y_EN: 0
; COMPUTE_PGM_RSRC2:TGID_Z_EN: 0
; COMPUTE_PGM_RSRC2:TIDIG_COMP_CNT: 0
; COMPUTE_PGM_RSRC3_GFX90A:ACCUM_OFFSET: 0
; COMPUTE_PGM_RSRC3_GFX90A:TG_SPLIT: 0
	.section	.text._ZN7rocprim17ROCPRIM_400000_NS6detail17trampoline_kernelINS0_14default_configENS1_35radix_sort_onesweep_config_selectorIiiEEZZNS1_29radix_sort_onesweep_iterationIS3_Lb0EN6thrust23THRUST_200600_302600_NS6detail15normal_iteratorINS8_10device_ptrIiEEEESD_SD_SD_jNS0_19identity_decomposerENS1_16block_id_wrapperIjLb0EEEEE10hipError_tT1_PNSt15iterator_traitsISI_E10value_typeET2_T3_PNSJ_ISO_E10value_typeET4_T5_PST_SU_PNS1_23onesweep_lookback_stateEbbT6_jjT7_P12ihipStream_tbENKUlT_T0_SI_SN_E_clIPiSD_S15_SD_EEDaS11_S12_SI_SN_EUlS11_E_NS1_11comp_targetILNS1_3genE2ELNS1_11target_archE906ELNS1_3gpuE6ELNS1_3repE0EEENS1_47radix_sort_onesweep_sort_config_static_selectorELNS0_4arch9wavefront6targetE1EEEvSI_,"axG",@progbits,_ZN7rocprim17ROCPRIM_400000_NS6detail17trampoline_kernelINS0_14default_configENS1_35radix_sort_onesweep_config_selectorIiiEEZZNS1_29radix_sort_onesweep_iterationIS3_Lb0EN6thrust23THRUST_200600_302600_NS6detail15normal_iteratorINS8_10device_ptrIiEEEESD_SD_SD_jNS0_19identity_decomposerENS1_16block_id_wrapperIjLb0EEEEE10hipError_tT1_PNSt15iterator_traitsISI_E10value_typeET2_T3_PNSJ_ISO_E10value_typeET4_T5_PST_SU_PNS1_23onesweep_lookback_stateEbbT6_jjT7_P12ihipStream_tbENKUlT_T0_SI_SN_E_clIPiSD_S15_SD_EEDaS11_S12_SI_SN_EUlS11_E_NS1_11comp_targetILNS1_3genE2ELNS1_11target_archE906ELNS1_3gpuE6ELNS1_3repE0EEENS1_47radix_sort_onesweep_sort_config_static_selectorELNS0_4arch9wavefront6targetE1EEEvSI_,comdat
	.protected	_ZN7rocprim17ROCPRIM_400000_NS6detail17trampoline_kernelINS0_14default_configENS1_35radix_sort_onesweep_config_selectorIiiEEZZNS1_29radix_sort_onesweep_iterationIS3_Lb0EN6thrust23THRUST_200600_302600_NS6detail15normal_iteratorINS8_10device_ptrIiEEEESD_SD_SD_jNS0_19identity_decomposerENS1_16block_id_wrapperIjLb0EEEEE10hipError_tT1_PNSt15iterator_traitsISI_E10value_typeET2_T3_PNSJ_ISO_E10value_typeET4_T5_PST_SU_PNS1_23onesweep_lookback_stateEbbT6_jjT7_P12ihipStream_tbENKUlT_T0_SI_SN_E_clIPiSD_S15_SD_EEDaS11_S12_SI_SN_EUlS11_E_NS1_11comp_targetILNS1_3genE2ELNS1_11target_archE906ELNS1_3gpuE6ELNS1_3repE0EEENS1_47radix_sort_onesweep_sort_config_static_selectorELNS0_4arch9wavefront6targetE1EEEvSI_ ; -- Begin function _ZN7rocprim17ROCPRIM_400000_NS6detail17trampoline_kernelINS0_14default_configENS1_35radix_sort_onesweep_config_selectorIiiEEZZNS1_29radix_sort_onesweep_iterationIS3_Lb0EN6thrust23THRUST_200600_302600_NS6detail15normal_iteratorINS8_10device_ptrIiEEEESD_SD_SD_jNS0_19identity_decomposerENS1_16block_id_wrapperIjLb0EEEEE10hipError_tT1_PNSt15iterator_traitsISI_E10value_typeET2_T3_PNSJ_ISO_E10value_typeET4_T5_PST_SU_PNS1_23onesweep_lookback_stateEbbT6_jjT7_P12ihipStream_tbENKUlT_T0_SI_SN_E_clIPiSD_S15_SD_EEDaS11_S12_SI_SN_EUlS11_E_NS1_11comp_targetILNS1_3genE2ELNS1_11target_archE906ELNS1_3gpuE6ELNS1_3repE0EEENS1_47radix_sort_onesweep_sort_config_static_selectorELNS0_4arch9wavefront6targetE1EEEvSI_
	.globl	_ZN7rocprim17ROCPRIM_400000_NS6detail17trampoline_kernelINS0_14default_configENS1_35radix_sort_onesweep_config_selectorIiiEEZZNS1_29radix_sort_onesweep_iterationIS3_Lb0EN6thrust23THRUST_200600_302600_NS6detail15normal_iteratorINS8_10device_ptrIiEEEESD_SD_SD_jNS0_19identity_decomposerENS1_16block_id_wrapperIjLb0EEEEE10hipError_tT1_PNSt15iterator_traitsISI_E10value_typeET2_T3_PNSJ_ISO_E10value_typeET4_T5_PST_SU_PNS1_23onesweep_lookback_stateEbbT6_jjT7_P12ihipStream_tbENKUlT_T0_SI_SN_E_clIPiSD_S15_SD_EEDaS11_S12_SI_SN_EUlS11_E_NS1_11comp_targetILNS1_3genE2ELNS1_11target_archE906ELNS1_3gpuE6ELNS1_3repE0EEENS1_47radix_sort_onesweep_sort_config_static_selectorELNS0_4arch9wavefront6targetE1EEEvSI_
	.p2align	8
	.type	_ZN7rocprim17ROCPRIM_400000_NS6detail17trampoline_kernelINS0_14default_configENS1_35radix_sort_onesweep_config_selectorIiiEEZZNS1_29radix_sort_onesweep_iterationIS3_Lb0EN6thrust23THRUST_200600_302600_NS6detail15normal_iteratorINS8_10device_ptrIiEEEESD_SD_SD_jNS0_19identity_decomposerENS1_16block_id_wrapperIjLb0EEEEE10hipError_tT1_PNSt15iterator_traitsISI_E10value_typeET2_T3_PNSJ_ISO_E10value_typeET4_T5_PST_SU_PNS1_23onesweep_lookback_stateEbbT6_jjT7_P12ihipStream_tbENKUlT_T0_SI_SN_E_clIPiSD_S15_SD_EEDaS11_S12_SI_SN_EUlS11_E_NS1_11comp_targetILNS1_3genE2ELNS1_11target_archE906ELNS1_3gpuE6ELNS1_3repE0EEENS1_47radix_sort_onesweep_sort_config_static_selectorELNS0_4arch9wavefront6targetE1EEEvSI_,@function
_ZN7rocprim17ROCPRIM_400000_NS6detail17trampoline_kernelINS0_14default_configENS1_35radix_sort_onesweep_config_selectorIiiEEZZNS1_29radix_sort_onesweep_iterationIS3_Lb0EN6thrust23THRUST_200600_302600_NS6detail15normal_iteratorINS8_10device_ptrIiEEEESD_SD_SD_jNS0_19identity_decomposerENS1_16block_id_wrapperIjLb0EEEEE10hipError_tT1_PNSt15iterator_traitsISI_E10value_typeET2_T3_PNSJ_ISO_E10value_typeET4_T5_PST_SU_PNS1_23onesweep_lookback_stateEbbT6_jjT7_P12ihipStream_tbENKUlT_T0_SI_SN_E_clIPiSD_S15_SD_EEDaS11_S12_SI_SN_EUlS11_E_NS1_11comp_targetILNS1_3genE2ELNS1_11target_archE906ELNS1_3gpuE6ELNS1_3repE0EEENS1_47radix_sort_onesweep_sort_config_static_selectorELNS0_4arch9wavefront6targetE1EEEvSI_: ; @_ZN7rocprim17ROCPRIM_400000_NS6detail17trampoline_kernelINS0_14default_configENS1_35radix_sort_onesweep_config_selectorIiiEEZZNS1_29radix_sort_onesweep_iterationIS3_Lb0EN6thrust23THRUST_200600_302600_NS6detail15normal_iteratorINS8_10device_ptrIiEEEESD_SD_SD_jNS0_19identity_decomposerENS1_16block_id_wrapperIjLb0EEEEE10hipError_tT1_PNSt15iterator_traitsISI_E10value_typeET2_T3_PNSJ_ISO_E10value_typeET4_T5_PST_SU_PNS1_23onesweep_lookback_stateEbbT6_jjT7_P12ihipStream_tbENKUlT_T0_SI_SN_E_clIPiSD_S15_SD_EEDaS11_S12_SI_SN_EUlS11_E_NS1_11comp_targetILNS1_3genE2ELNS1_11target_archE906ELNS1_3gpuE6ELNS1_3repE0EEENS1_47radix_sort_onesweep_sort_config_static_selectorELNS0_4arch9wavefront6targetE1EEEvSI_
; %bb.0:
	.section	.rodata,"a",@progbits
	.p2align	6, 0x0
	.amdhsa_kernel _ZN7rocprim17ROCPRIM_400000_NS6detail17trampoline_kernelINS0_14default_configENS1_35radix_sort_onesweep_config_selectorIiiEEZZNS1_29radix_sort_onesweep_iterationIS3_Lb0EN6thrust23THRUST_200600_302600_NS6detail15normal_iteratorINS8_10device_ptrIiEEEESD_SD_SD_jNS0_19identity_decomposerENS1_16block_id_wrapperIjLb0EEEEE10hipError_tT1_PNSt15iterator_traitsISI_E10value_typeET2_T3_PNSJ_ISO_E10value_typeET4_T5_PST_SU_PNS1_23onesweep_lookback_stateEbbT6_jjT7_P12ihipStream_tbENKUlT_T0_SI_SN_E_clIPiSD_S15_SD_EEDaS11_S12_SI_SN_EUlS11_E_NS1_11comp_targetILNS1_3genE2ELNS1_11target_archE906ELNS1_3gpuE6ELNS1_3repE0EEENS1_47radix_sort_onesweep_sort_config_static_selectorELNS0_4arch9wavefront6targetE1EEEvSI_
		.amdhsa_group_segment_fixed_size 0
		.amdhsa_private_segment_fixed_size 0
		.amdhsa_kernarg_size 88
		.amdhsa_user_sgpr_count 2
		.amdhsa_user_sgpr_dispatch_ptr 0
		.amdhsa_user_sgpr_queue_ptr 0
		.amdhsa_user_sgpr_kernarg_segment_ptr 1
		.amdhsa_user_sgpr_dispatch_id 0
		.amdhsa_user_sgpr_kernarg_preload_length 0
		.amdhsa_user_sgpr_kernarg_preload_offset 0
		.amdhsa_user_sgpr_private_segment_size 0
		.amdhsa_uses_dynamic_stack 0
		.amdhsa_enable_private_segment 0
		.amdhsa_system_sgpr_workgroup_id_x 1
		.amdhsa_system_sgpr_workgroup_id_y 0
		.amdhsa_system_sgpr_workgroup_id_z 0
		.amdhsa_system_sgpr_workgroup_info 0
		.amdhsa_system_vgpr_workitem_id 0
		.amdhsa_next_free_vgpr 1
		.amdhsa_next_free_sgpr 0
		.amdhsa_accum_offset 4
		.amdhsa_reserve_vcc 0
		.amdhsa_float_round_mode_32 0
		.amdhsa_float_round_mode_16_64 0
		.amdhsa_float_denorm_mode_32 3
		.amdhsa_float_denorm_mode_16_64 3
		.amdhsa_dx10_clamp 1
		.amdhsa_ieee_mode 1
		.amdhsa_fp16_overflow 0
		.amdhsa_tg_split 0
		.amdhsa_exception_fp_ieee_invalid_op 0
		.amdhsa_exception_fp_denorm_src 0
		.amdhsa_exception_fp_ieee_div_zero 0
		.amdhsa_exception_fp_ieee_overflow 0
		.amdhsa_exception_fp_ieee_underflow 0
		.amdhsa_exception_fp_ieee_inexact 0
		.amdhsa_exception_int_div_zero 0
	.end_amdhsa_kernel
	.section	.text._ZN7rocprim17ROCPRIM_400000_NS6detail17trampoline_kernelINS0_14default_configENS1_35radix_sort_onesweep_config_selectorIiiEEZZNS1_29radix_sort_onesweep_iterationIS3_Lb0EN6thrust23THRUST_200600_302600_NS6detail15normal_iteratorINS8_10device_ptrIiEEEESD_SD_SD_jNS0_19identity_decomposerENS1_16block_id_wrapperIjLb0EEEEE10hipError_tT1_PNSt15iterator_traitsISI_E10value_typeET2_T3_PNSJ_ISO_E10value_typeET4_T5_PST_SU_PNS1_23onesweep_lookback_stateEbbT6_jjT7_P12ihipStream_tbENKUlT_T0_SI_SN_E_clIPiSD_S15_SD_EEDaS11_S12_SI_SN_EUlS11_E_NS1_11comp_targetILNS1_3genE2ELNS1_11target_archE906ELNS1_3gpuE6ELNS1_3repE0EEENS1_47radix_sort_onesweep_sort_config_static_selectorELNS0_4arch9wavefront6targetE1EEEvSI_,"axG",@progbits,_ZN7rocprim17ROCPRIM_400000_NS6detail17trampoline_kernelINS0_14default_configENS1_35radix_sort_onesweep_config_selectorIiiEEZZNS1_29radix_sort_onesweep_iterationIS3_Lb0EN6thrust23THRUST_200600_302600_NS6detail15normal_iteratorINS8_10device_ptrIiEEEESD_SD_SD_jNS0_19identity_decomposerENS1_16block_id_wrapperIjLb0EEEEE10hipError_tT1_PNSt15iterator_traitsISI_E10value_typeET2_T3_PNSJ_ISO_E10value_typeET4_T5_PST_SU_PNS1_23onesweep_lookback_stateEbbT6_jjT7_P12ihipStream_tbENKUlT_T0_SI_SN_E_clIPiSD_S15_SD_EEDaS11_S12_SI_SN_EUlS11_E_NS1_11comp_targetILNS1_3genE2ELNS1_11target_archE906ELNS1_3gpuE6ELNS1_3repE0EEENS1_47radix_sort_onesweep_sort_config_static_selectorELNS0_4arch9wavefront6targetE1EEEvSI_,comdat
.Lfunc_end870:
	.size	_ZN7rocprim17ROCPRIM_400000_NS6detail17trampoline_kernelINS0_14default_configENS1_35radix_sort_onesweep_config_selectorIiiEEZZNS1_29radix_sort_onesweep_iterationIS3_Lb0EN6thrust23THRUST_200600_302600_NS6detail15normal_iteratorINS8_10device_ptrIiEEEESD_SD_SD_jNS0_19identity_decomposerENS1_16block_id_wrapperIjLb0EEEEE10hipError_tT1_PNSt15iterator_traitsISI_E10value_typeET2_T3_PNSJ_ISO_E10value_typeET4_T5_PST_SU_PNS1_23onesweep_lookback_stateEbbT6_jjT7_P12ihipStream_tbENKUlT_T0_SI_SN_E_clIPiSD_S15_SD_EEDaS11_S12_SI_SN_EUlS11_E_NS1_11comp_targetILNS1_3genE2ELNS1_11target_archE906ELNS1_3gpuE6ELNS1_3repE0EEENS1_47radix_sort_onesweep_sort_config_static_selectorELNS0_4arch9wavefront6targetE1EEEvSI_, .Lfunc_end870-_ZN7rocprim17ROCPRIM_400000_NS6detail17trampoline_kernelINS0_14default_configENS1_35radix_sort_onesweep_config_selectorIiiEEZZNS1_29radix_sort_onesweep_iterationIS3_Lb0EN6thrust23THRUST_200600_302600_NS6detail15normal_iteratorINS8_10device_ptrIiEEEESD_SD_SD_jNS0_19identity_decomposerENS1_16block_id_wrapperIjLb0EEEEE10hipError_tT1_PNSt15iterator_traitsISI_E10value_typeET2_T3_PNSJ_ISO_E10value_typeET4_T5_PST_SU_PNS1_23onesweep_lookback_stateEbbT6_jjT7_P12ihipStream_tbENKUlT_T0_SI_SN_E_clIPiSD_S15_SD_EEDaS11_S12_SI_SN_EUlS11_E_NS1_11comp_targetILNS1_3genE2ELNS1_11target_archE906ELNS1_3gpuE6ELNS1_3repE0EEENS1_47radix_sort_onesweep_sort_config_static_selectorELNS0_4arch9wavefront6targetE1EEEvSI_
                                        ; -- End function
	.set _ZN7rocprim17ROCPRIM_400000_NS6detail17trampoline_kernelINS0_14default_configENS1_35radix_sort_onesweep_config_selectorIiiEEZZNS1_29radix_sort_onesweep_iterationIS3_Lb0EN6thrust23THRUST_200600_302600_NS6detail15normal_iteratorINS8_10device_ptrIiEEEESD_SD_SD_jNS0_19identity_decomposerENS1_16block_id_wrapperIjLb0EEEEE10hipError_tT1_PNSt15iterator_traitsISI_E10value_typeET2_T3_PNSJ_ISO_E10value_typeET4_T5_PST_SU_PNS1_23onesweep_lookback_stateEbbT6_jjT7_P12ihipStream_tbENKUlT_T0_SI_SN_E_clIPiSD_S15_SD_EEDaS11_S12_SI_SN_EUlS11_E_NS1_11comp_targetILNS1_3genE2ELNS1_11target_archE906ELNS1_3gpuE6ELNS1_3repE0EEENS1_47radix_sort_onesweep_sort_config_static_selectorELNS0_4arch9wavefront6targetE1EEEvSI_.num_vgpr, 0
	.set _ZN7rocprim17ROCPRIM_400000_NS6detail17trampoline_kernelINS0_14default_configENS1_35radix_sort_onesweep_config_selectorIiiEEZZNS1_29radix_sort_onesweep_iterationIS3_Lb0EN6thrust23THRUST_200600_302600_NS6detail15normal_iteratorINS8_10device_ptrIiEEEESD_SD_SD_jNS0_19identity_decomposerENS1_16block_id_wrapperIjLb0EEEEE10hipError_tT1_PNSt15iterator_traitsISI_E10value_typeET2_T3_PNSJ_ISO_E10value_typeET4_T5_PST_SU_PNS1_23onesweep_lookback_stateEbbT6_jjT7_P12ihipStream_tbENKUlT_T0_SI_SN_E_clIPiSD_S15_SD_EEDaS11_S12_SI_SN_EUlS11_E_NS1_11comp_targetILNS1_3genE2ELNS1_11target_archE906ELNS1_3gpuE6ELNS1_3repE0EEENS1_47radix_sort_onesweep_sort_config_static_selectorELNS0_4arch9wavefront6targetE1EEEvSI_.num_agpr, 0
	.set _ZN7rocprim17ROCPRIM_400000_NS6detail17trampoline_kernelINS0_14default_configENS1_35radix_sort_onesweep_config_selectorIiiEEZZNS1_29radix_sort_onesweep_iterationIS3_Lb0EN6thrust23THRUST_200600_302600_NS6detail15normal_iteratorINS8_10device_ptrIiEEEESD_SD_SD_jNS0_19identity_decomposerENS1_16block_id_wrapperIjLb0EEEEE10hipError_tT1_PNSt15iterator_traitsISI_E10value_typeET2_T3_PNSJ_ISO_E10value_typeET4_T5_PST_SU_PNS1_23onesweep_lookback_stateEbbT6_jjT7_P12ihipStream_tbENKUlT_T0_SI_SN_E_clIPiSD_S15_SD_EEDaS11_S12_SI_SN_EUlS11_E_NS1_11comp_targetILNS1_3genE2ELNS1_11target_archE906ELNS1_3gpuE6ELNS1_3repE0EEENS1_47radix_sort_onesweep_sort_config_static_selectorELNS0_4arch9wavefront6targetE1EEEvSI_.numbered_sgpr, 0
	.set _ZN7rocprim17ROCPRIM_400000_NS6detail17trampoline_kernelINS0_14default_configENS1_35radix_sort_onesweep_config_selectorIiiEEZZNS1_29radix_sort_onesweep_iterationIS3_Lb0EN6thrust23THRUST_200600_302600_NS6detail15normal_iteratorINS8_10device_ptrIiEEEESD_SD_SD_jNS0_19identity_decomposerENS1_16block_id_wrapperIjLb0EEEEE10hipError_tT1_PNSt15iterator_traitsISI_E10value_typeET2_T3_PNSJ_ISO_E10value_typeET4_T5_PST_SU_PNS1_23onesweep_lookback_stateEbbT6_jjT7_P12ihipStream_tbENKUlT_T0_SI_SN_E_clIPiSD_S15_SD_EEDaS11_S12_SI_SN_EUlS11_E_NS1_11comp_targetILNS1_3genE2ELNS1_11target_archE906ELNS1_3gpuE6ELNS1_3repE0EEENS1_47radix_sort_onesweep_sort_config_static_selectorELNS0_4arch9wavefront6targetE1EEEvSI_.num_named_barrier, 0
	.set _ZN7rocprim17ROCPRIM_400000_NS6detail17trampoline_kernelINS0_14default_configENS1_35radix_sort_onesweep_config_selectorIiiEEZZNS1_29radix_sort_onesweep_iterationIS3_Lb0EN6thrust23THRUST_200600_302600_NS6detail15normal_iteratorINS8_10device_ptrIiEEEESD_SD_SD_jNS0_19identity_decomposerENS1_16block_id_wrapperIjLb0EEEEE10hipError_tT1_PNSt15iterator_traitsISI_E10value_typeET2_T3_PNSJ_ISO_E10value_typeET4_T5_PST_SU_PNS1_23onesweep_lookback_stateEbbT6_jjT7_P12ihipStream_tbENKUlT_T0_SI_SN_E_clIPiSD_S15_SD_EEDaS11_S12_SI_SN_EUlS11_E_NS1_11comp_targetILNS1_3genE2ELNS1_11target_archE906ELNS1_3gpuE6ELNS1_3repE0EEENS1_47radix_sort_onesweep_sort_config_static_selectorELNS0_4arch9wavefront6targetE1EEEvSI_.private_seg_size, 0
	.set _ZN7rocprim17ROCPRIM_400000_NS6detail17trampoline_kernelINS0_14default_configENS1_35radix_sort_onesweep_config_selectorIiiEEZZNS1_29radix_sort_onesweep_iterationIS3_Lb0EN6thrust23THRUST_200600_302600_NS6detail15normal_iteratorINS8_10device_ptrIiEEEESD_SD_SD_jNS0_19identity_decomposerENS1_16block_id_wrapperIjLb0EEEEE10hipError_tT1_PNSt15iterator_traitsISI_E10value_typeET2_T3_PNSJ_ISO_E10value_typeET4_T5_PST_SU_PNS1_23onesweep_lookback_stateEbbT6_jjT7_P12ihipStream_tbENKUlT_T0_SI_SN_E_clIPiSD_S15_SD_EEDaS11_S12_SI_SN_EUlS11_E_NS1_11comp_targetILNS1_3genE2ELNS1_11target_archE906ELNS1_3gpuE6ELNS1_3repE0EEENS1_47radix_sort_onesweep_sort_config_static_selectorELNS0_4arch9wavefront6targetE1EEEvSI_.uses_vcc, 0
	.set _ZN7rocprim17ROCPRIM_400000_NS6detail17trampoline_kernelINS0_14default_configENS1_35radix_sort_onesweep_config_selectorIiiEEZZNS1_29radix_sort_onesweep_iterationIS3_Lb0EN6thrust23THRUST_200600_302600_NS6detail15normal_iteratorINS8_10device_ptrIiEEEESD_SD_SD_jNS0_19identity_decomposerENS1_16block_id_wrapperIjLb0EEEEE10hipError_tT1_PNSt15iterator_traitsISI_E10value_typeET2_T3_PNSJ_ISO_E10value_typeET4_T5_PST_SU_PNS1_23onesweep_lookback_stateEbbT6_jjT7_P12ihipStream_tbENKUlT_T0_SI_SN_E_clIPiSD_S15_SD_EEDaS11_S12_SI_SN_EUlS11_E_NS1_11comp_targetILNS1_3genE2ELNS1_11target_archE906ELNS1_3gpuE6ELNS1_3repE0EEENS1_47radix_sort_onesweep_sort_config_static_selectorELNS0_4arch9wavefront6targetE1EEEvSI_.uses_flat_scratch, 0
	.set _ZN7rocprim17ROCPRIM_400000_NS6detail17trampoline_kernelINS0_14default_configENS1_35radix_sort_onesweep_config_selectorIiiEEZZNS1_29radix_sort_onesweep_iterationIS3_Lb0EN6thrust23THRUST_200600_302600_NS6detail15normal_iteratorINS8_10device_ptrIiEEEESD_SD_SD_jNS0_19identity_decomposerENS1_16block_id_wrapperIjLb0EEEEE10hipError_tT1_PNSt15iterator_traitsISI_E10value_typeET2_T3_PNSJ_ISO_E10value_typeET4_T5_PST_SU_PNS1_23onesweep_lookback_stateEbbT6_jjT7_P12ihipStream_tbENKUlT_T0_SI_SN_E_clIPiSD_S15_SD_EEDaS11_S12_SI_SN_EUlS11_E_NS1_11comp_targetILNS1_3genE2ELNS1_11target_archE906ELNS1_3gpuE6ELNS1_3repE0EEENS1_47radix_sort_onesweep_sort_config_static_selectorELNS0_4arch9wavefront6targetE1EEEvSI_.has_dyn_sized_stack, 0
	.set _ZN7rocprim17ROCPRIM_400000_NS6detail17trampoline_kernelINS0_14default_configENS1_35radix_sort_onesweep_config_selectorIiiEEZZNS1_29radix_sort_onesweep_iterationIS3_Lb0EN6thrust23THRUST_200600_302600_NS6detail15normal_iteratorINS8_10device_ptrIiEEEESD_SD_SD_jNS0_19identity_decomposerENS1_16block_id_wrapperIjLb0EEEEE10hipError_tT1_PNSt15iterator_traitsISI_E10value_typeET2_T3_PNSJ_ISO_E10value_typeET4_T5_PST_SU_PNS1_23onesweep_lookback_stateEbbT6_jjT7_P12ihipStream_tbENKUlT_T0_SI_SN_E_clIPiSD_S15_SD_EEDaS11_S12_SI_SN_EUlS11_E_NS1_11comp_targetILNS1_3genE2ELNS1_11target_archE906ELNS1_3gpuE6ELNS1_3repE0EEENS1_47radix_sort_onesweep_sort_config_static_selectorELNS0_4arch9wavefront6targetE1EEEvSI_.has_recursion, 0
	.set _ZN7rocprim17ROCPRIM_400000_NS6detail17trampoline_kernelINS0_14default_configENS1_35radix_sort_onesweep_config_selectorIiiEEZZNS1_29radix_sort_onesweep_iterationIS3_Lb0EN6thrust23THRUST_200600_302600_NS6detail15normal_iteratorINS8_10device_ptrIiEEEESD_SD_SD_jNS0_19identity_decomposerENS1_16block_id_wrapperIjLb0EEEEE10hipError_tT1_PNSt15iterator_traitsISI_E10value_typeET2_T3_PNSJ_ISO_E10value_typeET4_T5_PST_SU_PNS1_23onesweep_lookback_stateEbbT6_jjT7_P12ihipStream_tbENKUlT_T0_SI_SN_E_clIPiSD_S15_SD_EEDaS11_S12_SI_SN_EUlS11_E_NS1_11comp_targetILNS1_3genE2ELNS1_11target_archE906ELNS1_3gpuE6ELNS1_3repE0EEENS1_47radix_sort_onesweep_sort_config_static_selectorELNS0_4arch9wavefront6targetE1EEEvSI_.has_indirect_call, 0
	.section	.AMDGPU.csdata,"",@progbits
; Kernel info:
; codeLenInByte = 0
; TotalNumSgprs: 6
; NumVgprs: 0
; NumAgprs: 0
; TotalNumVgprs: 0
; ScratchSize: 0
; MemoryBound: 0
; FloatMode: 240
; IeeeMode: 1
; LDSByteSize: 0 bytes/workgroup (compile time only)
; SGPRBlocks: 0
; VGPRBlocks: 0
; NumSGPRsForWavesPerEU: 6
; NumVGPRsForWavesPerEU: 1
; AccumOffset: 4
; Occupancy: 8
; WaveLimiterHint : 0
; COMPUTE_PGM_RSRC2:SCRATCH_EN: 0
; COMPUTE_PGM_RSRC2:USER_SGPR: 2
; COMPUTE_PGM_RSRC2:TRAP_HANDLER: 0
; COMPUTE_PGM_RSRC2:TGID_X_EN: 1
; COMPUTE_PGM_RSRC2:TGID_Y_EN: 0
; COMPUTE_PGM_RSRC2:TGID_Z_EN: 0
; COMPUTE_PGM_RSRC2:TIDIG_COMP_CNT: 0
; COMPUTE_PGM_RSRC3_GFX90A:ACCUM_OFFSET: 0
; COMPUTE_PGM_RSRC3_GFX90A:TG_SPLIT: 0
	.section	.text._ZN7rocprim17ROCPRIM_400000_NS6detail17trampoline_kernelINS0_14default_configENS1_35radix_sort_onesweep_config_selectorIiiEEZZNS1_29radix_sort_onesweep_iterationIS3_Lb0EN6thrust23THRUST_200600_302600_NS6detail15normal_iteratorINS8_10device_ptrIiEEEESD_SD_SD_jNS0_19identity_decomposerENS1_16block_id_wrapperIjLb0EEEEE10hipError_tT1_PNSt15iterator_traitsISI_E10value_typeET2_T3_PNSJ_ISO_E10value_typeET4_T5_PST_SU_PNS1_23onesweep_lookback_stateEbbT6_jjT7_P12ihipStream_tbENKUlT_T0_SI_SN_E_clIPiSD_S15_SD_EEDaS11_S12_SI_SN_EUlS11_E_NS1_11comp_targetILNS1_3genE4ELNS1_11target_archE910ELNS1_3gpuE8ELNS1_3repE0EEENS1_47radix_sort_onesweep_sort_config_static_selectorELNS0_4arch9wavefront6targetE1EEEvSI_,"axG",@progbits,_ZN7rocprim17ROCPRIM_400000_NS6detail17trampoline_kernelINS0_14default_configENS1_35radix_sort_onesweep_config_selectorIiiEEZZNS1_29radix_sort_onesweep_iterationIS3_Lb0EN6thrust23THRUST_200600_302600_NS6detail15normal_iteratorINS8_10device_ptrIiEEEESD_SD_SD_jNS0_19identity_decomposerENS1_16block_id_wrapperIjLb0EEEEE10hipError_tT1_PNSt15iterator_traitsISI_E10value_typeET2_T3_PNSJ_ISO_E10value_typeET4_T5_PST_SU_PNS1_23onesweep_lookback_stateEbbT6_jjT7_P12ihipStream_tbENKUlT_T0_SI_SN_E_clIPiSD_S15_SD_EEDaS11_S12_SI_SN_EUlS11_E_NS1_11comp_targetILNS1_3genE4ELNS1_11target_archE910ELNS1_3gpuE8ELNS1_3repE0EEENS1_47radix_sort_onesweep_sort_config_static_selectorELNS0_4arch9wavefront6targetE1EEEvSI_,comdat
	.protected	_ZN7rocprim17ROCPRIM_400000_NS6detail17trampoline_kernelINS0_14default_configENS1_35radix_sort_onesweep_config_selectorIiiEEZZNS1_29radix_sort_onesweep_iterationIS3_Lb0EN6thrust23THRUST_200600_302600_NS6detail15normal_iteratorINS8_10device_ptrIiEEEESD_SD_SD_jNS0_19identity_decomposerENS1_16block_id_wrapperIjLb0EEEEE10hipError_tT1_PNSt15iterator_traitsISI_E10value_typeET2_T3_PNSJ_ISO_E10value_typeET4_T5_PST_SU_PNS1_23onesweep_lookback_stateEbbT6_jjT7_P12ihipStream_tbENKUlT_T0_SI_SN_E_clIPiSD_S15_SD_EEDaS11_S12_SI_SN_EUlS11_E_NS1_11comp_targetILNS1_3genE4ELNS1_11target_archE910ELNS1_3gpuE8ELNS1_3repE0EEENS1_47radix_sort_onesweep_sort_config_static_selectorELNS0_4arch9wavefront6targetE1EEEvSI_ ; -- Begin function _ZN7rocprim17ROCPRIM_400000_NS6detail17trampoline_kernelINS0_14default_configENS1_35radix_sort_onesweep_config_selectorIiiEEZZNS1_29radix_sort_onesweep_iterationIS3_Lb0EN6thrust23THRUST_200600_302600_NS6detail15normal_iteratorINS8_10device_ptrIiEEEESD_SD_SD_jNS0_19identity_decomposerENS1_16block_id_wrapperIjLb0EEEEE10hipError_tT1_PNSt15iterator_traitsISI_E10value_typeET2_T3_PNSJ_ISO_E10value_typeET4_T5_PST_SU_PNS1_23onesweep_lookback_stateEbbT6_jjT7_P12ihipStream_tbENKUlT_T0_SI_SN_E_clIPiSD_S15_SD_EEDaS11_S12_SI_SN_EUlS11_E_NS1_11comp_targetILNS1_3genE4ELNS1_11target_archE910ELNS1_3gpuE8ELNS1_3repE0EEENS1_47radix_sort_onesweep_sort_config_static_selectorELNS0_4arch9wavefront6targetE1EEEvSI_
	.globl	_ZN7rocprim17ROCPRIM_400000_NS6detail17trampoline_kernelINS0_14default_configENS1_35radix_sort_onesweep_config_selectorIiiEEZZNS1_29radix_sort_onesweep_iterationIS3_Lb0EN6thrust23THRUST_200600_302600_NS6detail15normal_iteratorINS8_10device_ptrIiEEEESD_SD_SD_jNS0_19identity_decomposerENS1_16block_id_wrapperIjLb0EEEEE10hipError_tT1_PNSt15iterator_traitsISI_E10value_typeET2_T3_PNSJ_ISO_E10value_typeET4_T5_PST_SU_PNS1_23onesweep_lookback_stateEbbT6_jjT7_P12ihipStream_tbENKUlT_T0_SI_SN_E_clIPiSD_S15_SD_EEDaS11_S12_SI_SN_EUlS11_E_NS1_11comp_targetILNS1_3genE4ELNS1_11target_archE910ELNS1_3gpuE8ELNS1_3repE0EEENS1_47radix_sort_onesweep_sort_config_static_selectorELNS0_4arch9wavefront6targetE1EEEvSI_
	.p2align	8
	.type	_ZN7rocprim17ROCPRIM_400000_NS6detail17trampoline_kernelINS0_14default_configENS1_35radix_sort_onesweep_config_selectorIiiEEZZNS1_29radix_sort_onesweep_iterationIS3_Lb0EN6thrust23THRUST_200600_302600_NS6detail15normal_iteratorINS8_10device_ptrIiEEEESD_SD_SD_jNS0_19identity_decomposerENS1_16block_id_wrapperIjLb0EEEEE10hipError_tT1_PNSt15iterator_traitsISI_E10value_typeET2_T3_PNSJ_ISO_E10value_typeET4_T5_PST_SU_PNS1_23onesweep_lookback_stateEbbT6_jjT7_P12ihipStream_tbENKUlT_T0_SI_SN_E_clIPiSD_S15_SD_EEDaS11_S12_SI_SN_EUlS11_E_NS1_11comp_targetILNS1_3genE4ELNS1_11target_archE910ELNS1_3gpuE8ELNS1_3repE0EEENS1_47radix_sort_onesweep_sort_config_static_selectorELNS0_4arch9wavefront6targetE1EEEvSI_,@function
_ZN7rocprim17ROCPRIM_400000_NS6detail17trampoline_kernelINS0_14default_configENS1_35radix_sort_onesweep_config_selectorIiiEEZZNS1_29radix_sort_onesweep_iterationIS3_Lb0EN6thrust23THRUST_200600_302600_NS6detail15normal_iteratorINS8_10device_ptrIiEEEESD_SD_SD_jNS0_19identity_decomposerENS1_16block_id_wrapperIjLb0EEEEE10hipError_tT1_PNSt15iterator_traitsISI_E10value_typeET2_T3_PNSJ_ISO_E10value_typeET4_T5_PST_SU_PNS1_23onesweep_lookback_stateEbbT6_jjT7_P12ihipStream_tbENKUlT_T0_SI_SN_E_clIPiSD_S15_SD_EEDaS11_S12_SI_SN_EUlS11_E_NS1_11comp_targetILNS1_3genE4ELNS1_11target_archE910ELNS1_3gpuE8ELNS1_3repE0EEENS1_47radix_sort_onesweep_sort_config_static_selectorELNS0_4arch9wavefront6targetE1EEEvSI_: ; @_ZN7rocprim17ROCPRIM_400000_NS6detail17trampoline_kernelINS0_14default_configENS1_35radix_sort_onesweep_config_selectorIiiEEZZNS1_29radix_sort_onesweep_iterationIS3_Lb0EN6thrust23THRUST_200600_302600_NS6detail15normal_iteratorINS8_10device_ptrIiEEEESD_SD_SD_jNS0_19identity_decomposerENS1_16block_id_wrapperIjLb0EEEEE10hipError_tT1_PNSt15iterator_traitsISI_E10value_typeET2_T3_PNSJ_ISO_E10value_typeET4_T5_PST_SU_PNS1_23onesweep_lookback_stateEbbT6_jjT7_P12ihipStream_tbENKUlT_T0_SI_SN_E_clIPiSD_S15_SD_EEDaS11_S12_SI_SN_EUlS11_E_NS1_11comp_targetILNS1_3genE4ELNS1_11target_archE910ELNS1_3gpuE8ELNS1_3repE0EEENS1_47radix_sort_onesweep_sort_config_static_selectorELNS0_4arch9wavefront6targetE1EEEvSI_
; %bb.0:
	.section	.rodata,"a",@progbits
	.p2align	6, 0x0
	.amdhsa_kernel _ZN7rocprim17ROCPRIM_400000_NS6detail17trampoline_kernelINS0_14default_configENS1_35radix_sort_onesweep_config_selectorIiiEEZZNS1_29radix_sort_onesweep_iterationIS3_Lb0EN6thrust23THRUST_200600_302600_NS6detail15normal_iteratorINS8_10device_ptrIiEEEESD_SD_SD_jNS0_19identity_decomposerENS1_16block_id_wrapperIjLb0EEEEE10hipError_tT1_PNSt15iterator_traitsISI_E10value_typeET2_T3_PNSJ_ISO_E10value_typeET4_T5_PST_SU_PNS1_23onesweep_lookback_stateEbbT6_jjT7_P12ihipStream_tbENKUlT_T0_SI_SN_E_clIPiSD_S15_SD_EEDaS11_S12_SI_SN_EUlS11_E_NS1_11comp_targetILNS1_3genE4ELNS1_11target_archE910ELNS1_3gpuE8ELNS1_3repE0EEENS1_47radix_sort_onesweep_sort_config_static_selectorELNS0_4arch9wavefront6targetE1EEEvSI_
		.amdhsa_group_segment_fixed_size 0
		.amdhsa_private_segment_fixed_size 0
		.amdhsa_kernarg_size 88
		.amdhsa_user_sgpr_count 2
		.amdhsa_user_sgpr_dispatch_ptr 0
		.amdhsa_user_sgpr_queue_ptr 0
		.amdhsa_user_sgpr_kernarg_segment_ptr 1
		.amdhsa_user_sgpr_dispatch_id 0
		.amdhsa_user_sgpr_kernarg_preload_length 0
		.amdhsa_user_sgpr_kernarg_preload_offset 0
		.amdhsa_user_sgpr_private_segment_size 0
		.amdhsa_uses_dynamic_stack 0
		.amdhsa_enable_private_segment 0
		.amdhsa_system_sgpr_workgroup_id_x 1
		.amdhsa_system_sgpr_workgroup_id_y 0
		.amdhsa_system_sgpr_workgroup_id_z 0
		.amdhsa_system_sgpr_workgroup_info 0
		.amdhsa_system_vgpr_workitem_id 0
		.amdhsa_next_free_vgpr 1
		.amdhsa_next_free_sgpr 0
		.amdhsa_accum_offset 4
		.amdhsa_reserve_vcc 0
		.amdhsa_float_round_mode_32 0
		.amdhsa_float_round_mode_16_64 0
		.amdhsa_float_denorm_mode_32 3
		.amdhsa_float_denorm_mode_16_64 3
		.amdhsa_dx10_clamp 1
		.amdhsa_ieee_mode 1
		.amdhsa_fp16_overflow 0
		.amdhsa_tg_split 0
		.amdhsa_exception_fp_ieee_invalid_op 0
		.amdhsa_exception_fp_denorm_src 0
		.amdhsa_exception_fp_ieee_div_zero 0
		.amdhsa_exception_fp_ieee_overflow 0
		.amdhsa_exception_fp_ieee_underflow 0
		.amdhsa_exception_fp_ieee_inexact 0
		.amdhsa_exception_int_div_zero 0
	.end_amdhsa_kernel
	.section	.text._ZN7rocprim17ROCPRIM_400000_NS6detail17trampoline_kernelINS0_14default_configENS1_35radix_sort_onesweep_config_selectorIiiEEZZNS1_29radix_sort_onesweep_iterationIS3_Lb0EN6thrust23THRUST_200600_302600_NS6detail15normal_iteratorINS8_10device_ptrIiEEEESD_SD_SD_jNS0_19identity_decomposerENS1_16block_id_wrapperIjLb0EEEEE10hipError_tT1_PNSt15iterator_traitsISI_E10value_typeET2_T3_PNSJ_ISO_E10value_typeET4_T5_PST_SU_PNS1_23onesweep_lookback_stateEbbT6_jjT7_P12ihipStream_tbENKUlT_T0_SI_SN_E_clIPiSD_S15_SD_EEDaS11_S12_SI_SN_EUlS11_E_NS1_11comp_targetILNS1_3genE4ELNS1_11target_archE910ELNS1_3gpuE8ELNS1_3repE0EEENS1_47radix_sort_onesweep_sort_config_static_selectorELNS0_4arch9wavefront6targetE1EEEvSI_,"axG",@progbits,_ZN7rocprim17ROCPRIM_400000_NS6detail17trampoline_kernelINS0_14default_configENS1_35radix_sort_onesweep_config_selectorIiiEEZZNS1_29radix_sort_onesweep_iterationIS3_Lb0EN6thrust23THRUST_200600_302600_NS6detail15normal_iteratorINS8_10device_ptrIiEEEESD_SD_SD_jNS0_19identity_decomposerENS1_16block_id_wrapperIjLb0EEEEE10hipError_tT1_PNSt15iterator_traitsISI_E10value_typeET2_T3_PNSJ_ISO_E10value_typeET4_T5_PST_SU_PNS1_23onesweep_lookback_stateEbbT6_jjT7_P12ihipStream_tbENKUlT_T0_SI_SN_E_clIPiSD_S15_SD_EEDaS11_S12_SI_SN_EUlS11_E_NS1_11comp_targetILNS1_3genE4ELNS1_11target_archE910ELNS1_3gpuE8ELNS1_3repE0EEENS1_47radix_sort_onesweep_sort_config_static_selectorELNS0_4arch9wavefront6targetE1EEEvSI_,comdat
.Lfunc_end871:
	.size	_ZN7rocprim17ROCPRIM_400000_NS6detail17trampoline_kernelINS0_14default_configENS1_35radix_sort_onesweep_config_selectorIiiEEZZNS1_29radix_sort_onesweep_iterationIS3_Lb0EN6thrust23THRUST_200600_302600_NS6detail15normal_iteratorINS8_10device_ptrIiEEEESD_SD_SD_jNS0_19identity_decomposerENS1_16block_id_wrapperIjLb0EEEEE10hipError_tT1_PNSt15iterator_traitsISI_E10value_typeET2_T3_PNSJ_ISO_E10value_typeET4_T5_PST_SU_PNS1_23onesweep_lookback_stateEbbT6_jjT7_P12ihipStream_tbENKUlT_T0_SI_SN_E_clIPiSD_S15_SD_EEDaS11_S12_SI_SN_EUlS11_E_NS1_11comp_targetILNS1_3genE4ELNS1_11target_archE910ELNS1_3gpuE8ELNS1_3repE0EEENS1_47radix_sort_onesweep_sort_config_static_selectorELNS0_4arch9wavefront6targetE1EEEvSI_, .Lfunc_end871-_ZN7rocprim17ROCPRIM_400000_NS6detail17trampoline_kernelINS0_14default_configENS1_35radix_sort_onesweep_config_selectorIiiEEZZNS1_29radix_sort_onesweep_iterationIS3_Lb0EN6thrust23THRUST_200600_302600_NS6detail15normal_iteratorINS8_10device_ptrIiEEEESD_SD_SD_jNS0_19identity_decomposerENS1_16block_id_wrapperIjLb0EEEEE10hipError_tT1_PNSt15iterator_traitsISI_E10value_typeET2_T3_PNSJ_ISO_E10value_typeET4_T5_PST_SU_PNS1_23onesweep_lookback_stateEbbT6_jjT7_P12ihipStream_tbENKUlT_T0_SI_SN_E_clIPiSD_S15_SD_EEDaS11_S12_SI_SN_EUlS11_E_NS1_11comp_targetILNS1_3genE4ELNS1_11target_archE910ELNS1_3gpuE8ELNS1_3repE0EEENS1_47radix_sort_onesweep_sort_config_static_selectorELNS0_4arch9wavefront6targetE1EEEvSI_
                                        ; -- End function
	.set _ZN7rocprim17ROCPRIM_400000_NS6detail17trampoline_kernelINS0_14default_configENS1_35radix_sort_onesweep_config_selectorIiiEEZZNS1_29radix_sort_onesweep_iterationIS3_Lb0EN6thrust23THRUST_200600_302600_NS6detail15normal_iteratorINS8_10device_ptrIiEEEESD_SD_SD_jNS0_19identity_decomposerENS1_16block_id_wrapperIjLb0EEEEE10hipError_tT1_PNSt15iterator_traitsISI_E10value_typeET2_T3_PNSJ_ISO_E10value_typeET4_T5_PST_SU_PNS1_23onesweep_lookback_stateEbbT6_jjT7_P12ihipStream_tbENKUlT_T0_SI_SN_E_clIPiSD_S15_SD_EEDaS11_S12_SI_SN_EUlS11_E_NS1_11comp_targetILNS1_3genE4ELNS1_11target_archE910ELNS1_3gpuE8ELNS1_3repE0EEENS1_47radix_sort_onesweep_sort_config_static_selectorELNS0_4arch9wavefront6targetE1EEEvSI_.num_vgpr, 0
	.set _ZN7rocprim17ROCPRIM_400000_NS6detail17trampoline_kernelINS0_14default_configENS1_35radix_sort_onesweep_config_selectorIiiEEZZNS1_29radix_sort_onesweep_iterationIS3_Lb0EN6thrust23THRUST_200600_302600_NS6detail15normal_iteratorINS8_10device_ptrIiEEEESD_SD_SD_jNS0_19identity_decomposerENS1_16block_id_wrapperIjLb0EEEEE10hipError_tT1_PNSt15iterator_traitsISI_E10value_typeET2_T3_PNSJ_ISO_E10value_typeET4_T5_PST_SU_PNS1_23onesweep_lookback_stateEbbT6_jjT7_P12ihipStream_tbENKUlT_T0_SI_SN_E_clIPiSD_S15_SD_EEDaS11_S12_SI_SN_EUlS11_E_NS1_11comp_targetILNS1_3genE4ELNS1_11target_archE910ELNS1_3gpuE8ELNS1_3repE0EEENS1_47radix_sort_onesweep_sort_config_static_selectorELNS0_4arch9wavefront6targetE1EEEvSI_.num_agpr, 0
	.set _ZN7rocprim17ROCPRIM_400000_NS6detail17trampoline_kernelINS0_14default_configENS1_35radix_sort_onesweep_config_selectorIiiEEZZNS1_29radix_sort_onesweep_iterationIS3_Lb0EN6thrust23THRUST_200600_302600_NS6detail15normal_iteratorINS8_10device_ptrIiEEEESD_SD_SD_jNS0_19identity_decomposerENS1_16block_id_wrapperIjLb0EEEEE10hipError_tT1_PNSt15iterator_traitsISI_E10value_typeET2_T3_PNSJ_ISO_E10value_typeET4_T5_PST_SU_PNS1_23onesweep_lookback_stateEbbT6_jjT7_P12ihipStream_tbENKUlT_T0_SI_SN_E_clIPiSD_S15_SD_EEDaS11_S12_SI_SN_EUlS11_E_NS1_11comp_targetILNS1_3genE4ELNS1_11target_archE910ELNS1_3gpuE8ELNS1_3repE0EEENS1_47radix_sort_onesweep_sort_config_static_selectorELNS0_4arch9wavefront6targetE1EEEvSI_.numbered_sgpr, 0
	.set _ZN7rocprim17ROCPRIM_400000_NS6detail17trampoline_kernelINS0_14default_configENS1_35radix_sort_onesweep_config_selectorIiiEEZZNS1_29radix_sort_onesweep_iterationIS3_Lb0EN6thrust23THRUST_200600_302600_NS6detail15normal_iteratorINS8_10device_ptrIiEEEESD_SD_SD_jNS0_19identity_decomposerENS1_16block_id_wrapperIjLb0EEEEE10hipError_tT1_PNSt15iterator_traitsISI_E10value_typeET2_T3_PNSJ_ISO_E10value_typeET4_T5_PST_SU_PNS1_23onesweep_lookback_stateEbbT6_jjT7_P12ihipStream_tbENKUlT_T0_SI_SN_E_clIPiSD_S15_SD_EEDaS11_S12_SI_SN_EUlS11_E_NS1_11comp_targetILNS1_3genE4ELNS1_11target_archE910ELNS1_3gpuE8ELNS1_3repE0EEENS1_47radix_sort_onesweep_sort_config_static_selectorELNS0_4arch9wavefront6targetE1EEEvSI_.num_named_barrier, 0
	.set _ZN7rocprim17ROCPRIM_400000_NS6detail17trampoline_kernelINS0_14default_configENS1_35radix_sort_onesweep_config_selectorIiiEEZZNS1_29radix_sort_onesweep_iterationIS3_Lb0EN6thrust23THRUST_200600_302600_NS6detail15normal_iteratorINS8_10device_ptrIiEEEESD_SD_SD_jNS0_19identity_decomposerENS1_16block_id_wrapperIjLb0EEEEE10hipError_tT1_PNSt15iterator_traitsISI_E10value_typeET2_T3_PNSJ_ISO_E10value_typeET4_T5_PST_SU_PNS1_23onesweep_lookback_stateEbbT6_jjT7_P12ihipStream_tbENKUlT_T0_SI_SN_E_clIPiSD_S15_SD_EEDaS11_S12_SI_SN_EUlS11_E_NS1_11comp_targetILNS1_3genE4ELNS1_11target_archE910ELNS1_3gpuE8ELNS1_3repE0EEENS1_47radix_sort_onesweep_sort_config_static_selectorELNS0_4arch9wavefront6targetE1EEEvSI_.private_seg_size, 0
	.set _ZN7rocprim17ROCPRIM_400000_NS6detail17trampoline_kernelINS0_14default_configENS1_35radix_sort_onesweep_config_selectorIiiEEZZNS1_29radix_sort_onesweep_iterationIS3_Lb0EN6thrust23THRUST_200600_302600_NS6detail15normal_iteratorINS8_10device_ptrIiEEEESD_SD_SD_jNS0_19identity_decomposerENS1_16block_id_wrapperIjLb0EEEEE10hipError_tT1_PNSt15iterator_traitsISI_E10value_typeET2_T3_PNSJ_ISO_E10value_typeET4_T5_PST_SU_PNS1_23onesweep_lookback_stateEbbT6_jjT7_P12ihipStream_tbENKUlT_T0_SI_SN_E_clIPiSD_S15_SD_EEDaS11_S12_SI_SN_EUlS11_E_NS1_11comp_targetILNS1_3genE4ELNS1_11target_archE910ELNS1_3gpuE8ELNS1_3repE0EEENS1_47radix_sort_onesweep_sort_config_static_selectorELNS0_4arch9wavefront6targetE1EEEvSI_.uses_vcc, 0
	.set _ZN7rocprim17ROCPRIM_400000_NS6detail17trampoline_kernelINS0_14default_configENS1_35radix_sort_onesweep_config_selectorIiiEEZZNS1_29radix_sort_onesweep_iterationIS3_Lb0EN6thrust23THRUST_200600_302600_NS6detail15normal_iteratorINS8_10device_ptrIiEEEESD_SD_SD_jNS0_19identity_decomposerENS1_16block_id_wrapperIjLb0EEEEE10hipError_tT1_PNSt15iterator_traitsISI_E10value_typeET2_T3_PNSJ_ISO_E10value_typeET4_T5_PST_SU_PNS1_23onesweep_lookback_stateEbbT6_jjT7_P12ihipStream_tbENKUlT_T0_SI_SN_E_clIPiSD_S15_SD_EEDaS11_S12_SI_SN_EUlS11_E_NS1_11comp_targetILNS1_3genE4ELNS1_11target_archE910ELNS1_3gpuE8ELNS1_3repE0EEENS1_47radix_sort_onesweep_sort_config_static_selectorELNS0_4arch9wavefront6targetE1EEEvSI_.uses_flat_scratch, 0
	.set _ZN7rocprim17ROCPRIM_400000_NS6detail17trampoline_kernelINS0_14default_configENS1_35radix_sort_onesweep_config_selectorIiiEEZZNS1_29radix_sort_onesweep_iterationIS3_Lb0EN6thrust23THRUST_200600_302600_NS6detail15normal_iteratorINS8_10device_ptrIiEEEESD_SD_SD_jNS0_19identity_decomposerENS1_16block_id_wrapperIjLb0EEEEE10hipError_tT1_PNSt15iterator_traitsISI_E10value_typeET2_T3_PNSJ_ISO_E10value_typeET4_T5_PST_SU_PNS1_23onesweep_lookback_stateEbbT6_jjT7_P12ihipStream_tbENKUlT_T0_SI_SN_E_clIPiSD_S15_SD_EEDaS11_S12_SI_SN_EUlS11_E_NS1_11comp_targetILNS1_3genE4ELNS1_11target_archE910ELNS1_3gpuE8ELNS1_3repE0EEENS1_47radix_sort_onesweep_sort_config_static_selectorELNS0_4arch9wavefront6targetE1EEEvSI_.has_dyn_sized_stack, 0
	.set _ZN7rocprim17ROCPRIM_400000_NS6detail17trampoline_kernelINS0_14default_configENS1_35radix_sort_onesweep_config_selectorIiiEEZZNS1_29radix_sort_onesweep_iterationIS3_Lb0EN6thrust23THRUST_200600_302600_NS6detail15normal_iteratorINS8_10device_ptrIiEEEESD_SD_SD_jNS0_19identity_decomposerENS1_16block_id_wrapperIjLb0EEEEE10hipError_tT1_PNSt15iterator_traitsISI_E10value_typeET2_T3_PNSJ_ISO_E10value_typeET4_T5_PST_SU_PNS1_23onesweep_lookback_stateEbbT6_jjT7_P12ihipStream_tbENKUlT_T0_SI_SN_E_clIPiSD_S15_SD_EEDaS11_S12_SI_SN_EUlS11_E_NS1_11comp_targetILNS1_3genE4ELNS1_11target_archE910ELNS1_3gpuE8ELNS1_3repE0EEENS1_47radix_sort_onesweep_sort_config_static_selectorELNS0_4arch9wavefront6targetE1EEEvSI_.has_recursion, 0
	.set _ZN7rocprim17ROCPRIM_400000_NS6detail17trampoline_kernelINS0_14default_configENS1_35radix_sort_onesweep_config_selectorIiiEEZZNS1_29radix_sort_onesweep_iterationIS3_Lb0EN6thrust23THRUST_200600_302600_NS6detail15normal_iteratorINS8_10device_ptrIiEEEESD_SD_SD_jNS0_19identity_decomposerENS1_16block_id_wrapperIjLb0EEEEE10hipError_tT1_PNSt15iterator_traitsISI_E10value_typeET2_T3_PNSJ_ISO_E10value_typeET4_T5_PST_SU_PNS1_23onesweep_lookback_stateEbbT6_jjT7_P12ihipStream_tbENKUlT_T0_SI_SN_E_clIPiSD_S15_SD_EEDaS11_S12_SI_SN_EUlS11_E_NS1_11comp_targetILNS1_3genE4ELNS1_11target_archE910ELNS1_3gpuE8ELNS1_3repE0EEENS1_47radix_sort_onesweep_sort_config_static_selectorELNS0_4arch9wavefront6targetE1EEEvSI_.has_indirect_call, 0
	.section	.AMDGPU.csdata,"",@progbits
; Kernel info:
; codeLenInByte = 0
; TotalNumSgprs: 6
; NumVgprs: 0
; NumAgprs: 0
; TotalNumVgprs: 0
; ScratchSize: 0
; MemoryBound: 0
; FloatMode: 240
; IeeeMode: 1
; LDSByteSize: 0 bytes/workgroup (compile time only)
; SGPRBlocks: 0
; VGPRBlocks: 0
; NumSGPRsForWavesPerEU: 6
; NumVGPRsForWavesPerEU: 1
; AccumOffset: 4
; Occupancy: 8
; WaveLimiterHint : 0
; COMPUTE_PGM_RSRC2:SCRATCH_EN: 0
; COMPUTE_PGM_RSRC2:USER_SGPR: 2
; COMPUTE_PGM_RSRC2:TRAP_HANDLER: 0
; COMPUTE_PGM_RSRC2:TGID_X_EN: 1
; COMPUTE_PGM_RSRC2:TGID_Y_EN: 0
; COMPUTE_PGM_RSRC2:TGID_Z_EN: 0
; COMPUTE_PGM_RSRC2:TIDIG_COMP_CNT: 0
; COMPUTE_PGM_RSRC3_GFX90A:ACCUM_OFFSET: 0
; COMPUTE_PGM_RSRC3_GFX90A:TG_SPLIT: 0
	.section	.text._ZN7rocprim17ROCPRIM_400000_NS6detail17trampoline_kernelINS0_14default_configENS1_35radix_sort_onesweep_config_selectorIiiEEZZNS1_29radix_sort_onesweep_iterationIS3_Lb0EN6thrust23THRUST_200600_302600_NS6detail15normal_iteratorINS8_10device_ptrIiEEEESD_SD_SD_jNS0_19identity_decomposerENS1_16block_id_wrapperIjLb0EEEEE10hipError_tT1_PNSt15iterator_traitsISI_E10value_typeET2_T3_PNSJ_ISO_E10value_typeET4_T5_PST_SU_PNS1_23onesweep_lookback_stateEbbT6_jjT7_P12ihipStream_tbENKUlT_T0_SI_SN_E_clIPiSD_S15_SD_EEDaS11_S12_SI_SN_EUlS11_E_NS1_11comp_targetILNS1_3genE3ELNS1_11target_archE908ELNS1_3gpuE7ELNS1_3repE0EEENS1_47radix_sort_onesweep_sort_config_static_selectorELNS0_4arch9wavefront6targetE1EEEvSI_,"axG",@progbits,_ZN7rocprim17ROCPRIM_400000_NS6detail17trampoline_kernelINS0_14default_configENS1_35radix_sort_onesweep_config_selectorIiiEEZZNS1_29radix_sort_onesweep_iterationIS3_Lb0EN6thrust23THRUST_200600_302600_NS6detail15normal_iteratorINS8_10device_ptrIiEEEESD_SD_SD_jNS0_19identity_decomposerENS1_16block_id_wrapperIjLb0EEEEE10hipError_tT1_PNSt15iterator_traitsISI_E10value_typeET2_T3_PNSJ_ISO_E10value_typeET4_T5_PST_SU_PNS1_23onesweep_lookback_stateEbbT6_jjT7_P12ihipStream_tbENKUlT_T0_SI_SN_E_clIPiSD_S15_SD_EEDaS11_S12_SI_SN_EUlS11_E_NS1_11comp_targetILNS1_3genE3ELNS1_11target_archE908ELNS1_3gpuE7ELNS1_3repE0EEENS1_47radix_sort_onesweep_sort_config_static_selectorELNS0_4arch9wavefront6targetE1EEEvSI_,comdat
	.protected	_ZN7rocprim17ROCPRIM_400000_NS6detail17trampoline_kernelINS0_14default_configENS1_35radix_sort_onesweep_config_selectorIiiEEZZNS1_29radix_sort_onesweep_iterationIS3_Lb0EN6thrust23THRUST_200600_302600_NS6detail15normal_iteratorINS8_10device_ptrIiEEEESD_SD_SD_jNS0_19identity_decomposerENS1_16block_id_wrapperIjLb0EEEEE10hipError_tT1_PNSt15iterator_traitsISI_E10value_typeET2_T3_PNSJ_ISO_E10value_typeET4_T5_PST_SU_PNS1_23onesweep_lookback_stateEbbT6_jjT7_P12ihipStream_tbENKUlT_T0_SI_SN_E_clIPiSD_S15_SD_EEDaS11_S12_SI_SN_EUlS11_E_NS1_11comp_targetILNS1_3genE3ELNS1_11target_archE908ELNS1_3gpuE7ELNS1_3repE0EEENS1_47radix_sort_onesweep_sort_config_static_selectorELNS0_4arch9wavefront6targetE1EEEvSI_ ; -- Begin function _ZN7rocprim17ROCPRIM_400000_NS6detail17trampoline_kernelINS0_14default_configENS1_35radix_sort_onesweep_config_selectorIiiEEZZNS1_29radix_sort_onesweep_iterationIS3_Lb0EN6thrust23THRUST_200600_302600_NS6detail15normal_iteratorINS8_10device_ptrIiEEEESD_SD_SD_jNS0_19identity_decomposerENS1_16block_id_wrapperIjLb0EEEEE10hipError_tT1_PNSt15iterator_traitsISI_E10value_typeET2_T3_PNSJ_ISO_E10value_typeET4_T5_PST_SU_PNS1_23onesweep_lookback_stateEbbT6_jjT7_P12ihipStream_tbENKUlT_T0_SI_SN_E_clIPiSD_S15_SD_EEDaS11_S12_SI_SN_EUlS11_E_NS1_11comp_targetILNS1_3genE3ELNS1_11target_archE908ELNS1_3gpuE7ELNS1_3repE0EEENS1_47radix_sort_onesweep_sort_config_static_selectorELNS0_4arch9wavefront6targetE1EEEvSI_
	.globl	_ZN7rocprim17ROCPRIM_400000_NS6detail17trampoline_kernelINS0_14default_configENS1_35radix_sort_onesweep_config_selectorIiiEEZZNS1_29radix_sort_onesweep_iterationIS3_Lb0EN6thrust23THRUST_200600_302600_NS6detail15normal_iteratorINS8_10device_ptrIiEEEESD_SD_SD_jNS0_19identity_decomposerENS1_16block_id_wrapperIjLb0EEEEE10hipError_tT1_PNSt15iterator_traitsISI_E10value_typeET2_T3_PNSJ_ISO_E10value_typeET4_T5_PST_SU_PNS1_23onesweep_lookback_stateEbbT6_jjT7_P12ihipStream_tbENKUlT_T0_SI_SN_E_clIPiSD_S15_SD_EEDaS11_S12_SI_SN_EUlS11_E_NS1_11comp_targetILNS1_3genE3ELNS1_11target_archE908ELNS1_3gpuE7ELNS1_3repE0EEENS1_47radix_sort_onesweep_sort_config_static_selectorELNS0_4arch9wavefront6targetE1EEEvSI_
	.p2align	8
	.type	_ZN7rocprim17ROCPRIM_400000_NS6detail17trampoline_kernelINS0_14default_configENS1_35radix_sort_onesweep_config_selectorIiiEEZZNS1_29radix_sort_onesweep_iterationIS3_Lb0EN6thrust23THRUST_200600_302600_NS6detail15normal_iteratorINS8_10device_ptrIiEEEESD_SD_SD_jNS0_19identity_decomposerENS1_16block_id_wrapperIjLb0EEEEE10hipError_tT1_PNSt15iterator_traitsISI_E10value_typeET2_T3_PNSJ_ISO_E10value_typeET4_T5_PST_SU_PNS1_23onesweep_lookback_stateEbbT6_jjT7_P12ihipStream_tbENKUlT_T0_SI_SN_E_clIPiSD_S15_SD_EEDaS11_S12_SI_SN_EUlS11_E_NS1_11comp_targetILNS1_3genE3ELNS1_11target_archE908ELNS1_3gpuE7ELNS1_3repE0EEENS1_47radix_sort_onesweep_sort_config_static_selectorELNS0_4arch9wavefront6targetE1EEEvSI_,@function
_ZN7rocprim17ROCPRIM_400000_NS6detail17trampoline_kernelINS0_14default_configENS1_35radix_sort_onesweep_config_selectorIiiEEZZNS1_29radix_sort_onesweep_iterationIS3_Lb0EN6thrust23THRUST_200600_302600_NS6detail15normal_iteratorINS8_10device_ptrIiEEEESD_SD_SD_jNS0_19identity_decomposerENS1_16block_id_wrapperIjLb0EEEEE10hipError_tT1_PNSt15iterator_traitsISI_E10value_typeET2_T3_PNSJ_ISO_E10value_typeET4_T5_PST_SU_PNS1_23onesweep_lookback_stateEbbT6_jjT7_P12ihipStream_tbENKUlT_T0_SI_SN_E_clIPiSD_S15_SD_EEDaS11_S12_SI_SN_EUlS11_E_NS1_11comp_targetILNS1_3genE3ELNS1_11target_archE908ELNS1_3gpuE7ELNS1_3repE0EEENS1_47radix_sort_onesweep_sort_config_static_selectorELNS0_4arch9wavefront6targetE1EEEvSI_: ; @_ZN7rocprim17ROCPRIM_400000_NS6detail17trampoline_kernelINS0_14default_configENS1_35radix_sort_onesweep_config_selectorIiiEEZZNS1_29radix_sort_onesweep_iterationIS3_Lb0EN6thrust23THRUST_200600_302600_NS6detail15normal_iteratorINS8_10device_ptrIiEEEESD_SD_SD_jNS0_19identity_decomposerENS1_16block_id_wrapperIjLb0EEEEE10hipError_tT1_PNSt15iterator_traitsISI_E10value_typeET2_T3_PNSJ_ISO_E10value_typeET4_T5_PST_SU_PNS1_23onesweep_lookback_stateEbbT6_jjT7_P12ihipStream_tbENKUlT_T0_SI_SN_E_clIPiSD_S15_SD_EEDaS11_S12_SI_SN_EUlS11_E_NS1_11comp_targetILNS1_3genE3ELNS1_11target_archE908ELNS1_3gpuE7ELNS1_3repE0EEENS1_47radix_sort_onesweep_sort_config_static_selectorELNS0_4arch9wavefront6targetE1EEEvSI_
; %bb.0:
	.section	.rodata,"a",@progbits
	.p2align	6, 0x0
	.amdhsa_kernel _ZN7rocprim17ROCPRIM_400000_NS6detail17trampoline_kernelINS0_14default_configENS1_35radix_sort_onesweep_config_selectorIiiEEZZNS1_29radix_sort_onesweep_iterationIS3_Lb0EN6thrust23THRUST_200600_302600_NS6detail15normal_iteratorINS8_10device_ptrIiEEEESD_SD_SD_jNS0_19identity_decomposerENS1_16block_id_wrapperIjLb0EEEEE10hipError_tT1_PNSt15iterator_traitsISI_E10value_typeET2_T3_PNSJ_ISO_E10value_typeET4_T5_PST_SU_PNS1_23onesweep_lookback_stateEbbT6_jjT7_P12ihipStream_tbENKUlT_T0_SI_SN_E_clIPiSD_S15_SD_EEDaS11_S12_SI_SN_EUlS11_E_NS1_11comp_targetILNS1_3genE3ELNS1_11target_archE908ELNS1_3gpuE7ELNS1_3repE0EEENS1_47radix_sort_onesweep_sort_config_static_selectorELNS0_4arch9wavefront6targetE1EEEvSI_
		.amdhsa_group_segment_fixed_size 0
		.amdhsa_private_segment_fixed_size 0
		.amdhsa_kernarg_size 88
		.amdhsa_user_sgpr_count 2
		.amdhsa_user_sgpr_dispatch_ptr 0
		.amdhsa_user_sgpr_queue_ptr 0
		.amdhsa_user_sgpr_kernarg_segment_ptr 1
		.amdhsa_user_sgpr_dispatch_id 0
		.amdhsa_user_sgpr_kernarg_preload_length 0
		.amdhsa_user_sgpr_kernarg_preload_offset 0
		.amdhsa_user_sgpr_private_segment_size 0
		.amdhsa_uses_dynamic_stack 0
		.amdhsa_enable_private_segment 0
		.amdhsa_system_sgpr_workgroup_id_x 1
		.amdhsa_system_sgpr_workgroup_id_y 0
		.amdhsa_system_sgpr_workgroup_id_z 0
		.amdhsa_system_sgpr_workgroup_info 0
		.amdhsa_system_vgpr_workitem_id 0
		.amdhsa_next_free_vgpr 1
		.amdhsa_next_free_sgpr 0
		.amdhsa_accum_offset 4
		.amdhsa_reserve_vcc 0
		.amdhsa_float_round_mode_32 0
		.amdhsa_float_round_mode_16_64 0
		.amdhsa_float_denorm_mode_32 3
		.amdhsa_float_denorm_mode_16_64 3
		.amdhsa_dx10_clamp 1
		.amdhsa_ieee_mode 1
		.amdhsa_fp16_overflow 0
		.amdhsa_tg_split 0
		.amdhsa_exception_fp_ieee_invalid_op 0
		.amdhsa_exception_fp_denorm_src 0
		.amdhsa_exception_fp_ieee_div_zero 0
		.amdhsa_exception_fp_ieee_overflow 0
		.amdhsa_exception_fp_ieee_underflow 0
		.amdhsa_exception_fp_ieee_inexact 0
		.amdhsa_exception_int_div_zero 0
	.end_amdhsa_kernel
	.section	.text._ZN7rocprim17ROCPRIM_400000_NS6detail17trampoline_kernelINS0_14default_configENS1_35radix_sort_onesweep_config_selectorIiiEEZZNS1_29radix_sort_onesweep_iterationIS3_Lb0EN6thrust23THRUST_200600_302600_NS6detail15normal_iteratorINS8_10device_ptrIiEEEESD_SD_SD_jNS0_19identity_decomposerENS1_16block_id_wrapperIjLb0EEEEE10hipError_tT1_PNSt15iterator_traitsISI_E10value_typeET2_T3_PNSJ_ISO_E10value_typeET4_T5_PST_SU_PNS1_23onesweep_lookback_stateEbbT6_jjT7_P12ihipStream_tbENKUlT_T0_SI_SN_E_clIPiSD_S15_SD_EEDaS11_S12_SI_SN_EUlS11_E_NS1_11comp_targetILNS1_3genE3ELNS1_11target_archE908ELNS1_3gpuE7ELNS1_3repE0EEENS1_47radix_sort_onesweep_sort_config_static_selectorELNS0_4arch9wavefront6targetE1EEEvSI_,"axG",@progbits,_ZN7rocprim17ROCPRIM_400000_NS6detail17trampoline_kernelINS0_14default_configENS1_35radix_sort_onesweep_config_selectorIiiEEZZNS1_29radix_sort_onesweep_iterationIS3_Lb0EN6thrust23THRUST_200600_302600_NS6detail15normal_iteratorINS8_10device_ptrIiEEEESD_SD_SD_jNS0_19identity_decomposerENS1_16block_id_wrapperIjLb0EEEEE10hipError_tT1_PNSt15iterator_traitsISI_E10value_typeET2_T3_PNSJ_ISO_E10value_typeET4_T5_PST_SU_PNS1_23onesweep_lookback_stateEbbT6_jjT7_P12ihipStream_tbENKUlT_T0_SI_SN_E_clIPiSD_S15_SD_EEDaS11_S12_SI_SN_EUlS11_E_NS1_11comp_targetILNS1_3genE3ELNS1_11target_archE908ELNS1_3gpuE7ELNS1_3repE0EEENS1_47radix_sort_onesweep_sort_config_static_selectorELNS0_4arch9wavefront6targetE1EEEvSI_,comdat
.Lfunc_end872:
	.size	_ZN7rocprim17ROCPRIM_400000_NS6detail17trampoline_kernelINS0_14default_configENS1_35radix_sort_onesweep_config_selectorIiiEEZZNS1_29radix_sort_onesweep_iterationIS3_Lb0EN6thrust23THRUST_200600_302600_NS6detail15normal_iteratorINS8_10device_ptrIiEEEESD_SD_SD_jNS0_19identity_decomposerENS1_16block_id_wrapperIjLb0EEEEE10hipError_tT1_PNSt15iterator_traitsISI_E10value_typeET2_T3_PNSJ_ISO_E10value_typeET4_T5_PST_SU_PNS1_23onesweep_lookback_stateEbbT6_jjT7_P12ihipStream_tbENKUlT_T0_SI_SN_E_clIPiSD_S15_SD_EEDaS11_S12_SI_SN_EUlS11_E_NS1_11comp_targetILNS1_3genE3ELNS1_11target_archE908ELNS1_3gpuE7ELNS1_3repE0EEENS1_47radix_sort_onesweep_sort_config_static_selectorELNS0_4arch9wavefront6targetE1EEEvSI_, .Lfunc_end872-_ZN7rocprim17ROCPRIM_400000_NS6detail17trampoline_kernelINS0_14default_configENS1_35radix_sort_onesweep_config_selectorIiiEEZZNS1_29radix_sort_onesweep_iterationIS3_Lb0EN6thrust23THRUST_200600_302600_NS6detail15normal_iteratorINS8_10device_ptrIiEEEESD_SD_SD_jNS0_19identity_decomposerENS1_16block_id_wrapperIjLb0EEEEE10hipError_tT1_PNSt15iterator_traitsISI_E10value_typeET2_T3_PNSJ_ISO_E10value_typeET4_T5_PST_SU_PNS1_23onesweep_lookback_stateEbbT6_jjT7_P12ihipStream_tbENKUlT_T0_SI_SN_E_clIPiSD_S15_SD_EEDaS11_S12_SI_SN_EUlS11_E_NS1_11comp_targetILNS1_3genE3ELNS1_11target_archE908ELNS1_3gpuE7ELNS1_3repE0EEENS1_47radix_sort_onesweep_sort_config_static_selectorELNS0_4arch9wavefront6targetE1EEEvSI_
                                        ; -- End function
	.set _ZN7rocprim17ROCPRIM_400000_NS6detail17trampoline_kernelINS0_14default_configENS1_35radix_sort_onesweep_config_selectorIiiEEZZNS1_29radix_sort_onesweep_iterationIS3_Lb0EN6thrust23THRUST_200600_302600_NS6detail15normal_iteratorINS8_10device_ptrIiEEEESD_SD_SD_jNS0_19identity_decomposerENS1_16block_id_wrapperIjLb0EEEEE10hipError_tT1_PNSt15iterator_traitsISI_E10value_typeET2_T3_PNSJ_ISO_E10value_typeET4_T5_PST_SU_PNS1_23onesweep_lookback_stateEbbT6_jjT7_P12ihipStream_tbENKUlT_T0_SI_SN_E_clIPiSD_S15_SD_EEDaS11_S12_SI_SN_EUlS11_E_NS1_11comp_targetILNS1_3genE3ELNS1_11target_archE908ELNS1_3gpuE7ELNS1_3repE0EEENS1_47radix_sort_onesweep_sort_config_static_selectorELNS0_4arch9wavefront6targetE1EEEvSI_.num_vgpr, 0
	.set _ZN7rocprim17ROCPRIM_400000_NS6detail17trampoline_kernelINS0_14default_configENS1_35radix_sort_onesweep_config_selectorIiiEEZZNS1_29radix_sort_onesweep_iterationIS3_Lb0EN6thrust23THRUST_200600_302600_NS6detail15normal_iteratorINS8_10device_ptrIiEEEESD_SD_SD_jNS0_19identity_decomposerENS1_16block_id_wrapperIjLb0EEEEE10hipError_tT1_PNSt15iterator_traitsISI_E10value_typeET2_T3_PNSJ_ISO_E10value_typeET4_T5_PST_SU_PNS1_23onesweep_lookback_stateEbbT6_jjT7_P12ihipStream_tbENKUlT_T0_SI_SN_E_clIPiSD_S15_SD_EEDaS11_S12_SI_SN_EUlS11_E_NS1_11comp_targetILNS1_3genE3ELNS1_11target_archE908ELNS1_3gpuE7ELNS1_3repE0EEENS1_47radix_sort_onesweep_sort_config_static_selectorELNS0_4arch9wavefront6targetE1EEEvSI_.num_agpr, 0
	.set _ZN7rocprim17ROCPRIM_400000_NS6detail17trampoline_kernelINS0_14default_configENS1_35radix_sort_onesweep_config_selectorIiiEEZZNS1_29radix_sort_onesweep_iterationIS3_Lb0EN6thrust23THRUST_200600_302600_NS6detail15normal_iteratorINS8_10device_ptrIiEEEESD_SD_SD_jNS0_19identity_decomposerENS1_16block_id_wrapperIjLb0EEEEE10hipError_tT1_PNSt15iterator_traitsISI_E10value_typeET2_T3_PNSJ_ISO_E10value_typeET4_T5_PST_SU_PNS1_23onesweep_lookback_stateEbbT6_jjT7_P12ihipStream_tbENKUlT_T0_SI_SN_E_clIPiSD_S15_SD_EEDaS11_S12_SI_SN_EUlS11_E_NS1_11comp_targetILNS1_3genE3ELNS1_11target_archE908ELNS1_3gpuE7ELNS1_3repE0EEENS1_47radix_sort_onesweep_sort_config_static_selectorELNS0_4arch9wavefront6targetE1EEEvSI_.numbered_sgpr, 0
	.set _ZN7rocprim17ROCPRIM_400000_NS6detail17trampoline_kernelINS0_14default_configENS1_35radix_sort_onesweep_config_selectorIiiEEZZNS1_29radix_sort_onesweep_iterationIS3_Lb0EN6thrust23THRUST_200600_302600_NS6detail15normal_iteratorINS8_10device_ptrIiEEEESD_SD_SD_jNS0_19identity_decomposerENS1_16block_id_wrapperIjLb0EEEEE10hipError_tT1_PNSt15iterator_traitsISI_E10value_typeET2_T3_PNSJ_ISO_E10value_typeET4_T5_PST_SU_PNS1_23onesweep_lookback_stateEbbT6_jjT7_P12ihipStream_tbENKUlT_T0_SI_SN_E_clIPiSD_S15_SD_EEDaS11_S12_SI_SN_EUlS11_E_NS1_11comp_targetILNS1_3genE3ELNS1_11target_archE908ELNS1_3gpuE7ELNS1_3repE0EEENS1_47radix_sort_onesweep_sort_config_static_selectorELNS0_4arch9wavefront6targetE1EEEvSI_.num_named_barrier, 0
	.set _ZN7rocprim17ROCPRIM_400000_NS6detail17trampoline_kernelINS0_14default_configENS1_35radix_sort_onesweep_config_selectorIiiEEZZNS1_29radix_sort_onesweep_iterationIS3_Lb0EN6thrust23THRUST_200600_302600_NS6detail15normal_iteratorINS8_10device_ptrIiEEEESD_SD_SD_jNS0_19identity_decomposerENS1_16block_id_wrapperIjLb0EEEEE10hipError_tT1_PNSt15iterator_traitsISI_E10value_typeET2_T3_PNSJ_ISO_E10value_typeET4_T5_PST_SU_PNS1_23onesweep_lookback_stateEbbT6_jjT7_P12ihipStream_tbENKUlT_T0_SI_SN_E_clIPiSD_S15_SD_EEDaS11_S12_SI_SN_EUlS11_E_NS1_11comp_targetILNS1_3genE3ELNS1_11target_archE908ELNS1_3gpuE7ELNS1_3repE0EEENS1_47radix_sort_onesweep_sort_config_static_selectorELNS0_4arch9wavefront6targetE1EEEvSI_.private_seg_size, 0
	.set _ZN7rocprim17ROCPRIM_400000_NS6detail17trampoline_kernelINS0_14default_configENS1_35radix_sort_onesweep_config_selectorIiiEEZZNS1_29radix_sort_onesweep_iterationIS3_Lb0EN6thrust23THRUST_200600_302600_NS6detail15normal_iteratorINS8_10device_ptrIiEEEESD_SD_SD_jNS0_19identity_decomposerENS1_16block_id_wrapperIjLb0EEEEE10hipError_tT1_PNSt15iterator_traitsISI_E10value_typeET2_T3_PNSJ_ISO_E10value_typeET4_T5_PST_SU_PNS1_23onesweep_lookback_stateEbbT6_jjT7_P12ihipStream_tbENKUlT_T0_SI_SN_E_clIPiSD_S15_SD_EEDaS11_S12_SI_SN_EUlS11_E_NS1_11comp_targetILNS1_3genE3ELNS1_11target_archE908ELNS1_3gpuE7ELNS1_3repE0EEENS1_47radix_sort_onesweep_sort_config_static_selectorELNS0_4arch9wavefront6targetE1EEEvSI_.uses_vcc, 0
	.set _ZN7rocprim17ROCPRIM_400000_NS6detail17trampoline_kernelINS0_14default_configENS1_35radix_sort_onesweep_config_selectorIiiEEZZNS1_29radix_sort_onesweep_iterationIS3_Lb0EN6thrust23THRUST_200600_302600_NS6detail15normal_iteratorINS8_10device_ptrIiEEEESD_SD_SD_jNS0_19identity_decomposerENS1_16block_id_wrapperIjLb0EEEEE10hipError_tT1_PNSt15iterator_traitsISI_E10value_typeET2_T3_PNSJ_ISO_E10value_typeET4_T5_PST_SU_PNS1_23onesweep_lookback_stateEbbT6_jjT7_P12ihipStream_tbENKUlT_T0_SI_SN_E_clIPiSD_S15_SD_EEDaS11_S12_SI_SN_EUlS11_E_NS1_11comp_targetILNS1_3genE3ELNS1_11target_archE908ELNS1_3gpuE7ELNS1_3repE0EEENS1_47radix_sort_onesweep_sort_config_static_selectorELNS0_4arch9wavefront6targetE1EEEvSI_.uses_flat_scratch, 0
	.set _ZN7rocprim17ROCPRIM_400000_NS6detail17trampoline_kernelINS0_14default_configENS1_35radix_sort_onesweep_config_selectorIiiEEZZNS1_29radix_sort_onesweep_iterationIS3_Lb0EN6thrust23THRUST_200600_302600_NS6detail15normal_iteratorINS8_10device_ptrIiEEEESD_SD_SD_jNS0_19identity_decomposerENS1_16block_id_wrapperIjLb0EEEEE10hipError_tT1_PNSt15iterator_traitsISI_E10value_typeET2_T3_PNSJ_ISO_E10value_typeET4_T5_PST_SU_PNS1_23onesweep_lookback_stateEbbT6_jjT7_P12ihipStream_tbENKUlT_T0_SI_SN_E_clIPiSD_S15_SD_EEDaS11_S12_SI_SN_EUlS11_E_NS1_11comp_targetILNS1_3genE3ELNS1_11target_archE908ELNS1_3gpuE7ELNS1_3repE0EEENS1_47radix_sort_onesweep_sort_config_static_selectorELNS0_4arch9wavefront6targetE1EEEvSI_.has_dyn_sized_stack, 0
	.set _ZN7rocprim17ROCPRIM_400000_NS6detail17trampoline_kernelINS0_14default_configENS1_35radix_sort_onesweep_config_selectorIiiEEZZNS1_29radix_sort_onesweep_iterationIS3_Lb0EN6thrust23THRUST_200600_302600_NS6detail15normal_iteratorINS8_10device_ptrIiEEEESD_SD_SD_jNS0_19identity_decomposerENS1_16block_id_wrapperIjLb0EEEEE10hipError_tT1_PNSt15iterator_traitsISI_E10value_typeET2_T3_PNSJ_ISO_E10value_typeET4_T5_PST_SU_PNS1_23onesweep_lookback_stateEbbT6_jjT7_P12ihipStream_tbENKUlT_T0_SI_SN_E_clIPiSD_S15_SD_EEDaS11_S12_SI_SN_EUlS11_E_NS1_11comp_targetILNS1_3genE3ELNS1_11target_archE908ELNS1_3gpuE7ELNS1_3repE0EEENS1_47radix_sort_onesweep_sort_config_static_selectorELNS0_4arch9wavefront6targetE1EEEvSI_.has_recursion, 0
	.set _ZN7rocprim17ROCPRIM_400000_NS6detail17trampoline_kernelINS0_14default_configENS1_35radix_sort_onesweep_config_selectorIiiEEZZNS1_29radix_sort_onesweep_iterationIS3_Lb0EN6thrust23THRUST_200600_302600_NS6detail15normal_iteratorINS8_10device_ptrIiEEEESD_SD_SD_jNS0_19identity_decomposerENS1_16block_id_wrapperIjLb0EEEEE10hipError_tT1_PNSt15iterator_traitsISI_E10value_typeET2_T3_PNSJ_ISO_E10value_typeET4_T5_PST_SU_PNS1_23onesweep_lookback_stateEbbT6_jjT7_P12ihipStream_tbENKUlT_T0_SI_SN_E_clIPiSD_S15_SD_EEDaS11_S12_SI_SN_EUlS11_E_NS1_11comp_targetILNS1_3genE3ELNS1_11target_archE908ELNS1_3gpuE7ELNS1_3repE0EEENS1_47radix_sort_onesweep_sort_config_static_selectorELNS0_4arch9wavefront6targetE1EEEvSI_.has_indirect_call, 0
	.section	.AMDGPU.csdata,"",@progbits
; Kernel info:
; codeLenInByte = 0
; TotalNumSgprs: 6
; NumVgprs: 0
; NumAgprs: 0
; TotalNumVgprs: 0
; ScratchSize: 0
; MemoryBound: 0
; FloatMode: 240
; IeeeMode: 1
; LDSByteSize: 0 bytes/workgroup (compile time only)
; SGPRBlocks: 0
; VGPRBlocks: 0
; NumSGPRsForWavesPerEU: 6
; NumVGPRsForWavesPerEU: 1
; AccumOffset: 4
; Occupancy: 8
; WaveLimiterHint : 0
; COMPUTE_PGM_RSRC2:SCRATCH_EN: 0
; COMPUTE_PGM_RSRC2:USER_SGPR: 2
; COMPUTE_PGM_RSRC2:TRAP_HANDLER: 0
; COMPUTE_PGM_RSRC2:TGID_X_EN: 1
; COMPUTE_PGM_RSRC2:TGID_Y_EN: 0
; COMPUTE_PGM_RSRC2:TGID_Z_EN: 0
; COMPUTE_PGM_RSRC2:TIDIG_COMP_CNT: 0
; COMPUTE_PGM_RSRC3_GFX90A:ACCUM_OFFSET: 0
; COMPUTE_PGM_RSRC3_GFX90A:TG_SPLIT: 0
	.section	.text._ZN7rocprim17ROCPRIM_400000_NS6detail17trampoline_kernelINS0_14default_configENS1_35radix_sort_onesweep_config_selectorIiiEEZZNS1_29radix_sort_onesweep_iterationIS3_Lb0EN6thrust23THRUST_200600_302600_NS6detail15normal_iteratorINS8_10device_ptrIiEEEESD_SD_SD_jNS0_19identity_decomposerENS1_16block_id_wrapperIjLb0EEEEE10hipError_tT1_PNSt15iterator_traitsISI_E10value_typeET2_T3_PNSJ_ISO_E10value_typeET4_T5_PST_SU_PNS1_23onesweep_lookback_stateEbbT6_jjT7_P12ihipStream_tbENKUlT_T0_SI_SN_E_clIPiSD_S15_SD_EEDaS11_S12_SI_SN_EUlS11_E_NS1_11comp_targetILNS1_3genE10ELNS1_11target_archE1201ELNS1_3gpuE5ELNS1_3repE0EEENS1_47radix_sort_onesweep_sort_config_static_selectorELNS0_4arch9wavefront6targetE1EEEvSI_,"axG",@progbits,_ZN7rocprim17ROCPRIM_400000_NS6detail17trampoline_kernelINS0_14default_configENS1_35radix_sort_onesweep_config_selectorIiiEEZZNS1_29radix_sort_onesweep_iterationIS3_Lb0EN6thrust23THRUST_200600_302600_NS6detail15normal_iteratorINS8_10device_ptrIiEEEESD_SD_SD_jNS0_19identity_decomposerENS1_16block_id_wrapperIjLb0EEEEE10hipError_tT1_PNSt15iterator_traitsISI_E10value_typeET2_T3_PNSJ_ISO_E10value_typeET4_T5_PST_SU_PNS1_23onesweep_lookback_stateEbbT6_jjT7_P12ihipStream_tbENKUlT_T0_SI_SN_E_clIPiSD_S15_SD_EEDaS11_S12_SI_SN_EUlS11_E_NS1_11comp_targetILNS1_3genE10ELNS1_11target_archE1201ELNS1_3gpuE5ELNS1_3repE0EEENS1_47radix_sort_onesweep_sort_config_static_selectorELNS0_4arch9wavefront6targetE1EEEvSI_,comdat
	.protected	_ZN7rocprim17ROCPRIM_400000_NS6detail17trampoline_kernelINS0_14default_configENS1_35radix_sort_onesweep_config_selectorIiiEEZZNS1_29radix_sort_onesweep_iterationIS3_Lb0EN6thrust23THRUST_200600_302600_NS6detail15normal_iteratorINS8_10device_ptrIiEEEESD_SD_SD_jNS0_19identity_decomposerENS1_16block_id_wrapperIjLb0EEEEE10hipError_tT1_PNSt15iterator_traitsISI_E10value_typeET2_T3_PNSJ_ISO_E10value_typeET4_T5_PST_SU_PNS1_23onesweep_lookback_stateEbbT6_jjT7_P12ihipStream_tbENKUlT_T0_SI_SN_E_clIPiSD_S15_SD_EEDaS11_S12_SI_SN_EUlS11_E_NS1_11comp_targetILNS1_3genE10ELNS1_11target_archE1201ELNS1_3gpuE5ELNS1_3repE0EEENS1_47radix_sort_onesweep_sort_config_static_selectorELNS0_4arch9wavefront6targetE1EEEvSI_ ; -- Begin function _ZN7rocprim17ROCPRIM_400000_NS6detail17trampoline_kernelINS0_14default_configENS1_35radix_sort_onesweep_config_selectorIiiEEZZNS1_29radix_sort_onesweep_iterationIS3_Lb0EN6thrust23THRUST_200600_302600_NS6detail15normal_iteratorINS8_10device_ptrIiEEEESD_SD_SD_jNS0_19identity_decomposerENS1_16block_id_wrapperIjLb0EEEEE10hipError_tT1_PNSt15iterator_traitsISI_E10value_typeET2_T3_PNSJ_ISO_E10value_typeET4_T5_PST_SU_PNS1_23onesweep_lookback_stateEbbT6_jjT7_P12ihipStream_tbENKUlT_T0_SI_SN_E_clIPiSD_S15_SD_EEDaS11_S12_SI_SN_EUlS11_E_NS1_11comp_targetILNS1_3genE10ELNS1_11target_archE1201ELNS1_3gpuE5ELNS1_3repE0EEENS1_47radix_sort_onesweep_sort_config_static_selectorELNS0_4arch9wavefront6targetE1EEEvSI_
	.globl	_ZN7rocprim17ROCPRIM_400000_NS6detail17trampoline_kernelINS0_14default_configENS1_35radix_sort_onesweep_config_selectorIiiEEZZNS1_29radix_sort_onesweep_iterationIS3_Lb0EN6thrust23THRUST_200600_302600_NS6detail15normal_iteratorINS8_10device_ptrIiEEEESD_SD_SD_jNS0_19identity_decomposerENS1_16block_id_wrapperIjLb0EEEEE10hipError_tT1_PNSt15iterator_traitsISI_E10value_typeET2_T3_PNSJ_ISO_E10value_typeET4_T5_PST_SU_PNS1_23onesweep_lookback_stateEbbT6_jjT7_P12ihipStream_tbENKUlT_T0_SI_SN_E_clIPiSD_S15_SD_EEDaS11_S12_SI_SN_EUlS11_E_NS1_11comp_targetILNS1_3genE10ELNS1_11target_archE1201ELNS1_3gpuE5ELNS1_3repE0EEENS1_47radix_sort_onesweep_sort_config_static_selectorELNS0_4arch9wavefront6targetE1EEEvSI_
	.p2align	8
	.type	_ZN7rocprim17ROCPRIM_400000_NS6detail17trampoline_kernelINS0_14default_configENS1_35radix_sort_onesweep_config_selectorIiiEEZZNS1_29radix_sort_onesweep_iterationIS3_Lb0EN6thrust23THRUST_200600_302600_NS6detail15normal_iteratorINS8_10device_ptrIiEEEESD_SD_SD_jNS0_19identity_decomposerENS1_16block_id_wrapperIjLb0EEEEE10hipError_tT1_PNSt15iterator_traitsISI_E10value_typeET2_T3_PNSJ_ISO_E10value_typeET4_T5_PST_SU_PNS1_23onesweep_lookback_stateEbbT6_jjT7_P12ihipStream_tbENKUlT_T0_SI_SN_E_clIPiSD_S15_SD_EEDaS11_S12_SI_SN_EUlS11_E_NS1_11comp_targetILNS1_3genE10ELNS1_11target_archE1201ELNS1_3gpuE5ELNS1_3repE0EEENS1_47radix_sort_onesweep_sort_config_static_selectorELNS0_4arch9wavefront6targetE1EEEvSI_,@function
_ZN7rocprim17ROCPRIM_400000_NS6detail17trampoline_kernelINS0_14default_configENS1_35radix_sort_onesweep_config_selectorIiiEEZZNS1_29radix_sort_onesweep_iterationIS3_Lb0EN6thrust23THRUST_200600_302600_NS6detail15normal_iteratorINS8_10device_ptrIiEEEESD_SD_SD_jNS0_19identity_decomposerENS1_16block_id_wrapperIjLb0EEEEE10hipError_tT1_PNSt15iterator_traitsISI_E10value_typeET2_T3_PNSJ_ISO_E10value_typeET4_T5_PST_SU_PNS1_23onesweep_lookback_stateEbbT6_jjT7_P12ihipStream_tbENKUlT_T0_SI_SN_E_clIPiSD_S15_SD_EEDaS11_S12_SI_SN_EUlS11_E_NS1_11comp_targetILNS1_3genE10ELNS1_11target_archE1201ELNS1_3gpuE5ELNS1_3repE0EEENS1_47radix_sort_onesweep_sort_config_static_selectorELNS0_4arch9wavefront6targetE1EEEvSI_: ; @_ZN7rocprim17ROCPRIM_400000_NS6detail17trampoline_kernelINS0_14default_configENS1_35radix_sort_onesweep_config_selectorIiiEEZZNS1_29radix_sort_onesweep_iterationIS3_Lb0EN6thrust23THRUST_200600_302600_NS6detail15normal_iteratorINS8_10device_ptrIiEEEESD_SD_SD_jNS0_19identity_decomposerENS1_16block_id_wrapperIjLb0EEEEE10hipError_tT1_PNSt15iterator_traitsISI_E10value_typeET2_T3_PNSJ_ISO_E10value_typeET4_T5_PST_SU_PNS1_23onesweep_lookback_stateEbbT6_jjT7_P12ihipStream_tbENKUlT_T0_SI_SN_E_clIPiSD_S15_SD_EEDaS11_S12_SI_SN_EUlS11_E_NS1_11comp_targetILNS1_3genE10ELNS1_11target_archE1201ELNS1_3gpuE5ELNS1_3repE0EEENS1_47radix_sort_onesweep_sort_config_static_selectorELNS0_4arch9wavefront6targetE1EEEvSI_
; %bb.0:
	.section	.rodata,"a",@progbits
	.p2align	6, 0x0
	.amdhsa_kernel _ZN7rocprim17ROCPRIM_400000_NS6detail17trampoline_kernelINS0_14default_configENS1_35radix_sort_onesweep_config_selectorIiiEEZZNS1_29radix_sort_onesweep_iterationIS3_Lb0EN6thrust23THRUST_200600_302600_NS6detail15normal_iteratorINS8_10device_ptrIiEEEESD_SD_SD_jNS0_19identity_decomposerENS1_16block_id_wrapperIjLb0EEEEE10hipError_tT1_PNSt15iterator_traitsISI_E10value_typeET2_T3_PNSJ_ISO_E10value_typeET4_T5_PST_SU_PNS1_23onesweep_lookback_stateEbbT6_jjT7_P12ihipStream_tbENKUlT_T0_SI_SN_E_clIPiSD_S15_SD_EEDaS11_S12_SI_SN_EUlS11_E_NS1_11comp_targetILNS1_3genE10ELNS1_11target_archE1201ELNS1_3gpuE5ELNS1_3repE0EEENS1_47radix_sort_onesweep_sort_config_static_selectorELNS0_4arch9wavefront6targetE1EEEvSI_
		.amdhsa_group_segment_fixed_size 0
		.amdhsa_private_segment_fixed_size 0
		.amdhsa_kernarg_size 88
		.amdhsa_user_sgpr_count 2
		.amdhsa_user_sgpr_dispatch_ptr 0
		.amdhsa_user_sgpr_queue_ptr 0
		.amdhsa_user_sgpr_kernarg_segment_ptr 1
		.amdhsa_user_sgpr_dispatch_id 0
		.amdhsa_user_sgpr_kernarg_preload_length 0
		.amdhsa_user_sgpr_kernarg_preload_offset 0
		.amdhsa_user_sgpr_private_segment_size 0
		.amdhsa_uses_dynamic_stack 0
		.amdhsa_enable_private_segment 0
		.amdhsa_system_sgpr_workgroup_id_x 1
		.amdhsa_system_sgpr_workgroup_id_y 0
		.amdhsa_system_sgpr_workgroup_id_z 0
		.amdhsa_system_sgpr_workgroup_info 0
		.amdhsa_system_vgpr_workitem_id 0
		.amdhsa_next_free_vgpr 1
		.amdhsa_next_free_sgpr 0
		.amdhsa_accum_offset 4
		.amdhsa_reserve_vcc 0
		.amdhsa_float_round_mode_32 0
		.amdhsa_float_round_mode_16_64 0
		.amdhsa_float_denorm_mode_32 3
		.amdhsa_float_denorm_mode_16_64 3
		.amdhsa_dx10_clamp 1
		.amdhsa_ieee_mode 1
		.amdhsa_fp16_overflow 0
		.amdhsa_tg_split 0
		.amdhsa_exception_fp_ieee_invalid_op 0
		.amdhsa_exception_fp_denorm_src 0
		.amdhsa_exception_fp_ieee_div_zero 0
		.amdhsa_exception_fp_ieee_overflow 0
		.amdhsa_exception_fp_ieee_underflow 0
		.amdhsa_exception_fp_ieee_inexact 0
		.amdhsa_exception_int_div_zero 0
	.end_amdhsa_kernel
	.section	.text._ZN7rocprim17ROCPRIM_400000_NS6detail17trampoline_kernelINS0_14default_configENS1_35radix_sort_onesweep_config_selectorIiiEEZZNS1_29radix_sort_onesweep_iterationIS3_Lb0EN6thrust23THRUST_200600_302600_NS6detail15normal_iteratorINS8_10device_ptrIiEEEESD_SD_SD_jNS0_19identity_decomposerENS1_16block_id_wrapperIjLb0EEEEE10hipError_tT1_PNSt15iterator_traitsISI_E10value_typeET2_T3_PNSJ_ISO_E10value_typeET4_T5_PST_SU_PNS1_23onesweep_lookback_stateEbbT6_jjT7_P12ihipStream_tbENKUlT_T0_SI_SN_E_clIPiSD_S15_SD_EEDaS11_S12_SI_SN_EUlS11_E_NS1_11comp_targetILNS1_3genE10ELNS1_11target_archE1201ELNS1_3gpuE5ELNS1_3repE0EEENS1_47radix_sort_onesweep_sort_config_static_selectorELNS0_4arch9wavefront6targetE1EEEvSI_,"axG",@progbits,_ZN7rocprim17ROCPRIM_400000_NS6detail17trampoline_kernelINS0_14default_configENS1_35radix_sort_onesweep_config_selectorIiiEEZZNS1_29radix_sort_onesweep_iterationIS3_Lb0EN6thrust23THRUST_200600_302600_NS6detail15normal_iteratorINS8_10device_ptrIiEEEESD_SD_SD_jNS0_19identity_decomposerENS1_16block_id_wrapperIjLb0EEEEE10hipError_tT1_PNSt15iterator_traitsISI_E10value_typeET2_T3_PNSJ_ISO_E10value_typeET4_T5_PST_SU_PNS1_23onesweep_lookback_stateEbbT6_jjT7_P12ihipStream_tbENKUlT_T0_SI_SN_E_clIPiSD_S15_SD_EEDaS11_S12_SI_SN_EUlS11_E_NS1_11comp_targetILNS1_3genE10ELNS1_11target_archE1201ELNS1_3gpuE5ELNS1_3repE0EEENS1_47radix_sort_onesweep_sort_config_static_selectorELNS0_4arch9wavefront6targetE1EEEvSI_,comdat
.Lfunc_end873:
	.size	_ZN7rocprim17ROCPRIM_400000_NS6detail17trampoline_kernelINS0_14default_configENS1_35radix_sort_onesweep_config_selectorIiiEEZZNS1_29radix_sort_onesweep_iterationIS3_Lb0EN6thrust23THRUST_200600_302600_NS6detail15normal_iteratorINS8_10device_ptrIiEEEESD_SD_SD_jNS0_19identity_decomposerENS1_16block_id_wrapperIjLb0EEEEE10hipError_tT1_PNSt15iterator_traitsISI_E10value_typeET2_T3_PNSJ_ISO_E10value_typeET4_T5_PST_SU_PNS1_23onesweep_lookback_stateEbbT6_jjT7_P12ihipStream_tbENKUlT_T0_SI_SN_E_clIPiSD_S15_SD_EEDaS11_S12_SI_SN_EUlS11_E_NS1_11comp_targetILNS1_3genE10ELNS1_11target_archE1201ELNS1_3gpuE5ELNS1_3repE0EEENS1_47radix_sort_onesweep_sort_config_static_selectorELNS0_4arch9wavefront6targetE1EEEvSI_, .Lfunc_end873-_ZN7rocprim17ROCPRIM_400000_NS6detail17trampoline_kernelINS0_14default_configENS1_35radix_sort_onesweep_config_selectorIiiEEZZNS1_29radix_sort_onesweep_iterationIS3_Lb0EN6thrust23THRUST_200600_302600_NS6detail15normal_iteratorINS8_10device_ptrIiEEEESD_SD_SD_jNS0_19identity_decomposerENS1_16block_id_wrapperIjLb0EEEEE10hipError_tT1_PNSt15iterator_traitsISI_E10value_typeET2_T3_PNSJ_ISO_E10value_typeET4_T5_PST_SU_PNS1_23onesweep_lookback_stateEbbT6_jjT7_P12ihipStream_tbENKUlT_T0_SI_SN_E_clIPiSD_S15_SD_EEDaS11_S12_SI_SN_EUlS11_E_NS1_11comp_targetILNS1_3genE10ELNS1_11target_archE1201ELNS1_3gpuE5ELNS1_3repE0EEENS1_47radix_sort_onesweep_sort_config_static_selectorELNS0_4arch9wavefront6targetE1EEEvSI_
                                        ; -- End function
	.set _ZN7rocprim17ROCPRIM_400000_NS6detail17trampoline_kernelINS0_14default_configENS1_35radix_sort_onesweep_config_selectorIiiEEZZNS1_29radix_sort_onesweep_iterationIS3_Lb0EN6thrust23THRUST_200600_302600_NS6detail15normal_iteratorINS8_10device_ptrIiEEEESD_SD_SD_jNS0_19identity_decomposerENS1_16block_id_wrapperIjLb0EEEEE10hipError_tT1_PNSt15iterator_traitsISI_E10value_typeET2_T3_PNSJ_ISO_E10value_typeET4_T5_PST_SU_PNS1_23onesweep_lookback_stateEbbT6_jjT7_P12ihipStream_tbENKUlT_T0_SI_SN_E_clIPiSD_S15_SD_EEDaS11_S12_SI_SN_EUlS11_E_NS1_11comp_targetILNS1_3genE10ELNS1_11target_archE1201ELNS1_3gpuE5ELNS1_3repE0EEENS1_47radix_sort_onesweep_sort_config_static_selectorELNS0_4arch9wavefront6targetE1EEEvSI_.num_vgpr, 0
	.set _ZN7rocprim17ROCPRIM_400000_NS6detail17trampoline_kernelINS0_14default_configENS1_35radix_sort_onesweep_config_selectorIiiEEZZNS1_29radix_sort_onesweep_iterationIS3_Lb0EN6thrust23THRUST_200600_302600_NS6detail15normal_iteratorINS8_10device_ptrIiEEEESD_SD_SD_jNS0_19identity_decomposerENS1_16block_id_wrapperIjLb0EEEEE10hipError_tT1_PNSt15iterator_traitsISI_E10value_typeET2_T3_PNSJ_ISO_E10value_typeET4_T5_PST_SU_PNS1_23onesweep_lookback_stateEbbT6_jjT7_P12ihipStream_tbENKUlT_T0_SI_SN_E_clIPiSD_S15_SD_EEDaS11_S12_SI_SN_EUlS11_E_NS1_11comp_targetILNS1_3genE10ELNS1_11target_archE1201ELNS1_3gpuE5ELNS1_3repE0EEENS1_47radix_sort_onesweep_sort_config_static_selectorELNS0_4arch9wavefront6targetE1EEEvSI_.num_agpr, 0
	.set _ZN7rocprim17ROCPRIM_400000_NS6detail17trampoline_kernelINS0_14default_configENS1_35radix_sort_onesweep_config_selectorIiiEEZZNS1_29radix_sort_onesweep_iterationIS3_Lb0EN6thrust23THRUST_200600_302600_NS6detail15normal_iteratorINS8_10device_ptrIiEEEESD_SD_SD_jNS0_19identity_decomposerENS1_16block_id_wrapperIjLb0EEEEE10hipError_tT1_PNSt15iterator_traitsISI_E10value_typeET2_T3_PNSJ_ISO_E10value_typeET4_T5_PST_SU_PNS1_23onesweep_lookback_stateEbbT6_jjT7_P12ihipStream_tbENKUlT_T0_SI_SN_E_clIPiSD_S15_SD_EEDaS11_S12_SI_SN_EUlS11_E_NS1_11comp_targetILNS1_3genE10ELNS1_11target_archE1201ELNS1_3gpuE5ELNS1_3repE0EEENS1_47radix_sort_onesweep_sort_config_static_selectorELNS0_4arch9wavefront6targetE1EEEvSI_.numbered_sgpr, 0
	.set _ZN7rocprim17ROCPRIM_400000_NS6detail17trampoline_kernelINS0_14default_configENS1_35radix_sort_onesweep_config_selectorIiiEEZZNS1_29radix_sort_onesweep_iterationIS3_Lb0EN6thrust23THRUST_200600_302600_NS6detail15normal_iteratorINS8_10device_ptrIiEEEESD_SD_SD_jNS0_19identity_decomposerENS1_16block_id_wrapperIjLb0EEEEE10hipError_tT1_PNSt15iterator_traitsISI_E10value_typeET2_T3_PNSJ_ISO_E10value_typeET4_T5_PST_SU_PNS1_23onesweep_lookback_stateEbbT6_jjT7_P12ihipStream_tbENKUlT_T0_SI_SN_E_clIPiSD_S15_SD_EEDaS11_S12_SI_SN_EUlS11_E_NS1_11comp_targetILNS1_3genE10ELNS1_11target_archE1201ELNS1_3gpuE5ELNS1_3repE0EEENS1_47radix_sort_onesweep_sort_config_static_selectorELNS0_4arch9wavefront6targetE1EEEvSI_.num_named_barrier, 0
	.set _ZN7rocprim17ROCPRIM_400000_NS6detail17trampoline_kernelINS0_14default_configENS1_35radix_sort_onesweep_config_selectorIiiEEZZNS1_29radix_sort_onesweep_iterationIS3_Lb0EN6thrust23THRUST_200600_302600_NS6detail15normal_iteratorINS8_10device_ptrIiEEEESD_SD_SD_jNS0_19identity_decomposerENS1_16block_id_wrapperIjLb0EEEEE10hipError_tT1_PNSt15iterator_traitsISI_E10value_typeET2_T3_PNSJ_ISO_E10value_typeET4_T5_PST_SU_PNS1_23onesweep_lookback_stateEbbT6_jjT7_P12ihipStream_tbENKUlT_T0_SI_SN_E_clIPiSD_S15_SD_EEDaS11_S12_SI_SN_EUlS11_E_NS1_11comp_targetILNS1_3genE10ELNS1_11target_archE1201ELNS1_3gpuE5ELNS1_3repE0EEENS1_47radix_sort_onesweep_sort_config_static_selectorELNS0_4arch9wavefront6targetE1EEEvSI_.private_seg_size, 0
	.set _ZN7rocprim17ROCPRIM_400000_NS6detail17trampoline_kernelINS0_14default_configENS1_35radix_sort_onesweep_config_selectorIiiEEZZNS1_29radix_sort_onesweep_iterationIS3_Lb0EN6thrust23THRUST_200600_302600_NS6detail15normal_iteratorINS8_10device_ptrIiEEEESD_SD_SD_jNS0_19identity_decomposerENS1_16block_id_wrapperIjLb0EEEEE10hipError_tT1_PNSt15iterator_traitsISI_E10value_typeET2_T3_PNSJ_ISO_E10value_typeET4_T5_PST_SU_PNS1_23onesweep_lookback_stateEbbT6_jjT7_P12ihipStream_tbENKUlT_T0_SI_SN_E_clIPiSD_S15_SD_EEDaS11_S12_SI_SN_EUlS11_E_NS1_11comp_targetILNS1_3genE10ELNS1_11target_archE1201ELNS1_3gpuE5ELNS1_3repE0EEENS1_47radix_sort_onesweep_sort_config_static_selectorELNS0_4arch9wavefront6targetE1EEEvSI_.uses_vcc, 0
	.set _ZN7rocprim17ROCPRIM_400000_NS6detail17trampoline_kernelINS0_14default_configENS1_35radix_sort_onesweep_config_selectorIiiEEZZNS1_29radix_sort_onesweep_iterationIS3_Lb0EN6thrust23THRUST_200600_302600_NS6detail15normal_iteratorINS8_10device_ptrIiEEEESD_SD_SD_jNS0_19identity_decomposerENS1_16block_id_wrapperIjLb0EEEEE10hipError_tT1_PNSt15iterator_traitsISI_E10value_typeET2_T3_PNSJ_ISO_E10value_typeET4_T5_PST_SU_PNS1_23onesweep_lookback_stateEbbT6_jjT7_P12ihipStream_tbENKUlT_T0_SI_SN_E_clIPiSD_S15_SD_EEDaS11_S12_SI_SN_EUlS11_E_NS1_11comp_targetILNS1_3genE10ELNS1_11target_archE1201ELNS1_3gpuE5ELNS1_3repE0EEENS1_47radix_sort_onesweep_sort_config_static_selectorELNS0_4arch9wavefront6targetE1EEEvSI_.uses_flat_scratch, 0
	.set _ZN7rocprim17ROCPRIM_400000_NS6detail17trampoline_kernelINS0_14default_configENS1_35radix_sort_onesweep_config_selectorIiiEEZZNS1_29radix_sort_onesweep_iterationIS3_Lb0EN6thrust23THRUST_200600_302600_NS6detail15normal_iteratorINS8_10device_ptrIiEEEESD_SD_SD_jNS0_19identity_decomposerENS1_16block_id_wrapperIjLb0EEEEE10hipError_tT1_PNSt15iterator_traitsISI_E10value_typeET2_T3_PNSJ_ISO_E10value_typeET4_T5_PST_SU_PNS1_23onesweep_lookback_stateEbbT6_jjT7_P12ihipStream_tbENKUlT_T0_SI_SN_E_clIPiSD_S15_SD_EEDaS11_S12_SI_SN_EUlS11_E_NS1_11comp_targetILNS1_3genE10ELNS1_11target_archE1201ELNS1_3gpuE5ELNS1_3repE0EEENS1_47radix_sort_onesweep_sort_config_static_selectorELNS0_4arch9wavefront6targetE1EEEvSI_.has_dyn_sized_stack, 0
	.set _ZN7rocprim17ROCPRIM_400000_NS6detail17trampoline_kernelINS0_14default_configENS1_35radix_sort_onesweep_config_selectorIiiEEZZNS1_29radix_sort_onesweep_iterationIS3_Lb0EN6thrust23THRUST_200600_302600_NS6detail15normal_iteratorINS8_10device_ptrIiEEEESD_SD_SD_jNS0_19identity_decomposerENS1_16block_id_wrapperIjLb0EEEEE10hipError_tT1_PNSt15iterator_traitsISI_E10value_typeET2_T3_PNSJ_ISO_E10value_typeET4_T5_PST_SU_PNS1_23onesweep_lookback_stateEbbT6_jjT7_P12ihipStream_tbENKUlT_T0_SI_SN_E_clIPiSD_S15_SD_EEDaS11_S12_SI_SN_EUlS11_E_NS1_11comp_targetILNS1_3genE10ELNS1_11target_archE1201ELNS1_3gpuE5ELNS1_3repE0EEENS1_47radix_sort_onesweep_sort_config_static_selectorELNS0_4arch9wavefront6targetE1EEEvSI_.has_recursion, 0
	.set _ZN7rocprim17ROCPRIM_400000_NS6detail17trampoline_kernelINS0_14default_configENS1_35radix_sort_onesweep_config_selectorIiiEEZZNS1_29radix_sort_onesweep_iterationIS3_Lb0EN6thrust23THRUST_200600_302600_NS6detail15normal_iteratorINS8_10device_ptrIiEEEESD_SD_SD_jNS0_19identity_decomposerENS1_16block_id_wrapperIjLb0EEEEE10hipError_tT1_PNSt15iterator_traitsISI_E10value_typeET2_T3_PNSJ_ISO_E10value_typeET4_T5_PST_SU_PNS1_23onesweep_lookback_stateEbbT6_jjT7_P12ihipStream_tbENKUlT_T0_SI_SN_E_clIPiSD_S15_SD_EEDaS11_S12_SI_SN_EUlS11_E_NS1_11comp_targetILNS1_3genE10ELNS1_11target_archE1201ELNS1_3gpuE5ELNS1_3repE0EEENS1_47radix_sort_onesweep_sort_config_static_selectorELNS0_4arch9wavefront6targetE1EEEvSI_.has_indirect_call, 0
	.section	.AMDGPU.csdata,"",@progbits
; Kernel info:
; codeLenInByte = 0
; TotalNumSgprs: 6
; NumVgprs: 0
; NumAgprs: 0
; TotalNumVgprs: 0
; ScratchSize: 0
; MemoryBound: 0
; FloatMode: 240
; IeeeMode: 1
; LDSByteSize: 0 bytes/workgroup (compile time only)
; SGPRBlocks: 0
; VGPRBlocks: 0
; NumSGPRsForWavesPerEU: 6
; NumVGPRsForWavesPerEU: 1
; AccumOffset: 4
; Occupancy: 8
; WaveLimiterHint : 0
; COMPUTE_PGM_RSRC2:SCRATCH_EN: 0
; COMPUTE_PGM_RSRC2:USER_SGPR: 2
; COMPUTE_PGM_RSRC2:TRAP_HANDLER: 0
; COMPUTE_PGM_RSRC2:TGID_X_EN: 1
; COMPUTE_PGM_RSRC2:TGID_Y_EN: 0
; COMPUTE_PGM_RSRC2:TGID_Z_EN: 0
; COMPUTE_PGM_RSRC2:TIDIG_COMP_CNT: 0
; COMPUTE_PGM_RSRC3_GFX90A:ACCUM_OFFSET: 0
; COMPUTE_PGM_RSRC3_GFX90A:TG_SPLIT: 0
	.section	.text._ZN7rocprim17ROCPRIM_400000_NS6detail17trampoline_kernelINS0_14default_configENS1_35radix_sort_onesweep_config_selectorIiiEEZZNS1_29radix_sort_onesweep_iterationIS3_Lb0EN6thrust23THRUST_200600_302600_NS6detail15normal_iteratorINS8_10device_ptrIiEEEESD_SD_SD_jNS0_19identity_decomposerENS1_16block_id_wrapperIjLb0EEEEE10hipError_tT1_PNSt15iterator_traitsISI_E10value_typeET2_T3_PNSJ_ISO_E10value_typeET4_T5_PST_SU_PNS1_23onesweep_lookback_stateEbbT6_jjT7_P12ihipStream_tbENKUlT_T0_SI_SN_E_clIPiSD_S15_SD_EEDaS11_S12_SI_SN_EUlS11_E_NS1_11comp_targetILNS1_3genE9ELNS1_11target_archE1100ELNS1_3gpuE3ELNS1_3repE0EEENS1_47radix_sort_onesweep_sort_config_static_selectorELNS0_4arch9wavefront6targetE1EEEvSI_,"axG",@progbits,_ZN7rocprim17ROCPRIM_400000_NS6detail17trampoline_kernelINS0_14default_configENS1_35radix_sort_onesweep_config_selectorIiiEEZZNS1_29radix_sort_onesweep_iterationIS3_Lb0EN6thrust23THRUST_200600_302600_NS6detail15normal_iteratorINS8_10device_ptrIiEEEESD_SD_SD_jNS0_19identity_decomposerENS1_16block_id_wrapperIjLb0EEEEE10hipError_tT1_PNSt15iterator_traitsISI_E10value_typeET2_T3_PNSJ_ISO_E10value_typeET4_T5_PST_SU_PNS1_23onesweep_lookback_stateEbbT6_jjT7_P12ihipStream_tbENKUlT_T0_SI_SN_E_clIPiSD_S15_SD_EEDaS11_S12_SI_SN_EUlS11_E_NS1_11comp_targetILNS1_3genE9ELNS1_11target_archE1100ELNS1_3gpuE3ELNS1_3repE0EEENS1_47radix_sort_onesweep_sort_config_static_selectorELNS0_4arch9wavefront6targetE1EEEvSI_,comdat
	.protected	_ZN7rocprim17ROCPRIM_400000_NS6detail17trampoline_kernelINS0_14default_configENS1_35radix_sort_onesweep_config_selectorIiiEEZZNS1_29radix_sort_onesweep_iterationIS3_Lb0EN6thrust23THRUST_200600_302600_NS6detail15normal_iteratorINS8_10device_ptrIiEEEESD_SD_SD_jNS0_19identity_decomposerENS1_16block_id_wrapperIjLb0EEEEE10hipError_tT1_PNSt15iterator_traitsISI_E10value_typeET2_T3_PNSJ_ISO_E10value_typeET4_T5_PST_SU_PNS1_23onesweep_lookback_stateEbbT6_jjT7_P12ihipStream_tbENKUlT_T0_SI_SN_E_clIPiSD_S15_SD_EEDaS11_S12_SI_SN_EUlS11_E_NS1_11comp_targetILNS1_3genE9ELNS1_11target_archE1100ELNS1_3gpuE3ELNS1_3repE0EEENS1_47radix_sort_onesweep_sort_config_static_selectorELNS0_4arch9wavefront6targetE1EEEvSI_ ; -- Begin function _ZN7rocprim17ROCPRIM_400000_NS6detail17trampoline_kernelINS0_14default_configENS1_35radix_sort_onesweep_config_selectorIiiEEZZNS1_29radix_sort_onesweep_iterationIS3_Lb0EN6thrust23THRUST_200600_302600_NS6detail15normal_iteratorINS8_10device_ptrIiEEEESD_SD_SD_jNS0_19identity_decomposerENS1_16block_id_wrapperIjLb0EEEEE10hipError_tT1_PNSt15iterator_traitsISI_E10value_typeET2_T3_PNSJ_ISO_E10value_typeET4_T5_PST_SU_PNS1_23onesweep_lookback_stateEbbT6_jjT7_P12ihipStream_tbENKUlT_T0_SI_SN_E_clIPiSD_S15_SD_EEDaS11_S12_SI_SN_EUlS11_E_NS1_11comp_targetILNS1_3genE9ELNS1_11target_archE1100ELNS1_3gpuE3ELNS1_3repE0EEENS1_47radix_sort_onesweep_sort_config_static_selectorELNS0_4arch9wavefront6targetE1EEEvSI_
	.globl	_ZN7rocprim17ROCPRIM_400000_NS6detail17trampoline_kernelINS0_14default_configENS1_35radix_sort_onesweep_config_selectorIiiEEZZNS1_29radix_sort_onesweep_iterationIS3_Lb0EN6thrust23THRUST_200600_302600_NS6detail15normal_iteratorINS8_10device_ptrIiEEEESD_SD_SD_jNS0_19identity_decomposerENS1_16block_id_wrapperIjLb0EEEEE10hipError_tT1_PNSt15iterator_traitsISI_E10value_typeET2_T3_PNSJ_ISO_E10value_typeET4_T5_PST_SU_PNS1_23onesweep_lookback_stateEbbT6_jjT7_P12ihipStream_tbENKUlT_T0_SI_SN_E_clIPiSD_S15_SD_EEDaS11_S12_SI_SN_EUlS11_E_NS1_11comp_targetILNS1_3genE9ELNS1_11target_archE1100ELNS1_3gpuE3ELNS1_3repE0EEENS1_47radix_sort_onesweep_sort_config_static_selectorELNS0_4arch9wavefront6targetE1EEEvSI_
	.p2align	8
	.type	_ZN7rocprim17ROCPRIM_400000_NS6detail17trampoline_kernelINS0_14default_configENS1_35radix_sort_onesweep_config_selectorIiiEEZZNS1_29radix_sort_onesweep_iterationIS3_Lb0EN6thrust23THRUST_200600_302600_NS6detail15normal_iteratorINS8_10device_ptrIiEEEESD_SD_SD_jNS0_19identity_decomposerENS1_16block_id_wrapperIjLb0EEEEE10hipError_tT1_PNSt15iterator_traitsISI_E10value_typeET2_T3_PNSJ_ISO_E10value_typeET4_T5_PST_SU_PNS1_23onesweep_lookback_stateEbbT6_jjT7_P12ihipStream_tbENKUlT_T0_SI_SN_E_clIPiSD_S15_SD_EEDaS11_S12_SI_SN_EUlS11_E_NS1_11comp_targetILNS1_3genE9ELNS1_11target_archE1100ELNS1_3gpuE3ELNS1_3repE0EEENS1_47radix_sort_onesweep_sort_config_static_selectorELNS0_4arch9wavefront6targetE1EEEvSI_,@function
_ZN7rocprim17ROCPRIM_400000_NS6detail17trampoline_kernelINS0_14default_configENS1_35radix_sort_onesweep_config_selectorIiiEEZZNS1_29radix_sort_onesweep_iterationIS3_Lb0EN6thrust23THRUST_200600_302600_NS6detail15normal_iteratorINS8_10device_ptrIiEEEESD_SD_SD_jNS0_19identity_decomposerENS1_16block_id_wrapperIjLb0EEEEE10hipError_tT1_PNSt15iterator_traitsISI_E10value_typeET2_T3_PNSJ_ISO_E10value_typeET4_T5_PST_SU_PNS1_23onesweep_lookback_stateEbbT6_jjT7_P12ihipStream_tbENKUlT_T0_SI_SN_E_clIPiSD_S15_SD_EEDaS11_S12_SI_SN_EUlS11_E_NS1_11comp_targetILNS1_3genE9ELNS1_11target_archE1100ELNS1_3gpuE3ELNS1_3repE0EEENS1_47radix_sort_onesweep_sort_config_static_selectorELNS0_4arch9wavefront6targetE1EEEvSI_: ; @_ZN7rocprim17ROCPRIM_400000_NS6detail17trampoline_kernelINS0_14default_configENS1_35radix_sort_onesweep_config_selectorIiiEEZZNS1_29radix_sort_onesweep_iterationIS3_Lb0EN6thrust23THRUST_200600_302600_NS6detail15normal_iteratorINS8_10device_ptrIiEEEESD_SD_SD_jNS0_19identity_decomposerENS1_16block_id_wrapperIjLb0EEEEE10hipError_tT1_PNSt15iterator_traitsISI_E10value_typeET2_T3_PNSJ_ISO_E10value_typeET4_T5_PST_SU_PNS1_23onesweep_lookback_stateEbbT6_jjT7_P12ihipStream_tbENKUlT_T0_SI_SN_E_clIPiSD_S15_SD_EEDaS11_S12_SI_SN_EUlS11_E_NS1_11comp_targetILNS1_3genE9ELNS1_11target_archE1100ELNS1_3gpuE3ELNS1_3repE0EEENS1_47radix_sort_onesweep_sort_config_static_selectorELNS0_4arch9wavefront6targetE1EEEvSI_
; %bb.0:
	.section	.rodata,"a",@progbits
	.p2align	6, 0x0
	.amdhsa_kernel _ZN7rocprim17ROCPRIM_400000_NS6detail17trampoline_kernelINS0_14default_configENS1_35radix_sort_onesweep_config_selectorIiiEEZZNS1_29radix_sort_onesweep_iterationIS3_Lb0EN6thrust23THRUST_200600_302600_NS6detail15normal_iteratorINS8_10device_ptrIiEEEESD_SD_SD_jNS0_19identity_decomposerENS1_16block_id_wrapperIjLb0EEEEE10hipError_tT1_PNSt15iterator_traitsISI_E10value_typeET2_T3_PNSJ_ISO_E10value_typeET4_T5_PST_SU_PNS1_23onesweep_lookback_stateEbbT6_jjT7_P12ihipStream_tbENKUlT_T0_SI_SN_E_clIPiSD_S15_SD_EEDaS11_S12_SI_SN_EUlS11_E_NS1_11comp_targetILNS1_3genE9ELNS1_11target_archE1100ELNS1_3gpuE3ELNS1_3repE0EEENS1_47radix_sort_onesweep_sort_config_static_selectorELNS0_4arch9wavefront6targetE1EEEvSI_
		.amdhsa_group_segment_fixed_size 0
		.amdhsa_private_segment_fixed_size 0
		.amdhsa_kernarg_size 88
		.amdhsa_user_sgpr_count 2
		.amdhsa_user_sgpr_dispatch_ptr 0
		.amdhsa_user_sgpr_queue_ptr 0
		.amdhsa_user_sgpr_kernarg_segment_ptr 1
		.amdhsa_user_sgpr_dispatch_id 0
		.amdhsa_user_sgpr_kernarg_preload_length 0
		.amdhsa_user_sgpr_kernarg_preload_offset 0
		.amdhsa_user_sgpr_private_segment_size 0
		.amdhsa_uses_dynamic_stack 0
		.amdhsa_enable_private_segment 0
		.amdhsa_system_sgpr_workgroup_id_x 1
		.amdhsa_system_sgpr_workgroup_id_y 0
		.amdhsa_system_sgpr_workgroup_id_z 0
		.amdhsa_system_sgpr_workgroup_info 0
		.amdhsa_system_vgpr_workitem_id 0
		.amdhsa_next_free_vgpr 1
		.amdhsa_next_free_sgpr 0
		.amdhsa_accum_offset 4
		.amdhsa_reserve_vcc 0
		.amdhsa_float_round_mode_32 0
		.amdhsa_float_round_mode_16_64 0
		.amdhsa_float_denorm_mode_32 3
		.amdhsa_float_denorm_mode_16_64 3
		.amdhsa_dx10_clamp 1
		.amdhsa_ieee_mode 1
		.amdhsa_fp16_overflow 0
		.amdhsa_tg_split 0
		.amdhsa_exception_fp_ieee_invalid_op 0
		.amdhsa_exception_fp_denorm_src 0
		.amdhsa_exception_fp_ieee_div_zero 0
		.amdhsa_exception_fp_ieee_overflow 0
		.amdhsa_exception_fp_ieee_underflow 0
		.amdhsa_exception_fp_ieee_inexact 0
		.amdhsa_exception_int_div_zero 0
	.end_amdhsa_kernel
	.section	.text._ZN7rocprim17ROCPRIM_400000_NS6detail17trampoline_kernelINS0_14default_configENS1_35radix_sort_onesweep_config_selectorIiiEEZZNS1_29radix_sort_onesweep_iterationIS3_Lb0EN6thrust23THRUST_200600_302600_NS6detail15normal_iteratorINS8_10device_ptrIiEEEESD_SD_SD_jNS0_19identity_decomposerENS1_16block_id_wrapperIjLb0EEEEE10hipError_tT1_PNSt15iterator_traitsISI_E10value_typeET2_T3_PNSJ_ISO_E10value_typeET4_T5_PST_SU_PNS1_23onesweep_lookback_stateEbbT6_jjT7_P12ihipStream_tbENKUlT_T0_SI_SN_E_clIPiSD_S15_SD_EEDaS11_S12_SI_SN_EUlS11_E_NS1_11comp_targetILNS1_3genE9ELNS1_11target_archE1100ELNS1_3gpuE3ELNS1_3repE0EEENS1_47radix_sort_onesweep_sort_config_static_selectorELNS0_4arch9wavefront6targetE1EEEvSI_,"axG",@progbits,_ZN7rocprim17ROCPRIM_400000_NS6detail17trampoline_kernelINS0_14default_configENS1_35radix_sort_onesweep_config_selectorIiiEEZZNS1_29radix_sort_onesweep_iterationIS3_Lb0EN6thrust23THRUST_200600_302600_NS6detail15normal_iteratorINS8_10device_ptrIiEEEESD_SD_SD_jNS0_19identity_decomposerENS1_16block_id_wrapperIjLb0EEEEE10hipError_tT1_PNSt15iterator_traitsISI_E10value_typeET2_T3_PNSJ_ISO_E10value_typeET4_T5_PST_SU_PNS1_23onesweep_lookback_stateEbbT6_jjT7_P12ihipStream_tbENKUlT_T0_SI_SN_E_clIPiSD_S15_SD_EEDaS11_S12_SI_SN_EUlS11_E_NS1_11comp_targetILNS1_3genE9ELNS1_11target_archE1100ELNS1_3gpuE3ELNS1_3repE0EEENS1_47radix_sort_onesweep_sort_config_static_selectorELNS0_4arch9wavefront6targetE1EEEvSI_,comdat
.Lfunc_end874:
	.size	_ZN7rocprim17ROCPRIM_400000_NS6detail17trampoline_kernelINS0_14default_configENS1_35radix_sort_onesweep_config_selectorIiiEEZZNS1_29radix_sort_onesweep_iterationIS3_Lb0EN6thrust23THRUST_200600_302600_NS6detail15normal_iteratorINS8_10device_ptrIiEEEESD_SD_SD_jNS0_19identity_decomposerENS1_16block_id_wrapperIjLb0EEEEE10hipError_tT1_PNSt15iterator_traitsISI_E10value_typeET2_T3_PNSJ_ISO_E10value_typeET4_T5_PST_SU_PNS1_23onesweep_lookback_stateEbbT6_jjT7_P12ihipStream_tbENKUlT_T0_SI_SN_E_clIPiSD_S15_SD_EEDaS11_S12_SI_SN_EUlS11_E_NS1_11comp_targetILNS1_3genE9ELNS1_11target_archE1100ELNS1_3gpuE3ELNS1_3repE0EEENS1_47radix_sort_onesweep_sort_config_static_selectorELNS0_4arch9wavefront6targetE1EEEvSI_, .Lfunc_end874-_ZN7rocprim17ROCPRIM_400000_NS6detail17trampoline_kernelINS0_14default_configENS1_35radix_sort_onesweep_config_selectorIiiEEZZNS1_29radix_sort_onesweep_iterationIS3_Lb0EN6thrust23THRUST_200600_302600_NS6detail15normal_iteratorINS8_10device_ptrIiEEEESD_SD_SD_jNS0_19identity_decomposerENS1_16block_id_wrapperIjLb0EEEEE10hipError_tT1_PNSt15iterator_traitsISI_E10value_typeET2_T3_PNSJ_ISO_E10value_typeET4_T5_PST_SU_PNS1_23onesweep_lookback_stateEbbT6_jjT7_P12ihipStream_tbENKUlT_T0_SI_SN_E_clIPiSD_S15_SD_EEDaS11_S12_SI_SN_EUlS11_E_NS1_11comp_targetILNS1_3genE9ELNS1_11target_archE1100ELNS1_3gpuE3ELNS1_3repE0EEENS1_47radix_sort_onesweep_sort_config_static_selectorELNS0_4arch9wavefront6targetE1EEEvSI_
                                        ; -- End function
	.set _ZN7rocprim17ROCPRIM_400000_NS6detail17trampoline_kernelINS0_14default_configENS1_35radix_sort_onesweep_config_selectorIiiEEZZNS1_29radix_sort_onesweep_iterationIS3_Lb0EN6thrust23THRUST_200600_302600_NS6detail15normal_iteratorINS8_10device_ptrIiEEEESD_SD_SD_jNS0_19identity_decomposerENS1_16block_id_wrapperIjLb0EEEEE10hipError_tT1_PNSt15iterator_traitsISI_E10value_typeET2_T3_PNSJ_ISO_E10value_typeET4_T5_PST_SU_PNS1_23onesweep_lookback_stateEbbT6_jjT7_P12ihipStream_tbENKUlT_T0_SI_SN_E_clIPiSD_S15_SD_EEDaS11_S12_SI_SN_EUlS11_E_NS1_11comp_targetILNS1_3genE9ELNS1_11target_archE1100ELNS1_3gpuE3ELNS1_3repE0EEENS1_47radix_sort_onesweep_sort_config_static_selectorELNS0_4arch9wavefront6targetE1EEEvSI_.num_vgpr, 0
	.set _ZN7rocprim17ROCPRIM_400000_NS6detail17trampoline_kernelINS0_14default_configENS1_35radix_sort_onesweep_config_selectorIiiEEZZNS1_29radix_sort_onesweep_iterationIS3_Lb0EN6thrust23THRUST_200600_302600_NS6detail15normal_iteratorINS8_10device_ptrIiEEEESD_SD_SD_jNS0_19identity_decomposerENS1_16block_id_wrapperIjLb0EEEEE10hipError_tT1_PNSt15iterator_traitsISI_E10value_typeET2_T3_PNSJ_ISO_E10value_typeET4_T5_PST_SU_PNS1_23onesweep_lookback_stateEbbT6_jjT7_P12ihipStream_tbENKUlT_T0_SI_SN_E_clIPiSD_S15_SD_EEDaS11_S12_SI_SN_EUlS11_E_NS1_11comp_targetILNS1_3genE9ELNS1_11target_archE1100ELNS1_3gpuE3ELNS1_3repE0EEENS1_47radix_sort_onesweep_sort_config_static_selectorELNS0_4arch9wavefront6targetE1EEEvSI_.num_agpr, 0
	.set _ZN7rocprim17ROCPRIM_400000_NS6detail17trampoline_kernelINS0_14default_configENS1_35radix_sort_onesweep_config_selectorIiiEEZZNS1_29radix_sort_onesweep_iterationIS3_Lb0EN6thrust23THRUST_200600_302600_NS6detail15normal_iteratorINS8_10device_ptrIiEEEESD_SD_SD_jNS0_19identity_decomposerENS1_16block_id_wrapperIjLb0EEEEE10hipError_tT1_PNSt15iterator_traitsISI_E10value_typeET2_T3_PNSJ_ISO_E10value_typeET4_T5_PST_SU_PNS1_23onesweep_lookback_stateEbbT6_jjT7_P12ihipStream_tbENKUlT_T0_SI_SN_E_clIPiSD_S15_SD_EEDaS11_S12_SI_SN_EUlS11_E_NS1_11comp_targetILNS1_3genE9ELNS1_11target_archE1100ELNS1_3gpuE3ELNS1_3repE0EEENS1_47radix_sort_onesweep_sort_config_static_selectorELNS0_4arch9wavefront6targetE1EEEvSI_.numbered_sgpr, 0
	.set _ZN7rocprim17ROCPRIM_400000_NS6detail17trampoline_kernelINS0_14default_configENS1_35radix_sort_onesweep_config_selectorIiiEEZZNS1_29radix_sort_onesweep_iterationIS3_Lb0EN6thrust23THRUST_200600_302600_NS6detail15normal_iteratorINS8_10device_ptrIiEEEESD_SD_SD_jNS0_19identity_decomposerENS1_16block_id_wrapperIjLb0EEEEE10hipError_tT1_PNSt15iterator_traitsISI_E10value_typeET2_T3_PNSJ_ISO_E10value_typeET4_T5_PST_SU_PNS1_23onesweep_lookback_stateEbbT6_jjT7_P12ihipStream_tbENKUlT_T0_SI_SN_E_clIPiSD_S15_SD_EEDaS11_S12_SI_SN_EUlS11_E_NS1_11comp_targetILNS1_3genE9ELNS1_11target_archE1100ELNS1_3gpuE3ELNS1_3repE0EEENS1_47radix_sort_onesweep_sort_config_static_selectorELNS0_4arch9wavefront6targetE1EEEvSI_.num_named_barrier, 0
	.set _ZN7rocprim17ROCPRIM_400000_NS6detail17trampoline_kernelINS0_14default_configENS1_35radix_sort_onesweep_config_selectorIiiEEZZNS1_29radix_sort_onesweep_iterationIS3_Lb0EN6thrust23THRUST_200600_302600_NS6detail15normal_iteratorINS8_10device_ptrIiEEEESD_SD_SD_jNS0_19identity_decomposerENS1_16block_id_wrapperIjLb0EEEEE10hipError_tT1_PNSt15iterator_traitsISI_E10value_typeET2_T3_PNSJ_ISO_E10value_typeET4_T5_PST_SU_PNS1_23onesweep_lookback_stateEbbT6_jjT7_P12ihipStream_tbENKUlT_T0_SI_SN_E_clIPiSD_S15_SD_EEDaS11_S12_SI_SN_EUlS11_E_NS1_11comp_targetILNS1_3genE9ELNS1_11target_archE1100ELNS1_3gpuE3ELNS1_3repE0EEENS1_47radix_sort_onesweep_sort_config_static_selectorELNS0_4arch9wavefront6targetE1EEEvSI_.private_seg_size, 0
	.set _ZN7rocprim17ROCPRIM_400000_NS6detail17trampoline_kernelINS0_14default_configENS1_35radix_sort_onesweep_config_selectorIiiEEZZNS1_29radix_sort_onesweep_iterationIS3_Lb0EN6thrust23THRUST_200600_302600_NS6detail15normal_iteratorINS8_10device_ptrIiEEEESD_SD_SD_jNS0_19identity_decomposerENS1_16block_id_wrapperIjLb0EEEEE10hipError_tT1_PNSt15iterator_traitsISI_E10value_typeET2_T3_PNSJ_ISO_E10value_typeET4_T5_PST_SU_PNS1_23onesweep_lookback_stateEbbT6_jjT7_P12ihipStream_tbENKUlT_T0_SI_SN_E_clIPiSD_S15_SD_EEDaS11_S12_SI_SN_EUlS11_E_NS1_11comp_targetILNS1_3genE9ELNS1_11target_archE1100ELNS1_3gpuE3ELNS1_3repE0EEENS1_47radix_sort_onesweep_sort_config_static_selectorELNS0_4arch9wavefront6targetE1EEEvSI_.uses_vcc, 0
	.set _ZN7rocprim17ROCPRIM_400000_NS6detail17trampoline_kernelINS0_14default_configENS1_35radix_sort_onesweep_config_selectorIiiEEZZNS1_29radix_sort_onesweep_iterationIS3_Lb0EN6thrust23THRUST_200600_302600_NS6detail15normal_iteratorINS8_10device_ptrIiEEEESD_SD_SD_jNS0_19identity_decomposerENS1_16block_id_wrapperIjLb0EEEEE10hipError_tT1_PNSt15iterator_traitsISI_E10value_typeET2_T3_PNSJ_ISO_E10value_typeET4_T5_PST_SU_PNS1_23onesweep_lookback_stateEbbT6_jjT7_P12ihipStream_tbENKUlT_T0_SI_SN_E_clIPiSD_S15_SD_EEDaS11_S12_SI_SN_EUlS11_E_NS1_11comp_targetILNS1_3genE9ELNS1_11target_archE1100ELNS1_3gpuE3ELNS1_3repE0EEENS1_47radix_sort_onesweep_sort_config_static_selectorELNS0_4arch9wavefront6targetE1EEEvSI_.uses_flat_scratch, 0
	.set _ZN7rocprim17ROCPRIM_400000_NS6detail17trampoline_kernelINS0_14default_configENS1_35radix_sort_onesweep_config_selectorIiiEEZZNS1_29radix_sort_onesweep_iterationIS3_Lb0EN6thrust23THRUST_200600_302600_NS6detail15normal_iteratorINS8_10device_ptrIiEEEESD_SD_SD_jNS0_19identity_decomposerENS1_16block_id_wrapperIjLb0EEEEE10hipError_tT1_PNSt15iterator_traitsISI_E10value_typeET2_T3_PNSJ_ISO_E10value_typeET4_T5_PST_SU_PNS1_23onesweep_lookback_stateEbbT6_jjT7_P12ihipStream_tbENKUlT_T0_SI_SN_E_clIPiSD_S15_SD_EEDaS11_S12_SI_SN_EUlS11_E_NS1_11comp_targetILNS1_3genE9ELNS1_11target_archE1100ELNS1_3gpuE3ELNS1_3repE0EEENS1_47radix_sort_onesweep_sort_config_static_selectorELNS0_4arch9wavefront6targetE1EEEvSI_.has_dyn_sized_stack, 0
	.set _ZN7rocprim17ROCPRIM_400000_NS6detail17trampoline_kernelINS0_14default_configENS1_35radix_sort_onesweep_config_selectorIiiEEZZNS1_29radix_sort_onesweep_iterationIS3_Lb0EN6thrust23THRUST_200600_302600_NS6detail15normal_iteratorINS8_10device_ptrIiEEEESD_SD_SD_jNS0_19identity_decomposerENS1_16block_id_wrapperIjLb0EEEEE10hipError_tT1_PNSt15iterator_traitsISI_E10value_typeET2_T3_PNSJ_ISO_E10value_typeET4_T5_PST_SU_PNS1_23onesweep_lookback_stateEbbT6_jjT7_P12ihipStream_tbENKUlT_T0_SI_SN_E_clIPiSD_S15_SD_EEDaS11_S12_SI_SN_EUlS11_E_NS1_11comp_targetILNS1_3genE9ELNS1_11target_archE1100ELNS1_3gpuE3ELNS1_3repE0EEENS1_47radix_sort_onesweep_sort_config_static_selectorELNS0_4arch9wavefront6targetE1EEEvSI_.has_recursion, 0
	.set _ZN7rocprim17ROCPRIM_400000_NS6detail17trampoline_kernelINS0_14default_configENS1_35radix_sort_onesweep_config_selectorIiiEEZZNS1_29radix_sort_onesweep_iterationIS3_Lb0EN6thrust23THRUST_200600_302600_NS6detail15normal_iteratorINS8_10device_ptrIiEEEESD_SD_SD_jNS0_19identity_decomposerENS1_16block_id_wrapperIjLb0EEEEE10hipError_tT1_PNSt15iterator_traitsISI_E10value_typeET2_T3_PNSJ_ISO_E10value_typeET4_T5_PST_SU_PNS1_23onesweep_lookback_stateEbbT6_jjT7_P12ihipStream_tbENKUlT_T0_SI_SN_E_clIPiSD_S15_SD_EEDaS11_S12_SI_SN_EUlS11_E_NS1_11comp_targetILNS1_3genE9ELNS1_11target_archE1100ELNS1_3gpuE3ELNS1_3repE0EEENS1_47radix_sort_onesweep_sort_config_static_selectorELNS0_4arch9wavefront6targetE1EEEvSI_.has_indirect_call, 0
	.section	.AMDGPU.csdata,"",@progbits
; Kernel info:
; codeLenInByte = 0
; TotalNumSgprs: 6
; NumVgprs: 0
; NumAgprs: 0
; TotalNumVgprs: 0
; ScratchSize: 0
; MemoryBound: 0
; FloatMode: 240
; IeeeMode: 1
; LDSByteSize: 0 bytes/workgroup (compile time only)
; SGPRBlocks: 0
; VGPRBlocks: 0
; NumSGPRsForWavesPerEU: 6
; NumVGPRsForWavesPerEU: 1
; AccumOffset: 4
; Occupancy: 8
; WaveLimiterHint : 0
; COMPUTE_PGM_RSRC2:SCRATCH_EN: 0
; COMPUTE_PGM_RSRC2:USER_SGPR: 2
; COMPUTE_PGM_RSRC2:TRAP_HANDLER: 0
; COMPUTE_PGM_RSRC2:TGID_X_EN: 1
; COMPUTE_PGM_RSRC2:TGID_Y_EN: 0
; COMPUTE_PGM_RSRC2:TGID_Z_EN: 0
; COMPUTE_PGM_RSRC2:TIDIG_COMP_CNT: 0
; COMPUTE_PGM_RSRC3_GFX90A:ACCUM_OFFSET: 0
; COMPUTE_PGM_RSRC3_GFX90A:TG_SPLIT: 0
	.section	.text._ZN7rocprim17ROCPRIM_400000_NS6detail17trampoline_kernelINS0_14default_configENS1_35radix_sort_onesweep_config_selectorIiiEEZZNS1_29radix_sort_onesweep_iterationIS3_Lb0EN6thrust23THRUST_200600_302600_NS6detail15normal_iteratorINS8_10device_ptrIiEEEESD_SD_SD_jNS0_19identity_decomposerENS1_16block_id_wrapperIjLb0EEEEE10hipError_tT1_PNSt15iterator_traitsISI_E10value_typeET2_T3_PNSJ_ISO_E10value_typeET4_T5_PST_SU_PNS1_23onesweep_lookback_stateEbbT6_jjT7_P12ihipStream_tbENKUlT_T0_SI_SN_E_clIPiSD_S15_SD_EEDaS11_S12_SI_SN_EUlS11_E_NS1_11comp_targetILNS1_3genE8ELNS1_11target_archE1030ELNS1_3gpuE2ELNS1_3repE0EEENS1_47radix_sort_onesweep_sort_config_static_selectorELNS0_4arch9wavefront6targetE1EEEvSI_,"axG",@progbits,_ZN7rocprim17ROCPRIM_400000_NS6detail17trampoline_kernelINS0_14default_configENS1_35radix_sort_onesweep_config_selectorIiiEEZZNS1_29radix_sort_onesweep_iterationIS3_Lb0EN6thrust23THRUST_200600_302600_NS6detail15normal_iteratorINS8_10device_ptrIiEEEESD_SD_SD_jNS0_19identity_decomposerENS1_16block_id_wrapperIjLb0EEEEE10hipError_tT1_PNSt15iterator_traitsISI_E10value_typeET2_T3_PNSJ_ISO_E10value_typeET4_T5_PST_SU_PNS1_23onesweep_lookback_stateEbbT6_jjT7_P12ihipStream_tbENKUlT_T0_SI_SN_E_clIPiSD_S15_SD_EEDaS11_S12_SI_SN_EUlS11_E_NS1_11comp_targetILNS1_3genE8ELNS1_11target_archE1030ELNS1_3gpuE2ELNS1_3repE0EEENS1_47radix_sort_onesweep_sort_config_static_selectorELNS0_4arch9wavefront6targetE1EEEvSI_,comdat
	.protected	_ZN7rocprim17ROCPRIM_400000_NS6detail17trampoline_kernelINS0_14default_configENS1_35radix_sort_onesweep_config_selectorIiiEEZZNS1_29radix_sort_onesweep_iterationIS3_Lb0EN6thrust23THRUST_200600_302600_NS6detail15normal_iteratorINS8_10device_ptrIiEEEESD_SD_SD_jNS0_19identity_decomposerENS1_16block_id_wrapperIjLb0EEEEE10hipError_tT1_PNSt15iterator_traitsISI_E10value_typeET2_T3_PNSJ_ISO_E10value_typeET4_T5_PST_SU_PNS1_23onesweep_lookback_stateEbbT6_jjT7_P12ihipStream_tbENKUlT_T0_SI_SN_E_clIPiSD_S15_SD_EEDaS11_S12_SI_SN_EUlS11_E_NS1_11comp_targetILNS1_3genE8ELNS1_11target_archE1030ELNS1_3gpuE2ELNS1_3repE0EEENS1_47radix_sort_onesweep_sort_config_static_selectorELNS0_4arch9wavefront6targetE1EEEvSI_ ; -- Begin function _ZN7rocprim17ROCPRIM_400000_NS6detail17trampoline_kernelINS0_14default_configENS1_35radix_sort_onesweep_config_selectorIiiEEZZNS1_29radix_sort_onesweep_iterationIS3_Lb0EN6thrust23THRUST_200600_302600_NS6detail15normal_iteratorINS8_10device_ptrIiEEEESD_SD_SD_jNS0_19identity_decomposerENS1_16block_id_wrapperIjLb0EEEEE10hipError_tT1_PNSt15iterator_traitsISI_E10value_typeET2_T3_PNSJ_ISO_E10value_typeET4_T5_PST_SU_PNS1_23onesweep_lookback_stateEbbT6_jjT7_P12ihipStream_tbENKUlT_T0_SI_SN_E_clIPiSD_S15_SD_EEDaS11_S12_SI_SN_EUlS11_E_NS1_11comp_targetILNS1_3genE8ELNS1_11target_archE1030ELNS1_3gpuE2ELNS1_3repE0EEENS1_47radix_sort_onesweep_sort_config_static_selectorELNS0_4arch9wavefront6targetE1EEEvSI_
	.globl	_ZN7rocprim17ROCPRIM_400000_NS6detail17trampoline_kernelINS0_14default_configENS1_35radix_sort_onesweep_config_selectorIiiEEZZNS1_29radix_sort_onesweep_iterationIS3_Lb0EN6thrust23THRUST_200600_302600_NS6detail15normal_iteratorINS8_10device_ptrIiEEEESD_SD_SD_jNS0_19identity_decomposerENS1_16block_id_wrapperIjLb0EEEEE10hipError_tT1_PNSt15iterator_traitsISI_E10value_typeET2_T3_PNSJ_ISO_E10value_typeET4_T5_PST_SU_PNS1_23onesweep_lookback_stateEbbT6_jjT7_P12ihipStream_tbENKUlT_T0_SI_SN_E_clIPiSD_S15_SD_EEDaS11_S12_SI_SN_EUlS11_E_NS1_11comp_targetILNS1_3genE8ELNS1_11target_archE1030ELNS1_3gpuE2ELNS1_3repE0EEENS1_47radix_sort_onesweep_sort_config_static_selectorELNS0_4arch9wavefront6targetE1EEEvSI_
	.p2align	8
	.type	_ZN7rocprim17ROCPRIM_400000_NS6detail17trampoline_kernelINS0_14default_configENS1_35radix_sort_onesweep_config_selectorIiiEEZZNS1_29radix_sort_onesweep_iterationIS3_Lb0EN6thrust23THRUST_200600_302600_NS6detail15normal_iteratorINS8_10device_ptrIiEEEESD_SD_SD_jNS0_19identity_decomposerENS1_16block_id_wrapperIjLb0EEEEE10hipError_tT1_PNSt15iterator_traitsISI_E10value_typeET2_T3_PNSJ_ISO_E10value_typeET4_T5_PST_SU_PNS1_23onesweep_lookback_stateEbbT6_jjT7_P12ihipStream_tbENKUlT_T0_SI_SN_E_clIPiSD_S15_SD_EEDaS11_S12_SI_SN_EUlS11_E_NS1_11comp_targetILNS1_3genE8ELNS1_11target_archE1030ELNS1_3gpuE2ELNS1_3repE0EEENS1_47radix_sort_onesweep_sort_config_static_selectorELNS0_4arch9wavefront6targetE1EEEvSI_,@function
_ZN7rocprim17ROCPRIM_400000_NS6detail17trampoline_kernelINS0_14default_configENS1_35radix_sort_onesweep_config_selectorIiiEEZZNS1_29radix_sort_onesweep_iterationIS3_Lb0EN6thrust23THRUST_200600_302600_NS6detail15normal_iteratorINS8_10device_ptrIiEEEESD_SD_SD_jNS0_19identity_decomposerENS1_16block_id_wrapperIjLb0EEEEE10hipError_tT1_PNSt15iterator_traitsISI_E10value_typeET2_T3_PNSJ_ISO_E10value_typeET4_T5_PST_SU_PNS1_23onesweep_lookback_stateEbbT6_jjT7_P12ihipStream_tbENKUlT_T0_SI_SN_E_clIPiSD_S15_SD_EEDaS11_S12_SI_SN_EUlS11_E_NS1_11comp_targetILNS1_3genE8ELNS1_11target_archE1030ELNS1_3gpuE2ELNS1_3repE0EEENS1_47radix_sort_onesweep_sort_config_static_selectorELNS0_4arch9wavefront6targetE1EEEvSI_: ; @_ZN7rocprim17ROCPRIM_400000_NS6detail17trampoline_kernelINS0_14default_configENS1_35radix_sort_onesweep_config_selectorIiiEEZZNS1_29radix_sort_onesweep_iterationIS3_Lb0EN6thrust23THRUST_200600_302600_NS6detail15normal_iteratorINS8_10device_ptrIiEEEESD_SD_SD_jNS0_19identity_decomposerENS1_16block_id_wrapperIjLb0EEEEE10hipError_tT1_PNSt15iterator_traitsISI_E10value_typeET2_T3_PNSJ_ISO_E10value_typeET4_T5_PST_SU_PNS1_23onesweep_lookback_stateEbbT6_jjT7_P12ihipStream_tbENKUlT_T0_SI_SN_E_clIPiSD_S15_SD_EEDaS11_S12_SI_SN_EUlS11_E_NS1_11comp_targetILNS1_3genE8ELNS1_11target_archE1030ELNS1_3gpuE2ELNS1_3repE0EEENS1_47radix_sort_onesweep_sort_config_static_selectorELNS0_4arch9wavefront6targetE1EEEvSI_
; %bb.0:
	.section	.rodata,"a",@progbits
	.p2align	6, 0x0
	.amdhsa_kernel _ZN7rocprim17ROCPRIM_400000_NS6detail17trampoline_kernelINS0_14default_configENS1_35radix_sort_onesweep_config_selectorIiiEEZZNS1_29radix_sort_onesweep_iterationIS3_Lb0EN6thrust23THRUST_200600_302600_NS6detail15normal_iteratorINS8_10device_ptrIiEEEESD_SD_SD_jNS0_19identity_decomposerENS1_16block_id_wrapperIjLb0EEEEE10hipError_tT1_PNSt15iterator_traitsISI_E10value_typeET2_T3_PNSJ_ISO_E10value_typeET4_T5_PST_SU_PNS1_23onesweep_lookback_stateEbbT6_jjT7_P12ihipStream_tbENKUlT_T0_SI_SN_E_clIPiSD_S15_SD_EEDaS11_S12_SI_SN_EUlS11_E_NS1_11comp_targetILNS1_3genE8ELNS1_11target_archE1030ELNS1_3gpuE2ELNS1_3repE0EEENS1_47radix_sort_onesweep_sort_config_static_selectorELNS0_4arch9wavefront6targetE1EEEvSI_
		.amdhsa_group_segment_fixed_size 0
		.amdhsa_private_segment_fixed_size 0
		.amdhsa_kernarg_size 88
		.amdhsa_user_sgpr_count 2
		.amdhsa_user_sgpr_dispatch_ptr 0
		.amdhsa_user_sgpr_queue_ptr 0
		.amdhsa_user_sgpr_kernarg_segment_ptr 1
		.amdhsa_user_sgpr_dispatch_id 0
		.amdhsa_user_sgpr_kernarg_preload_length 0
		.amdhsa_user_sgpr_kernarg_preload_offset 0
		.amdhsa_user_sgpr_private_segment_size 0
		.amdhsa_uses_dynamic_stack 0
		.amdhsa_enable_private_segment 0
		.amdhsa_system_sgpr_workgroup_id_x 1
		.amdhsa_system_sgpr_workgroup_id_y 0
		.amdhsa_system_sgpr_workgroup_id_z 0
		.amdhsa_system_sgpr_workgroup_info 0
		.amdhsa_system_vgpr_workitem_id 0
		.amdhsa_next_free_vgpr 1
		.amdhsa_next_free_sgpr 0
		.amdhsa_accum_offset 4
		.amdhsa_reserve_vcc 0
		.amdhsa_float_round_mode_32 0
		.amdhsa_float_round_mode_16_64 0
		.amdhsa_float_denorm_mode_32 3
		.amdhsa_float_denorm_mode_16_64 3
		.amdhsa_dx10_clamp 1
		.amdhsa_ieee_mode 1
		.amdhsa_fp16_overflow 0
		.amdhsa_tg_split 0
		.amdhsa_exception_fp_ieee_invalid_op 0
		.amdhsa_exception_fp_denorm_src 0
		.amdhsa_exception_fp_ieee_div_zero 0
		.amdhsa_exception_fp_ieee_overflow 0
		.amdhsa_exception_fp_ieee_underflow 0
		.amdhsa_exception_fp_ieee_inexact 0
		.amdhsa_exception_int_div_zero 0
	.end_amdhsa_kernel
	.section	.text._ZN7rocprim17ROCPRIM_400000_NS6detail17trampoline_kernelINS0_14default_configENS1_35radix_sort_onesweep_config_selectorIiiEEZZNS1_29radix_sort_onesweep_iterationIS3_Lb0EN6thrust23THRUST_200600_302600_NS6detail15normal_iteratorINS8_10device_ptrIiEEEESD_SD_SD_jNS0_19identity_decomposerENS1_16block_id_wrapperIjLb0EEEEE10hipError_tT1_PNSt15iterator_traitsISI_E10value_typeET2_T3_PNSJ_ISO_E10value_typeET4_T5_PST_SU_PNS1_23onesweep_lookback_stateEbbT6_jjT7_P12ihipStream_tbENKUlT_T0_SI_SN_E_clIPiSD_S15_SD_EEDaS11_S12_SI_SN_EUlS11_E_NS1_11comp_targetILNS1_3genE8ELNS1_11target_archE1030ELNS1_3gpuE2ELNS1_3repE0EEENS1_47radix_sort_onesweep_sort_config_static_selectorELNS0_4arch9wavefront6targetE1EEEvSI_,"axG",@progbits,_ZN7rocprim17ROCPRIM_400000_NS6detail17trampoline_kernelINS0_14default_configENS1_35radix_sort_onesweep_config_selectorIiiEEZZNS1_29radix_sort_onesweep_iterationIS3_Lb0EN6thrust23THRUST_200600_302600_NS6detail15normal_iteratorINS8_10device_ptrIiEEEESD_SD_SD_jNS0_19identity_decomposerENS1_16block_id_wrapperIjLb0EEEEE10hipError_tT1_PNSt15iterator_traitsISI_E10value_typeET2_T3_PNSJ_ISO_E10value_typeET4_T5_PST_SU_PNS1_23onesweep_lookback_stateEbbT6_jjT7_P12ihipStream_tbENKUlT_T0_SI_SN_E_clIPiSD_S15_SD_EEDaS11_S12_SI_SN_EUlS11_E_NS1_11comp_targetILNS1_3genE8ELNS1_11target_archE1030ELNS1_3gpuE2ELNS1_3repE0EEENS1_47radix_sort_onesweep_sort_config_static_selectorELNS0_4arch9wavefront6targetE1EEEvSI_,comdat
.Lfunc_end875:
	.size	_ZN7rocprim17ROCPRIM_400000_NS6detail17trampoline_kernelINS0_14default_configENS1_35radix_sort_onesweep_config_selectorIiiEEZZNS1_29radix_sort_onesweep_iterationIS3_Lb0EN6thrust23THRUST_200600_302600_NS6detail15normal_iteratorINS8_10device_ptrIiEEEESD_SD_SD_jNS0_19identity_decomposerENS1_16block_id_wrapperIjLb0EEEEE10hipError_tT1_PNSt15iterator_traitsISI_E10value_typeET2_T3_PNSJ_ISO_E10value_typeET4_T5_PST_SU_PNS1_23onesweep_lookback_stateEbbT6_jjT7_P12ihipStream_tbENKUlT_T0_SI_SN_E_clIPiSD_S15_SD_EEDaS11_S12_SI_SN_EUlS11_E_NS1_11comp_targetILNS1_3genE8ELNS1_11target_archE1030ELNS1_3gpuE2ELNS1_3repE0EEENS1_47radix_sort_onesweep_sort_config_static_selectorELNS0_4arch9wavefront6targetE1EEEvSI_, .Lfunc_end875-_ZN7rocprim17ROCPRIM_400000_NS6detail17trampoline_kernelINS0_14default_configENS1_35radix_sort_onesweep_config_selectorIiiEEZZNS1_29radix_sort_onesweep_iterationIS3_Lb0EN6thrust23THRUST_200600_302600_NS6detail15normal_iteratorINS8_10device_ptrIiEEEESD_SD_SD_jNS0_19identity_decomposerENS1_16block_id_wrapperIjLb0EEEEE10hipError_tT1_PNSt15iterator_traitsISI_E10value_typeET2_T3_PNSJ_ISO_E10value_typeET4_T5_PST_SU_PNS1_23onesweep_lookback_stateEbbT6_jjT7_P12ihipStream_tbENKUlT_T0_SI_SN_E_clIPiSD_S15_SD_EEDaS11_S12_SI_SN_EUlS11_E_NS1_11comp_targetILNS1_3genE8ELNS1_11target_archE1030ELNS1_3gpuE2ELNS1_3repE0EEENS1_47radix_sort_onesweep_sort_config_static_selectorELNS0_4arch9wavefront6targetE1EEEvSI_
                                        ; -- End function
	.set _ZN7rocprim17ROCPRIM_400000_NS6detail17trampoline_kernelINS0_14default_configENS1_35radix_sort_onesweep_config_selectorIiiEEZZNS1_29radix_sort_onesweep_iterationIS3_Lb0EN6thrust23THRUST_200600_302600_NS6detail15normal_iteratorINS8_10device_ptrIiEEEESD_SD_SD_jNS0_19identity_decomposerENS1_16block_id_wrapperIjLb0EEEEE10hipError_tT1_PNSt15iterator_traitsISI_E10value_typeET2_T3_PNSJ_ISO_E10value_typeET4_T5_PST_SU_PNS1_23onesweep_lookback_stateEbbT6_jjT7_P12ihipStream_tbENKUlT_T0_SI_SN_E_clIPiSD_S15_SD_EEDaS11_S12_SI_SN_EUlS11_E_NS1_11comp_targetILNS1_3genE8ELNS1_11target_archE1030ELNS1_3gpuE2ELNS1_3repE0EEENS1_47radix_sort_onesweep_sort_config_static_selectorELNS0_4arch9wavefront6targetE1EEEvSI_.num_vgpr, 0
	.set _ZN7rocprim17ROCPRIM_400000_NS6detail17trampoline_kernelINS0_14default_configENS1_35radix_sort_onesweep_config_selectorIiiEEZZNS1_29radix_sort_onesweep_iterationIS3_Lb0EN6thrust23THRUST_200600_302600_NS6detail15normal_iteratorINS8_10device_ptrIiEEEESD_SD_SD_jNS0_19identity_decomposerENS1_16block_id_wrapperIjLb0EEEEE10hipError_tT1_PNSt15iterator_traitsISI_E10value_typeET2_T3_PNSJ_ISO_E10value_typeET4_T5_PST_SU_PNS1_23onesweep_lookback_stateEbbT6_jjT7_P12ihipStream_tbENKUlT_T0_SI_SN_E_clIPiSD_S15_SD_EEDaS11_S12_SI_SN_EUlS11_E_NS1_11comp_targetILNS1_3genE8ELNS1_11target_archE1030ELNS1_3gpuE2ELNS1_3repE0EEENS1_47radix_sort_onesweep_sort_config_static_selectorELNS0_4arch9wavefront6targetE1EEEvSI_.num_agpr, 0
	.set _ZN7rocprim17ROCPRIM_400000_NS6detail17trampoline_kernelINS0_14default_configENS1_35radix_sort_onesweep_config_selectorIiiEEZZNS1_29radix_sort_onesweep_iterationIS3_Lb0EN6thrust23THRUST_200600_302600_NS6detail15normal_iteratorINS8_10device_ptrIiEEEESD_SD_SD_jNS0_19identity_decomposerENS1_16block_id_wrapperIjLb0EEEEE10hipError_tT1_PNSt15iterator_traitsISI_E10value_typeET2_T3_PNSJ_ISO_E10value_typeET4_T5_PST_SU_PNS1_23onesweep_lookback_stateEbbT6_jjT7_P12ihipStream_tbENKUlT_T0_SI_SN_E_clIPiSD_S15_SD_EEDaS11_S12_SI_SN_EUlS11_E_NS1_11comp_targetILNS1_3genE8ELNS1_11target_archE1030ELNS1_3gpuE2ELNS1_3repE0EEENS1_47radix_sort_onesweep_sort_config_static_selectorELNS0_4arch9wavefront6targetE1EEEvSI_.numbered_sgpr, 0
	.set _ZN7rocprim17ROCPRIM_400000_NS6detail17trampoline_kernelINS0_14default_configENS1_35radix_sort_onesweep_config_selectorIiiEEZZNS1_29radix_sort_onesweep_iterationIS3_Lb0EN6thrust23THRUST_200600_302600_NS6detail15normal_iteratorINS8_10device_ptrIiEEEESD_SD_SD_jNS0_19identity_decomposerENS1_16block_id_wrapperIjLb0EEEEE10hipError_tT1_PNSt15iterator_traitsISI_E10value_typeET2_T3_PNSJ_ISO_E10value_typeET4_T5_PST_SU_PNS1_23onesweep_lookback_stateEbbT6_jjT7_P12ihipStream_tbENKUlT_T0_SI_SN_E_clIPiSD_S15_SD_EEDaS11_S12_SI_SN_EUlS11_E_NS1_11comp_targetILNS1_3genE8ELNS1_11target_archE1030ELNS1_3gpuE2ELNS1_3repE0EEENS1_47radix_sort_onesweep_sort_config_static_selectorELNS0_4arch9wavefront6targetE1EEEvSI_.num_named_barrier, 0
	.set _ZN7rocprim17ROCPRIM_400000_NS6detail17trampoline_kernelINS0_14default_configENS1_35radix_sort_onesweep_config_selectorIiiEEZZNS1_29radix_sort_onesweep_iterationIS3_Lb0EN6thrust23THRUST_200600_302600_NS6detail15normal_iteratorINS8_10device_ptrIiEEEESD_SD_SD_jNS0_19identity_decomposerENS1_16block_id_wrapperIjLb0EEEEE10hipError_tT1_PNSt15iterator_traitsISI_E10value_typeET2_T3_PNSJ_ISO_E10value_typeET4_T5_PST_SU_PNS1_23onesweep_lookback_stateEbbT6_jjT7_P12ihipStream_tbENKUlT_T0_SI_SN_E_clIPiSD_S15_SD_EEDaS11_S12_SI_SN_EUlS11_E_NS1_11comp_targetILNS1_3genE8ELNS1_11target_archE1030ELNS1_3gpuE2ELNS1_3repE0EEENS1_47radix_sort_onesweep_sort_config_static_selectorELNS0_4arch9wavefront6targetE1EEEvSI_.private_seg_size, 0
	.set _ZN7rocprim17ROCPRIM_400000_NS6detail17trampoline_kernelINS0_14default_configENS1_35radix_sort_onesweep_config_selectorIiiEEZZNS1_29radix_sort_onesweep_iterationIS3_Lb0EN6thrust23THRUST_200600_302600_NS6detail15normal_iteratorINS8_10device_ptrIiEEEESD_SD_SD_jNS0_19identity_decomposerENS1_16block_id_wrapperIjLb0EEEEE10hipError_tT1_PNSt15iterator_traitsISI_E10value_typeET2_T3_PNSJ_ISO_E10value_typeET4_T5_PST_SU_PNS1_23onesweep_lookback_stateEbbT6_jjT7_P12ihipStream_tbENKUlT_T0_SI_SN_E_clIPiSD_S15_SD_EEDaS11_S12_SI_SN_EUlS11_E_NS1_11comp_targetILNS1_3genE8ELNS1_11target_archE1030ELNS1_3gpuE2ELNS1_3repE0EEENS1_47radix_sort_onesweep_sort_config_static_selectorELNS0_4arch9wavefront6targetE1EEEvSI_.uses_vcc, 0
	.set _ZN7rocprim17ROCPRIM_400000_NS6detail17trampoline_kernelINS0_14default_configENS1_35radix_sort_onesweep_config_selectorIiiEEZZNS1_29radix_sort_onesweep_iterationIS3_Lb0EN6thrust23THRUST_200600_302600_NS6detail15normal_iteratorINS8_10device_ptrIiEEEESD_SD_SD_jNS0_19identity_decomposerENS1_16block_id_wrapperIjLb0EEEEE10hipError_tT1_PNSt15iterator_traitsISI_E10value_typeET2_T3_PNSJ_ISO_E10value_typeET4_T5_PST_SU_PNS1_23onesweep_lookback_stateEbbT6_jjT7_P12ihipStream_tbENKUlT_T0_SI_SN_E_clIPiSD_S15_SD_EEDaS11_S12_SI_SN_EUlS11_E_NS1_11comp_targetILNS1_3genE8ELNS1_11target_archE1030ELNS1_3gpuE2ELNS1_3repE0EEENS1_47radix_sort_onesweep_sort_config_static_selectorELNS0_4arch9wavefront6targetE1EEEvSI_.uses_flat_scratch, 0
	.set _ZN7rocprim17ROCPRIM_400000_NS6detail17trampoline_kernelINS0_14default_configENS1_35radix_sort_onesweep_config_selectorIiiEEZZNS1_29radix_sort_onesweep_iterationIS3_Lb0EN6thrust23THRUST_200600_302600_NS6detail15normal_iteratorINS8_10device_ptrIiEEEESD_SD_SD_jNS0_19identity_decomposerENS1_16block_id_wrapperIjLb0EEEEE10hipError_tT1_PNSt15iterator_traitsISI_E10value_typeET2_T3_PNSJ_ISO_E10value_typeET4_T5_PST_SU_PNS1_23onesweep_lookback_stateEbbT6_jjT7_P12ihipStream_tbENKUlT_T0_SI_SN_E_clIPiSD_S15_SD_EEDaS11_S12_SI_SN_EUlS11_E_NS1_11comp_targetILNS1_3genE8ELNS1_11target_archE1030ELNS1_3gpuE2ELNS1_3repE0EEENS1_47radix_sort_onesweep_sort_config_static_selectorELNS0_4arch9wavefront6targetE1EEEvSI_.has_dyn_sized_stack, 0
	.set _ZN7rocprim17ROCPRIM_400000_NS6detail17trampoline_kernelINS0_14default_configENS1_35radix_sort_onesweep_config_selectorIiiEEZZNS1_29radix_sort_onesweep_iterationIS3_Lb0EN6thrust23THRUST_200600_302600_NS6detail15normal_iteratorINS8_10device_ptrIiEEEESD_SD_SD_jNS0_19identity_decomposerENS1_16block_id_wrapperIjLb0EEEEE10hipError_tT1_PNSt15iterator_traitsISI_E10value_typeET2_T3_PNSJ_ISO_E10value_typeET4_T5_PST_SU_PNS1_23onesweep_lookback_stateEbbT6_jjT7_P12ihipStream_tbENKUlT_T0_SI_SN_E_clIPiSD_S15_SD_EEDaS11_S12_SI_SN_EUlS11_E_NS1_11comp_targetILNS1_3genE8ELNS1_11target_archE1030ELNS1_3gpuE2ELNS1_3repE0EEENS1_47radix_sort_onesweep_sort_config_static_selectorELNS0_4arch9wavefront6targetE1EEEvSI_.has_recursion, 0
	.set _ZN7rocprim17ROCPRIM_400000_NS6detail17trampoline_kernelINS0_14default_configENS1_35radix_sort_onesweep_config_selectorIiiEEZZNS1_29radix_sort_onesweep_iterationIS3_Lb0EN6thrust23THRUST_200600_302600_NS6detail15normal_iteratorINS8_10device_ptrIiEEEESD_SD_SD_jNS0_19identity_decomposerENS1_16block_id_wrapperIjLb0EEEEE10hipError_tT1_PNSt15iterator_traitsISI_E10value_typeET2_T3_PNSJ_ISO_E10value_typeET4_T5_PST_SU_PNS1_23onesweep_lookback_stateEbbT6_jjT7_P12ihipStream_tbENKUlT_T0_SI_SN_E_clIPiSD_S15_SD_EEDaS11_S12_SI_SN_EUlS11_E_NS1_11comp_targetILNS1_3genE8ELNS1_11target_archE1030ELNS1_3gpuE2ELNS1_3repE0EEENS1_47radix_sort_onesweep_sort_config_static_selectorELNS0_4arch9wavefront6targetE1EEEvSI_.has_indirect_call, 0
	.section	.AMDGPU.csdata,"",@progbits
; Kernel info:
; codeLenInByte = 0
; TotalNumSgprs: 6
; NumVgprs: 0
; NumAgprs: 0
; TotalNumVgprs: 0
; ScratchSize: 0
; MemoryBound: 0
; FloatMode: 240
; IeeeMode: 1
; LDSByteSize: 0 bytes/workgroup (compile time only)
; SGPRBlocks: 0
; VGPRBlocks: 0
; NumSGPRsForWavesPerEU: 6
; NumVGPRsForWavesPerEU: 1
; AccumOffset: 4
; Occupancy: 8
; WaveLimiterHint : 0
; COMPUTE_PGM_RSRC2:SCRATCH_EN: 0
; COMPUTE_PGM_RSRC2:USER_SGPR: 2
; COMPUTE_PGM_RSRC2:TRAP_HANDLER: 0
; COMPUTE_PGM_RSRC2:TGID_X_EN: 1
; COMPUTE_PGM_RSRC2:TGID_Y_EN: 0
; COMPUTE_PGM_RSRC2:TGID_Z_EN: 0
; COMPUTE_PGM_RSRC2:TIDIG_COMP_CNT: 0
; COMPUTE_PGM_RSRC3_GFX90A:ACCUM_OFFSET: 0
; COMPUTE_PGM_RSRC3_GFX90A:TG_SPLIT: 0
	.section	.text._ZN7rocprim17ROCPRIM_400000_NS6detail17trampoline_kernelINS0_13kernel_configILj256ELj4ELj4294967295EEENS1_37radix_sort_block_sort_config_selectorIiiEEZNS1_21radix_sort_block_sortIS4_Lb1EN6thrust23THRUST_200600_302600_NS6detail15normal_iteratorINS9_10device_ptrIiEEEESE_SE_SE_NS0_19identity_decomposerEEE10hipError_tT1_T2_T3_T4_jRjT5_jjP12ihipStream_tbEUlT_E_NS1_11comp_targetILNS1_3genE0ELNS1_11target_archE4294967295ELNS1_3gpuE0ELNS1_3repE0EEENS1_44radix_sort_block_sort_config_static_selectorELNS0_4arch9wavefront6targetE1EEEvSH_,"axG",@progbits,_ZN7rocprim17ROCPRIM_400000_NS6detail17trampoline_kernelINS0_13kernel_configILj256ELj4ELj4294967295EEENS1_37radix_sort_block_sort_config_selectorIiiEEZNS1_21radix_sort_block_sortIS4_Lb1EN6thrust23THRUST_200600_302600_NS6detail15normal_iteratorINS9_10device_ptrIiEEEESE_SE_SE_NS0_19identity_decomposerEEE10hipError_tT1_T2_T3_T4_jRjT5_jjP12ihipStream_tbEUlT_E_NS1_11comp_targetILNS1_3genE0ELNS1_11target_archE4294967295ELNS1_3gpuE0ELNS1_3repE0EEENS1_44radix_sort_block_sort_config_static_selectorELNS0_4arch9wavefront6targetE1EEEvSH_,comdat
	.protected	_ZN7rocprim17ROCPRIM_400000_NS6detail17trampoline_kernelINS0_13kernel_configILj256ELj4ELj4294967295EEENS1_37radix_sort_block_sort_config_selectorIiiEEZNS1_21radix_sort_block_sortIS4_Lb1EN6thrust23THRUST_200600_302600_NS6detail15normal_iteratorINS9_10device_ptrIiEEEESE_SE_SE_NS0_19identity_decomposerEEE10hipError_tT1_T2_T3_T4_jRjT5_jjP12ihipStream_tbEUlT_E_NS1_11comp_targetILNS1_3genE0ELNS1_11target_archE4294967295ELNS1_3gpuE0ELNS1_3repE0EEENS1_44radix_sort_block_sort_config_static_selectorELNS0_4arch9wavefront6targetE1EEEvSH_ ; -- Begin function _ZN7rocprim17ROCPRIM_400000_NS6detail17trampoline_kernelINS0_13kernel_configILj256ELj4ELj4294967295EEENS1_37radix_sort_block_sort_config_selectorIiiEEZNS1_21radix_sort_block_sortIS4_Lb1EN6thrust23THRUST_200600_302600_NS6detail15normal_iteratorINS9_10device_ptrIiEEEESE_SE_SE_NS0_19identity_decomposerEEE10hipError_tT1_T2_T3_T4_jRjT5_jjP12ihipStream_tbEUlT_E_NS1_11comp_targetILNS1_3genE0ELNS1_11target_archE4294967295ELNS1_3gpuE0ELNS1_3repE0EEENS1_44radix_sort_block_sort_config_static_selectorELNS0_4arch9wavefront6targetE1EEEvSH_
	.globl	_ZN7rocprim17ROCPRIM_400000_NS6detail17trampoline_kernelINS0_13kernel_configILj256ELj4ELj4294967295EEENS1_37radix_sort_block_sort_config_selectorIiiEEZNS1_21radix_sort_block_sortIS4_Lb1EN6thrust23THRUST_200600_302600_NS6detail15normal_iteratorINS9_10device_ptrIiEEEESE_SE_SE_NS0_19identity_decomposerEEE10hipError_tT1_T2_T3_T4_jRjT5_jjP12ihipStream_tbEUlT_E_NS1_11comp_targetILNS1_3genE0ELNS1_11target_archE4294967295ELNS1_3gpuE0ELNS1_3repE0EEENS1_44radix_sort_block_sort_config_static_selectorELNS0_4arch9wavefront6targetE1EEEvSH_
	.p2align	8
	.type	_ZN7rocprim17ROCPRIM_400000_NS6detail17trampoline_kernelINS0_13kernel_configILj256ELj4ELj4294967295EEENS1_37radix_sort_block_sort_config_selectorIiiEEZNS1_21radix_sort_block_sortIS4_Lb1EN6thrust23THRUST_200600_302600_NS6detail15normal_iteratorINS9_10device_ptrIiEEEESE_SE_SE_NS0_19identity_decomposerEEE10hipError_tT1_T2_T3_T4_jRjT5_jjP12ihipStream_tbEUlT_E_NS1_11comp_targetILNS1_3genE0ELNS1_11target_archE4294967295ELNS1_3gpuE0ELNS1_3repE0EEENS1_44radix_sort_block_sort_config_static_selectorELNS0_4arch9wavefront6targetE1EEEvSH_,@function
_ZN7rocprim17ROCPRIM_400000_NS6detail17trampoline_kernelINS0_13kernel_configILj256ELj4ELj4294967295EEENS1_37radix_sort_block_sort_config_selectorIiiEEZNS1_21radix_sort_block_sortIS4_Lb1EN6thrust23THRUST_200600_302600_NS6detail15normal_iteratorINS9_10device_ptrIiEEEESE_SE_SE_NS0_19identity_decomposerEEE10hipError_tT1_T2_T3_T4_jRjT5_jjP12ihipStream_tbEUlT_E_NS1_11comp_targetILNS1_3genE0ELNS1_11target_archE4294967295ELNS1_3gpuE0ELNS1_3repE0EEENS1_44radix_sort_block_sort_config_static_selectorELNS0_4arch9wavefront6targetE1EEEvSH_: ; @_ZN7rocprim17ROCPRIM_400000_NS6detail17trampoline_kernelINS0_13kernel_configILj256ELj4ELj4294967295EEENS1_37radix_sort_block_sort_config_selectorIiiEEZNS1_21radix_sort_block_sortIS4_Lb1EN6thrust23THRUST_200600_302600_NS6detail15normal_iteratorINS9_10device_ptrIiEEEESE_SE_SE_NS0_19identity_decomposerEEE10hipError_tT1_T2_T3_T4_jRjT5_jjP12ihipStream_tbEUlT_E_NS1_11comp_targetILNS1_3genE0ELNS1_11target_archE4294967295ELNS1_3gpuE0ELNS1_3repE0EEENS1_44radix_sort_block_sort_config_static_selectorELNS0_4arch9wavefront6targetE1EEEvSH_
; %bb.0:
	s_load_dword s8, s[0:1], 0x20
	s_load_dwordx8 s[36:43], s[0:1], 0x0
	s_lshl_b32 s4, s2, 10
	s_mov_b32 s5, 0
	v_mbcnt_lo_u32_b32 v1, -1, 0
	s_waitcnt lgkmcnt(0)
	s_lshr_b32 s3, s8, 10
	s_cmp_lg_u32 s2, s3
	v_and_b32_e32 v10, 0x3ff, v0
	s_cselect_b64 s[30:31], -1, 0
	s_lshl_b64 s[28:29], s[4:5], 2
	v_mbcnt_hi_u32_b32 v16, -1, v1
	s_add_u32 s6, s36, s28
	v_and_b32_e32 v1, 63, v16
	v_lshlrev_b32_e32 v8, 2, v10
	s_addc_u32 s7, s37, s29
	v_and_b32_e32 v9, 0x300, v8
	v_mov_b32_e32 v13, 0
	v_lshlrev_b32_e32 v12, 2, v1
	v_lshl_add_u64 v[2:3], s[6:7], 0, v[12:13]
	v_lshlrev_b32_e32 v6, 2, v9
	v_mov_b32_e32 v7, v13
	s_cmp_eq_u32 s2, s3
	v_lshl_add_u64 v[14:15], v[2:3], 0, v[6:7]
	s_cbranch_scc1 .LBB876_2
; %bb.1:
	s_add_u32 s2, s40, s28
	s_addc_u32 s3, s41, s29
	v_lshl_add_u64 v[18:19], s[2:3], 0, v[12:13]
	global_load_dword v2, v[14:15], off
	global_load_dword v3, v[14:15], off offset:256
	global_load_dword v4, v[14:15], off offset:512
	;; [unrolled: 1-line block ×3, first 2 shown]
	v_lshl_add_u64 v[18:19], v[18:19], 0, v[6:7]
	global_load_dword v30, v[18:19], off
	global_load_dword v31, v[18:19], off offset:256
	global_load_dword v32, v[18:19], off offset:512
	s_mov_b64 s[6:7], -1
	s_load_dwordx2 s[34:35], s[0:1], 0x28
	s_sub_i32 s33, s8, s4
	s_cbranch_execz .LBB876_3
	s_branch .LBB876_16
.LBB876_2:
	s_mov_b64 s[6:7], 0
                                        ; implicit-def: $vgpr2_vgpr3_vgpr4_vgpr5
                                        ; implicit-def: $vgpr30_vgpr31_vgpr32_vgpr33
	s_load_dwordx2 s[34:35], s[0:1], 0x28
	s_sub_i32 s33, s8, s4
.LBB876_3:
	v_or_b32_e32 v7, v1, v9
	s_waitcnt vmcnt(6)
	v_bfrev_b32_e32 v2, 1
	v_cmp_gt_u32_e32 vcc, s33, v7
	s_waitcnt vmcnt(5)
	v_mov_b32_e32 v3, v2
	s_waitcnt vmcnt(4)
	v_mov_b32_e32 v4, v2
	;; [unrolled: 2-line block ×3, first 2 shown]
	s_and_saveexec_b64 s[2:3], vcc
	s_cbranch_execz .LBB876_5
; %bb.4:
	global_load_dword v18, v[14:15], off
	v_mov_b32_e32 v19, v2
	v_mov_b32_e32 v20, v2
	;; [unrolled: 1-line block ×3, first 2 shown]
	s_waitcnt vmcnt(0)
	v_mov_b64_e32 v[2:3], v[18:19]
	v_mov_b64_e32 v[4:5], v[20:21]
.LBB876_5:
	s_or_b64 exec, exec, s[2:3]
	v_or_b32_e32 v9, 64, v7
	v_cmp_gt_u32_e64 s[2:3], s33, v9
	s_and_saveexec_b64 s[4:5], s[2:3]
	s_cbranch_execz .LBB876_7
; %bb.6:
	global_load_dword v3, v[14:15], off offset:256
.LBB876_7:
	s_or_b64 exec, exec, s[4:5]
	v_or_b32_e32 v9, 0x80, v7
	v_cmp_gt_u32_e64 s[4:5], s33, v9
	s_and_saveexec_b64 s[6:7], s[4:5]
	s_cbranch_execz .LBB876_9
; %bb.8:
	global_load_dword v4, v[14:15], off offset:512
.LBB876_9:
	;; [unrolled: 8-line block ×3, first 2 shown]
	s_or_b64 exec, exec, s[8:9]
	s_add_u32 s8, s40, s28
	s_addc_u32 s9, s41, s29
	v_mov_b32_e32 v13, 0
	v_lshl_add_u64 v[14:15], s[8:9], 0, v[12:13]
	v_mov_b32_e32 v7, v13
	v_lshl_add_u64 v[14:15], v[14:15], 0, v[6:7]
	s_waitcnt vmcnt(2)
	v_mov_b32_e32 v30, v13
	s_waitcnt vmcnt(1)
	v_mov_b32_e32 v31, v13
	;; [unrolled: 2-line block ×3, first 2 shown]
	v_mov_b32_e32 v33, v13
	s_and_saveexec_b64 s[8:9], vcc
	s_cbranch_execnz .LBB876_55
; %bb.12:
	s_or_b64 exec, exec, s[8:9]
	s_and_saveexec_b64 s[8:9], s[2:3]
	s_cbranch_execnz .LBB876_56
.LBB876_13:
	s_or_b64 exec, exec, s[8:9]
	s_and_saveexec_b64 s[2:3], s[4:5]
	s_cbranch_execz .LBB876_15
.LBB876_14:
	global_load_dword v32, v[14:15], off offset:512
.LBB876_15:
	s_or_b64 exec, exec, s[2:3]
.LBB876_16:
	s_and_saveexec_b64 s[2:3], s[6:7]
	s_cbranch_execz .LBB876_18
; %bb.17:
	s_add_u32 s4, s40, s28
	s_addc_u32 s5, s41, s29
	v_mov_b32_e32 v13, 0
	v_lshl_add_u64 v[14:15], s[4:5], 0, v[12:13]
	v_mov_b32_e32 v7, v13
	v_lshl_add_u64 v[12:13], v[14:15], 0, v[6:7]
	global_load_dword v33, v[12:13], off offset:768
.LBB876_18:
	s_or_b64 exec, exec, s[2:3]
	s_load_dword s2, s[0:1], 0x3c
	s_waitcnt lgkmcnt(0)
	s_add_i32 s36, s35, s34
	s_getpc_b64 s[0:1]
	s_add_u32 s0, s0, _ZN7rocprim17ROCPRIM_400000_NS16block_radix_sortIiLj256ELj4EiLj1ELj1ELj0ELNS0_26block_radix_rank_algorithmE1ELNS0_18block_padding_hintE2ELNS0_4arch9wavefront6targetE1EE19radix_bits_per_passE@rel32@lo+4
	s_addc_u32 s1, s1, _ZN7rocprim17ROCPRIM_400000_NS16block_radix_sortIiLj256ELj4EiLj1ELj1ELj0ELNS0_26block_radix_rank_algorithmE1ELNS0_18block_padding_hintE2ELNS0_4arch9wavefront6targetE1EE19radix_bits_per_passE@rel32@hi+12
	s_waitcnt vmcnt(6)
	v_xor_b32_e32 v18, 0x7fffffff, v2
	s_load_dword s37, s[0:1], 0x0
	s_lshr_b32 s0, s2, 16
	v_bfe_u32 v2, v0, 10, 10
	v_bfe_u32 v0, v0, 20, 10
	s_and_b32 s1, s2, 0xffff
	v_mad_u32_u24 v0, v0, s0, v2
	s_waitcnt vmcnt(5)
	v_xor_b32_e32 v19, 0x7fffffff, v3
	v_mad_u64_u32 v[2:3], s[0:1], v0, s1, v[10:11]
	v_lshrrev_b32_e32 v0, 4, v2
	v_and_b32_e32 v11, 0xffffffc, v0
	v_and_b32_e32 v0, 15, v16
	v_cmp_eq_u32_e64 s[0:1], 0, v0
	v_cmp_lt_u32_e64 s[2:3], 1, v0
	v_cmp_lt_u32_e64 s[4:5], 3, v0
	;; [unrolled: 1-line block ×3, first 2 shown]
	v_and_b32_e32 v0, 16, v16
	v_cmp_eq_u32_e64 s[8:9], 0, v0
	v_and_b32_e32 v0, 0x3c0, v10
	v_min_u32_e32 v0, 0xc0, v0
	v_or_b32_e32 v0, 63, v0
	v_cmp_eq_u32_e64 s[12:13], v10, v0
	v_subrev_co_u32_e64 v0, s[18:19], 1, v16
	v_and_b32_e32 v2, 64, v16
	v_cmp_lt_i32_e32 vcc, v0, v2
	s_mov_b32 s26, 0
	s_mov_b32 s27, s26
	v_cndmask_b32_e32 v0, v0, v16, vcc
	v_lshlrev_b32_e32 v21, 2, v0
	v_lshrrev_b32_e32 v0, 4, v10
	v_and_b32_e32 v22, 60, v0
	v_and_b32_e32 v0, 3, v16
	s_mov_b32 s40, s26
	s_mov_b32 s41, s26
	s_waitcnt vmcnt(4)
	v_xor_b32_e32 v4, 0x7fffffff, v4
	s_waitcnt vmcnt(3)
	v_xor_b32_e32 v5, 0x7fffffff, v5
	v_lshlrev_b32_e32 v9, 2, v8
	v_cmp_lt_u32_e64 s[10:11], 31, v16
	v_cmp_gt_u32_e64 s[14:15], 4, v10
	v_cmp_lt_u32_e64 s[16:17], 63, v10
	v_cmp_eq_u32_e64 s[20:21], 0, v10
	v_mul_i32_i24_e32 v20, -12, v10
	v_cmp_eq_u32_e64 s[22:23], 0, v0
	v_cmp_lt_u32_e64 s[24:25], 1, v0
	v_add_u32_e32 v23, -4, v22
	v_lshl_add_u32 v24, v1, 2, v6
	v_mov_b64_e32 v[12:13], s[26:27]
	v_mov_b64_e32 v[14:15], s[40:41]
	v_mov_b32_e32 v17, 0
	s_branch .LBB876_20
.LBB876_19:                             ;   in Loop: Header=BB876_20 Depth=1
	s_andn2_b64 vcc, exec, s[26:27]
	s_mov_b32 s35, s40
	s_cbranch_vccz .LBB876_36
.LBB876_20:                             ; =>This Inner Loop Header: Depth=1
	v_mov_b32_e32 v28, v18
	s_waitcnt lgkmcnt(0)
	s_min_u32 s26, s37, s35
	v_mov_b32_e32 v26, v4
	s_lshl_b32 s40, -1, s26
	v_lshrrev_b32_e32 v4, s34, v28
	v_bitop3_b32 v6, v4, s40, v4 bitop3:0x30
	v_and_b32_e32 v16, 1, v6
	v_mov_b32_e32 v25, v5
	v_lshl_add_u64 v[4:5], v[16:17], 0, -1
	v_cmp_ne_u32_e32 vcc, 0, v16
	v_lshlrev_b32_e32 v7, 4, v6
	s_waitcnt vmcnt(0)
	v_mov_b64_e32 v[0:1], v[30:31]
	v_xor_b32_e32 v5, vcc_hi, v5
	v_xor_b32_e32 v4, vcc_lo, v4
	v_and_b32_e32 v16, exec_hi, v5
	v_and_b32_e32 v18, exec_lo, v4
	v_lshlrev_b32_e32 v5, 30, v6
	v_mov_b32_e32 v4, v17
	v_cmp_gt_i64_e32 vcc, 0, v[4:5]
	v_not_b32_e32 v4, v5
	v_ashrrev_i32_e32 v4, 31, v4
	v_xor_b32_e32 v5, vcc_hi, v4
	v_xor_b32_e32 v4, vcc_lo, v4
	v_and_b32_e32 v16, v16, v5
	v_and_b32_e32 v18, v18, v4
	v_lshlrev_b32_e32 v5, 29, v6
	v_mov_b32_e32 v4, v17
	v_cmp_gt_i64_e32 vcc, 0, v[4:5]
	v_not_b32_e32 v4, v5
	v_ashrrev_i32_e32 v4, 31, v4
	v_xor_b32_e32 v5, vcc_hi, v4
	v_xor_b32_e32 v4, vcc_lo, v4
	v_and_b32_e32 v16, v16, v5
	v_and_b32_e32 v18, v18, v4
	;; [unrolled: 9-line block ×7, first 2 shown]
	v_mbcnt_lo_u32_b32 v6, v4, 0
	v_mbcnt_hi_u32_b32 v18, v5, v6
	v_cmp_eq_u32_e32 vcc, 0, v18
	v_cmp_ne_u64_e64 s[26:27], 0, v[4:5]
	v_mov_b32_e32 v27, v19
	v_mov_b64_e32 v[2:3], v[32:33]
	s_and_b64 s[44:45], s[26:27], vcc
	v_add_u32_e32 v19, v11, v7
	ds_write2_b64 v9, v[12:13], v[14:15] offset0:2 offset1:3
	s_waitcnt lgkmcnt(0)
	s_barrier
	; wave barrier
	s_and_saveexec_b64 s[26:27], s[44:45]
; %bb.21:                               ;   in Loop: Header=BB876_20 Depth=1
	v_bcnt_u32_b32 v4, v4, 0
	v_bcnt_u32_b32 v4, v5, v4
	ds_write_b32 v19, v4 offset:16
; %bb.22:                               ;   in Loop: Header=BB876_20 Depth=1
	s_or_b64 exec, exec, s[26:27]
	s_not_b32 s40, s40
	v_lshrrev_b32_e32 v4, s34, v27
	v_and_b32_e32 v6, s40, v4
	v_lshlrev_b32_e32 v4, 4, v6
	v_and_b32_e32 v16, 1, v6
	v_add_u32_e32 v30, v11, v4
	v_lshl_add_u64 v[4:5], v[16:17], 0, -1
	v_cmp_ne_u32_e32 vcc, 0, v16
	; wave barrier
	s_nop 1
	v_xor_b32_e32 v5, vcc_hi, v5
	v_xor_b32_e32 v4, vcc_lo, v4
	v_and_b32_e32 v7, exec_hi, v5
	v_and_b32_e32 v16, exec_lo, v4
	v_lshlrev_b32_e32 v5, 30, v6
	v_mov_b32_e32 v4, v17
	v_cmp_gt_i64_e32 vcc, 0, v[4:5]
	v_not_b32_e32 v4, v5
	v_ashrrev_i32_e32 v4, 31, v4
	v_xor_b32_e32 v5, vcc_hi, v4
	v_xor_b32_e32 v4, vcc_lo, v4
	v_and_b32_e32 v7, v7, v5
	v_and_b32_e32 v16, v16, v4
	v_lshlrev_b32_e32 v5, 29, v6
	v_mov_b32_e32 v4, v17
	v_cmp_gt_i64_e32 vcc, 0, v[4:5]
	v_not_b32_e32 v4, v5
	v_ashrrev_i32_e32 v4, 31, v4
	v_xor_b32_e32 v5, vcc_hi, v4
	v_xor_b32_e32 v4, vcc_lo, v4
	v_and_b32_e32 v7, v7, v5
	v_and_b32_e32 v16, v16, v4
	;; [unrolled: 9-line block ×6, first 2 shown]
	v_lshlrev_b32_e32 v5, 24, v6
	v_mov_b32_e32 v4, v17
	v_cmp_gt_i64_e32 vcc, 0, v[4:5]
	v_not_b32_e32 v4, v5
	v_ashrrev_i32_e32 v4, 31, v4
	v_xor_b32_e32 v5, vcc_hi, v4
	v_xor_b32_e32 v4, vcc_lo, v4
	ds_read_b32 v29, v30 offset:16
	v_and_b32_e32 v4, v16, v4
	v_and_b32_e32 v5, v7, v5
	v_mbcnt_lo_u32_b32 v6, v4, 0
	v_mbcnt_hi_u32_b32 v31, v5, v6
	v_cmp_eq_u32_e32 vcc, 0, v31
	v_cmp_ne_u64_e64 s[26:27], 0, v[4:5]
	s_and_b64 s[44:45], s[26:27], vcc
	; wave barrier
	s_and_saveexec_b64 s[26:27], s[44:45]
	s_cbranch_execz .LBB876_24
; %bb.23:                               ;   in Loop: Header=BB876_20 Depth=1
	v_bcnt_u32_b32 v4, v4, 0
	v_bcnt_u32_b32 v4, v5, v4
	s_waitcnt lgkmcnt(0)
	v_add_u32_e32 v4, v29, v4
	ds_write_b32 v30, v4 offset:16
.LBB876_24:                             ;   in Loop: Header=BB876_20 Depth=1
	s_or_b64 exec, exec, s[26:27]
	v_lshrrev_b32_e32 v4, s34, v26
	v_and_b32_e32 v6, s40, v4
	v_lshlrev_b32_e32 v4, 4, v6
	v_and_b32_e32 v16, 1, v6
	v_add_u32_e32 v33, v11, v4
	v_lshl_add_u64 v[4:5], v[16:17], 0, -1
	v_cmp_ne_u32_e32 vcc, 0, v16
	; wave barrier
	s_nop 1
	v_xor_b32_e32 v5, vcc_hi, v5
	v_xor_b32_e32 v4, vcc_lo, v4
	v_and_b32_e32 v7, exec_hi, v5
	v_and_b32_e32 v16, exec_lo, v4
	v_lshlrev_b32_e32 v5, 30, v6
	v_mov_b32_e32 v4, v17
	v_cmp_gt_i64_e32 vcc, 0, v[4:5]
	v_not_b32_e32 v4, v5
	v_ashrrev_i32_e32 v4, 31, v4
	v_xor_b32_e32 v5, vcc_hi, v4
	v_xor_b32_e32 v4, vcc_lo, v4
	v_and_b32_e32 v7, v7, v5
	v_and_b32_e32 v16, v16, v4
	v_lshlrev_b32_e32 v5, 29, v6
	v_mov_b32_e32 v4, v17
	v_cmp_gt_i64_e32 vcc, 0, v[4:5]
	v_not_b32_e32 v4, v5
	v_ashrrev_i32_e32 v4, 31, v4
	v_xor_b32_e32 v5, vcc_hi, v4
	v_xor_b32_e32 v4, vcc_lo, v4
	v_and_b32_e32 v7, v7, v5
	v_and_b32_e32 v16, v16, v4
	v_lshlrev_b32_e32 v5, 28, v6
	v_mov_b32_e32 v4, v17
	v_cmp_gt_i64_e32 vcc, 0, v[4:5]
	v_not_b32_e32 v4, v5
	v_ashrrev_i32_e32 v4, 31, v4
	v_xor_b32_e32 v5, vcc_hi, v4
	v_xor_b32_e32 v4, vcc_lo, v4
	v_and_b32_e32 v7, v7, v5
	v_and_b32_e32 v16, v16, v4
	v_lshlrev_b32_e32 v5, 27, v6
	v_mov_b32_e32 v4, v17
	v_cmp_gt_i64_e32 vcc, 0, v[4:5]
	v_not_b32_e32 v4, v5
	v_ashrrev_i32_e32 v4, 31, v4
	v_xor_b32_e32 v5, vcc_hi, v4
	v_xor_b32_e32 v4, vcc_lo, v4
	v_and_b32_e32 v7, v7, v5
	v_and_b32_e32 v16, v16, v4
	v_lshlrev_b32_e32 v5, 26, v6
	v_mov_b32_e32 v4, v17
	v_cmp_gt_i64_e32 vcc, 0, v[4:5]
	v_not_b32_e32 v4, v5
	v_ashrrev_i32_e32 v4, 31, v4
	v_xor_b32_e32 v5, vcc_hi, v4
	v_xor_b32_e32 v4, vcc_lo, v4
	v_and_b32_e32 v7, v7, v5
	v_and_b32_e32 v16, v16, v4
	v_lshlrev_b32_e32 v5, 25, v6
	v_mov_b32_e32 v4, v17
	v_cmp_gt_i64_e32 vcc, 0, v[4:5]
	v_not_b32_e32 v4, v5
	v_ashrrev_i32_e32 v4, 31, v4
	v_xor_b32_e32 v5, vcc_hi, v4
	v_xor_b32_e32 v4, vcc_lo, v4
	v_and_b32_e32 v7, v7, v5
	v_and_b32_e32 v16, v16, v4
	v_lshlrev_b32_e32 v5, 24, v6
	v_mov_b32_e32 v4, v17
	v_cmp_gt_i64_e32 vcc, 0, v[4:5]
	v_not_b32_e32 v4, v5
	v_ashrrev_i32_e32 v4, 31, v4
	v_xor_b32_e32 v5, vcc_hi, v4
	v_xor_b32_e32 v4, vcc_lo, v4
	ds_read_b32 v32, v33 offset:16
	v_and_b32_e32 v4, v16, v4
	v_and_b32_e32 v5, v7, v5
	v_mbcnt_lo_u32_b32 v6, v4, 0
	v_mbcnt_hi_u32_b32 v34, v5, v6
	v_cmp_eq_u32_e32 vcc, 0, v34
	v_cmp_ne_u64_e64 s[26:27], 0, v[4:5]
	s_and_b64 s[44:45], s[26:27], vcc
	; wave barrier
	s_and_saveexec_b64 s[26:27], s[44:45]
	s_cbranch_execz .LBB876_26
; %bb.25:                               ;   in Loop: Header=BB876_20 Depth=1
	v_bcnt_u32_b32 v4, v4, 0
	v_bcnt_u32_b32 v4, v5, v4
	s_waitcnt lgkmcnt(0)
	v_add_u32_e32 v4, v32, v4
	ds_write_b32 v33, v4 offset:16
.LBB876_26:                             ;   in Loop: Header=BB876_20 Depth=1
	s_or_b64 exec, exec, s[26:27]
	v_lshrrev_b32_e32 v4, s34, v25
	v_and_b32_e32 v6, s40, v4
	v_lshlrev_b32_e32 v4, 4, v6
	v_and_b32_e32 v16, 1, v6
	v_add_u32_e32 v36, v11, v4
	v_lshl_add_u64 v[4:5], v[16:17], 0, -1
	v_cmp_ne_u32_e32 vcc, 0, v16
	; wave barrier
	s_nop 1
	v_xor_b32_e32 v5, vcc_hi, v5
	v_xor_b32_e32 v4, vcc_lo, v4
	v_and_b32_e32 v7, exec_hi, v5
	v_and_b32_e32 v16, exec_lo, v4
	v_lshlrev_b32_e32 v5, 30, v6
	v_mov_b32_e32 v4, v17
	v_cmp_gt_i64_e32 vcc, 0, v[4:5]
	v_not_b32_e32 v4, v5
	v_ashrrev_i32_e32 v4, 31, v4
	v_xor_b32_e32 v5, vcc_hi, v4
	v_xor_b32_e32 v4, vcc_lo, v4
	v_and_b32_e32 v7, v7, v5
	v_and_b32_e32 v16, v16, v4
	v_lshlrev_b32_e32 v5, 29, v6
	v_mov_b32_e32 v4, v17
	v_cmp_gt_i64_e32 vcc, 0, v[4:5]
	v_not_b32_e32 v4, v5
	v_ashrrev_i32_e32 v4, 31, v4
	v_xor_b32_e32 v5, vcc_hi, v4
	v_xor_b32_e32 v4, vcc_lo, v4
	v_and_b32_e32 v7, v7, v5
	v_and_b32_e32 v16, v16, v4
	;; [unrolled: 9-line block ×6, first 2 shown]
	v_lshlrev_b32_e32 v5, 24, v6
	v_mov_b32_e32 v4, v17
	v_cmp_gt_i64_e32 vcc, 0, v[4:5]
	v_not_b32_e32 v4, v5
	v_ashrrev_i32_e32 v4, 31, v4
	v_xor_b32_e32 v5, vcc_hi, v4
	v_xor_b32_e32 v4, vcc_lo, v4
	ds_read_b32 v35, v36 offset:16
	v_and_b32_e32 v4, v16, v4
	v_and_b32_e32 v5, v7, v5
	v_mbcnt_lo_u32_b32 v6, v4, 0
	v_mbcnt_hi_u32_b32 v16, v5, v6
	v_cmp_eq_u32_e32 vcc, 0, v16
	v_cmp_ne_u64_e64 s[26:27], 0, v[4:5]
	s_and_b64 s[40:41], s[26:27], vcc
	; wave barrier
	s_and_saveexec_b64 s[26:27], s[40:41]
	s_cbranch_execz .LBB876_28
; %bb.27:                               ;   in Loop: Header=BB876_20 Depth=1
	v_bcnt_u32_b32 v4, v4, 0
	v_bcnt_u32_b32 v4, v5, v4
	s_waitcnt lgkmcnt(0)
	v_add_u32_e32 v4, v35, v4
	ds_write_b32 v36, v4 offset:16
.LBB876_28:                             ;   in Loop: Header=BB876_20 Depth=1
	s_or_b64 exec, exec, s[26:27]
	; wave barrier
	s_waitcnt lgkmcnt(0)
	s_barrier
	ds_read2_b64 v[4:7], v9 offset0:2 offset1:3
	s_waitcnt lgkmcnt(0)
	v_add_u32_e32 v37, v5, v4
	v_add3_u32 v7, v37, v6, v7
	s_nop 1
	v_mov_b32_dpp v37, v7 row_shr:1 row_mask:0xf bank_mask:0xf
	v_cndmask_b32_e64 v37, v37, 0, s[0:1]
	v_add_u32_e32 v7, v37, v7
	s_nop 1
	v_mov_b32_dpp v37, v7 row_shr:2 row_mask:0xf bank_mask:0xf
	v_cndmask_b32_e64 v37, 0, v37, s[2:3]
	v_add_u32_e32 v7, v7, v37
	;; [unrolled: 4-line block ×4, first 2 shown]
	s_nop 1
	v_mov_b32_dpp v37, v7 row_bcast:15 row_mask:0xf bank_mask:0xf
	v_cndmask_b32_e64 v37, v37, 0, s[8:9]
	v_add_u32_e32 v7, v7, v37
	s_nop 1
	v_mov_b32_dpp v37, v7 row_bcast:31 row_mask:0xf bank_mask:0xf
	v_cndmask_b32_e64 v37, 0, v37, s[10:11]
	v_add_u32_e32 v7, v7, v37
	s_and_saveexec_b64 s[26:27], s[12:13]
; %bb.29:                               ;   in Loop: Header=BB876_20 Depth=1
	ds_write_b32 v22, v7
; %bb.30:                               ;   in Loop: Header=BB876_20 Depth=1
	s_or_b64 exec, exec, s[26:27]
	s_waitcnt lgkmcnt(0)
	s_barrier
	s_and_saveexec_b64 s[26:27], s[14:15]
	s_cbranch_execz .LBB876_32
; %bb.31:                               ;   in Loop: Header=BB876_20 Depth=1
	v_add_u32_e32 v37, v9, v20
	ds_read_b32 v38, v37
	s_waitcnt lgkmcnt(0)
	s_nop 0
	v_mov_b32_dpp v39, v38 row_shr:1 row_mask:0xf bank_mask:0xf
	v_cndmask_b32_e64 v39, v39, 0, s[22:23]
	v_add_u32_e32 v38, v39, v38
	s_nop 1
	v_mov_b32_dpp v39, v38 row_shr:2 row_mask:0xf bank_mask:0xf
	v_cndmask_b32_e64 v39, 0, v39, s[24:25]
	v_add_u32_e32 v38, v38, v39
	ds_write_b32 v37, v38
.LBB876_32:                             ;   in Loop: Header=BB876_20 Depth=1
	s_or_b64 exec, exec, s[26:27]
	v_mov_b32_e32 v37, 0
	s_waitcnt lgkmcnt(0)
	s_barrier
	s_and_saveexec_b64 s[26:27], s[16:17]
; %bb.33:                               ;   in Loop: Header=BB876_20 Depth=1
	ds_read_b32 v37, v23
; %bb.34:                               ;   in Loop: Header=BB876_20 Depth=1
	s_or_b64 exec, exec, s[26:27]
	s_waitcnt lgkmcnt(0)
	v_add_u32_e32 v7, v37, v7
	ds_bpermute_b32 v7, v21, v7
	s_add_i32 s34, s34, 8
	s_cmp_ge_u32 s34, s36
	s_mov_b64 s[26:27], -1
	v_readfirstlane_b32 s40, v0
	s_waitcnt lgkmcnt(0)
	v_cndmask_b32_e64 v7, v7, v37, s[18:19]
	v_cndmask_b32_e64 v38, v7, 0, s[20:21]
	v_add_u32_e32 v39, v38, v4
	v_add_u32_e32 v4, v39, v5
	;; [unrolled: 1-line block ×3, first 2 shown]
	ds_write2_b64 v9, v[38:39], v[4:5] offset0:2 offset1:3
	s_waitcnt lgkmcnt(0)
	s_barrier
	ds_read_b32 v4, v19 offset:16
	ds_read_b32 v5, v30 offset:16
	;; [unrolled: 1-line block ×4, first 2 shown]
	v_lshlrev_b32_e32 v6, 2, v18
	s_waitcnt lgkmcnt(3)
	v_lshl_add_u32 v6, v4, 2, v6
	v_lshlrev_b32_e32 v4, 2, v31
	v_lshlrev_b32_e32 v7, 2, v29
	s_waitcnt lgkmcnt(2)
	v_lshlrev_b32_e32 v5, 2, v5
	v_add3_u32 v7, v4, v7, v5
	v_lshlrev_b32_e32 v4, 2, v34
	v_lshlrev_b32_e32 v5, 2, v32
	s_waitcnt lgkmcnt(1)
	v_lshlrev_b32_e32 v18, 2, v19
	v_add3_u32 v29, v4, v5, v18
	;; [unrolled: 5-line block ×3, first 2 shown]
                                        ; implicit-def: $vgpr5
                                        ; implicit-def: $vgpr19
                                        ; implicit-def: $vgpr30_vgpr31_vgpr32_vgpr33
	s_cbranch_scc1 .LBB876_19
; %bb.35:                               ;   in Loop: Header=BB876_20 Depth=1
	s_barrier
	ds_write_b32 v6, v28
	ds_write_b32 v7, v27
	;; [unrolled: 1-line block ×4, first 2 shown]
	s_waitcnt lgkmcnt(0)
	s_barrier
	ds_read2st64_b32 v[18:19], v24 offset1:1
	ds_read2st64_b32 v[4:5], v24 offset0:2 offset1:3
	s_waitcnt lgkmcnt(0)
	s_barrier
	ds_write_b32 v6, v0
	ds_write_b32 v7, v1
	;; [unrolled: 1-line block ×4, first 2 shown]
	s_waitcnt lgkmcnt(0)
	s_barrier
	ds_read2st64_b32 v[30:31], v24 offset1:1
	ds_read2st64_b32 v[32:33], v24 offset0:2 offset1:3
	s_add_i32 s40, s35, -8
	s_mov_b64 s[26:27], 0
	s_waitcnt lgkmcnt(0)
	s_barrier
	s_branch .LBB876_19
.LBB876_36:
	v_add_u32_e32 v9, v9, v20
	s_barrier
	ds_write_b32 v6, v28
	ds_write_b32 v7, v27
	;; [unrolled: 1-line block ×4, first 2 shown]
	s_waitcnt lgkmcnt(0)
	s_barrier
	ds_read2st64_b32 v[4:5], v9 offset1:4
	ds_read2st64_b32 v[14:15], v9 offset0:8 offset1:12
	s_waitcnt lgkmcnt(0)
	s_barrier
	ds_write_b32 v6, v0
	ds_write_b32 v7, v1
	;; [unrolled: 1-line block ×4, first 2 shown]
	s_waitcnt lgkmcnt(0)
	s_barrier
	ds_read2st64_b32 v[2:3], v9 offset1:4
	ds_read2st64_b32 v[0:1], v9 offset0:8 offset1:12
	s_add_u32 s0, s38, s28
	s_addc_u32 s1, s39, s29
	v_mov_b32_e32 v9, 0
	v_xor_b32_e32 v12, 0x7fffffff, v4
	v_xor_b32_e32 v11, 0x7fffffff, v5
	v_xor_b32_e32 v7, 0x7fffffff, v14
	v_xor_b32_e32 v6, 0x7fffffff, v15
	s_andn2_b64 vcc, exec, s[30:31]
	v_lshl_add_u64 v[4:5], s[0:1], 0, v[8:9]
	s_cbranch_vccnz .LBB876_38
; %bb.37:
	s_add_u32 s0, s42, s28
	s_addc_u32 s1, s43, s29
	global_store_dword v[4:5], v12, off
	global_store_dword v[4:5], v11, off offset:1024
	global_store_dword v[4:5], v7, off offset:2048
	;; [unrolled: 1-line block ×3, first 2 shown]
	s_waitcnt lgkmcnt(1)
	global_store_dword v8, v2, s[0:1]
	global_store_dword v8, v3, s[0:1] offset:1024
	s_waitcnt lgkmcnt(0)
	global_store_dword v8, v0, s[0:1] offset:2048
	s_mov_b64 s[4:5], -1
	s_cbranch_execz .LBB876_39
	s_branch .LBB876_52
.LBB876_38:
	s_mov_b64 s[4:5], 0
.LBB876_39:
	v_cmp_gt_u32_e32 vcc, s33, v10
	s_and_saveexec_b64 s[0:1], vcc
	s_cbranch_execz .LBB876_41
; %bb.40:
	global_store_dword v[4:5], v12, off
.LBB876_41:
	s_or_b64 exec, exec, s[0:1]
	v_add_u32_e32 v9, 0x100, v10
	v_cmp_gt_u32_e64 s[0:1], s33, v9
	s_and_saveexec_b64 s[2:3], s[0:1]
	s_cbranch_execz .LBB876_43
; %bb.42:
	global_store_dword v[4:5], v11, off offset:1024
.LBB876_43:
	s_or_b64 exec, exec, s[2:3]
	v_add_u32_e32 v9, 0x200, v10
	v_cmp_gt_u32_e64 s[2:3], s33, v9
	s_and_saveexec_b64 s[4:5], s[2:3]
	s_cbranch_execz .LBB876_45
; %bb.44:
	global_store_dword v[4:5], v7, off offset:2048
.LBB876_45:
	;; [unrolled: 8-line block ×3, first 2 shown]
	s_or_b64 exec, exec, s[6:7]
	s_add_u32 s6, s42, s28
	s_addc_u32 s7, s43, s29
	v_mov_b32_e32 v9, 0
	v_lshl_add_u64 v[4:5], s[6:7], 0, v[8:9]
	s_and_saveexec_b64 s[6:7], vcc
	s_cbranch_execnz .LBB876_57
; %bb.48:
	s_or_b64 exec, exec, s[6:7]
	s_and_saveexec_b64 s[6:7], s[0:1]
	s_cbranch_execnz .LBB876_58
.LBB876_49:
	s_or_b64 exec, exec, s[6:7]
	s_and_saveexec_b64 s[0:1], s[2:3]
	s_cbranch_execz .LBB876_51
.LBB876_50:
	s_waitcnt lgkmcnt(0)
	global_store_dword v[4:5], v0, off offset:2048
.LBB876_51:
	s_or_b64 exec, exec, s[0:1]
.LBB876_52:
	s_and_saveexec_b64 s[0:1], s[4:5]
	s_cbranch_execnz .LBB876_54
; %bb.53:
	s_endpgm
.LBB876_54:
	s_add_u32 s0, s42, s28
	s_addc_u32 s1, s43, s29
	s_waitcnt lgkmcnt(0)
	global_store_dword v8, v1, s[0:1] offset:3072
	s_endpgm
.LBB876_55:
	global_load_dword v30, v[14:15], off
	v_mov_b32_e32 v31, v13
	v_mov_b32_e32 v32, v13
	;; [unrolled: 1-line block ×3, first 2 shown]
	s_or_b64 exec, exec, s[8:9]
	s_and_saveexec_b64 s[8:9], s[2:3]
	s_cbranch_execz .LBB876_13
.LBB876_56:
	global_load_dword v31, v[14:15], off offset:256
	s_or_b64 exec, exec, s[8:9]
	s_and_saveexec_b64 s[2:3], s[4:5]
	s_cbranch_execnz .LBB876_14
	s_branch .LBB876_15
.LBB876_57:
	s_waitcnt lgkmcnt(1)
	global_store_dword v[4:5], v2, off
	s_or_b64 exec, exec, s[6:7]
	s_and_saveexec_b64 s[6:7], s[0:1]
	s_cbranch_execz .LBB876_49
.LBB876_58:
	s_waitcnt lgkmcnt(1)
	global_store_dword v[4:5], v3, off offset:1024
	s_or_b64 exec, exec, s[6:7]
	s_and_saveexec_b64 s[0:1], s[2:3]
	s_cbranch_execnz .LBB876_50
	s_branch .LBB876_51
	.section	.rodata,"a",@progbits
	.p2align	6, 0x0
	.amdhsa_kernel _ZN7rocprim17ROCPRIM_400000_NS6detail17trampoline_kernelINS0_13kernel_configILj256ELj4ELj4294967295EEENS1_37radix_sort_block_sort_config_selectorIiiEEZNS1_21radix_sort_block_sortIS4_Lb1EN6thrust23THRUST_200600_302600_NS6detail15normal_iteratorINS9_10device_ptrIiEEEESE_SE_SE_NS0_19identity_decomposerEEE10hipError_tT1_T2_T3_T4_jRjT5_jjP12ihipStream_tbEUlT_E_NS1_11comp_targetILNS1_3genE0ELNS1_11target_archE4294967295ELNS1_3gpuE0ELNS1_3repE0EEENS1_44radix_sort_block_sort_config_static_selectorELNS0_4arch9wavefront6targetE1EEEvSH_
		.amdhsa_group_segment_fixed_size 4112
		.amdhsa_private_segment_fixed_size 0
		.amdhsa_kernarg_size 304
		.amdhsa_user_sgpr_count 2
		.amdhsa_user_sgpr_dispatch_ptr 0
		.amdhsa_user_sgpr_queue_ptr 0
		.amdhsa_user_sgpr_kernarg_segment_ptr 1
		.amdhsa_user_sgpr_dispatch_id 0
		.amdhsa_user_sgpr_kernarg_preload_length 0
		.amdhsa_user_sgpr_kernarg_preload_offset 0
		.amdhsa_user_sgpr_private_segment_size 0
		.amdhsa_uses_dynamic_stack 0
		.amdhsa_enable_private_segment 0
		.amdhsa_system_sgpr_workgroup_id_x 1
		.amdhsa_system_sgpr_workgroup_id_y 0
		.amdhsa_system_sgpr_workgroup_id_z 0
		.amdhsa_system_sgpr_workgroup_info 0
		.amdhsa_system_vgpr_workitem_id 2
		.amdhsa_next_free_vgpr 40
		.amdhsa_next_free_sgpr 46
		.amdhsa_accum_offset 40
		.amdhsa_reserve_vcc 1
		.amdhsa_float_round_mode_32 0
		.amdhsa_float_round_mode_16_64 0
		.amdhsa_float_denorm_mode_32 3
		.amdhsa_float_denorm_mode_16_64 3
		.amdhsa_dx10_clamp 1
		.amdhsa_ieee_mode 1
		.amdhsa_fp16_overflow 0
		.amdhsa_tg_split 0
		.amdhsa_exception_fp_ieee_invalid_op 0
		.amdhsa_exception_fp_denorm_src 0
		.amdhsa_exception_fp_ieee_div_zero 0
		.amdhsa_exception_fp_ieee_overflow 0
		.amdhsa_exception_fp_ieee_underflow 0
		.amdhsa_exception_fp_ieee_inexact 0
		.amdhsa_exception_int_div_zero 0
	.end_amdhsa_kernel
	.section	.text._ZN7rocprim17ROCPRIM_400000_NS6detail17trampoline_kernelINS0_13kernel_configILj256ELj4ELj4294967295EEENS1_37radix_sort_block_sort_config_selectorIiiEEZNS1_21radix_sort_block_sortIS4_Lb1EN6thrust23THRUST_200600_302600_NS6detail15normal_iteratorINS9_10device_ptrIiEEEESE_SE_SE_NS0_19identity_decomposerEEE10hipError_tT1_T2_T3_T4_jRjT5_jjP12ihipStream_tbEUlT_E_NS1_11comp_targetILNS1_3genE0ELNS1_11target_archE4294967295ELNS1_3gpuE0ELNS1_3repE0EEENS1_44radix_sort_block_sort_config_static_selectorELNS0_4arch9wavefront6targetE1EEEvSH_,"axG",@progbits,_ZN7rocprim17ROCPRIM_400000_NS6detail17trampoline_kernelINS0_13kernel_configILj256ELj4ELj4294967295EEENS1_37radix_sort_block_sort_config_selectorIiiEEZNS1_21radix_sort_block_sortIS4_Lb1EN6thrust23THRUST_200600_302600_NS6detail15normal_iteratorINS9_10device_ptrIiEEEESE_SE_SE_NS0_19identity_decomposerEEE10hipError_tT1_T2_T3_T4_jRjT5_jjP12ihipStream_tbEUlT_E_NS1_11comp_targetILNS1_3genE0ELNS1_11target_archE4294967295ELNS1_3gpuE0ELNS1_3repE0EEENS1_44radix_sort_block_sort_config_static_selectorELNS0_4arch9wavefront6targetE1EEEvSH_,comdat
.Lfunc_end876:
	.size	_ZN7rocprim17ROCPRIM_400000_NS6detail17trampoline_kernelINS0_13kernel_configILj256ELj4ELj4294967295EEENS1_37radix_sort_block_sort_config_selectorIiiEEZNS1_21radix_sort_block_sortIS4_Lb1EN6thrust23THRUST_200600_302600_NS6detail15normal_iteratorINS9_10device_ptrIiEEEESE_SE_SE_NS0_19identity_decomposerEEE10hipError_tT1_T2_T3_T4_jRjT5_jjP12ihipStream_tbEUlT_E_NS1_11comp_targetILNS1_3genE0ELNS1_11target_archE4294967295ELNS1_3gpuE0ELNS1_3repE0EEENS1_44radix_sort_block_sort_config_static_selectorELNS0_4arch9wavefront6targetE1EEEvSH_, .Lfunc_end876-_ZN7rocprim17ROCPRIM_400000_NS6detail17trampoline_kernelINS0_13kernel_configILj256ELj4ELj4294967295EEENS1_37radix_sort_block_sort_config_selectorIiiEEZNS1_21radix_sort_block_sortIS4_Lb1EN6thrust23THRUST_200600_302600_NS6detail15normal_iteratorINS9_10device_ptrIiEEEESE_SE_SE_NS0_19identity_decomposerEEE10hipError_tT1_T2_T3_T4_jRjT5_jjP12ihipStream_tbEUlT_E_NS1_11comp_targetILNS1_3genE0ELNS1_11target_archE4294967295ELNS1_3gpuE0ELNS1_3repE0EEENS1_44radix_sort_block_sort_config_static_selectorELNS0_4arch9wavefront6targetE1EEEvSH_
                                        ; -- End function
	.set _ZN7rocprim17ROCPRIM_400000_NS6detail17trampoline_kernelINS0_13kernel_configILj256ELj4ELj4294967295EEENS1_37radix_sort_block_sort_config_selectorIiiEEZNS1_21radix_sort_block_sortIS4_Lb1EN6thrust23THRUST_200600_302600_NS6detail15normal_iteratorINS9_10device_ptrIiEEEESE_SE_SE_NS0_19identity_decomposerEEE10hipError_tT1_T2_T3_T4_jRjT5_jjP12ihipStream_tbEUlT_E_NS1_11comp_targetILNS1_3genE0ELNS1_11target_archE4294967295ELNS1_3gpuE0ELNS1_3repE0EEENS1_44radix_sort_block_sort_config_static_selectorELNS0_4arch9wavefront6targetE1EEEvSH_.num_vgpr, 40
	.set _ZN7rocprim17ROCPRIM_400000_NS6detail17trampoline_kernelINS0_13kernel_configILj256ELj4ELj4294967295EEENS1_37radix_sort_block_sort_config_selectorIiiEEZNS1_21radix_sort_block_sortIS4_Lb1EN6thrust23THRUST_200600_302600_NS6detail15normal_iteratorINS9_10device_ptrIiEEEESE_SE_SE_NS0_19identity_decomposerEEE10hipError_tT1_T2_T3_T4_jRjT5_jjP12ihipStream_tbEUlT_E_NS1_11comp_targetILNS1_3genE0ELNS1_11target_archE4294967295ELNS1_3gpuE0ELNS1_3repE0EEENS1_44radix_sort_block_sort_config_static_selectorELNS0_4arch9wavefront6targetE1EEEvSH_.num_agpr, 0
	.set _ZN7rocprim17ROCPRIM_400000_NS6detail17trampoline_kernelINS0_13kernel_configILj256ELj4ELj4294967295EEENS1_37radix_sort_block_sort_config_selectorIiiEEZNS1_21radix_sort_block_sortIS4_Lb1EN6thrust23THRUST_200600_302600_NS6detail15normal_iteratorINS9_10device_ptrIiEEEESE_SE_SE_NS0_19identity_decomposerEEE10hipError_tT1_T2_T3_T4_jRjT5_jjP12ihipStream_tbEUlT_E_NS1_11comp_targetILNS1_3genE0ELNS1_11target_archE4294967295ELNS1_3gpuE0ELNS1_3repE0EEENS1_44radix_sort_block_sort_config_static_selectorELNS0_4arch9wavefront6targetE1EEEvSH_.numbered_sgpr, 46
	.set _ZN7rocprim17ROCPRIM_400000_NS6detail17trampoline_kernelINS0_13kernel_configILj256ELj4ELj4294967295EEENS1_37radix_sort_block_sort_config_selectorIiiEEZNS1_21radix_sort_block_sortIS4_Lb1EN6thrust23THRUST_200600_302600_NS6detail15normal_iteratorINS9_10device_ptrIiEEEESE_SE_SE_NS0_19identity_decomposerEEE10hipError_tT1_T2_T3_T4_jRjT5_jjP12ihipStream_tbEUlT_E_NS1_11comp_targetILNS1_3genE0ELNS1_11target_archE4294967295ELNS1_3gpuE0ELNS1_3repE0EEENS1_44radix_sort_block_sort_config_static_selectorELNS0_4arch9wavefront6targetE1EEEvSH_.num_named_barrier, 0
	.set _ZN7rocprim17ROCPRIM_400000_NS6detail17trampoline_kernelINS0_13kernel_configILj256ELj4ELj4294967295EEENS1_37radix_sort_block_sort_config_selectorIiiEEZNS1_21radix_sort_block_sortIS4_Lb1EN6thrust23THRUST_200600_302600_NS6detail15normal_iteratorINS9_10device_ptrIiEEEESE_SE_SE_NS0_19identity_decomposerEEE10hipError_tT1_T2_T3_T4_jRjT5_jjP12ihipStream_tbEUlT_E_NS1_11comp_targetILNS1_3genE0ELNS1_11target_archE4294967295ELNS1_3gpuE0ELNS1_3repE0EEENS1_44radix_sort_block_sort_config_static_selectorELNS0_4arch9wavefront6targetE1EEEvSH_.private_seg_size, 0
	.set _ZN7rocprim17ROCPRIM_400000_NS6detail17trampoline_kernelINS0_13kernel_configILj256ELj4ELj4294967295EEENS1_37radix_sort_block_sort_config_selectorIiiEEZNS1_21radix_sort_block_sortIS4_Lb1EN6thrust23THRUST_200600_302600_NS6detail15normal_iteratorINS9_10device_ptrIiEEEESE_SE_SE_NS0_19identity_decomposerEEE10hipError_tT1_T2_T3_T4_jRjT5_jjP12ihipStream_tbEUlT_E_NS1_11comp_targetILNS1_3genE0ELNS1_11target_archE4294967295ELNS1_3gpuE0ELNS1_3repE0EEENS1_44radix_sort_block_sort_config_static_selectorELNS0_4arch9wavefront6targetE1EEEvSH_.uses_vcc, 1
	.set _ZN7rocprim17ROCPRIM_400000_NS6detail17trampoline_kernelINS0_13kernel_configILj256ELj4ELj4294967295EEENS1_37radix_sort_block_sort_config_selectorIiiEEZNS1_21radix_sort_block_sortIS4_Lb1EN6thrust23THRUST_200600_302600_NS6detail15normal_iteratorINS9_10device_ptrIiEEEESE_SE_SE_NS0_19identity_decomposerEEE10hipError_tT1_T2_T3_T4_jRjT5_jjP12ihipStream_tbEUlT_E_NS1_11comp_targetILNS1_3genE0ELNS1_11target_archE4294967295ELNS1_3gpuE0ELNS1_3repE0EEENS1_44radix_sort_block_sort_config_static_selectorELNS0_4arch9wavefront6targetE1EEEvSH_.uses_flat_scratch, 0
	.set _ZN7rocprim17ROCPRIM_400000_NS6detail17trampoline_kernelINS0_13kernel_configILj256ELj4ELj4294967295EEENS1_37radix_sort_block_sort_config_selectorIiiEEZNS1_21radix_sort_block_sortIS4_Lb1EN6thrust23THRUST_200600_302600_NS6detail15normal_iteratorINS9_10device_ptrIiEEEESE_SE_SE_NS0_19identity_decomposerEEE10hipError_tT1_T2_T3_T4_jRjT5_jjP12ihipStream_tbEUlT_E_NS1_11comp_targetILNS1_3genE0ELNS1_11target_archE4294967295ELNS1_3gpuE0ELNS1_3repE0EEENS1_44radix_sort_block_sort_config_static_selectorELNS0_4arch9wavefront6targetE1EEEvSH_.has_dyn_sized_stack, 0
	.set _ZN7rocprim17ROCPRIM_400000_NS6detail17trampoline_kernelINS0_13kernel_configILj256ELj4ELj4294967295EEENS1_37radix_sort_block_sort_config_selectorIiiEEZNS1_21radix_sort_block_sortIS4_Lb1EN6thrust23THRUST_200600_302600_NS6detail15normal_iteratorINS9_10device_ptrIiEEEESE_SE_SE_NS0_19identity_decomposerEEE10hipError_tT1_T2_T3_T4_jRjT5_jjP12ihipStream_tbEUlT_E_NS1_11comp_targetILNS1_3genE0ELNS1_11target_archE4294967295ELNS1_3gpuE0ELNS1_3repE0EEENS1_44radix_sort_block_sort_config_static_selectorELNS0_4arch9wavefront6targetE1EEEvSH_.has_recursion, 0
	.set _ZN7rocprim17ROCPRIM_400000_NS6detail17trampoline_kernelINS0_13kernel_configILj256ELj4ELj4294967295EEENS1_37radix_sort_block_sort_config_selectorIiiEEZNS1_21radix_sort_block_sortIS4_Lb1EN6thrust23THRUST_200600_302600_NS6detail15normal_iteratorINS9_10device_ptrIiEEEESE_SE_SE_NS0_19identity_decomposerEEE10hipError_tT1_T2_T3_T4_jRjT5_jjP12ihipStream_tbEUlT_E_NS1_11comp_targetILNS1_3genE0ELNS1_11target_archE4294967295ELNS1_3gpuE0ELNS1_3repE0EEENS1_44radix_sort_block_sort_config_static_selectorELNS0_4arch9wavefront6targetE1EEEvSH_.has_indirect_call, 0
	.section	.AMDGPU.csdata,"",@progbits
; Kernel info:
; codeLenInByte = 3840
; TotalNumSgprs: 52
; NumVgprs: 40
; NumAgprs: 0
; TotalNumVgprs: 40
; ScratchSize: 0
; MemoryBound: 0
; FloatMode: 240
; IeeeMode: 1
; LDSByteSize: 4112 bytes/workgroup (compile time only)
; SGPRBlocks: 6
; VGPRBlocks: 4
; NumSGPRsForWavesPerEU: 52
; NumVGPRsForWavesPerEU: 40
; AccumOffset: 40
; Occupancy: 8
; WaveLimiterHint : 1
; COMPUTE_PGM_RSRC2:SCRATCH_EN: 0
; COMPUTE_PGM_RSRC2:USER_SGPR: 2
; COMPUTE_PGM_RSRC2:TRAP_HANDLER: 0
; COMPUTE_PGM_RSRC2:TGID_X_EN: 1
; COMPUTE_PGM_RSRC2:TGID_Y_EN: 0
; COMPUTE_PGM_RSRC2:TGID_Z_EN: 0
; COMPUTE_PGM_RSRC2:TIDIG_COMP_CNT: 2
; COMPUTE_PGM_RSRC3_GFX90A:ACCUM_OFFSET: 9
; COMPUTE_PGM_RSRC3_GFX90A:TG_SPLIT: 0
	.section	.text._ZN7rocprim17ROCPRIM_400000_NS6detail17trampoline_kernelINS0_13kernel_configILj256ELj4ELj4294967295EEENS1_37radix_sort_block_sort_config_selectorIiiEEZNS1_21radix_sort_block_sortIS4_Lb1EN6thrust23THRUST_200600_302600_NS6detail15normal_iteratorINS9_10device_ptrIiEEEESE_SE_SE_NS0_19identity_decomposerEEE10hipError_tT1_T2_T3_T4_jRjT5_jjP12ihipStream_tbEUlT_E_NS1_11comp_targetILNS1_3genE5ELNS1_11target_archE942ELNS1_3gpuE9ELNS1_3repE0EEENS1_44radix_sort_block_sort_config_static_selectorELNS0_4arch9wavefront6targetE1EEEvSH_,"axG",@progbits,_ZN7rocprim17ROCPRIM_400000_NS6detail17trampoline_kernelINS0_13kernel_configILj256ELj4ELj4294967295EEENS1_37radix_sort_block_sort_config_selectorIiiEEZNS1_21radix_sort_block_sortIS4_Lb1EN6thrust23THRUST_200600_302600_NS6detail15normal_iteratorINS9_10device_ptrIiEEEESE_SE_SE_NS0_19identity_decomposerEEE10hipError_tT1_T2_T3_T4_jRjT5_jjP12ihipStream_tbEUlT_E_NS1_11comp_targetILNS1_3genE5ELNS1_11target_archE942ELNS1_3gpuE9ELNS1_3repE0EEENS1_44radix_sort_block_sort_config_static_selectorELNS0_4arch9wavefront6targetE1EEEvSH_,comdat
	.protected	_ZN7rocprim17ROCPRIM_400000_NS6detail17trampoline_kernelINS0_13kernel_configILj256ELj4ELj4294967295EEENS1_37radix_sort_block_sort_config_selectorIiiEEZNS1_21radix_sort_block_sortIS4_Lb1EN6thrust23THRUST_200600_302600_NS6detail15normal_iteratorINS9_10device_ptrIiEEEESE_SE_SE_NS0_19identity_decomposerEEE10hipError_tT1_T2_T3_T4_jRjT5_jjP12ihipStream_tbEUlT_E_NS1_11comp_targetILNS1_3genE5ELNS1_11target_archE942ELNS1_3gpuE9ELNS1_3repE0EEENS1_44radix_sort_block_sort_config_static_selectorELNS0_4arch9wavefront6targetE1EEEvSH_ ; -- Begin function _ZN7rocprim17ROCPRIM_400000_NS6detail17trampoline_kernelINS0_13kernel_configILj256ELj4ELj4294967295EEENS1_37radix_sort_block_sort_config_selectorIiiEEZNS1_21radix_sort_block_sortIS4_Lb1EN6thrust23THRUST_200600_302600_NS6detail15normal_iteratorINS9_10device_ptrIiEEEESE_SE_SE_NS0_19identity_decomposerEEE10hipError_tT1_T2_T3_T4_jRjT5_jjP12ihipStream_tbEUlT_E_NS1_11comp_targetILNS1_3genE5ELNS1_11target_archE942ELNS1_3gpuE9ELNS1_3repE0EEENS1_44radix_sort_block_sort_config_static_selectorELNS0_4arch9wavefront6targetE1EEEvSH_
	.globl	_ZN7rocprim17ROCPRIM_400000_NS6detail17trampoline_kernelINS0_13kernel_configILj256ELj4ELj4294967295EEENS1_37radix_sort_block_sort_config_selectorIiiEEZNS1_21radix_sort_block_sortIS4_Lb1EN6thrust23THRUST_200600_302600_NS6detail15normal_iteratorINS9_10device_ptrIiEEEESE_SE_SE_NS0_19identity_decomposerEEE10hipError_tT1_T2_T3_T4_jRjT5_jjP12ihipStream_tbEUlT_E_NS1_11comp_targetILNS1_3genE5ELNS1_11target_archE942ELNS1_3gpuE9ELNS1_3repE0EEENS1_44radix_sort_block_sort_config_static_selectorELNS0_4arch9wavefront6targetE1EEEvSH_
	.p2align	8
	.type	_ZN7rocprim17ROCPRIM_400000_NS6detail17trampoline_kernelINS0_13kernel_configILj256ELj4ELj4294967295EEENS1_37radix_sort_block_sort_config_selectorIiiEEZNS1_21radix_sort_block_sortIS4_Lb1EN6thrust23THRUST_200600_302600_NS6detail15normal_iteratorINS9_10device_ptrIiEEEESE_SE_SE_NS0_19identity_decomposerEEE10hipError_tT1_T2_T3_T4_jRjT5_jjP12ihipStream_tbEUlT_E_NS1_11comp_targetILNS1_3genE5ELNS1_11target_archE942ELNS1_3gpuE9ELNS1_3repE0EEENS1_44radix_sort_block_sort_config_static_selectorELNS0_4arch9wavefront6targetE1EEEvSH_,@function
_ZN7rocprim17ROCPRIM_400000_NS6detail17trampoline_kernelINS0_13kernel_configILj256ELj4ELj4294967295EEENS1_37radix_sort_block_sort_config_selectorIiiEEZNS1_21radix_sort_block_sortIS4_Lb1EN6thrust23THRUST_200600_302600_NS6detail15normal_iteratorINS9_10device_ptrIiEEEESE_SE_SE_NS0_19identity_decomposerEEE10hipError_tT1_T2_T3_T4_jRjT5_jjP12ihipStream_tbEUlT_E_NS1_11comp_targetILNS1_3genE5ELNS1_11target_archE942ELNS1_3gpuE9ELNS1_3repE0EEENS1_44radix_sort_block_sort_config_static_selectorELNS0_4arch9wavefront6targetE1EEEvSH_: ; @_ZN7rocprim17ROCPRIM_400000_NS6detail17trampoline_kernelINS0_13kernel_configILj256ELj4ELj4294967295EEENS1_37radix_sort_block_sort_config_selectorIiiEEZNS1_21radix_sort_block_sortIS4_Lb1EN6thrust23THRUST_200600_302600_NS6detail15normal_iteratorINS9_10device_ptrIiEEEESE_SE_SE_NS0_19identity_decomposerEEE10hipError_tT1_T2_T3_T4_jRjT5_jjP12ihipStream_tbEUlT_E_NS1_11comp_targetILNS1_3genE5ELNS1_11target_archE942ELNS1_3gpuE9ELNS1_3repE0EEENS1_44radix_sort_block_sort_config_static_selectorELNS0_4arch9wavefront6targetE1EEEvSH_
; %bb.0:
	.section	.rodata,"a",@progbits
	.p2align	6, 0x0
	.amdhsa_kernel _ZN7rocprim17ROCPRIM_400000_NS6detail17trampoline_kernelINS0_13kernel_configILj256ELj4ELj4294967295EEENS1_37radix_sort_block_sort_config_selectorIiiEEZNS1_21radix_sort_block_sortIS4_Lb1EN6thrust23THRUST_200600_302600_NS6detail15normal_iteratorINS9_10device_ptrIiEEEESE_SE_SE_NS0_19identity_decomposerEEE10hipError_tT1_T2_T3_T4_jRjT5_jjP12ihipStream_tbEUlT_E_NS1_11comp_targetILNS1_3genE5ELNS1_11target_archE942ELNS1_3gpuE9ELNS1_3repE0EEENS1_44radix_sort_block_sort_config_static_selectorELNS0_4arch9wavefront6targetE1EEEvSH_
		.amdhsa_group_segment_fixed_size 0
		.amdhsa_private_segment_fixed_size 0
		.amdhsa_kernarg_size 48
		.amdhsa_user_sgpr_count 2
		.amdhsa_user_sgpr_dispatch_ptr 0
		.amdhsa_user_sgpr_queue_ptr 0
		.amdhsa_user_sgpr_kernarg_segment_ptr 1
		.amdhsa_user_sgpr_dispatch_id 0
		.amdhsa_user_sgpr_kernarg_preload_length 0
		.amdhsa_user_sgpr_kernarg_preload_offset 0
		.amdhsa_user_sgpr_private_segment_size 0
		.amdhsa_uses_dynamic_stack 0
		.amdhsa_enable_private_segment 0
		.amdhsa_system_sgpr_workgroup_id_x 1
		.amdhsa_system_sgpr_workgroup_id_y 0
		.amdhsa_system_sgpr_workgroup_id_z 0
		.amdhsa_system_sgpr_workgroup_info 0
		.amdhsa_system_vgpr_workitem_id 0
		.amdhsa_next_free_vgpr 1
		.amdhsa_next_free_sgpr 0
		.amdhsa_accum_offset 4
		.amdhsa_reserve_vcc 0
		.amdhsa_float_round_mode_32 0
		.amdhsa_float_round_mode_16_64 0
		.amdhsa_float_denorm_mode_32 3
		.amdhsa_float_denorm_mode_16_64 3
		.amdhsa_dx10_clamp 1
		.amdhsa_ieee_mode 1
		.amdhsa_fp16_overflow 0
		.amdhsa_tg_split 0
		.amdhsa_exception_fp_ieee_invalid_op 0
		.amdhsa_exception_fp_denorm_src 0
		.amdhsa_exception_fp_ieee_div_zero 0
		.amdhsa_exception_fp_ieee_overflow 0
		.amdhsa_exception_fp_ieee_underflow 0
		.amdhsa_exception_fp_ieee_inexact 0
		.amdhsa_exception_int_div_zero 0
	.end_amdhsa_kernel
	.section	.text._ZN7rocprim17ROCPRIM_400000_NS6detail17trampoline_kernelINS0_13kernel_configILj256ELj4ELj4294967295EEENS1_37radix_sort_block_sort_config_selectorIiiEEZNS1_21radix_sort_block_sortIS4_Lb1EN6thrust23THRUST_200600_302600_NS6detail15normal_iteratorINS9_10device_ptrIiEEEESE_SE_SE_NS0_19identity_decomposerEEE10hipError_tT1_T2_T3_T4_jRjT5_jjP12ihipStream_tbEUlT_E_NS1_11comp_targetILNS1_3genE5ELNS1_11target_archE942ELNS1_3gpuE9ELNS1_3repE0EEENS1_44radix_sort_block_sort_config_static_selectorELNS0_4arch9wavefront6targetE1EEEvSH_,"axG",@progbits,_ZN7rocprim17ROCPRIM_400000_NS6detail17trampoline_kernelINS0_13kernel_configILj256ELj4ELj4294967295EEENS1_37radix_sort_block_sort_config_selectorIiiEEZNS1_21radix_sort_block_sortIS4_Lb1EN6thrust23THRUST_200600_302600_NS6detail15normal_iteratorINS9_10device_ptrIiEEEESE_SE_SE_NS0_19identity_decomposerEEE10hipError_tT1_T2_T3_T4_jRjT5_jjP12ihipStream_tbEUlT_E_NS1_11comp_targetILNS1_3genE5ELNS1_11target_archE942ELNS1_3gpuE9ELNS1_3repE0EEENS1_44radix_sort_block_sort_config_static_selectorELNS0_4arch9wavefront6targetE1EEEvSH_,comdat
.Lfunc_end877:
	.size	_ZN7rocprim17ROCPRIM_400000_NS6detail17trampoline_kernelINS0_13kernel_configILj256ELj4ELj4294967295EEENS1_37radix_sort_block_sort_config_selectorIiiEEZNS1_21radix_sort_block_sortIS4_Lb1EN6thrust23THRUST_200600_302600_NS6detail15normal_iteratorINS9_10device_ptrIiEEEESE_SE_SE_NS0_19identity_decomposerEEE10hipError_tT1_T2_T3_T4_jRjT5_jjP12ihipStream_tbEUlT_E_NS1_11comp_targetILNS1_3genE5ELNS1_11target_archE942ELNS1_3gpuE9ELNS1_3repE0EEENS1_44radix_sort_block_sort_config_static_selectorELNS0_4arch9wavefront6targetE1EEEvSH_, .Lfunc_end877-_ZN7rocprim17ROCPRIM_400000_NS6detail17trampoline_kernelINS0_13kernel_configILj256ELj4ELj4294967295EEENS1_37radix_sort_block_sort_config_selectorIiiEEZNS1_21radix_sort_block_sortIS4_Lb1EN6thrust23THRUST_200600_302600_NS6detail15normal_iteratorINS9_10device_ptrIiEEEESE_SE_SE_NS0_19identity_decomposerEEE10hipError_tT1_T2_T3_T4_jRjT5_jjP12ihipStream_tbEUlT_E_NS1_11comp_targetILNS1_3genE5ELNS1_11target_archE942ELNS1_3gpuE9ELNS1_3repE0EEENS1_44radix_sort_block_sort_config_static_selectorELNS0_4arch9wavefront6targetE1EEEvSH_
                                        ; -- End function
	.set _ZN7rocprim17ROCPRIM_400000_NS6detail17trampoline_kernelINS0_13kernel_configILj256ELj4ELj4294967295EEENS1_37radix_sort_block_sort_config_selectorIiiEEZNS1_21radix_sort_block_sortIS4_Lb1EN6thrust23THRUST_200600_302600_NS6detail15normal_iteratorINS9_10device_ptrIiEEEESE_SE_SE_NS0_19identity_decomposerEEE10hipError_tT1_T2_T3_T4_jRjT5_jjP12ihipStream_tbEUlT_E_NS1_11comp_targetILNS1_3genE5ELNS1_11target_archE942ELNS1_3gpuE9ELNS1_3repE0EEENS1_44radix_sort_block_sort_config_static_selectorELNS0_4arch9wavefront6targetE1EEEvSH_.num_vgpr, 0
	.set _ZN7rocprim17ROCPRIM_400000_NS6detail17trampoline_kernelINS0_13kernel_configILj256ELj4ELj4294967295EEENS1_37radix_sort_block_sort_config_selectorIiiEEZNS1_21radix_sort_block_sortIS4_Lb1EN6thrust23THRUST_200600_302600_NS6detail15normal_iteratorINS9_10device_ptrIiEEEESE_SE_SE_NS0_19identity_decomposerEEE10hipError_tT1_T2_T3_T4_jRjT5_jjP12ihipStream_tbEUlT_E_NS1_11comp_targetILNS1_3genE5ELNS1_11target_archE942ELNS1_3gpuE9ELNS1_3repE0EEENS1_44radix_sort_block_sort_config_static_selectorELNS0_4arch9wavefront6targetE1EEEvSH_.num_agpr, 0
	.set _ZN7rocprim17ROCPRIM_400000_NS6detail17trampoline_kernelINS0_13kernel_configILj256ELj4ELj4294967295EEENS1_37radix_sort_block_sort_config_selectorIiiEEZNS1_21radix_sort_block_sortIS4_Lb1EN6thrust23THRUST_200600_302600_NS6detail15normal_iteratorINS9_10device_ptrIiEEEESE_SE_SE_NS0_19identity_decomposerEEE10hipError_tT1_T2_T3_T4_jRjT5_jjP12ihipStream_tbEUlT_E_NS1_11comp_targetILNS1_3genE5ELNS1_11target_archE942ELNS1_3gpuE9ELNS1_3repE0EEENS1_44radix_sort_block_sort_config_static_selectorELNS0_4arch9wavefront6targetE1EEEvSH_.numbered_sgpr, 0
	.set _ZN7rocprim17ROCPRIM_400000_NS6detail17trampoline_kernelINS0_13kernel_configILj256ELj4ELj4294967295EEENS1_37radix_sort_block_sort_config_selectorIiiEEZNS1_21radix_sort_block_sortIS4_Lb1EN6thrust23THRUST_200600_302600_NS6detail15normal_iteratorINS9_10device_ptrIiEEEESE_SE_SE_NS0_19identity_decomposerEEE10hipError_tT1_T2_T3_T4_jRjT5_jjP12ihipStream_tbEUlT_E_NS1_11comp_targetILNS1_3genE5ELNS1_11target_archE942ELNS1_3gpuE9ELNS1_3repE0EEENS1_44radix_sort_block_sort_config_static_selectorELNS0_4arch9wavefront6targetE1EEEvSH_.num_named_barrier, 0
	.set _ZN7rocprim17ROCPRIM_400000_NS6detail17trampoline_kernelINS0_13kernel_configILj256ELj4ELj4294967295EEENS1_37radix_sort_block_sort_config_selectorIiiEEZNS1_21radix_sort_block_sortIS4_Lb1EN6thrust23THRUST_200600_302600_NS6detail15normal_iteratorINS9_10device_ptrIiEEEESE_SE_SE_NS0_19identity_decomposerEEE10hipError_tT1_T2_T3_T4_jRjT5_jjP12ihipStream_tbEUlT_E_NS1_11comp_targetILNS1_3genE5ELNS1_11target_archE942ELNS1_3gpuE9ELNS1_3repE0EEENS1_44radix_sort_block_sort_config_static_selectorELNS0_4arch9wavefront6targetE1EEEvSH_.private_seg_size, 0
	.set _ZN7rocprim17ROCPRIM_400000_NS6detail17trampoline_kernelINS0_13kernel_configILj256ELj4ELj4294967295EEENS1_37radix_sort_block_sort_config_selectorIiiEEZNS1_21radix_sort_block_sortIS4_Lb1EN6thrust23THRUST_200600_302600_NS6detail15normal_iteratorINS9_10device_ptrIiEEEESE_SE_SE_NS0_19identity_decomposerEEE10hipError_tT1_T2_T3_T4_jRjT5_jjP12ihipStream_tbEUlT_E_NS1_11comp_targetILNS1_3genE5ELNS1_11target_archE942ELNS1_3gpuE9ELNS1_3repE0EEENS1_44radix_sort_block_sort_config_static_selectorELNS0_4arch9wavefront6targetE1EEEvSH_.uses_vcc, 0
	.set _ZN7rocprim17ROCPRIM_400000_NS6detail17trampoline_kernelINS0_13kernel_configILj256ELj4ELj4294967295EEENS1_37radix_sort_block_sort_config_selectorIiiEEZNS1_21radix_sort_block_sortIS4_Lb1EN6thrust23THRUST_200600_302600_NS6detail15normal_iteratorINS9_10device_ptrIiEEEESE_SE_SE_NS0_19identity_decomposerEEE10hipError_tT1_T2_T3_T4_jRjT5_jjP12ihipStream_tbEUlT_E_NS1_11comp_targetILNS1_3genE5ELNS1_11target_archE942ELNS1_3gpuE9ELNS1_3repE0EEENS1_44radix_sort_block_sort_config_static_selectorELNS0_4arch9wavefront6targetE1EEEvSH_.uses_flat_scratch, 0
	.set _ZN7rocprim17ROCPRIM_400000_NS6detail17trampoline_kernelINS0_13kernel_configILj256ELj4ELj4294967295EEENS1_37radix_sort_block_sort_config_selectorIiiEEZNS1_21radix_sort_block_sortIS4_Lb1EN6thrust23THRUST_200600_302600_NS6detail15normal_iteratorINS9_10device_ptrIiEEEESE_SE_SE_NS0_19identity_decomposerEEE10hipError_tT1_T2_T3_T4_jRjT5_jjP12ihipStream_tbEUlT_E_NS1_11comp_targetILNS1_3genE5ELNS1_11target_archE942ELNS1_3gpuE9ELNS1_3repE0EEENS1_44radix_sort_block_sort_config_static_selectorELNS0_4arch9wavefront6targetE1EEEvSH_.has_dyn_sized_stack, 0
	.set _ZN7rocprim17ROCPRIM_400000_NS6detail17trampoline_kernelINS0_13kernel_configILj256ELj4ELj4294967295EEENS1_37radix_sort_block_sort_config_selectorIiiEEZNS1_21radix_sort_block_sortIS4_Lb1EN6thrust23THRUST_200600_302600_NS6detail15normal_iteratorINS9_10device_ptrIiEEEESE_SE_SE_NS0_19identity_decomposerEEE10hipError_tT1_T2_T3_T4_jRjT5_jjP12ihipStream_tbEUlT_E_NS1_11comp_targetILNS1_3genE5ELNS1_11target_archE942ELNS1_3gpuE9ELNS1_3repE0EEENS1_44radix_sort_block_sort_config_static_selectorELNS0_4arch9wavefront6targetE1EEEvSH_.has_recursion, 0
	.set _ZN7rocprim17ROCPRIM_400000_NS6detail17trampoline_kernelINS0_13kernel_configILj256ELj4ELj4294967295EEENS1_37radix_sort_block_sort_config_selectorIiiEEZNS1_21radix_sort_block_sortIS4_Lb1EN6thrust23THRUST_200600_302600_NS6detail15normal_iteratorINS9_10device_ptrIiEEEESE_SE_SE_NS0_19identity_decomposerEEE10hipError_tT1_T2_T3_T4_jRjT5_jjP12ihipStream_tbEUlT_E_NS1_11comp_targetILNS1_3genE5ELNS1_11target_archE942ELNS1_3gpuE9ELNS1_3repE0EEENS1_44radix_sort_block_sort_config_static_selectorELNS0_4arch9wavefront6targetE1EEEvSH_.has_indirect_call, 0
	.section	.AMDGPU.csdata,"",@progbits
; Kernel info:
; codeLenInByte = 0
; TotalNumSgprs: 6
; NumVgprs: 0
; NumAgprs: 0
; TotalNumVgprs: 0
; ScratchSize: 0
; MemoryBound: 0
; FloatMode: 240
; IeeeMode: 1
; LDSByteSize: 0 bytes/workgroup (compile time only)
; SGPRBlocks: 0
; VGPRBlocks: 0
; NumSGPRsForWavesPerEU: 6
; NumVGPRsForWavesPerEU: 1
; AccumOffset: 4
; Occupancy: 8
; WaveLimiterHint : 0
; COMPUTE_PGM_RSRC2:SCRATCH_EN: 0
; COMPUTE_PGM_RSRC2:USER_SGPR: 2
; COMPUTE_PGM_RSRC2:TRAP_HANDLER: 0
; COMPUTE_PGM_RSRC2:TGID_X_EN: 1
; COMPUTE_PGM_RSRC2:TGID_Y_EN: 0
; COMPUTE_PGM_RSRC2:TGID_Z_EN: 0
; COMPUTE_PGM_RSRC2:TIDIG_COMP_CNT: 0
; COMPUTE_PGM_RSRC3_GFX90A:ACCUM_OFFSET: 0
; COMPUTE_PGM_RSRC3_GFX90A:TG_SPLIT: 0
	.section	.text._ZN7rocprim17ROCPRIM_400000_NS6detail17trampoline_kernelINS0_13kernel_configILj256ELj4ELj4294967295EEENS1_37radix_sort_block_sort_config_selectorIiiEEZNS1_21radix_sort_block_sortIS4_Lb1EN6thrust23THRUST_200600_302600_NS6detail15normal_iteratorINS9_10device_ptrIiEEEESE_SE_SE_NS0_19identity_decomposerEEE10hipError_tT1_T2_T3_T4_jRjT5_jjP12ihipStream_tbEUlT_E_NS1_11comp_targetILNS1_3genE4ELNS1_11target_archE910ELNS1_3gpuE8ELNS1_3repE0EEENS1_44radix_sort_block_sort_config_static_selectorELNS0_4arch9wavefront6targetE1EEEvSH_,"axG",@progbits,_ZN7rocprim17ROCPRIM_400000_NS6detail17trampoline_kernelINS0_13kernel_configILj256ELj4ELj4294967295EEENS1_37radix_sort_block_sort_config_selectorIiiEEZNS1_21radix_sort_block_sortIS4_Lb1EN6thrust23THRUST_200600_302600_NS6detail15normal_iteratorINS9_10device_ptrIiEEEESE_SE_SE_NS0_19identity_decomposerEEE10hipError_tT1_T2_T3_T4_jRjT5_jjP12ihipStream_tbEUlT_E_NS1_11comp_targetILNS1_3genE4ELNS1_11target_archE910ELNS1_3gpuE8ELNS1_3repE0EEENS1_44radix_sort_block_sort_config_static_selectorELNS0_4arch9wavefront6targetE1EEEvSH_,comdat
	.protected	_ZN7rocprim17ROCPRIM_400000_NS6detail17trampoline_kernelINS0_13kernel_configILj256ELj4ELj4294967295EEENS1_37radix_sort_block_sort_config_selectorIiiEEZNS1_21radix_sort_block_sortIS4_Lb1EN6thrust23THRUST_200600_302600_NS6detail15normal_iteratorINS9_10device_ptrIiEEEESE_SE_SE_NS0_19identity_decomposerEEE10hipError_tT1_T2_T3_T4_jRjT5_jjP12ihipStream_tbEUlT_E_NS1_11comp_targetILNS1_3genE4ELNS1_11target_archE910ELNS1_3gpuE8ELNS1_3repE0EEENS1_44radix_sort_block_sort_config_static_selectorELNS0_4arch9wavefront6targetE1EEEvSH_ ; -- Begin function _ZN7rocprim17ROCPRIM_400000_NS6detail17trampoline_kernelINS0_13kernel_configILj256ELj4ELj4294967295EEENS1_37radix_sort_block_sort_config_selectorIiiEEZNS1_21radix_sort_block_sortIS4_Lb1EN6thrust23THRUST_200600_302600_NS6detail15normal_iteratorINS9_10device_ptrIiEEEESE_SE_SE_NS0_19identity_decomposerEEE10hipError_tT1_T2_T3_T4_jRjT5_jjP12ihipStream_tbEUlT_E_NS1_11comp_targetILNS1_3genE4ELNS1_11target_archE910ELNS1_3gpuE8ELNS1_3repE0EEENS1_44radix_sort_block_sort_config_static_selectorELNS0_4arch9wavefront6targetE1EEEvSH_
	.globl	_ZN7rocprim17ROCPRIM_400000_NS6detail17trampoline_kernelINS0_13kernel_configILj256ELj4ELj4294967295EEENS1_37radix_sort_block_sort_config_selectorIiiEEZNS1_21radix_sort_block_sortIS4_Lb1EN6thrust23THRUST_200600_302600_NS6detail15normal_iteratorINS9_10device_ptrIiEEEESE_SE_SE_NS0_19identity_decomposerEEE10hipError_tT1_T2_T3_T4_jRjT5_jjP12ihipStream_tbEUlT_E_NS1_11comp_targetILNS1_3genE4ELNS1_11target_archE910ELNS1_3gpuE8ELNS1_3repE0EEENS1_44radix_sort_block_sort_config_static_selectorELNS0_4arch9wavefront6targetE1EEEvSH_
	.p2align	8
	.type	_ZN7rocprim17ROCPRIM_400000_NS6detail17trampoline_kernelINS0_13kernel_configILj256ELj4ELj4294967295EEENS1_37radix_sort_block_sort_config_selectorIiiEEZNS1_21radix_sort_block_sortIS4_Lb1EN6thrust23THRUST_200600_302600_NS6detail15normal_iteratorINS9_10device_ptrIiEEEESE_SE_SE_NS0_19identity_decomposerEEE10hipError_tT1_T2_T3_T4_jRjT5_jjP12ihipStream_tbEUlT_E_NS1_11comp_targetILNS1_3genE4ELNS1_11target_archE910ELNS1_3gpuE8ELNS1_3repE0EEENS1_44radix_sort_block_sort_config_static_selectorELNS0_4arch9wavefront6targetE1EEEvSH_,@function
_ZN7rocprim17ROCPRIM_400000_NS6detail17trampoline_kernelINS0_13kernel_configILj256ELj4ELj4294967295EEENS1_37radix_sort_block_sort_config_selectorIiiEEZNS1_21radix_sort_block_sortIS4_Lb1EN6thrust23THRUST_200600_302600_NS6detail15normal_iteratorINS9_10device_ptrIiEEEESE_SE_SE_NS0_19identity_decomposerEEE10hipError_tT1_T2_T3_T4_jRjT5_jjP12ihipStream_tbEUlT_E_NS1_11comp_targetILNS1_3genE4ELNS1_11target_archE910ELNS1_3gpuE8ELNS1_3repE0EEENS1_44radix_sort_block_sort_config_static_selectorELNS0_4arch9wavefront6targetE1EEEvSH_: ; @_ZN7rocprim17ROCPRIM_400000_NS6detail17trampoline_kernelINS0_13kernel_configILj256ELj4ELj4294967295EEENS1_37radix_sort_block_sort_config_selectorIiiEEZNS1_21radix_sort_block_sortIS4_Lb1EN6thrust23THRUST_200600_302600_NS6detail15normal_iteratorINS9_10device_ptrIiEEEESE_SE_SE_NS0_19identity_decomposerEEE10hipError_tT1_T2_T3_T4_jRjT5_jjP12ihipStream_tbEUlT_E_NS1_11comp_targetILNS1_3genE4ELNS1_11target_archE910ELNS1_3gpuE8ELNS1_3repE0EEENS1_44radix_sort_block_sort_config_static_selectorELNS0_4arch9wavefront6targetE1EEEvSH_
; %bb.0:
	.section	.rodata,"a",@progbits
	.p2align	6, 0x0
	.amdhsa_kernel _ZN7rocprim17ROCPRIM_400000_NS6detail17trampoline_kernelINS0_13kernel_configILj256ELj4ELj4294967295EEENS1_37radix_sort_block_sort_config_selectorIiiEEZNS1_21radix_sort_block_sortIS4_Lb1EN6thrust23THRUST_200600_302600_NS6detail15normal_iteratorINS9_10device_ptrIiEEEESE_SE_SE_NS0_19identity_decomposerEEE10hipError_tT1_T2_T3_T4_jRjT5_jjP12ihipStream_tbEUlT_E_NS1_11comp_targetILNS1_3genE4ELNS1_11target_archE910ELNS1_3gpuE8ELNS1_3repE0EEENS1_44radix_sort_block_sort_config_static_selectorELNS0_4arch9wavefront6targetE1EEEvSH_
		.amdhsa_group_segment_fixed_size 0
		.amdhsa_private_segment_fixed_size 0
		.amdhsa_kernarg_size 48
		.amdhsa_user_sgpr_count 2
		.amdhsa_user_sgpr_dispatch_ptr 0
		.amdhsa_user_sgpr_queue_ptr 0
		.amdhsa_user_sgpr_kernarg_segment_ptr 1
		.amdhsa_user_sgpr_dispatch_id 0
		.amdhsa_user_sgpr_kernarg_preload_length 0
		.amdhsa_user_sgpr_kernarg_preload_offset 0
		.amdhsa_user_sgpr_private_segment_size 0
		.amdhsa_uses_dynamic_stack 0
		.amdhsa_enable_private_segment 0
		.amdhsa_system_sgpr_workgroup_id_x 1
		.amdhsa_system_sgpr_workgroup_id_y 0
		.amdhsa_system_sgpr_workgroup_id_z 0
		.amdhsa_system_sgpr_workgroup_info 0
		.amdhsa_system_vgpr_workitem_id 0
		.amdhsa_next_free_vgpr 1
		.amdhsa_next_free_sgpr 0
		.amdhsa_accum_offset 4
		.amdhsa_reserve_vcc 0
		.amdhsa_float_round_mode_32 0
		.amdhsa_float_round_mode_16_64 0
		.amdhsa_float_denorm_mode_32 3
		.amdhsa_float_denorm_mode_16_64 3
		.amdhsa_dx10_clamp 1
		.amdhsa_ieee_mode 1
		.amdhsa_fp16_overflow 0
		.amdhsa_tg_split 0
		.amdhsa_exception_fp_ieee_invalid_op 0
		.amdhsa_exception_fp_denorm_src 0
		.amdhsa_exception_fp_ieee_div_zero 0
		.amdhsa_exception_fp_ieee_overflow 0
		.amdhsa_exception_fp_ieee_underflow 0
		.amdhsa_exception_fp_ieee_inexact 0
		.amdhsa_exception_int_div_zero 0
	.end_amdhsa_kernel
	.section	.text._ZN7rocprim17ROCPRIM_400000_NS6detail17trampoline_kernelINS0_13kernel_configILj256ELj4ELj4294967295EEENS1_37radix_sort_block_sort_config_selectorIiiEEZNS1_21radix_sort_block_sortIS4_Lb1EN6thrust23THRUST_200600_302600_NS6detail15normal_iteratorINS9_10device_ptrIiEEEESE_SE_SE_NS0_19identity_decomposerEEE10hipError_tT1_T2_T3_T4_jRjT5_jjP12ihipStream_tbEUlT_E_NS1_11comp_targetILNS1_3genE4ELNS1_11target_archE910ELNS1_3gpuE8ELNS1_3repE0EEENS1_44radix_sort_block_sort_config_static_selectorELNS0_4arch9wavefront6targetE1EEEvSH_,"axG",@progbits,_ZN7rocprim17ROCPRIM_400000_NS6detail17trampoline_kernelINS0_13kernel_configILj256ELj4ELj4294967295EEENS1_37radix_sort_block_sort_config_selectorIiiEEZNS1_21radix_sort_block_sortIS4_Lb1EN6thrust23THRUST_200600_302600_NS6detail15normal_iteratorINS9_10device_ptrIiEEEESE_SE_SE_NS0_19identity_decomposerEEE10hipError_tT1_T2_T3_T4_jRjT5_jjP12ihipStream_tbEUlT_E_NS1_11comp_targetILNS1_3genE4ELNS1_11target_archE910ELNS1_3gpuE8ELNS1_3repE0EEENS1_44radix_sort_block_sort_config_static_selectorELNS0_4arch9wavefront6targetE1EEEvSH_,comdat
.Lfunc_end878:
	.size	_ZN7rocprim17ROCPRIM_400000_NS6detail17trampoline_kernelINS0_13kernel_configILj256ELj4ELj4294967295EEENS1_37radix_sort_block_sort_config_selectorIiiEEZNS1_21radix_sort_block_sortIS4_Lb1EN6thrust23THRUST_200600_302600_NS6detail15normal_iteratorINS9_10device_ptrIiEEEESE_SE_SE_NS0_19identity_decomposerEEE10hipError_tT1_T2_T3_T4_jRjT5_jjP12ihipStream_tbEUlT_E_NS1_11comp_targetILNS1_3genE4ELNS1_11target_archE910ELNS1_3gpuE8ELNS1_3repE0EEENS1_44radix_sort_block_sort_config_static_selectorELNS0_4arch9wavefront6targetE1EEEvSH_, .Lfunc_end878-_ZN7rocprim17ROCPRIM_400000_NS6detail17trampoline_kernelINS0_13kernel_configILj256ELj4ELj4294967295EEENS1_37radix_sort_block_sort_config_selectorIiiEEZNS1_21radix_sort_block_sortIS4_Lb1EN6thrust23THRUST_200600_302600_NS6detail15normal_iteratorINS9_10device_ptrIiEEEESE_SE_SE_NS0_19identity_decomposerEEE10hipError_tT1_T2_T3_T4_jRjT5_jjP12ihipStream_tbEUlT_E_NS1_11comp_targetILNS1_3genE4ELNS1_11target_archE910ELNS1_3gpuE8ELNS1_3repE0EEENS1_44radix_sort_block_sort_config_static_selectorELNS0_4arch9wavefront6targetE1EEEvSH_
                                        ; -- End function
	.set _ZN7rocprim17ROCPRIM_400000_NS6detail17trampoline_kernelINS0_13kernel_configILj256ELj4ELj4294967295EEENS1_37radix_sort_block_sort_config_selectorIiiEEZNS1_21radix_sort_block_sortIS4_Lb1EN6thrust23THRUST_200600_302600_NS6detail15normal_iteratorINS9_10device_ptrIiEEEESE_SE_SE_NS0_19identity_decomposerEEE10hipError_tT1_T2_T3_T4_jRjT5_jjP12ihipStream_tbEUlT_E_NS1_11comp_targetILNS1_3genE4ELNS1_11target_archE910ELNS1_3gpuE8ELNS1_3repE0EEENS1_44radix_sort_block_sort_config_static_selectorELNS0_4arch9wavefront6targetE1EEEvSH_.num_vgpr, 0
	.set _ZN7rocprim17ROCPRIM_400000_NS6detail17trampoline_kernelINS0_13kernel_configILj256ELj4ELj4294967295EEENS1_37radix_sort_block_sort_config_selectorIiiEEZNS1_21radix_sort_block_sortIS4_Lb1EN6thrust23THRUST_200600_302600_NS6detail15normal_iteratorINS9_10device_ptrIiEEEESE_SE_SE_NS0_19identity_decomposerEEE10hipError_tT1_T2_T3_T4_jRjT5_jjP12ihipStream_tbEUlT_E_NS1_11comp_targetILNS1_3genE4ELNS1_11target_archE910ELNS1_3gpuE8ELNS1_3repE0EEENS1_44radix_sort_block_sort_config_static_selectorELNS0_4arch9wavefront6targetE1EEEvSH_.num_agpr, 0
	.set _ZN7rocprim17ROCPRIM_400000_NS6detail17trampoline_kernelINS0_13kernel_configILj256ELj4ELj4294967295EEENS1_37radix_sort_block_sort_config_selectorIiiEEZNS1_21radix_sort_block_sortIS4_Lb1EN6thrust23THRUST_200600_302600_NS6detail15normal_iteratorINS9_10device_ptrIiEEEESE_SE_SE_NS0_19identity_decomposerEEE10hipError_tT1_T2_T3_T4_jRjT5_jjP12ihipStream_tbEUlT_E_NS1_11comp_targetILNS1_3genE4ELNS1_11target_archE910ELNS1_3gpuE8ELNS1_3repE0EEENS1_44radix_sort_block_sort_config_static_selectorELNS0_4arch9wavefront6targetE1EEEvSH_.numbered_sgpr, 0
	.set _ZN7rocprim17ROCPRIM_400000_NS6detail17trampoline_kernelINS0_13kernel_configILj256ELj4ELj4294967295EEENS1_37radix_sort_block_sort_config_selectorIiiEEZNS1_21radix_sort_block_sortIS4_Lb1EN6thrust23THRUST_200600_302600_NS6detail15normal_iteratorINS9_10device_ptrIiEEEESE_SE_SE_NS0_19identity_decomposerEEE10hipError_tT1_T2_T3_T4_jRjT5_jjP12ihipStream_tbEUlT_E_NS1_11comp_targetILNS1_3genE4ELNS1_11target_archE910ELNS1_3gpuE8ELNS1_3repE0EEENS1_44radix_sort_block_sort_config_static_selectorELNS0_4arch9wavefront6targetE1EEEvSH_.num_named_barrier, 0
	.set _ZN7rocprim17ROCPRIM_400000_NS6detail17trampoline_kernelINS0_13kernel_configILj256ELj4ELj4294967295EEENS1_37radix_sort_block_sort_config_selectorIiiEEZNS1_21radix_sort_block_sortIS4_Lb1EN6thrust23THRUST_200600_302600_NS6detail15normal_iteratorINS9_10device_ptrIiEEEESE_SE_SE_NS0_19identity_decomposerEEE10hipError_tT1_T2_T3_T4_jRjT5_jjP12ihipStream_tbEUlT_E_NS1_11comp_targetILNS1_3genE4ELNS1_11target_archE910ELNS1_3gpuE8ELNS1_3repE0EEENS1_44radix_sort_block_sort_config_static_selectorELNS0_4arch9wavefront6targetE1EEEvSH_.private_seg_size, 0
	.set _ZN7rocprim17ROCPRIM_400000_NS6detail17trampoline_kernelINS0_13kernel_configILj256ELj4ELj4294967295EEENS1_37radix_sort_block_sort_config_selectorIiiEEZNS1_21radix_sort_block_sortIS4_Lb1EN6thrust23THRUST_200600_302600_NS6detail15normal_iteratorINS9_10device_ptrIiEEEESE_SE_SE_NS0_19identity_decomposerEEE10hipError_tT1_T2_T3_T4_jRjT5_jjP12ihipStream_tbEUlT_E_NS1_11comp_targetILNS1_3genE4ELNS1_11target_archE910ELNS1_3gpuE8ELNS1_3repE0EEENS1_44radix_sort_block_sort_config_static_selectorELNS0_4arch9wavefront6targetE1EEEvSH_.uses_vcc, 0
	.set _ZN7rocprim17ROCPRIM_400000_NS6detail17trampoline_kernelINS0_13kernel_configILj256ELj4ELj4294967295EEENS1_37radix_sort_block_sort_config_selectorIiiEEZNS1_21radix_sort_block_sortIS4_Lb1EN6thrust23THRUST_200600_302600_NS6detail15normal_iteratorINS9_10device_ptrIiEEEESE_SE_SE_NS0_19identity_decomposerEEE10hipError_tT1_T2_T3_T4_jRjT5_jjP12ihipStream_tbEUlT_E_NS1_11comp_targetILNS1_3genE4ELNS1_11target_archE910ELNS1_3gpuE8ELNS1_3repE0EEENS1_44radix_sort_block_sort_config_static_selectorELNS0_4arch9wavefront6targetE1EEEvSH_.uses_flat_scratch, 0
	.set _ZN7rocprim17ROCPRIM_400000_NS6detail17trampoline_kernelINS0_13kernel_configILj256ELj4ELj4294967295EEENS1_37radix_sort_block_sort_config_selectorIiiEEZNS1_21radix_sort_block_sortIS4_Lb1EN6thrust23THRUST_200600_302600_NS6detail15normal_iteratorINS9_10device_ptrIiEEEESE_SE_SE_NS0_19identity_decomposerEEE10hipError_tT1_T2_T3_T4_jRjT5_jjP12ihipStream_tbEUlT_E_NS1_11comp_targetILNS1_3genE4ELNS1_11target_archE910ELNS1_3gpuE8ELNS1_3repE0EEENS1_44radix_sort_block_sort_config_static_selectorELNS0_4arch9wavefront6targetE1EEEvSH_.has_dyn_sized_stack, 0
	.set _ZN7rocprim17ROCPRIM_400000_NS6detail17trampoline_kernelINS0_13kernel_configILj256ELj4ELj4294967295EEENS1_37radix_sort_block_sort_config_selectorIiiEEZNS1_21radix_sort_block_sortIS4_Lb1EN6thrust23THRUST_200600_302600_NS6detail15normal_iteratorINS9_10device_ptrIiEEEESE_SE_SE_NS0_19identity_decomposerEEE10hipError_tT1_T2_T3_T4_jRjT5_jjP12ihipStream_tbEUlT_E_NS1_11comp_targetILNS1_3genE4ELNS1_11target_archE910ELNS1_3gpuE8ELNS1_3repE0EEENS1_44radix_sort_block_sort_config_static_selectorELNS0_4arch9wavefront6targetE1EEEvSH_.has_recursion, 0
	.set _ZN7rocprim17ROCPRIM_400000_NS6detail17trampoline_kernelINS0_13kernel_configILj256ELj4ELj4294967295EEENS1_37radix_sort_block_sort_config_selectorIiiEEZNS1_21radix_sort_block_sortIS4_Lb1EN6thrust23THRUST_200600_302600_NS6detail15normal_iteratorINS9_10device_ptrIiEEEESE_SE_SE_NS0_19identity_decomposerEEE10hipError_tT1_T2_T3_T4_jRjT5_jjP12ihipStream_tbEUlT_E_NS1_11comp_targetILNS1_3genE4ELNS1_11target_archE910ELNS1_3gpuE8ELNS1_3repE0EEENS1_44radix_sort_block_sort_config_static_selectorELNS0_4arch9wavefront6targetE1EEEvSH_.has_indirect_call, 0
	.section	.AMDGPU.csdata,"",@progbits
; Kernel info:
; codeLenInByte = 0
; TotalNumSgprs: 6
; NumVgprs: 0
; NumAgprs: 0
; TotalNumVgprs: 0
; ScratchSize: 0
; MemoryBound: 0
; FloatMode: 240
; IeeeMode: 1
; LDSByteSize: 0 bytes/workgroup (compile time only)
; SGPRBlocks: 0
; VGPRBlocks: 0
; NumSGPRsForWavesPerEU: 6
; NumVGPRsForWavesPerEU: 1
; AccumOffset: 4
; Occupancy: 8
; WaveLimiterHint : 0
; COMPUTE_PGM_RSRC2:SCRATCH_EN: 0
; COMPUTE_PGM_RSRC2:USER_SGPR: 2
; COMPUTE_PGM_RSRC2:TRAP_HANDLER: 0
; COMPUTE_PGM_RSRC2:TGID_X_EN: 1
; COMPUTE_PGM_RSRC2:TGID_Y_EN: 0
; COMPUTE_PGM_RSRC2:TGID_Z_EN: 0
; COMPUTE_PGM_RSRC2:TIDIG_COMP_CNT: 0
; COMPUTE_PGM_RSRC3_GFX90A:ACCUM_OFFSET: 0
; COMPUTE_PGM_RSRC3_GFX90A:TG_SPLIT: 0
	.section	.text._ZN7rocprim17ROCPRIM_400000_NS6detail17trampoline_kernelINS0_13kernel_configILj256ELj4ELj4294967295EEENS1_37radix_sort_block_sort_config_selectorIiiEEZNS1_21radix_sort_block_sortIS4_Lb1EN6thrust23THRUST_200600_302600_NS6detail15normal_iteratorINS9_10device_ptrIiEEEESE_SE_SE_NS0_19identity_decomposerEEE10hipError_tT1_T2_T3_T4_jRjT5_jjP12ihipStream_tbEUlT_E_NS1_11comp_targetILNS1_3genE3ELNS1_11target_archE908ELNS1_3gpuE7ELNS1_3repE0EEENS1_44radix_sort_block_sort_config_static_selectorELNS0_4arch9wavefront6targetE1EEEvSH_,"axG",@progbits,_ZN7rocprim17ROCPRIM_400000_NS6detail17trampoline_kernelINS0_13kernel_configILj256ELj4ELj4294967295EEENS1_37radix_sort_block_sort_config_selectorIiiEEZNS1_21radix_sort_block_sortIS4_Lb1EN6thrust23THRUST_200600_302600_NS6detail15normal_iteratorINS9_10device_ptrIiEEEESE_SE_SE_NS0_19identity_decomposerEEE10hipError_tT1_T2_T3_T4_jRjT5_jjP12ihipStream_tbEUlT_E_NS1_11comp_targetILNS1_3genE3ELNS1_11target_archE908ELNS1_3gpuE7ELNS1_3repE0EEENS1_44radix_sort_block_sort_config_static_selectorELNS0_4arch9wavefront6targetE1EEEvSH_,comdat
	.protected	_ZN7rocprim17ROCPRIM_400000_NS6detail17trampoline_kernelINS0_13kernel_configILj256ELj4ELj4294967295EEENS1_37radix_sort_block_sort_config_selectorIiiEEZNS1_21radix_sort_block_sortIS4_Lb1EN6thrust23THRUST_200600_302600_NS6detail15normal_iteratorINS9_10device_ptrIiEEEESE_SE_SE_NS0_19identity_decomposerEEE10hipError_tT1_T2_T3_T4_jRjT5_jjP12ihipStream_tbEUlT_E_NS1_11comp_targetILNS1_3genE3ELNS1_11target_archE908ELNS1_3gpuE7ELNS1_3repE0EEENS1_44radix_sort_block_sort_config_static_selectorELNS0_4arch9wavefront6targetE1EEEvSH_ ; -- Begin function _ZN7rocprim17ROCPRIM_400000_NS6detail17trampoline_kernelINS0_13kernel_configILj256ELj4ELj4294967295EEENS1_37radix_sort_block_sort_config_selectorIiiEEZNS1_21radix_sort_block_sortIS4_Lb1EN6thrust23THRUST_200600_302600_NS6detail15normal_iteratorINS9_10device_ptrIiEEEESE_SE_SE_NS0_19identity_decomposerEEE10hipError_tT1_T2_T3_T4_jRjT5_jjP12ihipStream_tbEUlT_E_NS1_11comp_targetILNS1_3genE3ELNS1_11target_archE908ELNS1_3gpuE7ELNS1_3repE0EEENS1_44radix_sort_block_sort_config_static_selectorELNS0_4arch9wavefront6targetE1EEEvSH_
	.globl	_ZN7rocprim17ROCPRIM_400000_NS6detail17trampoline_kernelINS0_13kernel_configILj256ELj4ELj4294967295EEENS1_37radix_sort_block_sort_config_selectorIiiEEZNS1_21radix_sort_block_sortIS4_Lb1EN6thrust23THRUST_200600_302600_NS6detail15normal_iteratorINS9_10device_ptrIiEEEESE_SE_SE_NS0_19identity_decomposerEEE10hipError_tT1_T2_T3_T4_jRjT5_jjP12ihipStream_tbEUlT_E_NS1_11comp_targetILNS1_3genE3ELNS1_11target_archE908ELNS1_3gpuE7ELNS1_3repE0EEENS1_44radix_sort_block_sort_config_static_selectorELNS0_4arch9wavefront6targetE1EEEvSH_
	.p2align	8
	.type	_ZN7rocprim17ROCPRIM_400000_NS6detail17trampoline_kernelINS0_13kernel_configILj256ELj4ELj4294967295EEENS1_37radix_sort_block_sort_config_selectorIiiEEZNS1_21radix_sort_block_sortIS4_Lb1EN6thrust23THRUST_200600_302600_NS6detail15normal_iteratorINS9_10device_ptrIiEEEESE_SE_SE_NS0_19identity_decomposerEEE10hipError_tT1_T2_T3_T4_jRjT5_jjP12ihipStream_tbEUlT_E_NS1_11comp_targetILNS1_3genE3ELNS1_11target_archE908ELNS1_3gpuE7ELNS1_3repE0EEENS1_44radix_sort_block_sort_config_static_selectorELNS0_4arch9wavefront6targetE1EEEvSH_,@function
_ZN7rocprim17ROCPRIM_400000_NS6detail17trampoline_kernelINS0_13kernel_configILj256ELj4ELj4294967295EEENS1_37radix_sort_block_sort_config_selectorIiiEEZNS1_21radix_sort_block_sortIS4_Lb1EN6thrust23THRUST_200600_302600_NS6detail15normal_iteratorINS9_10device_ptrIiEEEESE_SE_SE_NS0_19identity_decomposerEEE10hipError_tT1_T2_T3_T4_jRjT5_jjP12ihipStream_tbEUlT_E_NS1_11comp_targetILNS1_3genE3ELNS1_11target_archE908ELNS1_3gpuE7ELNS1_3repE0EEENS1_44radix_sort_block_sort_config_static_selectorELNS0_4arch9wavefront6targetE1EEEvSH_: ; @_ZN7rocprim17ROCPRIM_400000_NS6detail17trampoline_kernelINS0_13kernel_configILj256ELj4ELj4294967295EEENS1_37radix_sort_block_sort_config_selectorIiiEEZNS1_21radix_sort_block_sortIS4_Lb1EN6thrust23THRUST_200600_302600_NS6detail15normal_iteratorINS9_10device_ptrIiEEEESE_SE_SE_NS0_19identity_decomposerEEE10hipError_tT1_T2_T3_T4_jRjT5_jjP12ihipStream_tbEUlT_E_NS1_11comp_targetILNS1_3genE3ELNS1_11target_archE908ELNS1_3gpuE7ELNS1_3repE0EEENS1_44radix_sort_block_sort_config_static_selectorELNS0_4arch9wavefront6targetE1EEEvSH_
; %bb.0:
	.section	.rodata,"a",@progbits
	.p2align	6, 0x0
	.amdhsa_kernel _ZN7rocprim17ROCPRIM_400000_NS6detail17trampoline_kernelINS0_13kernel_configILj256ELj4ELj4294967295EEENS1_37radix_sort_block_sort_config_selectorIiiEEZNS1_21radix_sort_block_sortIS4_Lb1EN6thrust23THRUST_200600_302600_NS6detail15normal_iteratorINS9_10device_ptrIiEEEESE_SE_SE_NS0_19identity_decomposerEEE10hipError_tT1_T2_T3_T4_jRjT5_jjP12ihipStream_tbEUlT_E_NS1_11comp_targetILNS1_3genE3ELNS1_11target_archE908ELNS1_3gpuE7ELNS1_3repE0EEENS1_44radix_sort_block_sort_config_static_selectorELNS0_4arch9wavefront6targetE1EEEvSH_
		.amdhsa_group_segment_fixed_size 0
		.amdhsa_private_segment_fixed_size 0
		.amdhsa_kernarg_size 48
		.amdhsa_user_sgpr_count 2
		.amdhsa_user_sgpr_dispatch_ptr 0
		.amdhsa_user_sgpr_queue_ptr 0
		.amdhsa_user_sgpr_kernarg_segment_ptr 1
		.amdhsa_user_sgpr_dispatch_id 0
		.amdhsa_user_sgpr_kernarg_preload_length 0
		.amdhsa_user_sgpr_kernarg_preload_offset 0
		.amdhsa_user_sgpr_private_segment_size 0
		.amdhsa_uses_dynamic_stack 0
		.amdhsa_enable_private_segment 0
		.amdhsa_system_sgpr_workgroup_id_x 1
		.amdhsa_system_sgpr_workgroup_id_y 0
		.amdhsa_system_sgpr_workgroup_id_z 0
		.amdhsa_system_sgpr_workgroup_info 0
		.amdhsa_system_vgpr_workitem_id 0
		.amdhsa_next_free_vgpr 1
		.amdhsa_next_free_sgpr 0
		.amdhsa_accum_offset 4
		.amdhsa_reserve_vcc 0
		.amdhsa_float_round_mode_32 0
		.amdhsa_float_round_mode_16_64 0
		.amdhsa_float_denorm_mode_32 3
		.amdhsa_float_denorm_mode_16_64 3
		.amdhsa_dx10_clamp 1
		.amdhsa_ieee_mode 1
		.amdhsa_fp16_overflow 0
		.amdhsa_tg_split 0
		.amdhsa_exception_fp_ieee_invalid_op 0
		.amdhsa_exception_fp_denorm_src 0
		.amdhsa_exception_fp_ieee_div_zero 0
		.amdhsa_exception_fp_ieee_overflow 0
		.amdhsa_exception_fp_ieee_underflow 0
		.amdhsa_exception_fp_ieee_inexact 0
		.amdhsa_exception_int_div_zero 0
	.end_amdhsa_kernel
	.section	.text._ZN7rocprim17ROCPRIM_400000_NS6detail17trampoline_kernelINS0_13kernel_configILj256ELj4ELj4294967295EEENS1_37radix_sort_block_sort_config_selectorIiiEEZNS1_21radix_sort_block_sortIS4_Lb1EN6thrust23THRUST_200600_302600_NS6detail15normal_iteratorINS9_10device_ptrIiEEEESE_SE_SE_NS0_19identity_decomposerEEE10hipError_tT1_T2_T3_T4_jRjT5_jjP12ihipStream_tbEUlT_E_NS1_11comp_targetILNS1_3genE3ELNS1_11target_archE908ELNS1_3gpuE7ELNS1_3repE0EEENS1_44radix_sort_block_sort_config_static_selectorELNS0_4arch9wavefront6targetE1EEEvSH_,"axG",@progbits,_ZN7rocprim17ROCPRIM_400000_NS6detail17trampoline_kernelINS0_13kernel_configILj256ELj4ELj4294967295EEENS1_37radix_sort_block_sort_config_selectorIiiEEZNS1_21radix_sort_block_sortIS4_Lb1EN6thrust23THRUST_200600_302600_NS6detail15normal_iteratorINS9_10device_ptrIiEEEESE_SE_SE_NS0_19identity_decomposerEEE10hipError_tT1_T2_T3_T4_jRjT5_jjP12ihipStream_tbEUlT_E_NS1_11comp_targetILNS1_3genE3ELNS1_11target_archE908ELNS1_3gpuE7ELNS1_3repE0EEENS1_44radix_sort_block_sort_config_static_selectorELNS0_4arch9wavefront6targetE1EEEvSH_,comdat
.Lfunc_end879:
	.size	_ZN7rocprim17ROCPRIM_400000_NS6detail17trampoline_kernelINS0_13kernel_configILj256ELj4ELj4294967295EEENS1_37radix_sort_block_sort_config_selectorIiiEEZNS1_21radix_sort_block_sortIS4_Lb1EN6thrust23THRUST_200600_302600_NS6detail15normal_iteratorINS9_10device_ptrIiEEEESE_SE_SE_NS0_19identity_decomposerEEE10hipError_tT1_T2_T3_T4_jRjT5_jjP12ihipStream_tbEUlT_E_NS1_11comp_targetILNS1_3genE3ELNS1_11target_archE908ELNS1_3gpuE7ELNS1_3repE0EEENS1_44radix_sort_block_sort_config_static_selectorELNS0_4arch9wavefront6targetE1EEEvSH_, .Lfunc_end879-_ZN7rocprim17ROCPRIM_400000_NS6detail17trampoline_kernelINS0_13kernel_configILj256ELj4ELj4294967295EEENS1_37radix_sort_block_sort_config_selectorIiiEEZNS1_21radix_sort_block_sortIS4_Lb1EN6thrust23THRUST_200600_302600_NS6detail15normal_iteratorINS9_10device_ptrIiEEEESE_SE_SE_NS0_19identity_decomposerEEE10hipError_tT1_T2_T3_T4_jRjT5_jjP12ihipStream_tbEUlT_E_NS1_11comp_targetILNS1_3genE3ELNS1_11target_archE908ELNS1_3gpuE7ELNS1_3repE0EEENS1_44radix_sort_block_sort_config_static_selectorELNS0_4arch9wavefront6targetE1EEEvSH_
                                        ; -- End function
	.set _ZN7rocprim17ROCPRIM_400000_NS6detail17trampoline_kernelINS0_13kernel_configILj256ELj4ELj4294967295EEENS1_37radix_sort_block_sort_config_selectorIiiEEZNS1_21radix_sort_block_sortIS4_Lb1EN6thrust23THRUST_200600_302600_NS6detail15normal_iteratorINS9_10device_ptrIiEEEESE_SE_SE_NS0_19identity_decomposerEEE10hipError_tT1_T2_T3_T4_jRjT5_jjP12ihipStream_tbEUlT_E_NS1_11comp_targetILNS1_3genE3ELNS1_11target_archE908ELNS1_3gpuE7ELNS1_3repE0EEENS1_44radix_sort_block_sort_config_static_selectorELNS0_4arch9wavefront6targetE1EEEvSH_.num_vgpr, 0
	.set _ZN7rocprim17ROCPRIM_400000_NS6detail17trampoline_kernelINS0_13kernel_configILj256ELj4ELj4294967295EEENS1_37radix_sort_block_sort_config_selectorIiiEEZNS1_21radix_sort_block_sortIS4_Lb1EN6thrust23THRUST_200600_302600_NS6detail15normal_iteratorINS9_10device_ptrIiEEEESE_SE_SE_NS0_19identity_decomposerEEE10hipError_tT1_T2_T3_T4_jRjT5_jjP12ihipStream_tbEUlT_E_NS1_11comp_targetILNS1_3genE3ELNS1_11target_archE908ELNS1_3gpuE7ELNS1_3repE0EEENS1_44radix_sort_block_sort_config_static_selectorELNS0_4arch9wavefront6targetE1EEEvSH_.num_agpr, 0
	.set _ZN7rocprim17ROCPRIM_400000_NS6detail17trampoline_kernelINS0_13kernel_configILj256ELj4ELj4294967295EEENS1_37radix_sort_block_sort_config_selectorIiiEEZNS1_21radix_sort_block_sortIS4_Lb1EN6thrust23THRUST_200600_302600_NS6detail15normal_iteratorINS9_10device_ptrIiEEEESE_SE_SE_NS0_19identity_decomposerEEE10hipError_tT1_T2_T3_T4_jRjT5_jjP12ihipStream_tbEUlT_E_NS1_11comp_targetILNS1_3genE3ELNS1_11target_archE908ELNS1_3gpuE7ELNS1_3repE0EEENS1_44radix_sort_block_sort_config_static_selectorELNS0_4arch9wavefront6targetE1EEEvSH_.numbered_sgpr, 0
	.set _ZN7rocprim17ROCPRIM_400000_NS6detail17trampoline_kernelINS0_13kernel_configILj256ELj4ELj4294967295EEENS1_37radix_sort_block_sort_config_selectorIiiEEZNS1_21radix_sort_block_sortIS4_Lb1EN6thrust23THRUST_200600_302600_NS6detail15normal_iteratorINS9_10device_ptrIiEEEESE_SE_SE_NS0_19identity_decomposerEEE10hipError_tT1_T2_T3_T4_jRjT5_jjP12ihipStream_tbEUlT_E_NS1_11comp_targetILNS1_3genE3ELNS1_11target_archE908ELNS1_3gpuE7ELNS1_3repE0EEENS1_44radix_sort_block_sort_config_static_selectorELNS0_4arch9wavefront6targetE1EEEvSH_.num_named_barrier, 0
	.set _ZN7rocprim17ROCPRIM_400000_NS6detail17trampoline_kernelINS0_13kernel_configILj256ELj4ELj4294967295EEENS1_37radix_sort_block_sort_config_selectorIiiEEZNS1_21radix_sort_block_sortIS4_Lb1EN6thrust23THRUST_200600_302600_NS6detail15normal_iteratorINS9_10device_ptrIiEEEESE_SE_SE_NS0_19identity_decomposerEEE10hipError_tT1_T2_T3_T4_jRjT5_jjP12ihipStream_tbEUlT_E_NS1_11comp_targetILNS1_3genE3ELNS1_11target_archE908ELNS1_3gpuE7ELNS1_3repE0EEENS1_44radix_sort_block_sort_config_static_selectorELNS0_4arch9wavefront6targetE1EEEvSH_.private_seg_size, 0
	.set _ZN7rocprim17ROCPRIM_400000_NS6detail17trampoline_kernelINS0_13kernel_configILj256ELj4ELj4294967295EEENS1_37radix_sort_block_sort_config_selectorIiiEEZNS1_21radix_sort_block_sortIS4_Lb1EN6thrust23THRUST_200600_302600_NS6detail15normal_iteratorINS9_10device_ptrIiEEEESE_SE_SE_NS0_19identity_decomposerEEE10hipError_tT1_T2_T3_T4_jRjT5_jjP12ihipStream_tbEUlT_E_NS1_11comp_targetILNS1_3genE3ELNS1_11target_archE908ELNS1_3gpuE7ELNS1_3repE0EEENS1_44radix_sort_block_sort_config_static_selectorELNS0_4arch9wavefront6targetE1EEEvSH_.uses_vcc, 0
	.set _ZN7rocprim17ROCPRIM_400000_NS6detail17trampoline_kernelINS0_13kernel_configILj256ELj4ELj4294967295EEENS1_37radix_sort_block_sort_config_selectorIiiEEZNS1_21radix_sort_block_sortIS4_Lb1EN6thrust23THRUST_200600_302600_NS6detail15normal_iteratorINS9_10device_ptrIiEEEESE_SE_SE_NS0_19identity_decomposerEEE10hipError_tT1_T2_T3_T4_jRjT5_jjP12ihipStream_tbEUlT_E_NS1_11comp_targetILNS1_3genE3ELNS1_11target_archE908ELNS1_3gpuE7ELNS1_3repE0EEENS1_44radix_sort_block_sort_config_static_selectorELNS0_4arch9wavefront6targetE1EEEvSH_.uses_flat_scratch, 0
	.set _ZN7rocprim17ROCPRIM_400000_NS6detail17trampoline_kernelINS0_13kernel_configILj256ELj4ELj4294967295EEENS1_37radix_sort_block_sort_config_selectorIiiEEZNS1_21radix_sort_block_sortIS4_Lb1EN6thrust23THRUST_200600_302600_NS6detail15normal_iteratorINS9_10device_ptrIiEEEESE_SE_SE_NS0_19identity_decomposerEEE10hipError_tT1_T2_T3_T4_jRjT5_jjP12ihipStream_tbEUlT_E_NS1_11comp_targetILNS1_3genE3ELNS1_11target_archE908ELNS1_3gpuE7ELNS1_3repE0EEENS1_44radix_sort_block_sort_config_static_selectorELNS0_4arch9wavefront6targetE1EEEvSH_.has_dyn_sized_stack, 0
	.set _ZN7rocprim17ROCPRIM_400000_NS6detail17trampoline_kernelINS0_13kernel_configILj256ELj4ELj4294967295EEENS1_37radix_sort_block_sort_config_selectorIiiEEZNS1_21radix_sort_block_sortIS4_Lb1EN6thrust23THRUST_200600_302600_NS6detail15normal_iteratorINS9_10device_ptrIiEEEESE_SE_SE_NS0_19identity_decomposerEEE10hipError_tT1_T2_T3_T4_jRjT5_jjP12ihipStream_tbEUlT_E_NS1_11comp_targetILNS1_3genE3ELNS1_11target_archE908ELNS1_3gpuE7ELNS1_3repE0EEENS1_44radix_sort_block_sort_config_static_selectorELNS0_4arch9wavefront6targetE1EEEvSH_.has_recursion, 0
	.set _ZN7rocprim17ROCPRIM_400000_NS6detail17trampoline_kernelINS0_13kernel_configILj256ELj4ELj4294967295EEENS1_37radix_sort_block_sort_config_selectorIiiEEZNS1_21radix_sort_block_sortIS4_Lb1EN6thrust23THRUST_200600_302600_NS6detail15normal_iteratorINS9_10device_ptrIiEEEESE_SE_SE_NS0_19identity_decomposerEEE10hipError_tT1_T2_T3_T4_jRjT5_jjP12ihipStream_tbEUlT_E_NS1_11comp_targetILNS1_3genE3ELNS1_11target_archE908ELNS1_3gpuE7ELNS1_3repE0EEENS1_44radix_sort_block_sort_config_static_selectorELNS0_4arch9wavefront6targetE1EEEvSH_.has_indirect_call, 0
	.section	.AMDGPU.csdata,"",@progbits
; Kernel info:
; codeLenInByte = 0
; TotalNumSgprs: 6
; NumVgprs: 0
; NumAgprs: 0
; TotalNumVgprs: 0
; ScratchSize: 0
; MemoryBound: 0
; FloatMode: 240
; IeeeMode: 1
; LDSByteSize: 0 bytes/workgroup (compile time only)
; SGPRBlocks: 0
; VGPRBlocks: 0
; NumSGPRsForWavesPerEU: 6
; NumVGPRsForWavesPerEU: 1
; AccumOffset: 4
; Occupancy: 8
; WaveLimiterHint : 0
; COMPUTE_PGM_RSRC2:SCRATCH_EN: 0
; COMPUTE_PGM_RSRC2:USER_SGPR: 2
; COMPUTE_PGM_RSRC2:TRAP_HANDLER: 0
; COMPUTE_PGM_RSRC2:TGID_X_EN: 1
; COMPUTE_PGM_RSRC2:TGID_Y_EN: 0
; COMPUTE_PGM_RSRC2:TGID_Z_EN: 0
; COMPUTE_PGM_RSRC2:TIDIG_COMP_CNT: 0
; COMPUTE_PGM_RSRC3_GFX90A:ACCUM_OFFSET: 0
; COMPUTE_PGM_RSRC3_GFX90A:TG_SPLIT: 0
	.section	.text._ZN7rocprim17ROCPRIM_400000_NS6detail17trampoline_kernelINS0_13kernel_configILj256ELj4ELj4294967295EEENS1_37radix_sort_block_sort_config_selectorIiiEEZNS1_21radix_sort_block_sortIS4_Lb1EN6thrust23THRUST_200600_302600_NS6detail15normal_iteratorINS9_10device_ptrIiEEEESE_SE_SE_NS0_19identity_decomposerEEE10hipError_tT1_T2_T3_T4_jRjT5_jjP12ihipStream_tbEUlT_E_NS1_11comp_targetILNS1_3genE2ELNS1_11target_archE906ELNS1_3gpuE6ELNS1_3repE0EEENS1_44radix_sort_block_sort_config_static_selectorELNS0_4arch9wavefront6targetE1EEEvSH_,"axG",@progbits,_ZN7rocprim17ROCPRIM_400000_NS6detail17trampoline_kernelINS0_13kernel_configILj256ELj4ELj4294967295EEENS1_37radix_sort_block_sort_config_selectorIiiEEZNS1_21radix_sort_block_sortIS4_Lb1EN6thrust23THRUST_200600_302600_NS6detail15normal_iteratorINS9_10device_ptrIiEEEESE_SE_SE_NS0_19identity_decomposerEEE10hipError_tT1_T2_T3_T4_jRjT5_jjP12ihipStream_tbEUlT_E_NS1_11comp_targetILNS1_3genE2ELNS1_11target_archE906ELNS1_3gpuE6ELNS1_3repE0EEENS1_44radix_sort_block_sort_config_static_selectorELNS0_4arch9wavefront6targetE1EEEvSH_,comdat
	.protected	_ZN7rocprim17ROCPRIM_400000_NS6detail17trampoline_kernelINS0_13kernel_configILj256ELj4ELj4294967295EEENS1_37radix_sort_block_sort_config_selectorIiiEEZNS1_21radix_sort_block_sortIS4_Lb1EN6thrust23THRUST_200600_302600_NS6detail15normal_iteratorINS9_10device_ptrIiEEEESE_SE_SE_NS0_19identity_decomposerEEE10hipError_tT1_T2_T3_T4_jRjT5_jjP12ihipStream_tbEUlT_E_NS1_11comp_targetILNS1_3genE2ELNS1_11target_archE906ELNS1_3gpuE6ELNS1_3repE0EEENS1_44radix_sort_block_sort_config_static_selectorELNS0_4arch9wavefront6targetE1EEEvSH_ ; -- Begin function _ZN7rocprim17ROCPRIM_400000_NS6detail17trampoline_kernelINS0_13kernel_configILj256ELj4ELj4294967295EEENS1_37radix_sort_block_sort_config_selectorIiiEEZNS1_21radix_sort_block_sortIS4_Lb1EN6thrust23THRUST_200600_302600_NS6detail15normal_iteratorINS9_10device_ptrIiEEEESE_SE_SE_NS0_19identity_decomposerEEE10hipError_tT1_T2_T3_T4_jRjT5_jjP12ihipStream_tbEUlT_E_NS1_11comp_targetILNS1_3genE2ELNS1_11target_archE906ELNS1_3gpuE6ELNS1_3repE0EEENS1_44radix_sort_block_sort_config_static_selectorELNS0_4arch9wavefront6targetE1EEEvSH_
	.globl	_ZN7rocprim17ROCPRIM_400000_NS6detail17trampoline_kernelINS0_13kernel_configILj256ELj4ELj4294967295EEENS1_37radix_sort_block_sort_config_selectorIiiEEZNS1_21radix_sort_block_sortIS4_Lb1EN6thrust23THRUST_200600_302600_NS6detail15normal_iteratorINS9_10device_ptrIiEEEESE_SE_SE_NS0_19identity_decomposerEEE10hipError_tT1_T2_T3_T4_jRjT5_jjP12ihipStream_tbEUlT_E_NS1_11comp_targetILNS1_3genE2ELNS1_11target_archE906ELNS1_3gpuE6ELNS1_3repE0EEENS1_44radix_sort_block_sort_config_static_selectorELNS0_4arch9wavefront6targetE1EEEvSH_
	.p2align	8
	.type	_ZN7rocprim17ROCPRIM_400000_NS6detail17trampoline_kernelINS0_13kernel_configILj256ELj4ELj4294967295EEENS1_37radix_sort_block_sort_config_selectorIiiEEZNS1_21radix_sort_block_sortIS4_Lb1EN6thrust23THRUST_200600_302600_NS6detail15normal_iteratorINS9_10device_ptrIiEEEESE_SE_SE_NS0_19identity_decomposerEEE10hipError_tT1_T2_T3_T4_jRjT5_jjP12ihipStream_tbEUlT_E_NS1_11comp_targetILNS1_3genE2ELNS1_11target_archE906ELNS1_3gpuE6ELNS1_3repE0EEENS1_44radix_sort_block_sort_config_static_selectorELNS0_4arch9wavefront6targetE1EEEvSH_,@function
_ZN7rocprim17ROCPRIM_400000_NS6detail17trampoline_kernelINS0_13kernel_configILj256ELj4ELj4294967295EEENS1_37radix_sort_block_sort_config_selectorIiiEEZNS1_21radix_sort_block_sortIS4_Lb1EN6thrust23THRUST_200600_302600_NS6detail15normal_iteratorINS9_10device_ptrIiEEEESE_SE_SE_NS0_19identity_decomposerEEE10hipError_tT1_T2_T3_T4_jRjT5_jjP12ihipStream_tbEUlT_E_NS1_11comp_targetILNS1_3genE2ELNS1_11target_archE906ELNS1_3gpuE6ELNS1_3repE0EEENS1_44radix_sort_block_sort_config_static_selectorELNS0_4arch9wavefront6targetE1EEEvSH_: ; @_ZN7rocprim17ROCPRIM_400000_NS6detail17trampoline_kernelINS0_13kernel_configILj256ELj4ELj4294967295EEENS1_37radix_sort_block_sort_config_selectorIiiEEZNS1_21radix_sort_block_sortIS4_Lb1EN6thrust23THRUST_200600_302600_NS6detail15normal_iteratorINS9_10device_ptrIiEEEESE_SE_SE_NS0_19identity_decomposerEEE10hipError_tT1_T2_T3_T4_jRjT5_jjP12ihipStream_tbEUlT_E_NS1_11comp_targetILNS1_3genE2ELNS1_11target_archE906ELNS1_3gpuE6ELNS1_3repE0EEENS1_44radix_sort_block_sort_config_static_selectorELNS0_4arch9wavefront6targetE1EEEvSH_
; %bb.0:
	.section	.rodata,"a",@progbits
	.p2align	6, 0x0
	.amdhsa_kernel _ZN7rocprim17ROCPRIM_400000_NS6detail17trampoline_kernelINS0_13kernel_configILj256ELj4ELj4294967295EEENS1_37radix_sort_block_sort_config_selectorIiiEEZNS1_21radix_sort_block_sortIS4_Lb1EN6thrust23THRUST_200600_302600_NS6detail15normal_iteratorINS9_10device_ptrIiEEEESE_SE_SE_NS0_19identity_decomposerEEE10hipError_tT1_T2_T3_T4_jRjT5_jjP12ihipStream_tbEUlT_E_NS1_11comp_targetILNS1_3genE2ELNS1_11target_archE906ELNS1_3gpuE6ELNS1_3repE0EEENS1_44radix_sort_block_sort_config_static_selectorELNS0_4arch9wavefront6targetE1EEEvSH_
		.amdhsa_group_segment_fixed_size 0
		.amdhsa_private_segment_fixed_size 0
		.amdhsa_kernarg_size 48
		.amdhsa_user_sgpr_count 2
		.amdhsa_user_sgpr_dispatch_ptr 0
		.amdhsa_user_sgpr_queue_ptr 0
		.amdhsa_user_sgpr_kernarg_segment_ptr 1
		.amdhsa_user_sgpr_dispatch_id 0
		.amdhsa_user_sgpr_kernarg_preload_length 0
		.amdhsa_user_sgpr_kernarg_preload_offset 0
		.amdhsa_user_sgpr_private_segment_size 0
		.amdhsa_uses_dynamic_stack 0
		.amdhsa_enable_private_segment 0
		.amdhsa_system_sgpr_workgroup_id_x 1
		.amdhsa_system_sgpr_workgroup_id_y 0
		.amdhsa_system_sgpr_workgroup_id_z 0
		.amdhsa_system_sgpr_workgroup_info 0
		.amdhsa_system_vgpr_workitem_id 0
		.amdhsa_next_free_vgpr 1
		.amdhsa_next_free_sgpr 0
		.amdhsa_accum_offset 4
		.amdhsa_reserve_vcc 0
		.amdhsa_float_round_mode_32 0
		.amdhsa_float_round_mode_16_64 0
		.amdhsa_float_denorm_mode_32 3
		.amdhsa_float_denorm_mode_16_64 3
		.amdhsa_dx10_clamp 1
		.amdhsa_ieee_mode 1
		.amdhsa_fp16_overflow 0
		.amdhsa_tg_split 0
		.amdhsa_exception_fp_ieee_invalid_op 0
		.amdhsa_exception_fp_denorm_src 0
		.amdhsa_exception_fp_ieee_div_zero 0
		.amdhsa_exception_fp_ieee_overflow 0
		.amdhsa_exception_fp_ieee_underflow 0
		.amdhsa_exception_fp_ieee_inexact 0
		.amdhsa_exception_int_div_zero 0
	.end_amdhsa_kernel
	.section	.text._ZN7rocprim17ROCPRIM_400000_NS6detail17trampoline_kernelINS0_13kernel_configILj256ELj4ELj4294967295EEENS1_37radix_sort_block_sort_config_selectorIiiEEZNS1_21radix_sort_block_sortIS4_Lb1EN6thrust23THRUST_200600_302600_NS6detail15normal_iteratorINS9_10device_ptrIiEEEESE_SE_SE_NS0_19identity_decomposerEEE10hipError_tT1_T2_T3_T4_jRjT5_jjP12ihipStream_tbEUlT_E_NS1_11comp_targetILNS1_3genE2ELNS1_11target_archE906ELNS1_3gpuE6ELNS1_3repE0EEENS1_44radix_sort_block_sort_config_static_selectorELNS0_4arch9wavefront6targetE1EEEvSH_,"axG",@progbits,_ZN7rocprim17ROCPRIM_400000_NS6detail17trampoline_kernelINS0_13kernel_configILj256ELj4ELj4294967295EEENS1_37radix_sort_block_sort_config_selectorIiiEEZNS1_21radix_sort_block_sortIS4_Lb1EN6thrust23THRUST_200600_302600_NS6detail15normal_iteratorINS9_10device_ptrIiEEEESE_SE_SE_NS0_19identity_decomposerEEE10hipError_tT1_T2_T3_T4_jRjT5_jjP12ihipStream_tbEUlT_E_NS1_11comp_targetILNS1_3genE2ELNS1_11target_archE906ELNS1_3gpuE6ELNS1_3repE0EEENS1_44radix_sort_block_sort_config_static_selectorELNS0_4arch9wavefront6targetE1EEEvSH_,comdat
.Lfunc_end880:
	.size	_ZN7rocprim17ROCPRIM_400000_NS6detail17trampoline_kernelINS0_13kernel_configILj256ELj4ELj4294967295EEENS1_37radix_sort_block_sort_config_selectorIiiEEZNS1_21radix_sort_block_sortIS4_Lb1EN6thrust23THRUST_200600_302600_NS6detail15normal_iteratorINS9_10device_ptrIiEEEESE_SE_SE_NS0_19identity_decomposerEEE10hipError_tT1_T2_T3_T4_jRjT5_jjP12ihipStream_tbEUlT_E_NS1_11comp_targetILNS1_3genE2ELNS1_11target_archE906ELNS1_3gpuE6ELNS1_3repE0EEENS1_44radix_sort_block_sort_config_static_selectorELNS0_4arch9wavefront6targetE1EEEvSH_, .Lfunc_end880-_ZN7rocprim17ROCPRIM_400000_NS6detail17trampoline_kernelINS0_13kernel_configILj256ELj4ELj4294967295EEENS1_37radix_sort_block_sort_config_selectorIiiEEZNS1_21radix_sort_block_sortIS4_Lb1EN6thrust23THRUST_200600_302600_NS6detail15normal_iteratorINS9_10device_ptrIiEEEESE_SE_SE_NS0_19identity_decomposerEEE10hipError_tT1_T2_T3_T4_jRjT5_jjP12ihipStream_tbEUlT_E_NS1_11comp_targetILNS1_3genE2ELNS1_11target_archE906ELNS1_3gpuE6ELNS1_3repE0EEENS1_44radix_sort_block_sort_config_static_selectorELNS0_4arch9wavefront6targetE1EEEvSH_
                                        ; -- End function
	.set _ZN7rocprim17ROCPRIM_400000_NS6detail17trampoline_kernelINS0_13kernel_configILj256ELj4ELj4294967295EEENS1_37radix_sort_block_sort_config_selectorIiiEEZNS1_21radix_sort_block_sortIS4_Lb1EN6thrust23THRUST_200600_302600_NS6detail15normal_iteratorINS9_10device_ptrIiEEEESE_SE_SE_NS0_19identity_decomposerEEE10hipError_tT1_T2_T3_T4_jRjT5_jjP12ihipStream_tbEUlT_E_NS1_11comp_targetILNS1_3genE2ELNS1_11target_archE906ELNS1_3gpuE6ELNS1_3repE0EEENS1_44radix_sort_block_sort_config_static_selectorELNS0_4arch9wavefront6targetE1EEEvSH_.num_vgpr, 0
	.set _ZN7rocprim17ROCPRIM_400000_NS6detail17trampoline_kernelINS0_13kernel_configILj256ELj4ELj4294967295EEENS1_37radix_sort_block_sort_config_selectorIiiEEZNS1_21radix_sort_block_sortIS4_Lb1EN6thrust23THRUST_200600_302600_NS6detail15normal_iteratorINS9_10device_ptrIiEEEESE_SE_SE_NS0_19identity_decomposerEEE10hipError_tT1_T2_T3_T4_jRjT5_jjP12ihipStream_tbEUlT_E_NS1_11comp_targetILNS1_3genE2ELNS1_11target_archE906ELNS1_3gpuE6ELNS1_3repE0EEENS1_44radix_sort_block_sort_config_static_selectorELNS0_4arch9wavefront6targetE1EEEvSH_.num_agpr, 0
	.set _ZN7rocprim17ROCPRIM_400000_NS6detail17trampoline_kernelINS0_13kernel_configILj256ELj4ELj4294967295EEENS1_37radix_sort_block_sort_config_selectorIiiEEZNS1_21radix_sort_block_sortIS4_Lb1EN6thrust23THRUST_200600_302600_NS6detail15normal_iteratorINS9_10device_ptrIiEEEESE_SE_SE_NS0_19identity_decomposerEEE10hipError_tT1_T2_T3_T4_jRjT5_jjP12ihipStream_tbEUlT_E_NS1_11comp_targetILNS1_3genE2ELNS1_11target_archE906ELNS1_3gpuE6ELNS1_3repE0EEENS1_44radix_sort_block_sort_config_static_selectorELNS0_4arch9wavefront6targetE1EEEvSH_.numbered_sgpr, 0
	.set _ZN7rocprim17ROCPRIM_400000_NS6detail17trampoline_kernelINS0_13kernel_configILj256ELj4ELj4294967295EEENS1_37radix_sort_block_sort_config_selectorIiiEEZNS1_21radix_sort_block_sortIS4_Lb1EN6thrust23THRUST_200600_302600_NS6detail15normal_iteratorINS9_10device_ptrIiEEEESE_SE_SE_NS0_19identity_decomposerEEE10hipError_tT1_T2_T3_T4_jRjT5_jjP12ihipStream_tbEUlT_E_NS1_11comp_targetILNS1_3genE2ELNS1_11target_archE906ELNS1_3gpuE6ELNS1_3repE0EEENS1_44radix_sort_block_sort_config_static_selectorELNS0_4arch9wavefront6targetE1EEEvSH_.num_named_barrier, 0
	.set _ZN7rocprim17ROCPRIM_400000_NS6detail17trampoline_kernelINS0_13kernel_configILj256ELj4ELj4294967295EEENS1_37radix_sort_block_sort_config_selectorIiiEEZNS1_21radix_sort_block_sortIS4_Lb1EN6thrust23THRUST_200600_302600_NS6detail15normal_iteratorINS9_10device_ptrIiEEEESE_SE_SE_NS0_19identity_decomposerEEE10hipError_tT1_T2_T3_T4_jRjT5_jjP12ihipStream_tbEUlT_E_NS1_11comp_targetILNS1_3genE2ELNS1_11target_archE906ELNS1_3gpuE6ELNS1_3repE0EEENS1_44radix_sort_block_sort_config_static_selectorELNS0_4arch9wavefront6targetE1EEEvSH_.private_seg_size, 0
	.set _ZN7rocprim17ROCPRIM_400000_NS6detail17trampoline_kernelINS0_13kernel_configILj256ELj4ELj4294967295EEENS1_37radix_sort_block_sort_config_selectorIiiEEZNS1_21radix_sort_block_sortIS4_Lb1EN6thrust23THRUST_200600_302600_NS6detail15normal_iteratorINS9_10device_ptrIiEEEESE_SE_SE_NS0_19identity_decomposerEEE10hipError_tT1_T2_T3_T4_jRjT5_jjP12ihipStream_tbEUlT_E_NS1_11comp_targetILNS1_3genE2ELNS1_11target_archE906ELNS1_3gpuE6ELNS1_3repE0EEENS1_44radix_sort_block_sort_config_static_selectorELNS0_4arch9wavefront6targetE1EEEvSH_.uses_vcc, 0
	.set _ZN7rocprim17ROCPRIM_400000_NS6detail17trampoline_kernelINS0_13kernel_configILj256ELj4ELj4294967295EEENS1_37radix_sort_block_sort_config_selectorIiiEEZNS1_21radix_sort_block_sortIS4_Lb1EN6thrust23THRUST_200600_302600_NS6detail15normal_iteratorINS9_10device_ptrIiEEEESE_SE_SE_NS0_19identity_decomposerEEE10hipError_tT1_T2_T3_T4_jRjT5_jjP12ihipStream_tbEUlT_E_NS1_11comp_targetILNS1_3genE2ELNS1_11target_archE906ELNS1_3gpuE6ELNS1_3repE0EEENS1_44radix_sort_block_sort_config_static_selectorELNS0_4arch9wavefront6targetE1EEEvSH_.uses_flat_scratch, 0
	.set _ZN7rocprim17ROCPRIM_400000_NS6detail17trampoline_kernelINS0_13kernel_configILj256ELj4ELj4294967295EEENS1_37radix_sort_block_sort_config_selectorIiiEEZNS1_21radix_sort_block_sortIS4_Lb1EN6thrust23THRUST_200600_302600_NS6detail15normal_iteratorINS9_10device_ptrIiEEEESE_SE_SE_NS0_19identity_decomposerEEE10hipError_tT1_T2_T3_T4_jRjT5_jjP12ihipStream_tbEUlT_E_NS1_11comp_targetILNS1_3genE2ELNS1_11target_archE906ELNS1_3gpuE6ELNS1_3repE0EEENS1_44radix_sort_block_sort_config_static_selectorELNS0_4arch9wavefront6targetE1EEEvSH_.has_dyn_sized_stack, 0
	.set _ZN7rocprim17ROCPRIM_400000_NS6detail17trampoline_kernelINS0_13kernel_configILj256ELj4ELj4294967295EEENS1_37radix_sort_block_sort_config_selectorIiiEEZNS1_21radix_sort_block_sortIS4_Lb1EN6thrust23THRUST_200600_302600_NS6detail15normal_iteratorINS9_10device_ptrIiEEEESE_SE_SE_NS0_19identity_decomposerEEE10hipError_tT1_T2_T3_T4_jRjT5_jjP12ihipStream_tbEUlT_E_NS1_11comp_targetILNS1_3genE2ELNS1_11target_archE906ELNS1_3gpuE6ELNS1_3repE0EEENS1_44radix_sort_block_sort_config_static_selectorELNS0_4arch9wavefront6targetE1EEEvSH_.has_recursion, 0
	.set _ZN7rocprim17ROCPRIM_400000_NS6detail17trampoline_kernelINS0_13kernel_configILj256ELj4ELj4294967295EEENS1_37radix_sort_block_sort_config_selectorIiiEEZNS1_21radix_sort_block_sortIS4_Lb1EN6thrust23THRUST_200600_302600_NS6detail15normal_iteratorINS9_10device_ptrIiEEEESE_SE_SE_NS0_19identity_decomposerEEE10hipError_tT1_T2_T3_T4_jRjT5_jjP12ihipStream_tbEUlT_E_NS1_11comp_targetILNS1_3genE2ELNS1_11target_archE906ELNS1_3gpuE6ELNS1_3repE0EEENS1_44radix_sort_block_sort_config_static_selectorELNS0_4arch9wavefront6targetE1EEEvSH_.has_indirect_call, 0
	.section	.AMDGPU.csdata,"",@progbits
; Kernel info:
; codeLenInByte = 0
; TotalNumSgprs: 6
; NumVgprs: 0
; NumAgprs: 0
; TotalNumVgprs: 0
; ScratchSize: 0
; MemoryBound: 0
; FloatMode: 240
; IeeeMode: 1
; LDSByteSize: 0 bytes/workgroup (compile time only)
; SGPRBlocks: 0
; VGPRBlocks: 0
; NumSGPRsForWavesPerEU: 6
; NumVGPRsForWavesPerEU: 1
; AccumOffset: 4
; Occupancy: 8
; WaveLimiterHint : 0
; COMPUTE_PGM_RSRC2:SCRATCH_EN: 0
; COMPUTE_PGM_RSRC2:USER_SGPR: 2
; COMPUTE_PGM_RSRC2:TRAP_HANDLER: 0
; COMPUTE_PGM_RSRC2:TGID_X_EN: 1
; COMPUTE_PGM_RSRC2:TGID_Y_EN: 0
; COMPUTE_PGM_RSRC2:TGID_Z_EN: 0
; COMPUTE_PGM_RSRC2:TIDIG_COMP_CNT: 0
; COMPUTE_PGM_RSRC3_GFX90A:ACCUM_OFFSET: 0
; COMPUTE_PGM_RSRC3_GFX90A:TG_SPLIT: 0
	.section	.text._ZN7rocprim17ROCPRIM_400000_NS6detail17trampoline_kernelINS0_13kernel_configILj256ELj4ELj4294967295EEENS1_37radix_sort_block_sort_config_selectorIiiEEZNS1_21radix_sort_block_sortIS4_Lb1EN6thrust23THRUST_200600_302600_NS6detail15normal_iteratorINS9_10device_ptrIiEEEESE_SE_SE_NS0_19identity_decomposerEEE10hipError_tT1_T2_T3_T4_jRjT5_jjP12ihipStream_tbEUlT_E_NS1_11comp_targetILNS1_3genE10ELNS1_11target_archE1201ELNS1_3gpuE5ELNS1_3repE0EEENS1_44radix_sort_block_sort_config_static_selectorELNS0_4arch9wavefront6targetE1EEEvSH_,"axG",@progbits,_ZN7rocprim17ROCPRIM_400000_NS6detail17trampoline_kernelINS0_13kernel_configILj256ELj4ELj4294967295EEENS1_37radix_sort_block_sort_config_selectorIiiEEZNS1_21radix_sort_block_sortIS4_Lb1EN6thrust23THRUST_200600_302600_NS6detail15normal_iteratorINS9_10device_ptrIiEEEESE_SE_SE_NS0_19identity_decomposerEEE10hipError_tT1_T2_T3_T4_jRjT5_jjP12ihipStream_tbEUlT_E_NS1_11comp_targetILNS1_3genE10ELNS1_11target_archE1201ELNS1_3gpuE5ELNS1_3repE0EEENS1_44radix_sort_block_sort_config_static_selectorELNS0_4arch9wavefront6targetE1EEEvSH_,comdat
	.protected	_ZN7rocprim17ROCPRIM_400000_NS6detail17trampoline_kernelINS0_13kernel_configILj256ELj4ELj4294967295EEENS1_37radix_sort_block_sort_config_selectorIiiEEZNS1_21radix_sort_block_sortIS4_Lb1EN6thrust23THRUST_200600_302600_NS6detail15normal_iteratorINS9_10device_ptrIiEEEESE_SE_SE_NS0_19identity_decomposerEEE10hipError_tT1_T2_T3_T4_jRjT5_jjP12ihipStream_tbEUlT_E_NS1_11comp_targetILNS1_3genE10ELNS1_11target_archE1201ELNS1_3gpuE5ELNS1_3repE0EEENS1_44radix_sort_block_sort_config_static_selectorELNS0_4arch9wavefront6targetE1EEEvSH_ ; -- Begin function _ZN7rocprim17ROCPRIM_400000_NS6detail17trampoline_kernelINS0_13kernel_configILj256ELj4ELj4294967295EEENS1_37radix_sort_block_sort_config_selectorIiiEEZNS1_21radix_sort_block_sortIS4_Lb1EN6thrust23THRUST_200600_302600_NS6detail15normal_iteratorINS9_10device_ptrIiEEEESE_SE_SE_NS0_19identity_decomposerEEE10hipError_tT1_T2_T3_T4_jRjT5_jjP12ihipStream_tbEUlT_E_NS1_11comp_targetILNS1_3genE10ELNS1_11target_archE1201ELNS1_3gpuE5ELNS1_3repE0EEENS1_44radix_sort_block_sort_config_static_selectorELNS0_4arch9wavefront6targetE1EEEvSH_
	.globl	_ZN7rocprim17ROCPRIM_400000_NS6detail17trampoline_kernelINS0_13kernel_configILj256ELj4ELj4294967295EEENS1_37radix_sort_block_sort_config_selectorIiiEEZNS1_21radix_sort_block_sortIS4_Lb1EN6thrust23THRUST_200600_302600_NS6detail15normal_iteratorINS9_10device_ptrIiEEEESE_SE_SE_NS0_19identity_decomposerEEE10hipError_tT1_T2_T3_T4_jRjT5_jjP12ihipStream_tbEUlT_E_NS1_11comp_targetILNS1_3genE10ELNS1_11target_archE1201ELNS1_3gpuE5ELNS1_3repE0EEENS1_44radix_sort_block_sort_config_static_selectorELNS0_4arch9wavefront6targetE1EEEvSH_
	.p2align	8
	.type	_ZN7rocprim17ROCPRIM_400000_NS6detail17trampoline_kernelINS0_13kernel_configILj256ELj4ELj4294967295EEENS1_37radix_sort_block_sort_config_selectorIiiEEZNS1_21radix_sort_block_sortIS4_Lb1EN6thrust23THRUST_200600_302600_NS6detail15normal_iteratorINS9_10device_ptrIiEEEESE_SE_SE_NS0_19identity_decomposerEEE10hipError_tT1_T2_T3_T4_jRjT5_jjP12ihipStream_tbEUlT_E_NS1_11comp_targetILNS1_3genE10ELNS1_11target_archE1201ELNS1_3gpuE5ELNS1_3repE0EEENS1_44radix_sort_block_sort_config_static_selectorELNS0_4arch9wavefront6targetE1EEEvSH_,@function
_ZN7rocprim17ROCPRIM_400000_NS6detail17trampoline_kernelINS0_13kernel_configILj256ELj4ELj4294967295EEENS1_37radix_sort_block_sort_config_selectorIiiEEZNS1_21radix_sort_block_sortIS4_Lb1EN6thrust23THRUST_200600_302600_NS6detail15normal_iteratorINS9_10device_ptrIiEEEESE_SE_SE_NS0_19identity_decomposerEEE10hipError_tT1_T2_T3_T4_jRjT5_jjP12ihipStream_tbEUlT_E_NS1_11comp_targetILNS1_3genE10ELNS1_11target_archE1201ELNS1_3gpuE5ELNS1_3repE0EEENS1_44radix_sort_block_sort_config_static_selectorELNS0_4arch9wavefront6targetE1EEEvSH_: ; @_ZN7rocprim17ROCPRIM_400000_NS6detail17trampoline_kernelINS0_13kernel_configILj256ELj4ELj4294967295EEENS1_37radix_sort_block_sort_config_selectorIiiEEZNS1_21radix_sort_block_sortIS4_Lb1EN6thrust23THRUST_200600_302600_NS6detail15normal_iteratorINS9_10device_ptrIiEEEESE_SE_SE_NS0_19identity_decomposerEEE10hipError_tT1_T2_T3_T4_jRjT5_jjP12ihipStream_tbEUlT_E_NS1_11comp_targetILNS1_3genE10ELNS1_11target_archE1201ELNS1_3gpuE5ELNS1_3repE0EEENS1_44radix_sort_block_sort_config_static_selectorELNS0_4arch9wavefront6targetE1EEEvSH_
; %bb.0:
	.section	.rodata,"a",@progbits
	.p2align	6, 0x0
	.amdhsa_kernel _ZN7rocprim17ROCPRIM_400000_NS6detail17trampoline_kernelINS0_13kernel_configILj256ELj4ELj4294967295EEENS1_37radix_sort_block_sort_config_selectorIiiEEZNS1_21radix_sort_block_sortIS4_Lb1EN6thrust23THRUST_200600_302600_NS6detail15normal_iteratorINS9_10device_ptrIiEEEESE_SE_SE_NS0_19identity_decomposerEEE10hipError_tT1_T2_T3_T4_jRjT5_jjP12ihipStream_tbEUlT_E_NS1_11comp_targetILNS1_3genE10ELNS1_11target_archE1201ELNS1_3gpuE5ELNS1_3repE0EEENS1_44radix_sort_block_sort_config_static_selectorELNS0_4arch9wavefront6targetE1EEEvSH_
		.amdhsa_group_segment_fixed_size 0
		.amdhsa_private_segment_fixed_size 0
		.amdhsa_kernarg_size 48
		.amdhsa_user_sgpr_count 2
		.amdhsa_user_sgpr_dispatch_ptr 0
		.amdhsa_user_sgpr_queue_ptr 0
		.amdhsa_user_sgpr_kernarg_segment_ptr 1
		.amdhsa_user_sgpr_dispatch_id 0
		.amdhsa_user_sgpr_kernarg_preload_length 0
		.amdhsa_user_sgpr_kernarg_preload_offset 0
		.amdhsa_user_sgpr_private_segment_size 0
		.amdhsa_uses_dynamic_stack 0
		.amdhsa_enable_private_segment 0
		.amdhsa_system_sgpr_workgroup_id_x 1
		.amdhsa_system_sgpr_workgroup_id_y 0
		.amdhsa_system_sgpr_workgroup_id_z 0
		.amdhsa_system_sgpr_workgroup_info 0
		.amdhsa_system_vgpr_workitem_id 0
		.amdhsa_next_free_vgpr 1
		.amdhsa_next_free_sgpr 0
		.amdhsa_accum_offset 4
		.amdhsa_reserve_vcc 0
		.amdhsa_float_round_mode_32 0
		.amdhsa_float_round_mode_16_64 0
		.amdhsa_float_denorm_mode_32 3
		.amdhsa_float_denorm_mode_16_64 3
		.amdhsa_dx10_clamp 1
		.amdhsa_ieee_mode 1
		.amdhsa_fp16_overflow 0
		.amdhsa_tg_split 0
		.amdhsa_exception_fp_ieee_invalid_op 0
		.amdhsa_exception_fp_denorm_src 0
		.amdhsa_exception_fp_ieee_div_zero 0
		.amdhsa_exception_fp_ieee_overflow 0
		.amdhsa_exception_fp_ieee_underflow 0
		.amdhsa_exception_fp_ieee_inexact 0
		.amdhsa_exception_int_div_zero 0
	.end_amdhsa_kernel
	.section	.text._ZN7rocprim17ROCPRIM_400000_NS6detail17trampoline_kernelINS0_13kernel_configILj256ELj4ELj4294967295EEENS1_37radix_sort_block_sort_config_selectorIiiEEZNS1_21radix_sort_block_sortIS4_Lb1EN6thrust23THRUST_200600_302600_NS6detail15normal_iteratorINS9_10device_ptrIiEEEESE_SE_SE_NS0_19identity_decomposerEEE10hipError_tT1_T2_T3_T4_jRjT5_jjP12ihipStream_tbEUlT_E_NS1_11comp_targetILNS1_3genE10ELNS1_11target_archE1201ELNS1_3gpuE5ELNS1_3repE0EEENS1_44radix_sort_block_sort_config_static_selectorELNS0_4arch9wavefront6targetE1EEEvSH_,"axG",@progbits,_ZN7rocprim17ROCPRIM_400000_NS6detail17trampoline_kernelINS0_13kernel_configILj256ELj4ELj4294967295EEENS1_37radix_sort_block_sort_config_selectorIiiEEZNS1_21radix_sort_block_sortIS4_Lb1EN6thrust23THRUST_200600_302600_NS6detail15normal_iteratorINS9_10device_ptrIiEEEESE_SE_SE_NS0_19identity_decomposerEEE10hipError_tT1_T2_T3_T4_jRjT5_jjP12ihipStream_tbEUlT_E_NS1_11comp_targetILNS1_3genE10ELNS1_11target_archE1201ELNS1_3gpuE5ELNS1_3repE0EEENS1_44radix_sort_block_sort_config_static_selectorELNS0_4arch9wavefront6targetE1EEEvSH_,comdat
.Lfunc_end881:
	.size	_ZN7rocprim17ROCPRIM_400000_NS6detail17trampoline_kernelINS0_13kernel_configILj256ELj4ELj4294967295EEENS1_37radix_sort_block_sort_config_selectorIiiEEZNS1_21radix_sort_block_sortIS4_Lb1EN6thrust23THRUST_200600_302600_NS6detail15normal_iteratorINS9_10device_ptrIiEEEESE_SE_SE_NS0_19identity_decomposerEEE10hipError_tT1_T2_T3_T4_jRjT5_jjP12ihipStream_tbEUlT_E_NS1_11comp_targetILNS1_3genE10ELNS1_11target_archE1201ELNS1_3gpuE5ELNS1_3repE0EEENS1_44radix_sort_block_sort_config_static_selectorELNS0_4arch9wavefront6targetE1EEEvSH_, .Lfunc_end881-_ZN7rocprim17ROCPRIM_400000_NS6detail17trampoline_kernelINS0_13kernel_configILj256ELj4ELj4294967295EEENS1_37radix_sort_block_sort_config_selectorIiiEEZNS1_21radix_sort_block_sortIS4_Lb1EN6thrust23THRUST_200600_302600_NS6detail15normal_iteratorINS9_10device_ptrIiEEEESE_SE_SE_NS0_19identity_decomposerEEE10hipError_tT1_T2_T3_T4_jRjT5_jjP12ihipStream_tbEUlT_E_NS1_11comp_targetILNS1_3genE10ELNS1_11target_archE1201ELNS1_3gpuE5ELNS1_3repE0EEENS1_44radix_sort_block_sort_config_static_selectorELNS0_4arch9wavefront6targetE1EEEvSH_
                                        ; -- End function
	.set _ZN7rocprim17ROCPRIM_400000_NS6detail17trampoline_kernelINS0_13kernel_configILj256ELj4ELj4294967295EEENS1_37radix_sort_block_sort_config_selectorIiiEEZNS1_21radix_sort_block_sortIS4_Lb1EN6thrust23THRUST_200600_302600_NS6detail15normal_iteratorINS9_10device_ptrIiEEEESE_SE_SE_NS0_19identity_decomposerEEE10hipError_tT1_T2_T3_T4_jRjT5_jjP12ihipStream_tbEUlT_E_NS1_11comp_targetILNS1_3genE10ELNS1_11target_archE1201ELNS1_3gpuE5ELNS1_3repE0EEENS1_44radix_sort_block_sort_config_static_selectorELNS0_4arch9wavefront6targetE1EEEvSH_.num_vgpr, 0
	.set _ZN7rocprim17ROCPRIM_400000_NS6detail17trampoline_kernelINS0_13kernel_configILj256ELj4ELj4294967295EEENS1_37radix_sort_block_sort_config_selectorIiiEEZNS1_21radix_sort_block_sortIS4_Lb1EN6thrust23THRUST_200600_302600_NS6detail15normal_iteratorINS9_10device_ptrIiEEEESE_SE_SE_NS0_19identity_decomposerEEE10hipError_tT1_T2_T3_T4_jRjT5_jjP12ihipStream_tbEUlT_E_NS1_11comp_targetILNS1_3genE10ELNS1_11target_archE1201ELNS1_3gpuE5ELNS1_3repE0EEENS1_44radix_sort_block_sort_config_static_selectorELNS0_4arch9wavefront6targetE1EEEvSH_.num_agpr, 0
	.set _ZN7rocprim17ROCPRIM_400000_NS6detail17trampoline_kernelINS0_13kernel_configILj256ELj4ELj4294967295EEENS1_37radix_sort_block_sort_config_selectorIiiEEZNS1_21radix_sort_block_sortIS4_Lb1EN6thrust23THRUST_200600_302600_NS6detail15normal_iteratorINS9_10device_ptrIiEEEESE_SE_SE_NS0_19identity_decomposerEEE10hipError_tT1_T2_T3_T4_jRjT5_jjP12ihipStream_tbEUlT_E_NS1_11comp_targetILNS1_3genE10ELNS1_11target_archE1201ELNS1_3gpuE5ELNS1_3repE0EEENS1_44radix_sort_block_sort_config_static_selectorELNS0_4arch9wavefront6targetE1EEEvSH_.numbered_sgpr, 0
	.set _ZN7rocprim17ROCPRIM_400000_NS6detail17trampoline_kernelINS0_13kernel_configILj256ELj4ELj4294967295EEENS1_37radix_sort_block_sort_config_selectorIiiEEZNS1_21radix_sort_block_sortIS4_Lb1EN6thrust23THRUST_200600_302600_NS6detail15normal_iteratorINS9_10device_ptrIiEEEESE_SE_SE_NS0_19identity_decomposerEEE10hipError_tT1_T2_T3_T4_jRjT5_jjP12ihipStream_tbEUlT_E_NS1_11comp_targetILNS1_3genE10ELNS1_11target_archE1201ELNS1_3gpuE5ELNS1_3repE0EEENS1_44radix_sort_block_sort_config_static_selectorELNS0_4arch9wavefront6targetE1EEEvSH_.num_named_barrier, 0
	.set _ZN7rocprim17ROCPRIM_400000_NS6detail17trampoline_kernelINS0_13kernel_configILj256ELj4ELj4294967295EEENS1_37radix_sort_block_sort_config_selectorIiiEEZNS1_21radix_sort_block_sortIS4_Lb1EN6thrust23THRUST_200600_302600_NS6detail15normal_iteratorINS9_10device_ptrIiEEEESE_SE_SE_NS0_19identity_decomposerEEE10hipError_tT1_T2_T3_T4_jRjT5_jjP12ihipStream_tbEUlT_E_NS1_11comp_targetILNS1_3genE10ELNS1_11target_archE1201ELNS1_3gpuE5ELNS1_3repE0EEENS1_44radix_sort_block_sort_config_static_selectorELNS0_4arch9wavefront6targetE1EEEvSH_.private_seg_size, 0
	.set _ZN7rocprim17ROCPRIM_400000_NS6detail17trampoline_kernelINS0_13kernel_configILj256ELj4ELj4294967295EEENS1_37radix_sort_block_sort_config_selectorIiiEEZNS1_21radix_sort_block_sortIS4_Lb1EN6thrust23THRUST_200600_302600_NS6detail15normal_iteratorINS9_10device_ptrIiEEEESE_SE_SE_NS0_19identity_decomposerEEE10hipError_tT1_T2_T3_T4_jRjT5_jjP12ihipStream_tbEUlT_E_NS1_11comp_targetILNS1_3genE10ELNS1_11target_archE1201ELNS1_3gpuE5ELNS1_3repE0EEENS1_44radix_sort_block_sort_config_static_selectorELNS0_4arch9wavefront6targetE1EEEvSH_.uses_vcc, 0
	.set _ZN7rocprim17ROCPRIM_400000_NS6detail17trampoline_kernelINS0_13kernel_configILj256ELj4ELj4294967295EEENS1_37radix_sort_block_sort_config_selectorIiiEEZNS1_21radix_sort_block_sortIS4_Lb1EN6thrust23THRUST_200600_302600_NS6detail15normal_iteratorINS9_10device_ptrIiEEEESE_SE_SE_NS0_19identity_decomposerEEE10hipError_tT1_T2_T3_T4_jRjT5_jjP12ihipStream_tbEUlT_E_NS1_11comp_targetILNS1_3genE10ELNS1_11target_archE1201ELNS1_3gpuE5ELNS1_3repE0EEENS1_44radix_sort_block_sort_config_static_selectorELNS0_4arch9wavefront6targetE1EEEvSH_.uses_flat_scratch, 0
	.set _ZN7rocprim17ROCPRIM_400000_NS6detail17trampoline_kernelINS0_13kernel_configILj256ELj4ELj4294967295EEENS1_37radix_sort_block_sort_config_selectorIiiEEZNS1_21radix_sort_block_sortIS4_Lb1EN6thrust23THRUST_200600_302600_NS6detail15normal_iteratorINS9_10device_ptrIiEEEESE_SE_SE_NS0_19identity_decomposerEEE10hipError_tT1_T2_T3_T4_jRjT5_jjP12ihipStream_tbEUlT_E_NS1_11comp_targetILNS1_3genE10ELNS1_11target_archE1201ELNS1_3gpuE5ELNS1_3repE0EEENS1_44radix_sort_block_sort_config_static_selectorELNS0_4arch9wavefront6targetE1EEEvSH_.has_dyn_sized_stack, 0
	.set _ZN7rocprim17ROCPRIM_400000_NS6detail17trampoline_kernelINS0_13kernel_configILj256ELj4ELj4294967295EEENS1_37radix_sort_block_sort_config_selectorIiiEEZNS1_21radix_sort_block_sortIS4_Lb1EN6thrust23THRUST_200600_302600_NS6detail15normal_iteratorINS9_10device_ptrIiEEEESE_SE_SE_NS0_19identity_decomposerEEE10hipError_tT1_T2_T3_T4_jRjT5_jjP12ihipStream_tbEUlT_E_NS1_11comp_targetILNS1_3genE10ELNS1_11target_archE1201ELNS1_3gpuE5ELNS1_3repE0EEENS1_44radix_sort_block_sort_config_static_selectorELNS0_4arch9wavefront6targetE1EEEvSH_.has_recursion, 0
	.set _ZN7rocprim17ROCPRIM_400000_NS6detail17trampoline_kernelINS0_13kernel_configILj256ELj4ELj4294967295EEENS1_37radix_sort_block_sort_config_selectorIiiEEZNS1_21radix_sort_block_sortIS4_Lb1EN6thrust23THRUST_200600_302600_NS6detail15normal_iteratorINS9_10device_ptrIiEEEESE_SE_SE_NS0_19identity_decomposerEEE10hipError_tT1_T2_T3_T4_jRjT5_jjP12ihipStream_tbEUlT_E_NS1_11comp_targetILNS1_3genE10ELNS1_11target_archE1201ELNS1_3gpuE5ELNS1_3repE0EEENS1_44radix_sort_block_sort_config_static_selectorELNS0_4arch9wavefront6targetE1EEEvSH_.has_indirect_call, 0
	.section	.AMDGPU.csdata,"",@progbits
; Kernel info:
; codeLenInByte = 0
; TotalNumSgprs: 6
; NumVgprs: 0
; NumAgprs: 0
; TotalNumVgprs: 0
; ScratchSize: 0
; MemoryBound: 0
; FloatMode: 240
; IeeeMode: 1
; LDSByteSize: 0 bytes/workgroup (compile time only)
; SGPRBlocks: 0
; VGPRBlocks: 0
; NumSGPRsForWavesPerEU: 6
; NumVGPRsForWavesPerEU: 1
; AccumOffset: 4
; Occupancy: 8
; WaveLimiterHint : 0
; COMPUTE_PGM_RSRC2:SCRATCH_EN: 0
; COMPUTE_PGM_RSRC2:USER_SGPR: 2
; COMPUTE_PGM_RSRC2:TRAP_HANDLER: 0
; COMPUTE_PGM_RSRC2:TGID_X_EN: 1
; COMPUTE_PGM_RSRC2:TGID_Y_EN: 0
; COMPUTE_PGM_RSRC2:TGID_Z_EN: 0
; COMPUTE_PGM_RSRC2:TIDIG_COMP_CNT: 0
; COMPUTE_PGM_RSRC3_GFX90A:ACCUM_OFFSET: 0
; COMPUTE_PGM_RSRC3_GFX90A:TG_SPLIT: 0
	.section	.text._ZN7rocprim17ROCPRIM_400000_NS6detail17trampoline_kernelINS0_13kernel_configILj256ELj4ELj4294967295EEENS1_37radix_sort_block_sort_config_selectorIiiEEZNS1_21radix_sort_block_sortIS4_Lb1EN6thrust23THRUST_200600_302600_NS6detail15normal_iteratorINS9_10device_ptrIiEEEESE_SE_SE_NS0_19identity_decomposerEEE10hipError_tT1_T2_T3_T4_jRjT5_jjP12ihipStream_tbEUlT_E_NS1_11comp_targetILNS1_3genE10ELNS1_11target_archE1200ELNS1_3gpuE4ELNS1_3repE0EEENS1_44radix_sort_block_sort_config_static_selectorELNS0_4arch9wavefront6targetE1EEEvSH_,"axG",@progbits,_ZN7rocprim17ROCPRIM_400000_NS6detail17trampoline_kernelINS0_13kernel_configILj256ELj4ELj4294967295EEENS1_37radix_sort_block_sort_config_selectorIiiEEZNS1_21radix_sort_block_sortIS4_Lb1EN6thrust23THRUST_200600_302600_NS6detail15normal_iteratorINS9_10device_ptrIiEEEESE_SE_SE_NS0_19identity_decomposerEEE10hipError_tT1_T2_T3_T4_jRjT5_jjP12ihipStream_tbEUlT_E_NS1_11comp_targetILNS1_3genE10ELNS1_11target_archE1200ELNS1_3gpuE4ELNS1_3repE0EEENS1_44radix_sort_block_sort_config_static_selectorELNS0_4arch9wavefront6targetE1EEEvSH_,comdat
	.protected	_ZN7rocprim17ROCPRIM_400000_NS6detail17trampoline_kernelINS0_13kernel_configILj256ELj4ELj4294967295EEENS1_37radix_sort_block_sort_config_selectorIiiEEZNS1_21radix_sort_block_sortIS4_Lb1EN6thrust23THRUST_200600_302600_NS6detail15normal_iteratorINS9_10device_ptrIiEEEESE_SE_SE_NS0_19identity_decomposerEEE10hipError_tT1_T2_T3_T4_jRjT5_jjP12ihipStream_tbEUlT_E_NS1_11comp_targetILNS1_3genE10ELNS1_11target_archE1200ELNS1_3gpuE4ELNS1_3repE0EEENS1_44radix_sort_block_sort_config_static_selectorELNS0_4arch9wavefront6targetE1EEEvSH_ ; -- Begin function _ZN7rocprim17ROCPRIM_400000_NS6detail17trampoline_kernelINS0_13kernel_configILj256ELj4ELj4294967295EEENS1_37radix_sort_block_sort_config_selectorIiiEEZNS1_21radix_sort_block_sortIS4_Lb1EN6thrust23THRUST_200600_302600_NS6detail15normal_iteratorINS9_10device_ptrIiEEEESE_SE_SE_NS0_19identity_decomposerEEE10hipError_tT1_T2_T3_T4_jRjT5_jjP12ihipStream_tbEUlT_E_NS1_11comp_targetILNS1_3genE10ELNS1_11target_archE1200ELNS1_3gpuE4ELNS1_3repE0EEENS1_44radix_sort_block_sort_config_static_selectorELNS0_4arch9wavefront6targetE1EEEvSH_
	.globl	_ZN7rocprim17ROCPRIM_400000_NS6detail17trampoline_kernelINS0_13kernel_configILj256ELj4ELj4294967295EEENS1_37radix_sort_block_sort_config_selectorIiiEEZNS1_21radix_sort_block_sortIS4_Lb1EN6thrust23THRUST_200600_302600_NS6detail15normal_iteratorINS9_10device_ptrIiEEEESE_SE_SE_NS0_19identity_decomposerEEE10hipError_tT1_T2_T3_T4_jRjT5_jjP12ihipStream_tbEUlT_E_NS1_11comp_targetILNS1_3genE10ELNS1_11target_archE1200ELNS1_3gpuE4ELNS1_3repE0EEENS1_44radix_sort_block_sort_config_static_selectorELNS0_4arch9wavefront6targetE1EEEvSH_
	.p2align	8
	.type	_ZN7rocprim17ROCPRIM_400000_NS6detail17trampoline_kernelINS0_13kernel_configILj256ELj4ELj4294967295EEENS1_37radix_sort_block_sort_config_selectorIiiEEZNS1_21radix_sort_block_sortIS4_Lb1EN6thrust23THRUST_200600_302600_NS6detail15normal_iteratorINS9_10device_ptrIiEEEESE_SE_SE_NS0_19identity_decomposerEEE10hipError_tT1_T2_T3_T4_jRjT5_jjP12ihipStream_tbEUlT_E_NS1_11comp_targetILNS1_3genE10ELNS1_11target_archE1200ELNS1_3gpuE4ELNS1_3repE0EEENS1_44radix_sort_block_sort_config_static_selectorELNS0_4arch9wavefront6targetE1EEEvSH_,@function
_ZN7rocprim17ROCPRIM_400000_NS6detail17trampoline_kernelINS0_13kernel_configILj256ELj4ELj4294967295EEENS1_37radix_sort_block_sort_config_selectorIiiEEZNS1_21radix_sort_block_sortIS4_Lb1EN6thrust23THRUST_200600_302600_NS6detail15normal_iteratorINS9_10device_ptrIiEEEESE_SE_SE_NS0_19identity_decomposerEEE10hipError_tT1_T2_T3_T4_jRjT5_jjP12ihipStream_tbEUlT_E_NS1_11comp_targetILNS1_3genE10ELNS1_11target_archE1200ELNS1_3gpuE4ELNS1_3repE0EEENS1_44radix_sort_block_sort_config_static_selectorELNS0_4arch9wavefront6targetE1EEEvSH_: ; @_ZN7rocprim17ROCPRIM_400000_NS6detail17trampoline_kernelINS0_13kernel_configILj256ELj4ELj4294967295EEENS1_37radix_sort_block_sort_config_selectorIiiEEZNS1_21radix_sort_block_sortIS4_Lb1EN6thrust23THRUST_200600_302600_NS6detail15normal_iteratorINS9_10device_ptrIiEEEESE_SE_SE_NS0_19identity_decomposerEEE10hipError_tT1_T2_T3_T4_jRjT5_jjP12ihipStream_tbEUlT_E_NS1_11comp_targetILNS1_3genE10ELNS1_11target_archE1200ELNS1_3gpuE4ELNS1_3repE0EEENS1_44radix_sort_block_sort_config_static_selectorELNS0_4arch9wavefront6targetE1EEEvSH_
; %bb.0:
	.section	.rodata,"a",@progbits
	.p2align	6, 0x0
	.amdhsa_kernel _ZN7rocprim17ROCPRIM_400000_NS6detail17trampoline_kernelINS0_13kernel_configILj256ELj4ELj4294967295EEENS1_37radix_sort_block_sort_config_selectorIiiEEZNS1_21radix_sort_block_sortIS4_Lb1EN6thrust23THRUST_200600_302600_NS6detail15normal_iteratorINS9_10device_ptrIiEEEESE_SE_SE_NS0_19identity_decomposerEEE10hipError_tT1_T2_T3_T4_jRjT5_jjP12ihipStream_tbEUlT_E_NS1_11comp_targetILNS1_3genE10ELNS1_11target_archE1200ELNS1_3gpuE4ELNS1_3repE0EEENS1_44radix_sort_block_sort_config_static_selectorELNS0_4arch9wavefront6targetE1EEEvSH_
		.amdhsa_group_segment_fixed_size 0
		.amdhsa_private_segment_fixed_size 0
		.amdhsa_kernarg_size 48
		.amdhsa_user_sgpr_count 2
		.amdhsa_user_sgpr_dispatch_ptr 0
		.amdhsa_user_sgpr_queue_ptr 0
		.amdhsa_user_sgpr_kernarg_segment_ptr 1
		.amdhsa_user_sgpr_dispatch_id 0
		.amdhsa_user_sgpr_kernarg_preload_length 0
		.amdhsa_user_sgpr_kernarg_preload_offset 0
		.amdhsa_user_sgpr_private_segment_size 0
		.amdhsa_uses_dynamic_stack 0
		.amdhsa_enable_private_segment 0
		.amdhsa_system_sgpr_workgroup_id_x 1
		.amdhsa_system_sgpr_workgroup_id_y 0
		.amdhsa_system_sgpr_workgroup_id_z 0
		.amdhsa_system_sgpr_workgroup_info 0
		.amdhsa_system_vgpr_workitem_id 0
		.amdhsa_next_free_vgpr 1
		.amdhsa_next_free_sgpr 0
		.amdhsa_accum_offset 4
		.amdhsa_reserve_vcc 0
		.amdhsa_float_round_mode_32 0
		.amdhsa_float_round_mode_16_64 0
		.amdhsa_float_denorm_mode_32 3
		.amdhsa_float_denorm_mode_16_64 3
		.amdhsa_dx10_clamp 1
		.amdhsa_ieee_mode 1
		.amdhsa_fp16_overflow 0
		.amdhsa_tg_split 0
		.amdhsa_exception_fp_ieee_invalid_op 0
		.amdhsa_exception_fp_denorm_src 0
		.amdhsa_exception_fp_ieee_div_zero 0
		.amdhsa_exception_fp_ieee_overflow 0
		.amdhsa_exception_fp_ieee_underflow 0
		.amdhsa_exception_fp_ieee_inexact 0
		.amdhsa_exception_int_div_zero 0
	.end_amdhsa_kernel
	.section	.text._ZN7rocprim17ROCPRIM_400000_NS6detail17trampoline_kernelINS0_13kernel_configILj256ELj4ELj4294967295EEENS1_37radix_sort_block_sort_config_selectorIiiEEZNS1_21radix_sort_block_sortIS4_Lb1EN6thrust23THRUST_200600_302600_NS6detail15normal_iteratorINS9_10device_ptrIiEEEESE_SE_SE_NS0_19identity_decomposerEEE10hipError_tT1_T2_T3_T4_jRjT5_jjP12ihipStream_tbEUlT_E_NS1_11comp_targetILNS1_3genE10ELNS1_11target_archE1200ELNS1_3gpuE4ELNS1_3repE0EEENS1_44radix_sort_block_sort_config_static_selectorELNS0_4arch9wavefront6targetE1EEEvSH_,"axG",@progbits,_ZN7rocprim17ROCPRIM_400000_NS6detail17trampoline_kernelINS0_13kernel_configILj256ELj4ELj4294967295EEENS1_37radix_sort_block_sort_config_selectorIiiEEZNS1_21radix_sort_block_sortIS4_Lb1EN6thrust23THRUST_200600_302600_NS6detail15normal_iteratorINS9_10device_ptrIiEEEESE_SE_SE_NS0_19identity_decomposerEEE10hipError_tT1_T2_T3_T4_jRjT5_jjP12ihipStream_tbEUlT_E_NS1_11comp_targetILNS1_3genE10ELNS1_11target_archE1200ELNS1_3gpuE4ELNS1_3repE0EEENS1_44radix_sort_block_sort_config_static_selectorELNS0_4arch9wavefront6targetE1EEEvSH_,comdat
.Lfunc_end882:
	.size	_ZN7rocprim17ROCPRIM_400000_NS6detail17trampoline_kernelINS0_13kernel_configILj256ELj4ELj4294967295EEENS1_37radix_sort_block_sort_config_selectorIiiEEZNS1_21radix_sort_block_sortIS4_Lb1EN6thrust23THRUST_200600_302600_NS6detail15normal_iteratorINS9_10device_ptrIiEEEESE_SE_SE_NS0_19identity_decomposerEEE10hipError_tT1_T2_T3_T4_jRjT5_jjP12ihipStream_tbEUlT_E_NS1_11comp_targetILNS1_3genE10ELNS1_11target_archE1200ELNS1_3gpuE4ELNS1_3repE0EEENS1_44radix_sort_block_sort_config_static_selectorELNS0_4arch9wavefront6targetE1EEEvSH_, .Lfunc_end882-_ZN7rocprim17ROCPRIM_400000_NS6detail17trampoline_kernelINS0_13kernel_configILj256ELj4ELj4294967295EEENS1_37radix_sort_block_sort_config_selectorIiiEEZNS1_21radix_sort_block_sortIS4_Lb1EN6thrust23THRUST_200600_302600_NS6detail15normal_iteratorINS9_10device_ptrIiEEEESE_SE_SE_NS0_19identity_decomposerEEE10hipError_tT1_T2_T3_T4_jRjT5_jjP12ihipStream_tbEUlT_E_NS1_11comp_targetILNS1_3genE10ELNS1_11target_archE1200ELNS1_3gpuE4ELNS1_3repE0EEENS1_44radix_sort_block_sort_config_static_selectorELNS0_4arch9wavefront6targetE1EEEvSH_
                                        ; -- End function
	.set _ZN7rocprim17ROCPRIM_400000_NS6detail17trampoline_kernelINS0_13kernel_configILj256ELj4ELj4294967295EEENS1_37radix_sort_block_sort_config_selectorIiiEEZNS1_21radix_sort_block_sortIS4_Lb1EN6thrust23THRUST_200600_302600_NS6detail15normal_iteratorINS9_10device_ptrIiEEEESE_SE_SE_NS0_19identity_decomposerEEE10hipError_tT1_T2_T3_T4_jRjT5_jjP12ihipStream_tbEUlT_E_NS1_11comp_targetILNS1_3genE10ELNS1_11target_archE1200ELNS1_3gpuE4ELNS1_3repE0EEENS1_44radix_sort_block_sort_config_static_selectorELNS0_4arch9wavefront6targetE1EEEvSH_.num_vgpr, 0
	.set _ZN7rocprim17ROCPRIM_400000_NS6detail17trampoline_kernelINS0_13kernel_configILj256ELj4ELj4294967295EEENS1_37radix_sort_block_sort_config_selectorIiiEEZNS1_21radix_sort_block_sortIS4_Lb1EN6thrust23THRUST_200600_302600_NS6detail15normal_iteratorINS9_10device_ptrIiEEEESE_SE_SE_NS0_19identity_decomposerEEE10hipError_tT1_T2_T3_T4_jRjT5_jjP12ihipStream_tbEUlT_E_NS1_11comp_targetILNS1_3genE10ELNS1_11target_archE1200ELNS1_3gpuE4ELNS1_3repE0EEENS1_44radix_sort_block_sort_config_static_selectorELNS0_4arch9wavefront6targetE1EEEvSH_.num_agpr, 0
	.set _ZN7rocprim17ROCPRIM_400000_NS6detail17trampoline_kernelINS0_13kernel_configILj256ELj4ELj4294967295EEENS1_37radix_sort_block_sort_config_selectorIiiEEZNS1_21radix_sort_block_sortIS4_Lb1EN6thrust23THRUST_200600_302600_NS6detail15normal_iteratorINS9_10device_ptrIiEEEESE_SE_SE_NS0_19identity_decomposerEEE10hipError_tT1_T2_T3_T4_jRjT5_jjP12ihipStream_tbEUlT_E_NS1_11comp_targetILNS1_3genE10ELNS1_11target_archE1200ELNS1_3gpuE4ELNS1_3repE0EEENS1_44radix_sort_block_sort_config_static_selectorELNS0_4arch9wavefront6targetE1EEEvSH_.numbered_sgpr, 0
	.set _ZN7rocprim17ROCPRIM_400000_NS6detail17trampoline_kernelINS0_13kernel_configILj256ELj4ELj4294967295EEENS1_37radix_sort_block_sort_config_selectorIiiEEZNS1_21radix_sort_block_sortIS4_Lb1EN6thrust23THRUST_200600_302600_NS6detail15normal_iteratorINS9_10device_ptrIiEEEESE_SE_SE_NS0_19identity_decomposerEEE10hipError_tT1_T2_T3_T4_jRjT5_jjP12ihipStream_tbEUlT_E_NS1_11comp_targetILNS1_3genE10ELNS1_11target_archE1200ELNS1_3gpuE4ELNS1_3repE0EEENS1_44radix_sort_block_sort_config_static_selectorELNS0_4arch9wavefront6targetE1EEEvSH_.num_named_barrier, 0
	.set _ZN7rocprim17ROCPRIM_400000_NS6detail17trampoline_kernelINS0_13kernel_configILj256ELj4ELj4294967295EEENS1_37radix_sort_block_sort_config_selectorIiiEEZNS1_21radix_sort_block_sortIS4_Lb1EN6thrust23THRUST_200600_302600_NS6detail15normal_iteratorINS9_10device_ptrIiEEEESE_SE_SE_NS0_19identity_decomposerEEE10hipError_tT1_T2_T3_T4_jRjT5_jjP12ihipStream_tbEUlT_E_NS1_11comp_targetILNS1_3genE10ELNS1_11target_archE1200ELNS1_3gpuE4ELNS1_3repE0EEENS1_44radix_sort_block_sort_config_static_selectorELNS0_4arch9wavefront6targetE1EEEvSH_.private_seg_size, 0
	.set _ZN7rocprim17ROCPRIM_400000_NS6detail17trampoline_kernelINS0_13kernel_configILj256ELj4ELj4294967295EEENS1_37radix_sort_block_sort_config_selectorIiiEEZNS1_21radix_sort_block_sortIS4_Lb1EN6thrust23THRUST_200600_302600_NS6detail15normal_iteratorINS9_10device_ptrIiEEEESE_SE_SE_NS0_19identity_decomposerEEE10hipError_tT1_T2_T3_T4_jRjT5_jjP12ihipStream_tbEUlT_E_NS1_11comp_targetILNS1_3genE10ELNS1_11target_archE1200ELNS1_3gpuE4ELNS1_3repE0EEENS1_44radix_sort_block_sort_config_static_selectorELNS0_4arch9wavefront6targetE1EEEvSH_.uses_vcc, 0
	.set _ZN7rocprim17ROCPRIM_400000_NS6detail17trampoline_kernelINS0_13kernel_configILj256ELj4ELj4294967295EEENS1_37radix_sort_block_sort_config_selectorIiiEEZNS1_21radix_sort_block_sortIS4_Lb1EN6thrust23THRUST_200600_302600_NS6detail15normal_iteratorINS9_10device_ptrIiEEEESE_SE_SE_NS0_19identity_decomposerEEE10hipError_tT1_T2_T3_T4_jRjT5_jjP12ihipStream_tbEUlT_E_NS1_11comp_targetILNS1_3genE10ELNS1_11target_archE1200ELNS1_3gpuE4ELNS1_3repE0EEENS1_44radix_sort_block_sort_config_static_selectorELNS0_4arch9wavefront6targetE1EEEvSH_.uses_flat_scratch, 0
	.set _ZN7rocprim17ROCPRIM_400000_NS6detail17trampoline_kernelINS0_13kernel_configILj256ELj4ELj4294967295EEENS1_37radix_sort_block_sort_config_selectorIiiEEZNS1_21radix_sort_block_sortIS4_Lb1EN6thrust23THRUST_200600_302600_NS6detail15normal_iteratorINS9_10device_ptrIiEEEESE_SE_SE_NS0_19identity_decomposerEEE10hipError_tT1_T2_T3_T4_jRjT5_jjP12ihipStream_tbEUlT_E_NS1_11comp_targetILNS1_3genE10ELNS1_11target_archE1200ELNS1_3gpuE4ELNS1_3repE0EEENS1_44radix_sort_block_sort_config_static_selectorELNS0_4arch9wavefront6targetE1EEEvSH_.has_dyn_sized_stack, 0
	.set _ZN7rocprim17ROCPRIM_400000_NS6detail17trampoline_kernelINS0_13kernel_configILj256ELj4ELj4294967295EEENS1_37radix_sort_block_sort_config_selectorIiiEEZNS1_21radix_sort_block_sortIS4_Lb1EN6thrust23THRUST_200600_302600_NS6detail15normal_iteratorINS9_10device_ptrIiEEEESE_SE_SE_NS0_19identity_decomposerEEE10hipError_tT1_T2_T3_T4_jRjT5_jjP12ihipStream_tbEUlT_E_NS1_11comp_targetILNS1_3genE10ELNS1_11target_archE1200ELNS1_3gpuE4ELNS1_3repE0EEENS1_44radix_sort_block_sort_config_static_selectorELNS0_4arch9wavefront6targetE1EEEvSH_.has_recursion, 0
	.set _ZN7rocprim17ROCPRIM_400000_NS6detail17trampoline_kernelINS0_13kernel_configILj256ELj4ELj4294967295EEENS1_37radix_sort_block_sort_config_selectorIiiEEZNS1_21radix_sort_block_sortIS4_Lb1EN6thrust23THRUST_200600_302600_NS6detail15normal_iteratorINS9_10device_ptrIiEEEESE_SE_SE_NS0_19identity_decomposerEEE10hipError_tT1_T2_T3_T4_jRjT5_jjP12ihipStream_tbEUlT_E_NS1_11comp_targetILNS1_3genE10ELNS1_11target_archE1200ELNS1_3gpuE4ELNS1_3repE0EEENS1_44radix_sort_block_sort_config_static_selectorELNS0_4arch9wavefront6targetE1EEEvSH_.has_indirect_call, 0
	.section	.AMDGPU.csdata,"",@progbits
; Kernel info:
; codeLenInByte = 0
; TotalNumSgprs: 6
; NumVgprs: 0
; NumAgprs: 0
; TotalNumVgprs: 0
; ScratchSize: 0
; MemoryBound: 0
; FloatMode: 240
; IeeeMode: 1
; LDSByteSize: 0 bytes/workgroup (compile time only)
; SGPRBlocks: 0
; VGPRBlocks: 0
; NumSGPRsForWavesPerEU: 6
; NumVGPRsForWavesPerEU: 1
; AccumOffset: 4
; Occupancy: 8
; WaveLimiterHint : 0
; COMPUTE_PGM_RSRC2:SCRATCH_EN: 0
; COMPUTE_PGM_RSRC2:USER_SGPR: 2
; COMPUTE_PGM_RSRC2:TRAP_HANDLER: 0
; COMPUTE_PGM_RSRC2:TGID_X_EN: 1
; COMPUTE_PGM_RSRC2:TGID_Y_EN: 0
; COMPUTE_PGM_RSRC2:TGID_Z_EN: 0
; COMPUTE_PGM_RSRC2:TIDIG_COMP_CNT: 0
; COMPUTE_PGM_RSRC3_GFX90A:ACCUM_OFFSET: 0
; COMPUTE_PGM_RSRC3_GFX90A:TG_SPLIT: 0
	.section	.text._ZN7rocprim17ROCPRIM_400000_NS6detail17trampoline_kernelINS0_13kernel_configILj256ELj4ELj4294967295EEENS1_37radix_sort_block_sort_config_selectorIiiEEZNS1_21radix_sort_block_sortIS4_Lb1EN6thrust23THRUST_200600_302600_NS6detail15normal_iteratorINS9_10device_ptrIiEEEESE_SE_SE_NS0_19identity_decomposerEEE10hipError_tT1_T2_T3_T4_jRjT5_jjP12ihipStream_tbEUlT_E_NS1_11comp_targetILNS1_3genE9ELNS1_11target_archE1100ELNS1_3gpuE3ELNS1_3repE0EEENS1_44radix_sort_block_sort_config_static_selectorELNS0_4arch9wavefront6targetE1EEEvSH_,"axG",@progbits,_ZN7rocprim17ROCPRIM_400000_NS6detail17trampoline_kernelINS0_13kernel_configILj256ELj4ELj4294967295EEENS1_37radix_sort_block_sort_config_selectorIiiEEZNS1_21radix_sort_block_sortIS4_Lb1EN6thrust23THRUST_200600_302600_NS6detail15normal_iteratorINS9_10device_ptrIiEEEESE_SE_SE_NS0_19identity_decomposerEEE10hipError_tT1_T2_T3_T4_jRjT5_jjP12ihipStream_tbEUlT_E_NS1_11comp_targetILNS1_3genE9ELNS1_11target_archE1100ELNS1_3gpuE3ELNS1_3repE0EEENS1_44radix_sort_block_sort_config_static_selectorELNS0_4arch9wavefront6targetE1EEEvSH_,comdat
	.protected	_ZN7rocprim17ROCPRIM_400000_NS6detail17trampoline_kernelINS0_13kernel_configILj256ELj4ELj4294967295EEENS1_37radix_sort_block_sort_config_selectorIiiEEZNS1_21radix_sort_block_sortIS4_Lb1EN6thrust23THRUST_200600_302600_NS6detail15normal_iteratorINS9_10device_ptrIiEEEESE_SE_SE_NS0_19identity_decomposerEEE10hipError_tT1_T2_T3_T4_jRjT5_jjP12ihipStream_tbEUlT_E_NS1_11comp_targetILNS1_3genE9ELNS1_11target_archE1100ELNS1_3gpuE3ELNS1_3repE0EEENS1_44radix_sort_block_sort_config_static_selectorELNS0_4arch9wavefront6targetE1EEEvSH_ ; -- Begin function _ZN7rocprim17ROCPRIM_400000_NS6detail17trampoline_kernelINS0_13kernel_configILj256ELj4ELj4294967295EEENS1_37radix_sort_block_sort_config_selectorIiiEEZNS1_21radix_sort_block_sortIS4_Lb1EN6thrust23THRUST_200600_302600_NS6detail15normal_iteratorINS9_10device_ptrIiEEEESE_SE_SE_NS0_19identity_decomposerEEE10hipError_tT1_T2_T3_T4_jRjT5_jjP12ihipStream_tbEUlT_E_NS1_11comp_targetILNS1_3genE9ELNS1_11target_archE1100ELNS1_3gpuE3ELNS1_3repE0EEENS1_44radix_sort_block_sort_config_static_selectorELNS0_4arch9wavefront6targetE1EEEvSH_
	.globl	_ZN7rocprim17ROCPRIM_400000_NS6detail17trampoline_kernelINS0_13kernel_configILj256ELj4ELj4294967295EEENS1_37radix_sort_block_sort_config_selectorIiiEEZNS1_21radix_sort_block_sortIS4_Lb1EN6thrust23THRUST_200600_302600_NS6detail15normal_iteratorINS9_10device_ptrIiEEEESE_SE_SE_NS0_19identity_decomposerEEE10hipError_tT1_T2_T3_T4_jRjT5_jjP12ihipStream_tbEUlT_E_NS1_11comp_targetILNS1_3genE9ELNS1_11target_archE1100ELNS1_3gpuE3ELNS1_3repE0EEENS1_44radix_sort_block_sort_config_static_selectorELNS0_4arch9wavefront6targetE1EEEvSH_
	.p2align	8
	.type	_ZN7rocprim17ROCPRIM_400000_NS6detail17trampoline_kernelINS0_13kernel_configILj256ELj4ELj4294967295EEENS1_37radix_sort_block_sort_config_selectorIiiEEZNS1_21radix_sort_block_sortIS4_Lb1EN6thrust23THRUST_200600_302600_NS6detail15normal_iteratorINS9_10device_ptrIiEEEESE_SE_SE_NS0_19identity_decomposerEEE10hipError_tT1_T2_T3_T4_jRjT5_jjP12ihipStream_tbEUlT_E_NS1_11comp_targetILNS1_3genE9ELNS1_11target_archE1100ELNS1_3gpuE3ELNS1_3repE0EEENS1_44radix_sort_block_sort_config_static_selectorELNS0_4arch9wavefront6targetE1EEEvSH_,@function
_ZN7rocprim17ROCPRIM_400000_NS6detail17trampoline_kernelINS0_13kernel_configILj256ELj4ELj4294967295EEENS1_37radix_sort_block_sort_config_selectorIiiEEZNS1_21radix_sort_block_sortIS4_Lb1EN6thrust23THRUST_200600_302600_NS6detail15normal_iteratorINS9_10device_ptrIiEEEESE_SE_SE_NS0_19identity_decomposerEEE10hipError_tT1_T2_T3_T4_jRjT5_jjP12ihipStream_tbEUlT_E_NS1_11comp_targetILNS1_3genE9ELNS1_11target_archE1100ELNS1_3gpuE3ELNS1_3repE0EEENS1_44radix_sort_block_sort_config_static_selectorELNS0_4arch9wavefront6targetE1EEEvSH_: ; @_ZN7rocprim17ROCPRIM_400000_NS6detail17trampoline_kernelINS0_13kernel_configILj256ELj4ELj4294967295EEENS1_37radix_sort_block_sort_config_selectorIiiEEZNS1_21radix_sort_block_sortIS4_Lb1EN6thrust23THRUST_200600_302600_NS6detail15normal_iteratorINS9_10device_ptrIiEEEESE_SE_SE_NS0_19identity_decomposerEEE10hipError_tT1_T2_T3_T4_jRjT5_jjP12ihipStream_tbEUlT_E_NS1_11comp_targetILNS1_3genE9ELNS1_11target_archE1100ELNS1_3gpuE3ELNS1_3repE0EEENS1_44radix_sort_block_sort_config_static_selectorELNS0_4arch9wavefront6targetE1EEEvSH_
; %bb.0:
	.section	.rodata,"a",@progbits
	.p2align	6, 0x0
	.amdhsa_kernel _ZN7rocprim17ROCPRIM_400000_NS6detail17trampoline_kernelINS0_13kernel_configILj256ELj4ELj4294967295EEENS1_37radix_sort_block_sort_config_selectorIiiEEZNS1_21radix_sort_block_sortIS4_Lb1EN6thrust23THRUST_200600_302600_NS6detail15normal_iteratorINS9_10device_ptrIiEEEESE_SE_SE_NS0_19identity_decomposerEEE10hipError_tT1_T2_T3_T4_jRjT5_jjP12ihipStream_tbEUlT_E_NS1_11comp_targetILNS1_3genE9ELNS1_11target_archE1100ELNS1_3gpuE3ELNS1_3repE0EEENS1_44radix_sort_block_sort_config_static_selectorELNS0_4arch9wavefront6targetE1EEEvSH_
		.amdhsa_group_segment_fixed_size 0
		.amdhsa_private_segment_fixed_size 0
		.amdhsa_kernarg_size 48
		.amdhsa_user_sgpr_count 2
		.amdhsa_user_sgpr_dispatch_ptr 0
		.amdhsa_user_sgpr_queue_ptr 0
		.amdhsa_user_sgpr_kernarg_segment_ptr 1
		.amdhsa_user_sgpr_dispatch_id 0
		.amdhsa_user_sgpr_kernarg_preload_length 0
		.amdhsa_user_sgpr_kernarg_preload_offset 0
		.amdhsa_user_sgpr_private_segment_size 0
		.amdhsa_uses_dynamic_stack 0
		.amdhsa_enable_private_segment 0
		.amdhsa_system_sgpr_workgroup_id_x 1
		.amdhsa_system_sgpr_workgroup_id_y 0
		.amdhsa_system_sgpr_workgroup_id_z 0
		.amdhsa_system_sgpr_workgroup_info 0
		.amdhsa_system_vgpr_workitem_id 0
		.amdhsa_next_free_vgpr 1
		.amdhsa_next_free_sgpr 0
		.amdhsa_accum_offset 4
		.amdhsa_reserve_vcc 0
		.amdhsa_float_round_mode_32 0
		.amdhsa_float_round_mode_16_64 0
		.amdhsa_float_denorm_mode_32 3
		.amdhsa_float_denorm_mode_16_64 3
		.amdhsa_dx10_clamp 1
		.amdhsa_ieee_mode 1
		.amdhsa_fp16_overflow 0
		.amdhsa_tg_split 0
		.amdhsa_exception_fp_ieee_invalid_op 0
		.amdhsa_exception_fp_denorm_src 0
		.amdhsa_exception_fp_ieee_div_zero 0
		.amdhsa_exception_fp_ieee_overflow 0
		.amdhsa_exception_fp_ieee_underflow 0
		.amdhsa_exception_fp_ieee_inexact 0
		.amdhsa_exception_int_div_zero 0
	.end_amdhsa_kernel
	.section	.text._ZN7rocprim17ROCPRIM_400000_NS6detail17trampoline_kernelINS0_13kernel_configILj256ELj4ELj4294967295EEENS1_37radix_sort_block_sort_config_selectorIiiEEZNS1_21radix_sort_block_sortIS4_Lb1EN6thrust23THRUST_200600_302600_NS6detail15normal_iteratorINS9_10device_ptrIiEEEESE_SE_SE_NS0_19identity_decomposerEEE10hipError_tT1_T2_T3_T4_jRjT5_jjP12ihipStream_tbEUlT_E_NS1_11comp_targetILNS1_3genE9ELNS1_11target_archE1100ELNS1_3gpuE3ELNS1_3repE0EEENS1_44radix_sort_block_sort_config_static_selectorELNS0_4arch9wavefront6targetE1EEEvSH_,"axG",@progbits,_ZN7rocprim17ROCPRIM_400000_NS6detail17trampoline_kernelINS0_13kernel_configILj256ELj4ELj4294967295EEENS1_37radix_sort_block_sort_config_selectorIiiEEZNS1_21radix_sort_block_sortIS4_Lb1EN6thrust23THRUST_200600_302600_NS6detail15normal_iteratorINS9_10device_ptrIiEEEESE_SE_SE_NS0_19identity_decomposerEEE10hipError_tT1_T2_T3_T4_jRjT5_jjP12ihipStream_tbEUlT_E_NS1_11comp_targetILNS1_3genE9ELNS1_11target_archE1100ELNS1_3gpuE3ELNS1_3repE0EEENS1_44radix_sort_block_sort_config_static_selectorELNS0_4arch9wavefront6targetE1EEEvSH_,comdat
.Lfunc_end883:
	.size	_ZN7rocprim17ROCPRIM_400000_NS6detail17trampoline_kernelINS0_13kernel_configILj256ELj4ELj4294967295EEENS1_37radix_sort_block_sort_config_selectorIiiEEZNS1_21radix_sort_block_sortIS4_Lb1EN6thrust23THRUST_200600_302600_NS6detail15normal_iteratorINS9_10device_ptrIiEEEESE_SE_SE_NS0_19identity_decomposerEEE10hipError_tT1_T2_T3_T4_jRjT5_jjP12ihipStream_tbEUlT_E_NS1_11comp_targetILNS1_3genE9ELNS1_11target_archE1100ELNS1_3gpuE3ELNS1_3repE0EEENS1_44radix_sort_block_sort_config_static_selectorELNS0_4arch9wavefront6targetE1EEEvSH_, .Lfunc_end883-_ZN7rocprim17ROCPRIM_400000_NS6detail17trampoline_kernelINS0_13kernel_configILj256ELj4ELj4294967295EEENS1_37radix_sort_block_sort_config_selectorIiiEEZNS1_21radix_sort_block_sortIS4_Lb1EN6thrust23THRUST_200600_302600_NS6detail15normal_iteratorINS9_10device_ptrIiEEEESE_SE_SE_NS0_19identity_decomposerEEE10hipError_tT1_T2_T3_T4_jRjT5_jjP12ihipStream_tbEUlT_E_NS1_11comp_targetILNS1_3genE9ELNS1_11target_archE1100ELNS1_3gpuE3ELNS1_3repE0EEENS1_44radix_sort_block_sort_config_static_selectorELNS0_4arch9wavefront6targetE1EEEvSH_
                                        ; -- End function
	.set _ZN7rocprim17ROCPRIM_400000_NS6detail17trampoline_kernelINS0_13kernel_configILj256ELj4ELj4294967295EEENS1_37radix_sort_block_sort_config_selectorIiiEEZNS1_21radix_sort_block_sortIS4_Lb1EN6thrust23THRUST_200600_302600_NS6detail15normal_iteratorINS9_10device_ptrIiEEEESE_SE_SE_NS0_19identity_decomposerEEE10hipError_tT1_T2_T3_T4_jRjT5_jjP12ihipStream_tbEUlT_E_NS1_11comp_targetILNS1_3genE9ELNS1_11target_archE1100ELNS1_3gpuE3ELNS1_3repE0EEENS1_44radix_sort_block_sort_config_static_selectorELNS0_4arch9wavefront6targetE1EEEvSH_.num_vgpr, 0
	.set _ZN7rocprim17ROCPRIM_400000_NS6detail17trampoline_kernelINS0_13kernel_configILj256ELj4ELj4294967295EEENS1_37radix_sort_block_sort_config_selectorIiiEEZNS1_21radix_sort_block_sortIS4_Lb1EN6thrust23THRUST_200600_302600_NS6detail15normal_iteratorINS9_10device_ptrIiEEEESE_SE_SE_NS0_19identity_decomposerEEE10hipError_tT1_T2_T3_T4_jRjT5_jjP12ihipStream_tbEUlT_E_NS1_11comp_targetILNS1_3genE9ELNS1_11target_archE1100ELNS1_3gpuE3ELNS1_3repE0EEENS1_44radix_sort_block_sort_config_static_selectorELNS0_4arch9wavefront6targetE1EEEvSH_.num_agpr, 0
	.set _ZN7rocprim17ROCPRIM_400000_NS6detail17trampoline_kernelINS0_13kernel_configILj256ELj4ELj4294967295EEENS1_37radix_sort_block_sort_config_selectorIiiEEZNS1_21radix_sort_block_sortIS4_Lb1EN6thrust23THRUST_200600_302600_NS6detail15normal_iteratorINS9_10device_ptrIiEEEESE_SE_SE_NS0_19identity_decomposerEEE10hipError_tT1_T2_T3_T4_jRjT5_jjP12ihipStream_tbEUlT_E_NS1_11comp_targetILNS1_3genE9ELNS1_11target_archE1100ELNS1_3gpuE3ELNS1_3repE0EEENS1_44radix_sort_block_sort_config_static_selectorELNS0_4arch9wavefront6targetE1EEEvSH_.numbered_sgpr, 0
	.set _ZN7rocprim17ROCPRIM_400000_NS6detail17trampoline_kernelINS0_13kernel_configILj256ELj4ELj4294967295EEENS1_37radix_sort_block_sort_config_selectorIiiEEZNS1_21radix_sort_block_sortIS4_Lb1EN6thrust23THRUST_200600_302600_NS6detail15normal_iteratorINS9_10device_ptrIiEEEESE_SE_SE_NS0_19identity_decomposerEEE10hipError_tT1_T2_T3_T4_jRjT5_jjP12ihipStream_tbEUlT_E_NS1_11comp_targetILNS1_3genE9ELNS1_11target_archE1100ELNS1_3gpuE3ELNS1_3repE0EEENS1_44radix_sort_block_sort_config_static_selectorELNS0_4arch9wavefront6targetE1EEEvSH_.num_named_barrier, 0
	.set _ZN7rocprim17ROCPRIM_400000_NS6detail17trampoline_kernelINS0_13kernel_configILj256ELj4ELj4294967295EEENS1_37radix_sort_block_sort_config_selectorIiiEEZNS1_21radix_sort_block_sortIS4_Lb1EN6thrust23THRUST_200600_302600_NS6detail15normal_iteratorINS9_10device_ptrIiEEEESE_SE_SE_NS0_19identity_decomposerEEE10hipError_tT1_T2_T3_T4_jRjT5_jjP12ihipStream_tbEUlT_E_NS1_11comp_targetILNS1_3genE9ELNS1_11target_archE1100ELNS1_3gpuE3ELNS1_3repE0EEENS1_44radix_sort_block_sort_config_static_selectorELNS0_4arch9wavefront6targetE1EEEvSH_.private_seg_size, 0
	.set _ZN7rocprim17ROCPRIM_400000_NS6detail17trampoline_kernelINS0_13kernel_configILj256ELj4ELj4294967295EEENS1_37radix_sort_block_sort_config_selectorIiiEEZNS1_21radix_sort_block_sortIS4_Lb1EN6thrust23THRUST_200600_302600_NS6detail15normal_iteratorINS9_10device_ptrIiEEEESE_SE_SE_NS0_19identity_decomposerEEE10hipError_tT1_T2_T3_T4_jRjT5_jjP12ihipStream_tbEUlT_E_NS1_11comp_targetILNS1_3genE9ELNS1_11target_archE1100ELNS1_3gpuE3ELNS1_3repE0EEENS1_44radix_sort_block_sort_config_static_selectorELNS0_4arch9wavefront6targetE1EEEvSH_.uses_vcc, 0
	.set _ZN7rocprim17ROCPRIM_400000_NS6detail17trampoline_kernelINS0_13kernel_configILj256ELj4ELj4294967295EEENS1_37radix_sort_block_sort_config_selectorIiiEEZNS1_21radix_sort_block_sortIS4_Lb1EN6thrust23THRUST_200600_302600_NS6detail15normal_iteratorINS9_10device_ptrIiEEEESE_SE_SE_NS0_19identity_decomposerEEE10hipError_tT1_T2_T3_T4_jRjT5_jjP12ihipStream_tbEUlT_E_NS1_11comp_targetILNS1_3genE9ELNS1_11target_archE1100ELNS1_3gpuE3ELNS1_3repE0EEENS1_44radix_sort_block_sort_config_static_selectorELNS0_4arch9wavefront6targetE1EEEvSH_.uses_flat_scratch, 0
	.set _ZN7rocprim17ROCPRIM_400000_NS6detail17trampoline_kernelINS0_13kernel_configILj256ELj4ELj4294967295EEENS1_37radix_sort_block_sort_config_selectorIiiEEZNS1_21radix_sort_block_sortIS4_Lb1EN6thrust23THRUST_200600_302600_NS6detail15normal_iteratorINS9_10device_ptrIiEEEESE_SE_SE_NS0_19identity_decomposerEEE10hipError_tT1_T2_T3_T4_jRjT5_jjP12ihipStream_tbEUlT_E_NS1_11comp_targetILNS1_3genE9ELNS1_11target_archE1100ELNS1_3gpuE3ELNS1_3repE0EEENS1_44radix_sort_block_sort_config_static_selectorELNS0_4arch9wavefront6targetE1EEEvSH_.has_dyn_sized_stack, 0
	.set _ZN7rocprim17ROCPRIM_400000_NS6detail17trampoline_kernelINS0_13kernel_configILj256ELj4ELj4294967295EEENS1_37radix_sort_block_sort_config_selectorIiiEEZNS1_21radix_sort_block_sortIS4_Lb1EN6thrust23THRUST_200600_302600_NS6detail15normal_iteratorINS9_10device_ptrIiEEEESE_SE_SE_NS0_19identity_decomposerEEE10hipError_tT1_T2_T3_T4_jRjT5_jjP12ihipStream_tbEUlT_E_NS1_11comp_targetILNS1_3genE9ELNS1_11target_archE1100ELNS1_3gpuE3ELNS1_3repE0EEENS1_44radix_sort_block_sort_config_static_selectorELNS0_4arch9wavefront6targetE1EEEvSH_.has_recursion, 0
	.set _ZN7rocprim17ROCPRIM_400000_NS6detail17trampoline_kernelINS0_13kernel_configILj256ELj4ELj4294967295EEENS1_37radix_sort_block_sort_config_selectorIiiEEZNS1_21radix_sort_block_sortIS4_Lb1EN6thrust23THRUST_200600_302600_NS6detail15normal_iteratorINS9_10device_ptrIiEEEESE_SE_SE_NS0_19identity_decomposerEEE10hipError_tT1_T2_T3_T4_jRjT5_jjP12ihipStream_tbEUlT_E_NS1_11comp_targetILNS1_3genE9ELNS1_11target_archE1100ELNS1_3gpuE3ELNS1_3repE0EEENS1_44radix_sort_block_sort_config_static_selectorELNS0_4arch9wavefront6targetE1EEEvSH_.has_indirect_call, 0
	.section	.AMDGPU.csdata,"",@progbits
; Kernel info:
; codeLenInByte = 0
; TotalNumSgprs: 6
; NumVgprs: 0
; NumAgprs: 0
; TotalNumVgprs: 0
; ScratchSize: 0
; MemoryBound: 0
; FloatMode: 240
; IeeeMode: 1
; LDSByteSize: 0 bytes/workgroup (compile time only)
; SGPRBlocks: 0
; VGPRBlocks: 0
; NumSGPRsForWavesPerEU: 6
; NumVGPRsForWavesPerEU: 1
; AccumOffset: 4
; Occupancy: 8
; WaveLimiterHint : 0
; COMPUTE_PGM_RSRC2:SCRATCH_EN: 0
; COMPUTE_PGM_RSRC2:USER_SGPR: 2
; COMPUTE_PGM_RSRC2:TRAP_HANDLER: 0
; COMPUTE_PGM_RSRC2:TGID_X_EN: 1
; COMPUTE_PGM_RSRC2:TGID_Y_EN: 0
; COMPUTE_PGM_RSRC2:TGID_Z_EN: 0
; COMPUTE_PGM_RSRC2:TIDIG_COMP_CNT: 0
; COMPUTE_PGM_RSRC3_GFX90A:ACCUM_OFFSET: 0
; COMPUTE_PGM_RSRC3_GFX90A:TG_SPLIT: 0
	.section	.text._ZN7rocprim17ROCPRIM_400000_NS6detail17trampoline_kernelINS0_13kernel_configILj256ELj4ELj4294967295EEENS1_37radix_sort_block_sort_config_selectorIiiEEZNS1_21radix_sort_block_sortIS4_Lb1EN6thrust23THRUST_200600_302600_NS6detail15normal_iteratorINS9_10device_ptrIiEEEESE_SE_SE_NS0_19identity_decomposerEEE10hipError_tT1_T2_T3_T4_jRjT5_jjP12ihipStream_tbEUlT_E_NS1_11comp_targetILNS1_3genE8ELNS1_11target_archE1030ELNS1_3gpuE2ELNS1_3repE0EEENS1_44radix_sort_block_sort_config_static_selectorELNS0_4arch9wavefront6targetE1EEEvSH_,"axG",@progbits,_ZN7rocprim17ROCPRIM_400000_NS6detail17trampoline_kernelINS0_13kernel_configILj256ELj4ELj4294967295EEENS1_37radix_sort_block_sort_config_selectorIiiEEZNS1_21radix_sort_block_sortIS4_Lb1EN6thrust23THRUST_200600_302600_NS6detail15normal_iteratorINS9_10device_ptrIiEEEESE_SE_SE_NS0_19identity_decomposerEEE10hipError_tT1_T2_T3_T4_jRjT5_jjP12ihipStream_tbEUlT_E_NS1_11comp_targetILNS1_3genE8ELNS1_11target_archE1030ELNS1_3gpuE2ELNS1_3repE0EEENS1_44radix_sort_block_sort_config_static_selectorELNS0_4arch9wavefront6targetE1EEEvSH_,comdat
	.protected	_ZN7rocprim17ROCPRIM_400000_NS6detail17trampoline_kernelINS0_13kernel_configILj256ELj4ELj4294967295EEENS1_37radix_sort_block_sort_config_selectorIiiEEZNS1_21radix_sort_block_sortIS4_Lb1EN6thrust23THRUST_200600_302600_NS6detail15normal_iteratorINS9_10device_ptrIiEEEESE_SE_SE_NS0_19identity_decomposerEEE10hipError_tT1_T2_T3_T4_jRjT5_jjP12ihipStream_tbEUlT_E_NS1_11comp_targetILNS1_3genE8ELNS1_11target_archE1030ELNS1_3gpuE2ELNS1_3repE0EEENS1_44radix_sort_block_sort_config_static_selectorELNS0_4arch9wavefront6targetE1EEEvSH_ ; -- Begin function _ZN7rocprim17ROCPRIM_400000_NS6detail17trampoline_kernelINS0_13kernel_configILj256ELj4ELj4294967295EEENS1_37radix_sort_block_sort_config_selectorIiiEEZNS1_21radix_sort_block_sortIS4_Lb1EN6thrust23THRUST_200600_302600_NS6detail15normal_iteratorINS9_10device_ptrIiEEEESE_SE_SE_NS0_19identity_decomposerEEE10hipError_tT1_T2_T3_T4_jRjT5_jjP12ihipStream_tbEUlT_E_NS1_11comp_targetILNS1_3genE8ELNS1_11target_archE1030ELNS1_3gpuE2ELNS1_3repE0EEENS1_44radix_sort_block_sort_config_static_selectorELNS0_4arch9wavefront6targetE1EEEvSH_
	.globl	_ZN7rocprim17ROCPRIM_400000_NS6detail17trampoline_kernelINS0_13kernel_configILj256ELj4ELj4294967295EEENS1_37radix_sort_block_sort_config_selectorIiiEEZNS1_21radix_sort_block_sortIS4_Lb1EN6thrust23THRUST_200600_302600_NS6detail15normal_iteratorINS9_10device_ptrIiEEEESE_SE_SE_NS0_19identity_decomposerEEE10hipError_tT1_T2_T3_T4_jRjT5_jjP12ihipStream_tbEUlT_E_NS1_11comp_targetILNS1_3genE8ELNS1_11target_archE1030ELNS1_3gpuE2ELNS1_3repE0EEENS1_44radix_sort_block_sort_config_static_selectorELNS0_4arch9wavefront6targetE1EEEvSH_
	.p2align	8
	.type	_ZN7rocprim17ROCPRIM_400000_NS6detail17trampoline_kernelINS0_13kernel_configILj256ELj4ELj4294967295EEENS1_37radix_sort_block_sort_config_selectorIiiEEZNS1_21radix_sort_block_sortIS4_Lb1EN6thrust23THRUST_200600_302600_NS6detail15normal_iteratorINS9_10device_ptrIiEEEESE_SE_SE_NS0_19identity_decomposerEEE10hipError_tT1_T2_T3_T4_jRjT5_jjP12ihipStream_tbEUlT_E_NS1_11comp_targetILNS1_3genE8ELNS1_11target_archE1030ELNS1_3gpuE2ELNS1_3repE0EEENS1_44radix_sort_block_sort_config_static_selectorELNS0_4arch9wavefront6targetE1EEEvSH_,@function
_ZN7rocprim17ROCPRIM_400000_NS6detail17trampoline_kernelINS0_13kernel_configILj256ELj4ELj4294967295EEENS1_37radix_sort_block_sort_config_selectorIiiEEZNS1_21radix_sort_block_sortIS4_Lb1EN6thrust23THRUST_200600_302600_NS6detail15normal_iteratorINS9_10device_ptrIiEEEESE_SE_SE_NS0_19identity_decomposerEEE10hipError_tT1_T2_T3_T4_jRjT5_jjP12ihipStream_tbEUlT_E_NS1_11comp_targetILNS1_3genE8ELNS1_11target_archE1030ELNS1_3gpuE2ELNS1_3repE0EEENS1_44radix_sort_block_sort_config_static_selectorELNS0_4arch9wavefront6targetE1EEEvSH_: ; @_ZN7rocprim17ROCPRIM_400000_NS6detail17trampoline_kernelINS0_13kernel_configILj256ELj4ELj4294967295EEENS1_37radix_sort_block_sort_config_selectorIiiEEZNS1_21radix_sort_block_sortIS4_Lb1EN6thrust23THRUST_200600_302600_NS6detail15normal_iteratorINS9_10device_ptrIiEEEESE_SE_SE_NS0_19identity_decomposerEEE10hipError_tT1_T2_T3_T4_jRjT5_jjP12ihipStream_tbEUlT_E_NS1_11comp_targetILNS1_3genE8ELNS1_11target_archE1030ELNS1_3gpuE2ELNS1_3repE0EEENS1_44radix_sort_block_sort_config_static_selectorELNS0_4arch9wavefront6targetE1EEEvSH_
; %bb.0:
	.section	.rodata,"a",@progbits
	.p2align	6, 0x0
	.amdhsa_kernel _ZN7rocprim17ROCPRIM_400000_NS6detail17trampoline_kernelINS0_13kernel_configILj256ELj4ELj4294967295EEENS1_37radix_sort_block_sort_config_selectorIiiEEZNS1_21radix_sort_block_sortIS4_Lb1EN6thrust23THRUST_200600_302600_NS6detail15normal_iteratorINS9_10device_ptrIiEEEESE_SE_SE_NS0_19identity_decomposerEEE10hipError_tT1_T2_T3_T4_jRjT5_jjP12ihipStream_tbEUlT_E_NS1_11comp_targetILNS1_3genE8ELNS1_11target_archE1030ELNS1_3gpuE2ELNS1_3repE0EEENS1_44radix_sort_block_sort_config_static_selectorELNS0_4arch9wavefront6targetE1EEEvSH_
		.amdhsa_group_segment_fixed_size 0
		.amdhsa_private_segment_fixed_size 0
		.amdhsa_kernarg_size 48
		.amdhsa_user_sgpr_count 2
		.amdhsa_user_sgpr_dispatch_ptr 0
		.amdhsa_user_sgpr_queue_ptr 0
		.amdhsa_user_sgpr_kernarg_segment_ptr 1
		.amdhsa_user_sgpr_dispatch_id 0
		.amdhsa_user_sgpr_kernarg_preload_length 0
		.amdhsa_user_sgpr_kernarg_preload_offset 0
		.amdhsa_user_sgpr_private_segment_size 0
		.amdhsa_uses_dynamic_stack 0
		.amdhsa_enable_private_segment 0
		.amdhsa_system_sgpr_workgroup_id_x 1
		.amdhsa_system_sgpr_workgroup_id_y 0
		.amdhsa_system_sgpr_workgroup_id_z 0
		.amdhsa_system_sgpr_workgroup_info 0
		.amdhsa_system_vgpr_workitem_id 0
		.amdhsa_next_free_vgpr 1
		.amdhsa_next_free_sgpr 0
		.amdhsa_accum_offset 4
		.amdhsa_reserve_vcc 0
		.amdhsa_float_round_mode_32 0
		.amdhsa_float_round_mode_16_64 0
		.amdhsa_float_denorm_mode_32 3
		.amdhsa_float_denorm_mode_16_64 3
		.amdhsa_dx10_clamp 1
		.amdhsa_ieee_mode 1
		.amdhsa_fp16_overflow 0
		.amdhsa_tg_split 0
		.amdhsa_exception_fp_ieee_invalid_op 0
		.amdhsa_exception_fp_denorm_src 0
		.amdhsa_exception_fp_ieee_div_zero 0
		.amdhsa_exception_fp_ieee_overflow 0
		.amdhsa_exception_fp_ieee_underflow 0
		.amdhsa_exception_fp_ieee_inexact 0
		.amdhsa_exception_int_div_zero 0
	.end_amdhsa_kernel
	.section	.text._ZN7rocprim17ROCPRIM_400000_NS6detail17trampoline_kernelINS0_13kernel_configILj256ELj4ELj4294967295EEENS1_37radix_sort_block_sort_config_selectorIiiEEZNS1_21radix_sort_block_sortIS4_Lb1EN6thrust23THRUST_200600_302600_NS6detail15normal_iteratorINS9_10device_ptrIiEEEESE_SE_SE_NS0_19identity_decomposerEEE10hipError_tT1_T2_T3_T4_jRjT5_jjP12ihipStream_tbEUlT_E_NS1_11comp_targetILNS1_3genE8ELNS1_11target_archE1030ELNS1_3gpuE2ELNS1_3repE0EEENS1_44radix_sort_block_sort_config_static_selectorELNS0_4arch9wavefront6targetE1EEEvSH_,"axG",@progbits,_ZN7rocprim17ROCPRIM_400000_NS6detail17trampoline_kernelINS0_13kernel_configILj256ELj4ELj4294967295EEENS1_37radix_sort_block_sort_config_selectorIiiEEZNS1_21radix_sort_block_sortIS4_Lb1EN6thrust23THRUST_200600_302600_NS6detail15normal_iteratorINS9_10device_ptrIiEEEESE_SE_SE_NS0_19identity_decomposerEEE10hipError_tT1_T2_T3_T4_jRjT5_jjP12ihipStream_tbEUlT_E_NS1_11comp_targetILNS1_3genE8ELNS1_11target_archE1030ELNS1_3gpuE2ELNS1_3repE0EEENS1_44radix_sort_block_sort_config_static_selectorELNS0_4arch9wavefront6targetE1EEEvSH_,comdat
.Lfunc_end884:
	.size	_ZN7rocprim17ROCPRIM_400000_NS6detail17trampoline_kernelINS0_13kernel_configILj256ELj4ELj4294967295EEENS1_37radix_sort_block_sort_config_selectorIiiEEZNS1_21radix_sort_block_sortIS4_Lb1EN6thrust23THRUST_200600_302600_NS6detail15normal_iteratorINS9_10device_ptrIiEEEESE_SE_SE_NS0_19identity_decomposerEEE10hipError_tT1_T2_T3_T4_jRjT5_jjP12ihipStream_tbEUlT_E_NS1_11comp_targetILNS1_3genE8ELNS1_11target_archE1030ELNS1_3gpuE2ELNS1_3repE0EEENS1_44radix_sort_block_sort_config_static_selectorELNS0_4arch9wavefront6targetE1EEEvSH_, .Lfunc_end884-_ZN7rocprim17ROCPRIM_400000_NS6detail17trampoline_kernelINS0_13kernel_configILj256ELj4ELj4294967295EEENS1_37radix_sort_block_sort_config_selectorIiiEEZNS1_21radix_sort_block_sortIS4_Lb1EN6thrust23THRUST_200600_302600_NS6detail15normal_iteratorINS9_10device_ptrIiEEEESE_SE_SE_NS0_19identity_decomposerEEE10hipError_tT1_T2_T3_T4_jRjT5_jjP12ihipStream_tbEUlT_E_NS1_11comp_targetILNS1_3genE8ELNS1_11target_archE1030ELNS1_3gpuE2ELNS1_3repE0EEENS1_44radix_sort_block_sort_config_static_selectorELNS0_4arch9wavefront6targetE1EEEvSH_
                                        ; -- End function
	.set _ZN7rocprim17ROCPRIM_400000_NS6detail17trampoline_kernelINS0_13kernel_configILj256ELj4ELj4294967295EEENS1_37radix_sort_block_sort_config_selectorIiiEEZNS1_21radix_sort_block_sortIS4_Lb1EN6thrust23THRUST_200600_302600_NS6detail15normal_iteratorINS9_10device_ptrIiEEEESE_SE_SE_NS0_19identity_decomposerEEE10hipError_tT1_T2_T3_T4_jRjT5_jjP12ihipStream_tbEUlT_E_NS1_11comp_targetILNS1_3genE8ELNS1_11target_archE1030ELNS1_3gpuE2ELNS1_3repE0EEENS1_44radix_sort_block_sort_config_static_selectorELNS0_4arch9wavefront6targetE1EEEvSH_.num_vgpr, 0
	.set _ZN7rocprim17ROCPRIM_400000_NS6detail17trampoline_kernelINS0_13kernel_configILj256ELj4ELj4294967295EEENS1_37radix_sort_block_sort_config_selectorIiiEEZNS1_21radix_sort_block_sortIS4_Lb1EN6thrust23THRUST_200600_302600_NS6detail15normal_iteratorINS9_10device_ptrIiEEEESE_SE_SE_NS0_19identity_decomposerEEE10hipError_tT1_T2_T3_T4_jRjT5_jjP12ihipStream_tbEUlT_E_NS1_11comp_targetILNS1_3genE8ELNS1_11target_archE1030ELNS1_3gpuE2ELNS1_3repE0EEENS1_44radix_sort_block_sort_config_static_selectorELNS0_4arch9wavefront6targetE1EEEvSH_.num_agpr, 0
	.set _ZN7rocprim17ROCPRIM_400000_NS6detail17trampoline_kernelINS0_13kernel_configILj256ELj4ELj4294967295EEENS1_37radix_sort_block_sort_config_selectorIiiEEZNS1_21radix_sort_block_sortIS4_Lb1EN6thrust23THRUST_200600_302600_NS6detail15normal_iteratorINS9_10device_ptrIiEEEESE_SE_SE_NS0_19identity_decomposerEEE10hipError_tT1_T2_T3_T4_jRjT5_jjP12ihipStream_tbEUlT_E_NS1_11comp_targetILNS1_3genE8ELNS1_11target_archE1030ELNS1_3gpuE2ELNS1_3repE0EEENS1_44radix_sort_block_sort_config_static_selectorELNS0_4arch9wavefront6targetE1EEEvSH_.numbered_sgpr, 0
	.set _ZN7rocprim17ROCPRIM_400000_NS6detail17trampoline_kernelINS0_13kernel_configILj256ELj4ELj4294967295EEENS1_37radix_sort_block_sort_config_selectorIiiEEZNS1_21radix_sort_block_sortIS4_Lb1EN6thrust23THRUST_200600_302600_NS6detail15normal_iteratorINS9_10device_ptrIiEEEESE_SE_SE_NS0_19identity_decomposerEEE10hipError_tT1_T2_T3_T4_jRjT5_jjP12ihipStream_tbEUlT_E_NS1_11comp_targetILNS1_3genE8ELNS1_11target_archE1030ELNS1_3gpuE2ELNS1_3repE0EEENS1_44radix_sort_block_sort_config_static_selectorELNS0_4arch9wavefront6targetE1EEEvSH_.num_named_barrier, 0
	.set _ZN7rocprim17ROCPRIM_400000_NS6detail17trampoline_kernelINS0_13kernel_configILj256ELj4ELj4294967295EEENS1_37radix_sort_block_sort_config_selectorIiiEEZNS1_21radix_sort_block_sortIS4_Lb1EN6thrust23THRUST_200600_302600_NS6detail15normal_iteratorINS9_10device_ptrIiEEEESE_SE_SE_NS0_19identity_decomposerEEE10hipError_tT1_T2_T3_T4_jRjT5_jjP12ihipStream_tbEUlT_E_NS1_11comp_targetILNS1_3genE8ELNS1_11target_archE1030ELNS1_3gpuE2ELNS1_3repE0EEENS1_44radix_sort_block_sort_config_static_selectorELNS0_4arch9wavefront6targetE1EEEvSH_.private_seg_size, 0
	.set _ZN7rocprim17ROCPRIM_400000_NS6detail17trampoline_kernelINS0_13kernel_configILj256ELj4ELj4294967295EEENS1_37radix_sort_block_sort_config_selectorIiiEEZNS1_21radix_sort_block_sortIS4_Lb1EN6thrust23THRUST_200600_302600_NS6detail15normal_iteratorINS9_10device_ptrIiEEEESE_SE_SE_NS0_19identity_decomposerEEE10hipError_tT1_T2_T3_T4_jRjT5_jjP12ihipStream_tbEUlT_E_NS1_11comp_targetILNS1_3genE8ELNS1_11target_archE1030ELNS1_3gpuE2ELNS1_3repE0EEENS1_44radix_sort_block_sort_config_static_selectorELNS0_4arch9wavefront6targetE1EEEvSH_.uses_vcc, 0
	.set _ZN7rocprim17ROCPRIM_400000_NS6detail17trampoline_kernelINS0_13kernel_configILj256ELj4ELj4294967295EEENS1_37radix_sort_block_sort_config_selectorIiiEEZNS1_21radix_sort_block_sortIS4_Lb1EN6thrust23THRUST_200600_302600_NS6detail15normal_iteratorINS9_10device_ptrIiEEEESE_SE_SE_NS0_19identity_decomposerEEE10hipError_tT1_T2_T3_T4_jRjT5_jjP12ihipStream_tbEUlT_E_NS1_11comp_targetILNS1_3genE8ELNS1_11target_archE1030ELNS1_3gpuE2ELNS1_3repE0EEENS1_44radix_sort_block_sort_config_static_selectorELNS0_4arch9wavefront6targetE1EEEvSH_.uses_flat_scratch, 0
	.set _ZN7rocprim17ROCPRIM_400000_NS6detail17trampoline_kernelINS0_13kernel_configILj256ELj4ELj4294967295EEENS1_37radix_sort_block_sort_config_selectorIiiEEZNS1_21radix_sort_block_sortIS4_Lb1EN6thrust23THRUST_200600_302600_NS6detail15normal_iteratorINS9_10device_ptrIiEEEESE_SE_SE_NS0_19identity_decomposerEEE10hipError_tT1_T2_T3_T4_jRjT5_jjP12ihipStream_tbEUlT_E_NS1_11comp_targetILNS1_3genE8ELNS1_11target_archE1030ELNS1_3gpuE2ELNS1_3repE0EEENS1_44radix_sort_block_sort_config_static_selectorELNS0_4arch9wavefront6targetE1EEEvSH_.has_dyn_sized_stack, 0
	.set _ZN7rocprim17ROCPRIM_400000_NS6detail17trampoline_kernelINS0_13kernel_configILj256ELj4ELj4294967295EEENS1_37radix_sort_block_sort_config_selectorIiiEEZNS1_21radix_sort_block_sortIS4_Lb1EN6thrust23THRUST_200600_302600_NS6detail15normal_iteratorINS9_10device_ptrIiEEEESE_SE_SE_NS0_19identity_decomposerEEE10hipError_tT1_T2_T3_T4_jRjT5_jjP12ihipStream_tbEUlT_E_NS1_11comp_targetILNS1_3genE8ELNS1_11target_archE1030ELNS1_3gpuE2ELNS1_3repE0EEENS1_44radix_sort_block_sort_config_static_selectorELNS0_4arch9wavefront6targetE1EEEvSH_.has_recursion, 0
	.set _ZN7rocprim17ROCPRIM_400000_NS6detail17trampoline_kernelINS0_13kernel_configILj256ELj4ELj4294967295EEENS1_37radix_sort_block_sort_config_selectorIiiEEZNS1_21radix_sort_block_sortIS4_Lb1EN6thrust23THRUST_200600_302600_NS6detail15normal_iteratorINS9_10device_ptrIiEEEESE_SE_SE_NS0_19identity_decomposerEEE10hipError_tT1_T2_T3_T4_jRjT5_jjP12ihipStream_tbEUlT_E_NS1_11comp_targetILNS1_3genE8ELNS1_11target_archE1030ELNS1_3gpuE2ELNS1_3repE0EEENS1_44radix_sort_block_sort_config_static_selectorELNS0_4arch9wavefront6targetE1EEEvSH_.has_indirect_call, 0
	.section	.AMDGPU.csdata,"",@progbits
; Kernel info:
; codeLenInByte = 0
; TotalNumSgprs: 6
; NumVgprs: 0
; NumAgprs: 0
; TotalNumVgprs: 0
; ScratchSize: 0
; MemoryBound: 0
; FloatMode: 240
; IeeeMode: 1
; LDSByteSize: 0 bytes/workgroup (compile time only)
; SGPRBlocks: 0
; VGPRBlocks: 0
; NumSGPRsForWavesPerEU: 6
; NumVGPRsForWavesPerEU: 1
; AccumOffset: 4
; Occupancy: 8
; WaveLimiterHint : 0
; COMPUTE_PGM_RSRC2:SCRATCH_EN: 0
; COMPUTE_PGM_RSRC2:USER_SGPR: 2
; COMPUTE_PGM_RSRC2:TRAP_HANDLER: 0
; COMPUTE_PGM_RSRC2:TGID_X_EN: 1
; COMPUTE_PGM_RSRC2:TGID_Y_EN: 0
; COMPUTE_PGM_RSRC2:TGID_Z_EN: 0
; COMPUTE_PGM_RSRC2:TIDIG_COMP_CNT: 0
; COMPUTE_PGM_RSRC3_GFX90A:ACCUM_OFFSET: 0
; COMPUTE_PGM_RSRC3_GFX90A:TG_SPLIT: 0
	.section	.text._ZN7rocprim17ROCPRIM_400000_NS6detail17trampoline_kernelINS0_14default_configENS1_38merge_sort_block_merge_config_selectorIiiEEZZNS1_27merge_sort_block_merge_implIS3_N6thrust23THRUST_200600_302600_NS6detail15normal_iteratorINS8_10device_ptrIiEEEESD_jNS1_19radix_merge_compareILb1ELb0EiNS0_19identity_decomposerEEEEE10hipError_tT0_T1_T2_jT3_P12ihipStream_tbPNSt15iterator_traitsISI_E10value_typeEPNSO_ISJ_E10value_typeEPSK_NS1_7vsmem_tEENKUlT_SI_SJ_SK_E_clIPiSD_S10_SD_EESH_SX_SI_SJ_SK_EUlSX_E_NS1_11comp_targetILNS1_3genE0ELNS1_11target_archE4294967295ELNS1_3gpuE0ELNS1_3repE0EEENS1_48merge_mergepath_partition_config_static_selectorELNS0_4arch9wavefront6targetE1EEEvSJ_,"axG",@progbits,_ZN7rocprim17ROCPRIM_400000_NS6detail17trampoline_kernelINS0_14default_configENS1_38merge_sort_block_merge_config_selectorIiiEEZZNS1_27merge_sort_block_merge_implIS3_N6thrust23THRUST_200600_302600_NS6detail15normal_iteratorINS8_10device_ptrIiEEEESD_jNS1_19radix_merge_compareILb1ELb0EiNS0_19identity_decomposerEEEEE10hipError_tT0_T1_T2_jT3_P12ihipStream_tbPNSt15iterator_traitsISI_E10value_typeEPNSO_ISJ_E10value_typeEPSK_NS1_7vsmem_tEENKUlT_SI_SJ_SK_E_clIPiSD_S10_SD_EESH_SX_SI_SJ_SK_EUlSX_E_NS1_11comp_targetILNS1_3genE0ELNS1_11target_archE4294967295ELNS1_3gpuE0ELNS1_3repE0EEENS1_48merge_mergepath_partition_config_static_selectorELNS0_4arch9wavefront6targetE1EEEvSJ_,comdat
	.protected	_ZN7rocprim17ROCPRIM_400000_NS6detail17trampoline_kernelINS0_14default_configENS1_38merge_sort_block_merge_config_selectorIiiEEZZNS1_27merge_sort_block_merge_implIS3_N6thrust23THRUST_200600_302600_NS6detail15normal_iteratorINS8_10device_ptrIiEEEESD_jNS1_19radix_merge_compareILb1ELb0EiNS0_19identity_decomposerEEEEE10hipError_tT0_T1_T2_jT3_P12ihipStream_tbPNSt15iterator_traitsISI_E10value_typeEPNSO_ISJ_E10value_typeEPSK_NS1_7vsmem_tEENKUlT_SI_SJ_SK_E_clIPiSD_S10_SD_EESH_SX_SI_SJ_SK_EUlSX_E_NS1_11comp_targetILNS1_3genE0ELNS1_11target_archE4294967295ELNS1_3gpuE0ELNS1_3repE0EEENS1_48merge_mergepath_partition_config_static_selectorELNS0_4arch9wavefront6targetE1EEEvSJ_ ; -- Begin function _ZN7rocprim17ROCPRIM_400000_NS6detail17trampoline_kernelINS0_14default_configENS1_38merge_sort_block_merge_config_selectorIiiEEZZNS1_27merge_sort_block_merge_implIS3_N6thrust23THRUST_200600_302600_NS6detail15normal_iteratorINS8_10device_ptrIiEEEESD_jNS1_19radix_merge_compareILb1ELb0EiNS0_19identity_decomposerEEEEE10hipError_tT0_T1_T2_jT3_P12ihipStream_tbPNSt15iterator_traitsISI_E10value_typeEPNSO_ISJ_E10value_typeEPSK_NS1_7vsmem_tEENKUlT_SI_SJ_SK_E_clIPiSD_S10_SD_EESH_SX_SI_SJ_SK_EUlSX_E_NS1_11comp_targetILNS1_3genE0ELNS1_11target_archE4294967295ELNS1_3gpuE0ELNS1_3repE0EEENS1_48merge_mergepath_partition_config_static_selectorELNS0_4arch9wavefront6targetE1EEEvSJ_
	.globl	_ZN7rocprim17ROCPRIM_400000_NS6detail17trampoline_kernelINS0_14default_configENS1_38merge_sort_block_merge_config_selectorIiiEEZZNS1_27merge_sort_block_merge_implIS3_N6thrust23THRUST_200600_302600_NS6detail15normal_iteratorINS8_10device_ptrIiEEEESD_jNS1_19radix_merge_compareILb1ELb0EiNS0_19identity_decomposerEEEEE10hipError_tT0_T1_T2_jT3_P12ihipStream_tbPNSt15iterator_traitsISI_E10value_typeEPNSO_ISJ_E10value_typeEPSK_NS1_7vsmem_tEENKUlT_SI_SJ_SK_E_clIPiSD_S10_SD_EESH_SX_SI_SJ_SK_EUlSX_E_NS1_11comp_targetILNS1_3genE0ELNS1_11target_archE4294967295ELNS1_3gpuE0ELNS1_3repE0EEENS1_48merge_mergepath_partition_config_static_selectorELNS0_4arch9wavefront6targetE1EEEvSJ_
	.p2align	8
	.type	_ZN7rocprim17ROCPRIM_400000_NS6detail17trampoline_kernelINS0_14default_configENS1_38merge_sort_block_merge_config_selectorIiiEEZZNS1_27merge_sort_block_merge_implIS3_N6thrust23THRUST_200600_302600_NS6detail15normal_iteratorINS8_10device_ptrIiEEEESD_jNS1_19radix_merge_compareILb1ELb0EiNS0_19identity_decomposerEEEEE10hipError_tT0_T1_T2_jT3_P12ihipStream_tbPNSt15iterator_traitsISI_E10value_typeEPNSO_ISJ_E10value_typeEPSK_NS1_7vsmem_tEENKUlT_SI_SJ_SK_E_clIPiSD_S10_SD_EESH_SX_SI_SJ_SK_EUlSX_E_NS1_11comp_targetILNS1_3genE0ELNS1_11target_archE4294967295ELNS1_3gpuE0ELNS1_3repE0EEENS1_48merge_mergepath_partition_config_static_selectorELNS0_4arch9wavefront6targetE1EEEvSJ_,@function
_ZN7rocprim17ROCPRIM_400000_NS6detail17trampoline_kernelINS0_14default_configENS1_38merge_sort_block_merge_config_selectorIiiEEZZNS1_27merge_sort_block_merge_implIS3_N6thrust23THRUST_200600_302600_NS6detail15normal_iteratorINS8_10device_ptrIiEEEESD_jNS1_19radix_merge_compareILb1ELb0EiNS0_19identity_decomposerEEEEE10hipError_tT0_T1_T2_jT3_P12ihipStream_tbPNSt15iterator_traitsISI_E10value_typeEPNSO_ISJ_E10value_typeEPSK_NS1_7vsmem_tEENKUlT_SI_SJ_SK_E_clIPiSD_S10_SD_EESH_SX_SI_SJ_SK_EUlSX_E_NS1_11comp_targetILNS1_3genE0ELNS1_11target_archE4294967295ELNS1_3gpuE0ELNS1_3repE0EEENS1_48merge_mergepath_partition_config_static_selectorELNS0_4arch9wavefront6targetE1EEEvSJ_: ; @_ZN7rocprim17ROCPRIM_400000_NS6detail17trampoline_kernelINS0_14default_configENS1_38merge_sort_block_merge_config_selectorIiiEEZZNS1_27merge_sort_block_merge_implIS3_N6thrust23THRUST_200600_302600_NS6detail15normal_iteratorINS8_10device_ptrIiEEEESD_jNS1_19radix_merge_compareILb1ELb0EiNS0_19identity_decomposerEEEEE10hipError_tT0_T1_T2_jT3_P12ihipStream_tbPNSt15iterator_traitsISI_E10value_typeEPNSO_ISJ_E10value_typeEPSK_NS1_7vsmem_tEENKUlT_SI_SJ_SK_E_clIPiSD_S10_SD_EESH_SX_SI_SJ_SK_EUlSX_E_NS1_11comp_targetILNS1_3genE0ELNS1_11target_archE4294967295ELNS1_3gpuE0ELNS1_3repE0EEENS1_48merge_mergepath_partition_config_static_selectorELNS0_4arch9wavefront6targetE1EEEvSJ_
; %bb.0:
	s_load_dword s3, s[0:1], 0x0
	v_lshl_or_b32 v0, s2, 7, v0
	s_waitcnt lgkmcnt(0)
	v_cmp_gt_u32_e32 vcc, s3, v0
	s_and_saveexec_b64 s[2:3], vcc
	s_cbranch_execz .LBB885_6
; %bb.1:
	s_load_dwordx2 s[4:5], s[0:1], 0x4
	s_load_dwordx2 s[2:3], s[0:1], 0x20
	s_waitcnt lgkmcnt(0)
	s_lshr_b32 s6, s4, 9
	s_and_b32 s6, s6, 0x7ffffe
	s_add_i32 s7, s6, -1
	s_sub_i32 s6, 0, s6
	v_and_b32_e32 v1, s6, v0
	v_lshlrev_b32_e32 v1, 10, v1
	v_min_u32_e32 v2, s5, v1
	v_add_u32_e32 v1, s4, v1
	v_min_u32_e32 v4, s5, v1
	v_add_u32_e32 v1, s4, v4
	v_and_b32_e32 v3, s7, v0
	v_min_u32_e32 v1, s5, v1
	v_sub_u32_e32 v5, v1, v2
	v_lshlrev_b32_e32 v3, 10, v3
	v_min_u32_e32 v10, v5, v3
	v_sub_u32_e32 v3, v4, v2
	v_sub_u32_e32 v1, v1, v4
	v_sub_u32_e64 v1, v10, v1 clamp
	v_min_u32_e32 v11, v10, v3
	v_cmp_lt_u32_e32 vcc, v1, v11
	s_and_saveexec_b64 s[4:5], vcc
	s_cbranch_execz .LBB885_5
; %bb.2:
	s_load_dwordx2 s[0:1], s[0:1], 0x10
	v_mov_b32_e32 v5, 0
	v_mov_b32_e32 v3, v5
	s_waitcnt lgkmcnt(0)
	v_lshl_add_u64 v[6:7], v[2:3], 2, s[0:1]
	v_lshl_add_u64 v[8:9], v[4:5], 2, s[0:1]
	s_mov_b64 s[0:1], 0
.LBB885_3:                              ; =>This Inner Loop Header: Depth=1
	v_add_u32_e32 v3, v11, v1
	v_lshrrev_b32_e32 v4, 1, v3
	v_mov_b32_e32 v13, v5
	v_xad_u32 v12, v4, -1, v10
	v_lshl_add_u64 v[14:15], v[4:5], 2, v[6:7]
	v_lshl_add_u64 v[12:13], v[12:13], 2, v[8:9]
	global_load_dword v3, v[14:15], off
	global_load_dword v16, v[12:13], off
	v_add_u32_e32 v12, 1, v4
	s_waitcnt vmcnt(0)
	v_cmp_gt_i32_e32 vcc, v16, v3
	s_nop 1
	v_cndmask_b32_e32 v11, v11, v4, vcc
	v_cndmask_b32_e32 v1, v12, v1, vcc
	v_cmp_ge_u32_e32 vcc, v1, v11
	s_or_b64 s[0:1], vcc, s[0:1]
	s_andn2_b64 exec, exec, s[0:1]
	s_cbranch_execnz .LBB885_3
; %bb.4:
	s_or_b64 exec, exec, s[0:1]
.LBB885_5:
	s_or_b64 exec, exec, s[4:5]
	v_add_u32_e32 v2, v1, v2
	v_mov_b32_e32 v1, 0
	v_lshl_add_u64 v[0:1], v[0:1], 2, s[2:3]
	global_store_dword v[0:1], v2, off
.LBB885_6:
	s_endpgm
	.section	.rodata,"a",@progbits
	.p2align	6, 0x0
	.amdhsa_kernel _ZN7rocprim17ROCPRIM_400000_NS6detail17trampoline_kernelINS0_14default_configENS1_38merge_sort_block_merge_config_selectorIiiEEZZNS1_27merge_sort_block_merge_implIS3_N6thrust23THRUST_200600_302600_NS6detail15normal_iteratorINS8_10device_ptrIiEEEESD_jNS1_19radix_merge_compareILb1ELb0EiNS0_19identity_decomposerEEEEE10hipError_tT0_T1_T2_jT3_P12ihipStream_tbPNSt15iterator_traitsISI_E10value_typeEPNSO_ISJ_E10value_typeEPSK_NS1_7vsmem_tEENKUlT_SI_SJ_SK_E_clIPiSD_S10_SD_EESH_SX_SI_SJ_SK_EUlSX_E_NS1_11comp_targetILNS1_3genE0ELNS1_11target_archE4294967295ELNS1_3gpuE0ELNS1_3repE0EEENS1_48merge_mergepath_partition_config_static_selectorELNS0_4arch9wavefront6targetE1EEEvSJ_
		.amdhsa_group_segment_fixed_size 0
		.amdhsa_private_segment_fixed_size 0
		.amdhsa_kernarg_size 40
		.amdhsa_user_sgpr_count 2
		.amdhsa_user_sgpr_dispatch_ptr 0
		.amdhsa_user_sgpr_queue_ptr 0
		.amdhsa_user_sgpr_kernarg_segment_ptr 1
		.amdhsa_user_sgpr_dispatch_id 0
		.amdhsa_user_sgpr_kernarg_preload_length 0
		.amdhsa_user_sgpr_kernarg_preload_offset 0
		.amdhsa_user_sgpr_private_segment_size 0
		.amdhsa_uses_dynamic_stack 0
		.amdhsa_enable_private_segment 0
		.amdhsa_system_sgpr_workgroup_id_x 1
		.amdhsa_system_sgpr_workgroup_id_y 0
		.amdhsa_system_sgpr_workgroup_id_z 0
		.amdhsa_system_sgpr_workgroup_info 0
		.amdhsa_system_vgpr_workitem_id 0
		.amdhsa_next_free_vgpr 17
		.amdhsa_next_free_sgpr 8
		.amdhsa_accum_offset 20
		.amdhsa_reserve_vcc 1
		.amdhsa_float_round_mode_32 0
		.amdhsa_float_round_mode_16_64 0
		.amdhsa_float_denorm_mode_32 3
		.amdhsa_float_denorm_mode_16_64 3
		.amdhsa_dx10_clamp 1
		.amdhsa_ieee_mode 1
		.amdhsa_fp16_overflow 0
		.amdhsa_tg_split 0
		.amdhsa_exception_fp_ieee_invalid_op 0
		.amdhsa_exception_fp_denorm_src 0
		.amdhsa_exception_fp_ieee_div_zero 0
		.amdhsa_exception_fp_ieee_overflow 0
		.amdhsa_exception_fp_ieee_underflow 0
		.amdhsa_exception_fp_ieee_inexact 0
		.amdhsa_exception_int_div_zero 0
	.end_amdhsa_kernel
	.section	.text._ZN7rocprim17ROCPRIM_400000_NS6detail17trampoline_kernelINS0_14default_configENS1_38merge_sort_block_merge_config_selectorIiiEEZZNS1_27merge_sort_block_merge_implIS3_N6thrust23THRUST_200600_302600_NS6detail15normal_iteratorINS8_10device_ptrIiEEEESD_jNS1_19radix_merge_compareILb1ELb0EiNS0_19identity_decomposerEEEEE10hipError_tT0_T1_T2_jT3_P12ihipStream_tbPNSt15iterator_traitsISI_E10value_typeEPNSO_ISJ_E10value_typeEPSK_NS1_7vsmem_tEENKUlT_SI_SJ_SK_E_clIPiSD_S10_SD_EESH_SX_SI_SJ_SK_EUlSX_E_NS1_11comp_targetILNS1_3genE0ELNS1_11target_archE4294967295ELNS1_3gpuE0ELNS1_3repE0EEENS1_48merge_mergepath_partition_config_static_selectorELNS0_4arch9wavefront6targetE1EEEvSJ_,"axG",@progbits,_ZN7rocprim17ROCPRIM_400000_NS6detail17trampoline_kernelINS0_14default_configENS1_38merge_sort_block_merge_config_selectorIiiEEZZNS1_27merge_sort_block_merge_implIS3_N6thrust23THRUST_200600_302600_NS6detail15normal_iteratorINS8_10device_ptrIiEEEESD_jNS1_19radix_merge_compareILb1ELb0EiNS0_19identity_decomposerEEEEE10hipError_tT0_T1_T2_jT3_P12ihipStream_tbPNSt15iterator_traitsISI_E10value_typeEPNSO_ISJ_E10value_typeEPSK_NS1_7vsmem_tEENKUlT_SI_SJ_SK_E_clIPiSD_S10_SD_EESH_SX_SI_SJ_SK_EUlSX_E_NS1_11comp_targetILNS1_3genE0ELNS1_11target_archE4294967295ELNS1_3gpuE0ELNS1_3repE0EEENS1_48merge_mergepath_partition_config_static_selectorELNS0_4arch9wavefront6targetE1EEEvSJ_,comdat
.Lfunc_end885:
	.size	_ZN7rocprim17ROCPRIM_400000_NS6detail17trampoline_kernelINS0_14default_configENS1_38merge_sort_block_merge_config_selectorIiiEEZZNS1_27merge_sort_block_merge_implIS3_N6thrust23THRUST_200600_302600_NS6detail15normal_iteratorINS8_10device_ptrIiEEEESD_jNS1_19radix_merge_compareILb1ELb0EiNS0_19identity_decomposerEEEEE10hipError_tT0_T1_T2_jT3_P12ihipStream_tbPNSt15iterator_traitsISI_E10value_typeEPNSO_ISJ_E10value_typeEPSK_NS1_7vsmem_tEENKUlT_SI_SJ_SK_E_clIPiSD_S10_SD_EESH_SX_SI_SJ_SK_EUlSX_E_NS1_11comp_targetILNS1_3genE0ELNS1_11target_archE4294967295ELNS1_3gpuE0ELNS1_3repE0EEENS1_48merge_mergepath_partition_config_static_selectorELNS0_4arch9wavefront6targetE1EEEvSJ_, .Lfunc_end885-_ZN7rocprim17ROCPRIM_400000_NS6detail17trampoline_kernelINS0_14default_configENS1_38merge_sort_block_merge_config_selectorIiiEEZZNS1_27merge_sort_block_merge_implIS3_N6thrust23THRUST_200600_302600_NS6detail15normal_iteratorINS8_10device_ptrIiEEEESD_jNS1_19radix_merge_compareILb1ELb0EiNS0_19identity_decomposerEEEEE10hipError_tT0_T1_T2_jT3_P12ihipStream_tbPNSt15iterator_traitsISI_E10value_typeEPNSO_ISJ_E10value_typeEPSK_NS1_7vsmem_tEENKUlT_SI_SJ_SK_E_clIPiSD_S10_SD_EESH_SX_SI_SJ_SK_EUlSX_E_NS1_11comp_targetILNS1_3genE0ELNS1_11target_archE4294967295ELNS1_3gpuE0ELNS1_3repE0EEENS1_48merge_mergepath_partition_config_static_selectorELNS0_4arch9wavefront6targetE1EEEvSJ_
                                        ; -- End function
	.set _ZN7rocprim17ROCPRIM_400000_NS6detail17trampoline_kernelINS0_14default_configENS1_38merge_sort_block_merge_config_selectorIiiEEZZNS1_27merge_sort_block_merge_implIS3_N6thrust23THRUST_200600_302600_NS6detail15normal_iteratorINS8_10device_ptrIiEEEESD_jNS1_19radix_merge_compareILb1ELb0EiNS0_19identity_decomposerEEEEE10hipError_tT0_T1_T2_jT3_P12ihipStream_tbPNSt15iterator_traitsISI_E10value_typeEPNSO_ISJ_E10value_typeEPSK_NS1_7vsmem_tEENKUlT_SI_SJ_SK_E_clIPiSD_S10_SD_EESH_SX_SI_SJ_SK_EUlSX_E_NS1_11comp_targetILNS1_3genE0ELNS1_11target_archE4294967295ELNS1_3gpuE0ELNS1_3repE0EEENS1_48merge_mergepath_partition_config_static_selectorELNS0_4arch9wavefront6targetE1EEEvSJ_.num_vgpr, 17
	.set _ZN7rocprim17ROCPRIM_400000_NS6detail17trampoline_kernelINS0_14default_configENS1_38merge_sort_block_merge_config_selectorIiiEEZZNS1_27merge_sort_block_merge_implIS3_N6thrust23THRUST_200600_302600_NS6detail15normal_iteratorINS8_10device_ptrIiEEEESD_jNS1_19radix_merge_compareILb1ELb0EiNS0_19identity_decomposerEEEEE10hipError_tT0_T1_T2_jT3_P12ihipStream_tbPNSt15iterator_traitsISI_E10value_typeEPNSO_ISJ_E10value_typeEPSK_NS1_7vsmem_tEENKUlT_SI_SJ_SK_E_clIPiSD_S10_SD_EESH_SX_SI_SJ_SK_EUlSX_E_NS1_11comp_targetILNS1_3genE0ELNS1_11target_archE4294967295ELNS1_3gpuE0ELNS1_3repE0EEENS1_48merge_mergepath_partition_config_static_selectorELNS0_4arch9wavefront6targetE1EEEvSJ_.num_agpr, 0
	.set _ZN7rocprim17ROCPRIM_400000_NS6detail17trampoline_kernelINS0_14default_configENS1_38merge_sort_block_merge_config_selectorIiiEEZZNS1_27merge_sort_block_merge_implIS3_N6thrust23THRUST_200600_302600_NS6detail15normal_iteratorINS8_10device_ptrIiEEEESD_jNS1_19radix_merge_compareILb1ELb0EiNS0_19identity_decomposerEEEEE10hipError_tT0_T1_T2_jT3_P12ihipStream_tbPNSt15iterator_traitsISI_E10value_typeEPNSO_ISJ_E10value_typeEPSK_NS1_7vsmem_tEENKUlT_SI_SJ_SK_E_clIPiSD_S10_SD_EESH_SX_SI_SJ_SK_EUlSX_E_NS1_11comp_targetILNS1_3genE0ELNS1_11target_archE4294967295ELNS1_3gpuE0ELNS1_3repE0EEENS1_48merge_mergepath_partition_config_static_selectorELNS0_4arch9wavefront6targetE1EEEvSJ_.numbered_sgpr, 8
	.set _ZN7rocprim17ROCPRIM_400000_NS6detail17trampoline_kernelINS0_14default_configENS1_38merge_sort_block_merge_config_selectorIiiEEZZNS1_27merge_sort_block_merge_implIS3_N6thrust23THRUST_200600_302600_NS6detail15normal_iteratorINS8_10device_ptrIiEEEESD_jNS1_19radix_merge_compareILb1ELb0EiNS0_19identity_decomposerEEEEE10hipError_tT0_T1_T2_jT3_P12ihipStream_tbPNSt15iterator_traitsISI_E10value_typeEPNSO_ISJ_E10value_typeEPSK_NS1_7vsmem_tEENKUlT_SI_SJ_SK_E_clIPiSD_S10_SD_EESH_SX_SI_SJ_SK_EUlSX_E_NS1_11comp_targetILNS1_3genE0ELNS1_11target_archE4294967295ELNS1_3gpuE0ELNS1_3repE0EEENS1_48merge_mergepath_partition_config_static_selectorELNS0_4arch9wavefront6targetE1EEEvSJ_.num_named_barrier, 0
	.set _ZN7rocprim17ROCPRIM_400000_NS6detail17trampoline_kernelINS0_14default_configENS1_38merge_sort_block_merge_config_selectorIiiEEZZNS1_27merge_sort_block_merge_implIS3_N6thrust23THRUST_200600_302600_NS6detail15normal_iteratorINS8_10device_ptrIiEEEESD_jNS1_19radix_merge_compareILb1ELb0EiNS0_19identity_decomposerEEEEE10hipError_tT0_T1_T2_jT3_P12ihipStream_tbPNSt15iterator_traitsISI_E10value_typeEPNSO_ISJ_E10value_typeEPSK_NS1_7vsmem_tEENKUlT_SI_SJ_SK_E_clIPiSD_S10_SD_EESH_SX_SI_SJ_SK_EUlSX_E_NS1_11comp_targetILNS1_3genE0ELNS1_11target_archE4294967295ELNS1_3gpuE0ELNS1_3repE0EEENS1_48merge_mergepath_partition_config_static_selectorELNS0_4arch9wavefront6targetE1EEEvSJ_.private_seg_size, 0
	.set _ZN7rocprim17ROCPRIM_400000_NS6detail17trampoline_kernelINS0_14default_configENS1_38merge_sort_block_merge_config_selectorIiiEEZZNS1_27merge_sort_block_merge_implIS3_N6thrust23THRUST_200600_302600_NS6detail15normal_iteratorINS8_10device_ptrIiEEEESD_jNS1_19radix_merge_compareILb1ELb0EiNS0_19identity_decomposerEEEEE10hipError_tT0_T1_T2_jT3_P12ihipStream_tbPNSt15iterator_traitsISI_E10value_typeEPNSO_ISJ_E10value_typeEPSK_NS1_7vsmem_tEENKUlT_SI_SJ_SK_E_clIPiSD_S10_SD_EESH_SX_SI_SJ_SK_EUlSX_E_NS1_11comp_targetILNS1_3genE0ELNS1_11target_archE4294967295ELNS1_3gpuE0ELNS1_3repE0EEENS1_48merge_mergepath_partition_config_static_selectorELNS0_4arch9wavefront6targetE1EEEvSJ_.uses_vcc, 1
	.set _ZN7rocprim17ROCPRIM_400000_NS6detail17trampoline_kernelINS0_14default_configENS1_38merge_sort_block_merge_config_selectorIiiEEZZNS1_27merge_sort_block_merge_implIS3_N6thrust23THRUST_200600_302600_NS6detail15normal_iteratorINS8_10device_ptrIiEEEESD_jNS1_19radix_merge_compareILb1ELb0EiNS0_19identity_decomposerEEEEE10hipError_tT0_T1_T2_jT3_P12ihipStream_tbPNSt15iterator_traitsISI_E10value_typeEPNSO_ISJ_E10value_typeEPSK_NS1_7vsmem_tEENKUlT_SI_SJ_SK_E_clIPiSD_S10_SD_EESH_SX_SI_SJ_SK_EUlSX_E_NS1_11comp_targetILNS1_3genE0ELNS1_11target_archE4294967295ELNS1_3gpuE0ELNS1_3repE0EEENS1_48merge_mergepath_partition_config_static_selectorELNS0_4arch9wavefront6targetE1EEEvSJ_.uses_flat_scratch, 0
	.set _ZN7rocprim17ROCPRIM_400000_NS6detail17trampoline_kernelINS0_14default_configENS1_38merge_sort_block_merge_config_selectorIiiEEZZNS1_27merge_sort_block_merge_implIS3_N6thrust23THRUST_200600_302600_NS6detail15normal_iteratorINS8_10device_ptrIiEEEESD_jNS1_19radix_merge_compareILb1ELb0EiNS0_19identity_decomposerEEEEE10hipError_tT0_T1_T2_jT3_P12ihipStream_tbPNSt15iterator_traitsISI_E10value_typeEPNSO_ISJ_E10value_typeEPSK_NS1_7vsmem_tEENKUlT_SI_SJ_SK_E_clIPiSD_S10_SD_EESH_SX_SI_SJ_SK_EUlSX_E_NS1_11comp_targetILNS1_3genE0ELNS1_11target_archE4294967295ELNS1_3gpuE0ELNS1_3repE0EEENS1_48merge_mergepath_partition_config_static_selectorELNS0_4arch9wavefront6targetE1EEEvSJ_.has_dyn_sized_stack, 0
	.set _ZN7rocprim17ROCPRIM_400000_NS6detail17trampoline_kernelINS0_14default_configENS1_38merge_sort_block_merge_config_selectorIiiEEZZNS1_27merge_sort_block_merge_implIS3_N6thrust23THRUST_200600_302600_NS6detail15normal_iteratorINS8_10device_ptrIiEEEESD_jNS1_19radix_merge_compareILb1ELb0EiNS0_19identity_decomposerEEEEE10hipError_tT0_T1_T2_jT3_P12ihipStream_tbPNSt15iterator_traitsISI_E10value_typeEPNSO_ISJ_E10value_typeEPSK_NS1_7vsmem_tEENKUlT_SI_SJ_SK_E_clIPiSD_S10_SD_EESH_SX_SI_SJ_SK_EUlSX_E_NS1_11comp_targetILNS1_3genE0ELNS1_11target_archE4294967295ELNS1_3gpuE0ELNS1_3repE0EEENS1_48merge_mergepath_partition_config_static_selectorELNS0_4arch9wavefront6targetE1EEEvSJ_.has_recursion, 0
	.set _ZN7rocprim17ROCPRIM_400000_NS6detail17trampoline_kernelINS0_14default_configENS1_38merge_sort_block_merge_config_selectorIiiEEZZNS1_27merge_sort_block_merge_implIS3_N6thrust23THRUST_200600_302600_NS6detail15normal_iteratorINS8_10device_ptrIiEEEESD_jNS1_19radix_merge_compareILb1ELb0EiNS0_19identity_decomposerEEEEE10hipError_tT0_T1_T2_jT3_P12ihipStream_tbPNSt15iterator_traitsISI_E10value_typeEPNSO_ISJ_E10value_typeEPSK_NS1_7vsmem_tEENKUlT_SI_SJ_SK_E_clIPiSD_S10_SD_EESH_SX_SI_SJ_SK_EUlSX_E_NS1_11comp_targetILNS1_3genE0ELNS1_11target_archE4294967295ELNS1_3gpuE0ELNS1_3repE0EEENS1_48merge_mergepath_partition_config_static_selectorELNS0_4arch9wavefront6targetE1EEEvSJ_.has_indirect_call, 0
	.section	.AMDGPU.csdata,"",@progbits
; Kernel info:
; codeLenInByte = 316
; TotalNumSgprs: 14
; NumVgprs: 17
; NumAgprs: 0
; TotalNumVgprs: 17
; ScratchSize: 0
; MemoryBound: 0
; FloatMode: 240
; IeeeMode: 1
; LDSByteSize: 0 bytes/workgroup (compile time only)
; SGPRBlocks: 1
; VGPRBlocks: 2
; NumSGPRsForWavesPerEU: 14
; NumVGPRsForWavesPerEU: 17
; AccumOffset: 20
; Occupancy: 8
; WaveLimiterHint : 0
; COMPUTE_PGM_RSRC2:SCRATCH_EN: 0
; COMPUTE_PGM_RSRC2:USER_SGPR: 2
; COMPUTE_PGM_RSRC2:TRAP_HANDLER: 0
; COMPUTE_PGM_RSRC2:TGID_X_EN: 1
; COMPUTE_PGM_RSRC2:TGID_Y_EN: 0
; COMPUTE_PGM_RSRC2:TGID_Z_EN: 0
; COMPUTE_PGM_RSRC2:TIDIG_COMP_CNT: 0
; COMPUTE_PGM_RSRC3_GFX90A:ACCUM_OFFSET: 4
; COMPUTE_PGM_RSRC3_GFX90A:TG_SPLIT: 0
	.section	.text._ZN7rocprim17ROCPRIM_400000_NS6detail17trampoline_kernelINS0_14default_configENS1_38merge_sort_block_merge_config_selectorIiiEEZZNS1_27merge_sort_block_merge_implIS3_N6thrust23THRUST_200600_302600_NS6detail15normal_iteratorINS8_10device_ptrIiEEEESD_jNS1_19radix_merge_compareILb1ELb0EiNS0_19identity_decomposerEEEEE10hipError_tT0_T1_T2_jT3_P12ihipStream_tbPNSt15iterator_traitsISI_E10value_typeEPNSO_ISJ_E10value_typeEPSK_NS1_7vsmem_tEENKUlT_SI_SJ_SK_E_clIPiSD_S10_SD_EESH_SX_SI_SJ_SK_EUlSX_E_NS1_11comp_targetILNS1_3genE10ELNS1_11target_archE1201ELNS1_3gpuE5ELNS1_3repE0EEENS1_48merge_mergepath_partition_config_static_selectorELNS0_4arch9wavefront6targetE1EEEvSJ_,"axG",@progbits,_ZN7rocprim17ROCPRIM_400000_NS6detail17trampoline_kernelINS0_14default_configENS1_38merge_sort_block_merge_config_selectorIiiEEZZNS1_27merge_sort_block_merge_implIS3_N6thrust23THRUST_200600_302600_NS6detail15normal_iteratorINS8_10device_ptrIiEEEESD_jNS1_19radix_merge_compareILb1ELb0EiNS0_19identity_decomposerEEEEE10hipError_tT0_T1_T2_jT3_P12ihipStream_tbPNSt15iterator_traitsISI_E10value_typeEPNSO_ISJ_E10value_typeEPSK_NS1_7vsmem_tEENKUlT_SI_SJ_SK_E_clIPiSD_S10_SD_EESH_SX_SI_SJ_SK_EUlSX_E_NS1_11comp_targetILNS1_3genE10ELNS1_11target_archE1201ELNS1_3gpuE5ELNS1_3repE0EEENS1_48merge_mergepath_partition_config_static_selectorELNS0_4arch9wavefront6targetE1EEEvSJ_,comdat
	.protected	_ZN7rocprim17ROCPRIM_400000_NS6detail17trampoline_kernelINS0_14default_configENS1_38merge_sort_block_merge_config_selectorIiiEEZZNS1_27merge_sort_block_merge_implIS3_N6thrust23THRUST_200600_302600_NS6detail15normal_iteratorINS8_10device_ptrIiEEEESD_jNS1_19radix_merge_compareILb1ELb0EiNS0_19identity_decomposerEEEEE10hipError_tT0_T1_T2_jT3_P12ihipStream_tbPNSt15iterator_traitsISI_E10value_typeEPNSO_ISJ_E10value_typeEPSK_NS1_7vsmem_tEENKUlT_SI_SJ_SK_E_clIPiSD_S10_SD_EESH_SX_SI_SJ_SK_EUlSX_E_NS1_11comp_targetILNS1_3genE10ELNS1_11target_archE1201ELNS1_3gpuE5ELNS1_3repE0EEENS1_48merge_mergepath_partition_config_static_selectorELNS0_4arch9wavefront6targetE1EEEvSJ_ ; -- Begin function _ZN7rocprim17ROCPRIM_400000_NS6detail17trampoline_kernelINS0_14default_configENS1_38merge_sort_block_merge_config_selectorIiiEEZZNS1_27merge_sort_block_merge_implIS3_N6thrust23THRUST_200600_302600_NS6detail15normal_iteratorINS8_10device_ptrIiEEEESD_jNS1_19radix_merge_compareILb1ELb0EiNS0_19identity_decomposerEEEEE10hipError_tT0_T1_T2_jT3_P12ihipStream_tbPNSt15iterator_traitsISI_E10value_typeEPNSO_ISJ_E10value_typeEPSK_NS1_7vsmem_tEENKUlT_SI_SJ_SK_E_clIPiSD_S10_SD_EESH_SX_SI_SJ_SK_EUlSX_E_NS1_11comp_targetILNS1_3genE10ELNS1_11target_archE1201ELNS1_3gpuE5ELNS1_3repE0EEENS1_48merge_mergepath_partition_config_static_selectorELNS0_4arch9wavefront6targetE1EEEvSJ_
	.globl	_ZN7rocprim17ROCPRIM_400000_NS6detail17trampoline_kernelINS0_14default_configENS1_38merge_sort_block_merge_config_selectorIiiEEZZNS1_27merge_sort_block_merge_implIS3_N6thrust23THRUST_200600_302600_NS6detail15normal_iteratorINS8_10device_ptrIiEEEESD_jNS1_19radix_merge_compareILb1ELb0EiNS0_19identity_decomposerEEEEE10hipError_tT0_T1_T2_jT3_P12ihipStream_tbPNSt15iterator_traitsISI_E10value_typeEPNSO_ISJ_E10value_typeEPSK_NS1_7vsmem_tEENKUlT_SI_SJ_SK_E_clIPiSD_S10_SD_EESH_SX_SI_SJ_SK_EUlSX_E_NS1_11comp_targetILNS1_3genE10ELNS1_11target_archE1201ELNS1_3gpuE5ELNS1_3repE0EEENS1_48merge_mergepath_partition_config_static_selectorELNS0_4arch9wavefront6targetE1EEEvSJ_
	.p2align	8
	.type	_ZN7rocprim17ROCPRIM_400000_NS6detail17trampoline_kernelINS0_14default_configENS1_38merge_sort_block_merge_config_selectorIiiEEZZNS1_27merge_sort_block_merge_implIS3_N6thrust23THRUST_200600_302600_NS6detail15normal_iteratorINS8_10device_ptrIiEEEESD_jNS1_19radix_merge_compareILb1ELb0EiNS0_19identity_decomposerEEEEE10hipError_tT0_T1_T2_jT3_P12ihipStream_tbPNSt15iterator_traitsISI_E10value_typeEPNSO_ISJ_E10value_typeEPSK_NS1_7vsmem_tEENKUlT_SI_SJ_SK_E_clIPiSD_S10_SD_EESH_SX_SI_SJ_SK_EUlSX_E_NS1_11comp_targetILNS1_3genE10ELNS1_11target_archE1201ELNS1_3gpuE5ELNS1_3repE0EEENS1_48merge_mergepath_partition_config_static_selectorELNS0_4arch9wavefront6targetE1EEEvSJ_,@function
_ZN7rocprim17ROCPRIM_400000_NS6detail17trampoline_kernelINS0_14default_configENS1_38merge_sort_block_merge_config_selectorIiiEEZZNS1_27merge_sort_block_merge_implIS3_N6thrust23THRUST_200600_302600_NS6detail15normal_iteratorINS8_10device_ptrIiEEEESD_jNS1_19radix_merge_compareILb1ELb0EiNS0_19identity_decomposerEEEEE10hipError_tT0_T1_T2_jT3_P12ihipStream_tbPNSt15iterator_traitsISI_E10value_typeEPNSO_ISJ_E10value_typeEPSK_NS1_7vsmem_tEENKUlT_SI_SJ_SK_E_clIPiSD_S10_SD_EESH_SX_SI_SJ_SK_EUlSX_E_NS1_11comp_targetILNS1_3genE10ELNS1_11target_archE1201ELNS1_3gpuE5ELNS1_3repE0EEENS1_48merge_mergepath_partition_config_static_selectorELNS0_4arch9wavefront6targetE1EEEvSJ_: ; @_ZN7rocprim17ROCPRIM_400000_NS6detail17trampoline_kernelINS0_14default_configENS1_38merge_sort_block_merge_config_selectorIiiEEZZNS1_27merge_sort_block_merge_implIS3_N6thrust23THRUST_200600_302600_NS6detail15normal_iteratorINS8_10device_ptrIiEEEESD_jNS1_19radix_merge_compareILb1ELb0EiNS0_19identity_decomposerEEEEE10hipError_tT0_T1_T2_jT3_P12ihipStream_tbPNSt15iterator_traitsISI_E10value_typeEPNSO_ISJ_E10value_typeEPSK_NS1_7vsmem_tEENKUlT_SI_SJ_SK_E_clIPiSD_S10_SD_EESH_SX_SI_SJ_SK_EUlSX_E_NS1_11comp_targetILNS1_3genE10ELNS1_11target_archE1201ELNS1_3gpuE5ELNS1_3repE0EEENS1_48merge_mergepath_partition_config_static_selectorELNS0_4arch9wavefront6targetE1EEEvSJ_
; %bb.0:
	.section	.rodata,"a",@progbits
	.p2align	6, 0x0
	.amdhsa_kernel _ZN7rocprim17ROCPRIM_400000_NS6detail17trampoline_kernelINS0_14default_configENS1_38merge_sort_block_merge_config_selectorIiiEEZZNS1_27merge_sort_block_merge_implIS3_N6thrust23THRUST_200600_302600_NS6detail15normal_iteratorINS8_10device_ptrIiEEEESD_jNS1_19radix_merge_compareILb1ELb0EiNS0_19identity_decomposerEEEEE10hipError_tT0_T1_T2_jT3_P12ihipStream_tbPNSt15iterator_traitsISI_E10value_typeEPNSO_ISJ_E10value_typeEPSK_NS1_7vsmem_tEENKUlT_SI_SJ_SK_E_clIPiSD_S10_SD_EESH_SX_SI_SJ_SK_EUlSX_E_NS1_11comp_targetILNS1_3genE10ELNS1_11target_archE1201ELNS1_3gpuE5ELNS1_3repE0EEENS1_48merge_mergepath_partition_config_static_selectorELNS0_4arch9wavefront6targetE1EEEvSJ_
		.amdhsa_group_segment_fixed_size 0
		.amdhsa_private_segment_fixed_size 0
		.amdhsa_kernarg_size 40
		.amdhsa_user_sgpr_count 2
		.amdhsa_user_sgpr_dispatch_ptr 0
		.amdhsa_user_sgpr_queue_ptr 0
		.amdhsa_user_sgpr_kernarg_segment_ptr 1
		.amdhsa_user_sgpr_dispatch_id 0
		.amdhsa_user_sgpr_kernarg_preload_length 0
		.amdhsa_user_sgpr_kernarg_preload_offset 0
		.amdhsa_user_sgpr_private_segment_size 0
		.amdhsa_uses_dynamic_stack 0
		.amdhsa_enable_private_segment 0
		.amdhsa_system_sgpr_workgroup_id_x 1
		.amdhsa_system_sgpr_workgroup_id_y 0
		.amdhsa_system_sgpr_workgroup_id_z 0
		.amdhsa_system_sgpr_workgroup_info 0
		.amdhsa_system_vgpr_workitem_id 0
		.amdhsa_next_free_vgpr 1
		.amdhsa_next_free_sgpr 0
		.amdhsa_accum_offset 4
		.amdhsa_reserve_vcc 0
		.amdhsa_float_round_mode_32 0
		.amdhsa_float_round_mode_16_64 0
		.amdhsa_float_denorm_mode_32 3
		.amdhsa_float_denorm_mode_16_64 3
		.amdhsa_dx10_clamp 1
		.amdhsa_ieee_mode 1
		.amdhsa_fp16_overflow 0
		.amdhsa_tg_split 0
		.amdhsa_exception_fp_ieee_invalid_op 0
		.amdhsa_exception_fp_denorm_src 0
		.amdhsa_exception_fp_ieee_div_zero 0
		.amdhsa_exception_fp_ieee_overflow 0
		.amdhsa_exception_fp_ieee_underflow 0
		.amdhsa_exception_fp_ieee_inexact 0
		.amdhsa_exception_int_div_zero 0
	.end_amdhsa_kernel
	.section	.text._ZN7rocprim17ROCPRIM_400000_NS6detail17trampoline_kernelINS0_14default_configENS1_38merge_sort_block_merge_config_selectorIiiEEZZNS1_27merge_sort_block_merge_implIS3_N6thrust23THRUST_200600_302600_NS6detail15normal_iteratorINS8_10device_ptrIiEEEESD_jNS1_19radix_merge_compareILb1ELb0EiNS0_19identity_decomposerEEEEE10hipError_tT0_T1_T2_jT3_P12ihipStream_tbPNSt15iterator_traitsISI_E10value_typeEPNSO_ISJ_E10value_typeEPSK_NS1_7vsmem_tEENKUlT_SI_SJ_SK_E_clIPiSD_S10_SD_EESH_SX_SI_SJ_SK_EUlSX_E_NS1_11comp_targetILNS1_3genE10ELNS1_11target_archE1201ELNS1_3gpuE5ELNS1_3repE0EEENS1_48merge_mergepath_partition_config_static_selectorELNS0_4arch9wavefront6targetE1EEEvSJ_,"axG",@progbits,_ZN7rocprim17ROCPRIM_400000_NS6detail17trampoline_kernelINS0_14default_configENS1_38merge_sort_block_merge_config_selectorIiiEEZZNS1_27merge_sort_block_merge_implIS3_N6thrust23THRUST_200600_302600_NS6detail15normal_iteratorINS8_10device_ptrIiEEEESD_jNS1_19radix_merge_compareILb1ELb0EiNS0_19identity_decomposerEEEEE10hipError_tT0_T1_T2_jT3_P12ihipStream_tbPNSt15iterator_traitsISI_E10value_typeEPNSO_ISJ_E10value_typeEPSK_NS1_7vsmem_tEENKUlT_SI_SJ_SK_E_clIPiSD_S10_SD_EESH_SX_SI_SJ_SK_EUlSX_E_NS1_11comp_targetILNS1_3genE10ELNS1_11target_archE1201ELNS1_3gpuE5ELNS1_3repE0EEENS1_48merge_mergepath_partition_config_static_selectorELNS0_4arch9wavefront6targetE1EEEvSJ_,comdat
.Lfunc_end886:
	.size	_ZN7rocprim17ROCPRIM_400000_NS6detail17trampoline_kernelINS0_14default_configENS1_38merge_sort_block_merge_config_selectorIiiEEZZNS1_27merge_sort_block_merge_implIS3_N6thrust23THRUST_200600_302600_NS6detail15normal_iteratorINS8_10device_ptrIiEEEESD_jNS1_19radix_merge_compareILb1ELb0EiNS0_19identity_decomposerEEEEE10hipError_tT0_T1_T2_jT3_P12ihipStream_tbPNSt15iterator_traitsISI_E10value_typeEPNSO_ISJ_E10value_typeEPSK_NS1_7vsmem_tEENKUlT_SI_SJ_SK_E_clIPiSD_S10_SD_EESH_SX_SI_SJ_SK_EUlSX_E_NS1_11comp_targetILNS1_3genE10ELNS1_11target_archE1201ELNS1_3gpuE5ELNS1_3repE0EEENS1_48merge_mergepath_partition_config_static_selectorELNS0_4arch9wavefront6targetE1EEEvSJ_, .Lfunc_end886-_ZN7rocprim17ROCPRIM_400000_NS6detail17trampoline_kernelINS0_14default_configENS1_38merge_sort_block_merge_config_selectorIiiEEZZNS1_27merge_sort_block_merge_implIS3_N6thrust23THRUST_200600_302600_NS6detail15normal_iteratorINS8_10device_ptrIiEEEESD_jNS1_19radix_merge_compareILb1ELb0EiNS0_19identity_decomposerEEEEE10hipError_tT0_T1_T2_jT3_P12ihipStream_tbPNSt15iterator_traitsISI_E10value_typeEPNSO_ISJ_E10value_typeEPSK_NS1_7vsmem_tEENKUlT_SI_SJ_SK_E_clIPiSD_S10_SD_EESH_SX_SI_SJ_SK_EUlSX_E_NS1_11comp_targetILNS1_3genE10ELNS1_11target_archE1201ELNS1_3gpuE5ELNS1_3repE0EEENS1_48merge_mergepath_partition_config_static_selectorELNS0_4arch9wavefront6targetE1EEEvSJ_
                                        ; -- End function
	.set _ZN7rocprim17ROCPRIM_400000_NS6detail17trampoline_kernelINS0_14default_configENS1_38merge_sort_block_merge_config_selectorIiiEEZZNS1_27merge_sort_block_merge_implIS3_N6thrust23THRUST_200600_302600_NS6detail15normal_iteratorINS8_10device_ptrIiEEEESD_jNS1_19radix_merge_compareILb1ELb0EiNS0_19identity_decomposerEEEEE10hipError_tT0_T1_T2_jT3_P12ihipStream_tbPNSt15iterator_traitsISI_E10value_typeEPNSO_ISJ_E10value_typeEPSK_NS1_7vsmem_tEENKUlT_SI_SJ_SK_E_clIPiSD_S10_SD_EESH_SX_SI_SJ_SK_EUlSX_E_NS1_11comp_targetILNS1_3genE10ELNS1_11target_archE1201ELNS1_3gpuE5ELNS1_3repE0EEENS1_48merge_mergepath_partition_config_static_selectorELNS0_4arch9wavefront6targetE1EEEvSJ_.num_vgpr, 0
	.set _ZN7rocprim17ROCPRIM_400000_NS6detail17trampoline_kernelINS0_14default_configENS1_38merge_sort_block_merge_config_selectorIiiEEZZNS1_27merge_sort_block_merge_implIS3_N6thrust23THRUST_200600_302600_NS6detail15normal_iteratorINS8_10device_ptrIiEEEESD_jNS1_19radix_merge_compareILb1ELb0EiNS0_19identity_decomposerEEEEE10hipError_tT0_T1_T2_jT3_P12ihipStream_tbPNSt15iterator_traitsISI_E10value_typeEPNSO_ISJ_E10value_typeEPSK_NS1_7vsmem_tEENKUlT_SI_SJ_SK_E_clIPiSD_S10_SD_EESH_SX_SI_SJ_SK_EUlSX_E_NS1_11comp_targetILNS1_3genE10ELNS1_11target_archE1201ELNS1_3gpuE5ELNS1_3repE0EEENS1_48merge_mergepath_partition_config_static_selectorELNS0_4arch9wavefront6targetE1EEEvSJ_.num_agpr, 0
	.set _ZN7rocprim17ROCPRIM_400000_NS6detail17trampoline_kernelINS0_14default_configENS1_38merge_sort_block_merge_config_selectorIiiEEZZNS1_27merge_sort_block_merge_implIS3_N6thrust23THRUST_200600_302600_NS6detail15normal_iteratorINS8_10device_ptrIiEEEESD_jNS1_19radix_merge_compareILb1ELb0EiNS0_19identity_decomposerEEEEE10hipError_tT0_T1_T2_jT3_P12ihipStream_tbPNSt15iterator_traitsISI_E10value_typeEPNSO_ISJ_E10value_typeEPSK_NS1_7vsmem_tEENKUlT_SI_SJ_SK_E_clIPiSD_S10_SD_EESH_SX_SI_SJ_SK_EUlSX_E_NS1_11comp_targetILNS1_3genE10ELNS1_11target_archE1201ELNS1_3gpuE5ELNS1_3repE0EEENS1_48merge_mergepath_partition_config_static_selectorELNS0_4arch9wavefront6targetE1EEEvSJ_.numbered_sgpr, 0
	.set _ZN7rocprim17ROCPRIM_400000_NS6detail17trampoline_kernelINS0_14default_configENS1_38merge_sort_block_merge_config_selectorIiiEEZZNS1_27merge_sort_block_merge_implIS3_N6thrust23THRUST_200600_302600_NS6detail15normal_iteratorINS8_10device_ptrIiEEEESD_jNS1_19radix_merge_compareILb1ELb0EiNS0_19identity_decomposerEEEEE10hipError_tT0_T1_T2_jT3_P12ihipStream_tbPNSt15iterator_traitsISI_E10value_typeEPNSO_ISJ_E10value_typeEPSK_NS1_7vsmem_tEENKUlT_SI_SJ_SK_E_clIPiSD_S10_SD_EESH_SX_SI_SJ_SK_EUlSX_E_NS1_11comp_targetILNS1_3genE10ELNS1_11target_archE1201ELNS1_3gpuE5ELNS1_3repE0EEENS1_48merge_mergepath_partition_config_static_selectorELNS0_4arch9wavefront6targetE1EEEvSJ_.num_named_barrier, 0
	.set _ZN7rocprim17ROCPRIM_400000_NS6detail17trampoline_kernelINS0_14default_configENS1_38merge_sort_block_merge_config_selectorIiiEEZZNS1_27merge_sort_block_merge_implIS3_N6thrust23THRUST_200600_302600_NS6detail15normal_iteratorINS8_10device_ptrIiEEEESD_jNS1_19radix_merge_compareILb1ELb0EiNS0_19identity_decomposerEEEEE10hipError_tT0_T1_T2_jT3_P12ihipStream_tbPNSt15iterator_traitsISI_E10value_typeEPNSO_ISJ_E10value_typeEPSK_NS1_7vsmem_tEENKUlT_SI_SJ_SK_E_clIPiSD_S10_SD_EESH_SX_SI_SJ_SK_EUlSX_E_NS1_11comp_targetILNS1_3genE10ELNS1_11target_archE1201ELNS1_3gpuE5ELNS1_3repE0EEENS1_48merge_mergepath_partition_config_static_selectorELNS0_4arch9wavefront6targetE1EEEvSJ_.private_seg_size, 0
	.set _ZN7rocprim17ROCPRIM_400000_NS6detail17trampoline_kernelINS0_14default_configENS1_38merge_sort_block_merge_config_selectorIiiEEZZNS1_27merge_sort_block_merge_implIS3_N6thrust23THRUST_200600_302600_NS6detail15normal_iteratorINS8_10device_ptrIiEEEESD_jNS1_19radix_merge_compareILb1ELb0EiNS0_19identity_decomposerEEEEE10hipError_tT0_T1_T2_jT3_P12ihipStream_tbPNSt15iterator_traitsISI_E10value_typeEPNSO_ISJ_E10value_typeEPSK_NS1_7vsmem_tEENKUlT_SI_SJ_SK_E_clIPiSD_S10_SD_EESH_SX_SI_SJ_SK_EUlSX_E_NS1_11comp_targetILNS1_3genE10ELNS1_11target_archE1201ELNS1_3gpuE5ELNS1_3repE0EEENS1_48merge_mergepath_partition_config_static_selectorELNS0_4arch9wavefront6targetE1EEEvSJ_.uses_vcc, 0
	.set _ZN7rocprim17ROCPRIM_400000_NS6detail17trampoline_kernelINS0_14default_configENS1_38merge_sort_block_merge_config_selectorIiiEEZZNS1_27merge_sort_block_merge_implIS3_N6thrust23THRUST_200600_302600_NS6detail15normal_iteratorINS8_10device_ptrIiEEEESD_jNS1_19radix_merge_compareILb1ELb0EiNS0_19identity_decomposerEEEEE10hipError_tT0_T1_T2_jT3_P12ihipStream_tbPNSt15iterator_traitsISI_E10value_typeEPNSO_ISJ_E10value_typeEPSK_NS1_7vsmem_tEENKUlT_SI_SJ_SK_E_clIPiSD_S10_SD_EESH_SX_SI_SJ_SK_EUlSX_E_NS1_11comp_targetILNS1_3genE10ELNS1_11target_archE1201ELNS1_3gpuE5ELNS1_3repE0EEENS1_48merge_mergepath_partition_config_static_selectorELNS0_4arch9wavefront6targetE1EEEvSJ_.uses_flat_scratch, 0
	.set _ZN7rocprim17ROCPRIM_400000_NS6detail17trampoline_kernelINS0_14default_configENS1_38merge_sort_block_merge_config_selectorIiiEEZZNS1_27merge_sort_block_merge_implIS3_N6thrust23THRUST_200600_302600_NS6detail15normal_iteratorINS8_10device_ptrIiEEEESD_jNS1_19radix_merge_compareILb1ELb0EiNS0_19identity_decomposerEEEEE10hipError_tT0_T1_T2_jT3_P12ihipStream_tbPNSt15iterator_traitsISI_E10value_typeEPNSO_ISJ_E10value_typeEPSK_NS1_7vsmem_tEENKUlT_SI_SJ_SK_E_clIPiSD_S10_SD_EESH_SX_SI_SJ_SK_EUlSX_E_NS1_11comp_targetILNS1_3genE10ELNS1_11target_archE1201ELNS1_3gpuE5ELNS1_3repE0EEENS1_48merge_mergepath_partition_config_static_selectorELNS0_4arch9wavefront6targetE1EEEvSJ_.has_dyn_sized_stack, 0
	.set _ZN7rocprim17ROCPRIM_400000_NS6detail17trampoline_kernelINS0_14default_configENS1_38merge_sort_block_merge_config_selectorIiiEEZZNS1_27merge_sort_block_merge_implIS3_N6thrust23THRUST_200600_302600_NS6detail15normal_iteratorINS8_10device_ptrIiEEEESD_jNS1_19radix_merge_compareILb1ELb0EiNS0_19identity_decomposerEEEEE10hipError_tT0_T1_T2_jT3_P12ihipStream_tbPNSt15iterator_traitsISI_E10value_typeEPNSO_ISJ_E10value_typeEPSK_NS1_7vsmem_tEENKUlT_SI_SJ_SK_E_clIPiSD_S10_SD_EESH_SX_SI_SJ_SK_EUlSX_E_NS1_11comp_targetILNS1_3genE10ELNS1_11target_archE1201ELNS1_3gpuE5ELNS1_3repE0EEENS1_48merge_mergepath_partition_config_static_selectorELNS0_4arch9wavefront6targetE1EEEvSJ_.has_recursion, 0
	.set _ZN7rocprim17ROCPRIM_400000_NS6detail17trampoline_kernelINS0_14default_configENS1_38merge_sort_block_merge_config_selectorIiiEEZZNS1_27merge_sort_block_merge_implIS3_N6thrust23THRUST_200600_302600_NS6detail15normal_iteratorINS8_10device_ptrIiEEEESD_jNS1_19radix_merge_compareILb1ELb0EiNS0_19identity_decomposerEEEEE10hipError_tT0_T1_T2_jT3_P12ihipStream_tbPNSt15iterator_traitsISI_E10value_typeEPNSO_ISJ_E10value_typeEPSK_NS1_7vsmem_tEENKUlT_SI_SJ_SK_E_clIPiSD_S10_SD_EESH_SX_SI_SJ_SK_EUlSX_E_NS1_11comp_targetILNS1_3genE10ELNS1_11target_archE1201ELNS1_3gpuE5ELNS1_3repE0EEENS1_48merge_mergepath_partition_config_static_selectorELNS0_4arch9wavefront6targetE1EEEvSJ_.has_indirect_call, 0
	.section	.AMDGPU.csdata,"",@progbits
; Kernel info:
; codeLenInByte = 0
; TotalNumSgprs: 6
; NumVgprs: 0
; NumAgprs: 0
; TotalNumVgprs: 0
; ScratchSize: 0
; MemoryBound: 0
; FloatMode: 240
; IeeeMode: 1
; LDSByteSize: 0 bytes/workgroup (compile time only)
; SGPRBlocks: 0
; VGPRBlocks: 0
; NumSGPRsForWavesPerEU: 6
; NumVGPRsForWavesPerEU: 1
; AccumOffset: 4
; Occupancy: 8
; WaveLimiterHint : 0
; COMPUTE_PGM_RSRC2:SCRATCH_EN: 0
; COMPUTE_PGM_RSRC2:USER_SGPR: 2
; COMPUTE_PGM_RSRC2:TRAP_HANDLER: 0
; COMPUTE_PGM_RSRC2:TGID_X_EN: 1
; COMPUTE_PGM_RSRC2:TGID_Y_EN: 0
; COMPUTE_PGM_RSRC2:TGID_Z_EN: 0
; COMPUTE_PGM_RSRC2:TIDIG_COMP_CNT: 0
; COMPUTE_PGM_RSRC3_GFX90A:ACCUM_OFFSET: 0
; COMPUTE_PGM_RSRC3_GFX90A:TG_SPLIT: 0
	.section	.text._ZN7rocprim17ROCPRIM_400000_NS6detail17trampoline_kernelINS0_14default_configENS1_38merge_sort_block_merge_config_selectorIiiEEZZNS1_27merge_sort_block_merge_implIS3_N6thrust23THRUST_200600_302600_NS6detail15normal_iteratorINS8_10device_ptrIiEEEESD_jNS1_19radix_merge_compareILb1ELb0EiNS0_19identity_decomposerEEEEE10hipError_tT0_T1_T2_jT3_P12ihipStream_tbPNSt15iterator_traitsISI_E10value_typeEPNSO_ISJ_E10value_typeEPSK_NS1_7vsmem_tEENKUlT_SI_SJ_SK_E_clIPiSD_S10_SD_EESH_SX_SI_SJ_SK_EUlSX_E_NS1_11comp_targetILNS1_3genE5ELNS1_11target_archE942ELNS1_3gpuE9ELNS1_3repE0EEENS1_48merge_mergepath_partition_config_static_selectorELNS0_4arch9wavefront6targetE1EEEvSJ_,"axG",@progbits,_ZN7rocprim17ROCPRIM_400000_NS6detail17trampoline_kernelINS0_14default_configENS1_38merge_sort_block_merge_config_selectorIiiEEZZNS1_27merge_sort_block_merge_implIS3_N6thrust23THRUST_200600_302600_NS6detail15normal_iteratorINS8_10device_ptrIiEEEESD_jNS1_19radix_merge_compareILb1ELb0EiNS0_19identity_decomposerEEEEE10hipError_tT0_T1_T2_jT3_P12ihipStream_tbPNSt15iterator_traitsISI_E10value_typeEPNSO_ISJ_E10value_typeEPSK_NS1_7vsmem_tEENKUlT_SI_SJ_SK_E_clIPiSD_S10_SD_EESH_SX_SI_SJ_SK_EUlSX_E_NS1_11comp_targetILNS1_3genE5ELNS1_11target_archE942ELNS1_3gpuE9ELNS1_3repE0EEENS1_48merge_mergepath_partition_config_static_selectorELNS0_4arch9wavefront6targetE1EEEvSJ_,comdat
	.protected	_ZN7rocprim17ROCPRIM_400000_NS6detail17trampoline_kernelINS0_14default_configENS1_38merge_sort_block_merge_config_selectorIiiEEZZNS1_27merge_sort_block_merge_implIS3_N6thrust23THRUST_200600_302600_NS6detail15normal_iteratorINS8_10device_ptrIiEEEESD_jNS1_19radix_merge_compareILb1ELb0EiNS0_19identity_decomposerEEEEE10hipError_tT0_T1_T2_jT3_P12ihipStream_tbPNSt15iterator_traitsISI_E10value_typeEPNSO_ISJ_E10value_typeEPSK_NS1_7vsmem_tEENKUlT_SI_SJ_SK_E_clIPiSD_S10_SD_EESH_SX_SI_SJ_SK_EUlSX_E_NS1_11comp_targetILNS1_3genE5ELNS1_11target_archE942ELNS1_3gpuE9ELNS1_3repE0EEENS1_48merge_mergepath_partition_config_static_selectorELNS0_4arch9wavefront6targetE1EEEvSJ_ ; -- Begin function _ZN7rocprim17ROCPRIM_400000_NS6detail17trampoline_kernelINS0_14default_configENS1_38merge_sort_block_merge_config_selectorIiiEEZZNS1_27merge_sort_block_merge_implIS3_N6thrust23THRUST_200600_302600_NS6detail15normal_iteratorINS8_10device_ptrIiEEEESD_jNS1_19radix_merge_compareILb1ELb0EiNS0_19identity_decomposerEEEEE10hipError_tT0_T1_T2_jT3_P12ihipStream_tbPNSt15iterator_traitsISI_E10value_typeEPNSO_ISJ_E10value_typeEPSK_NS1_7vsmem_tEENKUlT_SI_SJ_SK_E_clIPiSD_S10_SD_EESH_SX_SI_SJ_SK_EUlSX_E_NS1_11comp_targetILNS1_3genE5ELNS1_11target_archE942ELNS1_3gpuE9ELNS1_3repE0EEENS1_48merge_mergepath_partition_config_static_selectorELNS0_4arch9wavefront6targetE1EEEvSJ_
	.globl	_ZN7rocprim17ROCPRIM_400000_NS6detail17trampoline_kernelINS0_14default_configENS1_38merge_sort_block_merge_config_selectorIiiEEZZNS1_27merge_sort_block_merge_implIS3_N6thrust23THRUST_200600_302600_NS6detail15normal_iteratorINS8_10device_ptrIiEEEESD_jNS1_19radix_merge_compareILb1ELb0EiNS0_19identity_decomposerEEEEE10hipError_tT0_T1_T2_jT3_P12ihipStream_tbPNSt15iterator_traitsISI_E10value_typeEPNSO_ISJ_E10value_typeEPSK_NS1_7vsmem_tEENKUlT_SI_SJ_SK_E_clIPiSD_S10_SD_EESH_SX_SI_SJ_SK_EUlSX_E_NS1_11comp_targetILNS1_3genE5ELNS1_11target_archE942ELNS1_3gpuE9ELNS1_3repE0EEENS1_48merge_mergepath_partition_config_static_selectorELNS0_4arch9wavefront6targetE1EEEvSJ_
	.p2align	8
	.type	_ZN7rocprim17ROCPRIM_400000_NS6detail17trampoline_kernelINS0_14default_configENS1_38merge_sort_block_merge_config_selectorIiiEEZZNS1_27merge_sort_block_merge_implIS3_N6thrust23THRUST_200600_302600_NS6detail15normal_iteratorINS8_10device_ptrIiEEEESD_jNS1_19radix_merge_compareILb1ELb0EiNS0_19identity_decomposerEEEEE10hipError_tT0_T1_T2_jT3_P12ihipStream_tbPNSt15iterator_traitsISI_E10value_typeEPNSO_ISJ_E10value_typeEPSK_NS1_7vsmem_tEENKUlT_SI_SJ_SK_E_clIPiSD_S10_SD_EESH_SX_SI_SJ_SK_EUlSX_E_NS1_11comp_targetILNS1_3genE5ELNS1_11target_archE942ELNS1_3gpuE9ELNS1_3repE0EEENS1_48merge_mergepath_partition_config_static_selectorELNS0_4arch9wavefront6targetE1EEEvSJ_,@function
_ZN7rocprim17ROCPRIM_400000_NS6detail17trampoline_kernelINS0_14default_configENS1_38merge_sort_block_merge_config_selectorIiiEEZZNS1_27merge_sort_block_merge_implIS3_N6thrust23THRUST_200600_302600_NS6detail15normal_iteratorINS8_10device_ptrIiEEEESD_jNS1_19radix_merge_compareILb1ELb0EiNS0_19identity_decomposerEEEEE10hipError_tT0_T1_T2_jT3_P12ihipStream_tbPNSt15iterator_traitsISI_E10value_typeEPNSO_ISJ_E10value_typeEPSK_NS1_7vsmem_tEENKUlT_SI_SJ_SK_E_clIPiSD_S10_SD_EESH_SX_SI_SJ_SK_EUlSX_E_NS1_11comp_targetILNS1_3genE5ELNS1_11target_archE942ELNS1_3gpuE9ELNS1_3repE0EEENS1_48merge_mergepath_partition_config_static_selectorELNS0_4arch9wavefront6targetE1EEEvSJ_: ; @_ZN7rocprim17ROCPRIM_400000_NS6detail17trampoline_kernelINS0_14default_configENS1_38merge_sort_block_merge_config_selectorIiiEEZZNS1_27merge_sort_block_merge_implIS3_N6thrust23THRUST_200600_302600_NS6detail15normal_iteratorINS8_10device_ptrIiEEEESD_jNS1_19radix_merge_compareILb1ELb0EiNS0_19identity_decomposerEEEEE10hipError_tT0_T1_T2_jT3_P12ihipStream_tbPNSt15iterator_traitsISI_E10value_typeEPNSO_ISJ_E10value_typeEPSK_NS1_7vsmem_tEENKUlT_SI_SJ_SK_E_clIPiSD_S10_SD_EESH_SX_SI_SJ_SK_EUlSX_E_NS1_11comp_targetILNS1_3genE5ELNS1_11target_archE942ELNS1_3gpuE9ELNS1_3repE0EEENS1_48merge_mergepath_partition_config_static_selectorELNS0_4arch9wavefront6targetE1EEEvSJ_
; %bb.0:
	.section	.rodata,"a",@progbits
	.p2align	6, 0x0
	.amdhsa_kernel _ZN7rocprim17ROCPRIM_400000_NS6detail17trampoline_kernelINS0_14default_configENS1_38merge_sort_block_merge_config_selectorIiiEEZZNS1_27merge_sort_block_merge_implIS3_N6thrust23THRUST_200600_302600_NS6detail15normal_iteratorINS8_10device_ptrIiEEEESD_jNS1_19radix_merge_compareILb1ELb0EiNS0_19identity_decomposerEEEEE10hipError_tT0_T1_T2_jT3_P12ihipStream_tbPNSt15iterator_traitsISI_E10value_typeEPNSO_ISJ_E10value_typeEPSK_NS1_7vsmem_tEENKUlT_SI_SJ_SK_E_clIPiSD_S10_SD_EESH_SX_SI_SJ_SK_EUlSX_E_NS1_11comp_targetILNS1_3genE5ELNS1_11target_archE942ELNS1_3gpuE9ELNS1_3repE0EEENS1_48merge_mergepath_partition_config_static_selectorELNS0_4arch9wavefront6targetE1EEEvSJ_
		.amdhsa_group_segment_fixed_size 0
		.amdhsa_private_segment_fixed_size 0
		.amdhsa_kernarg_size 40
		.amdhsa_user_sgpr_count 2
		.amdhsa_user_sgpr_dispatch_ptr 0
		.amdhsa_user_sgpr_queue_ptr 0
		.amdhsa_user_sgpr_kernarg_segment_ptr 1
		.amdhsa_user_sgpr_dispatch_id 0
		.amdhsa_user_sgpr_kernarg_preload_length 0
		.amdhsa_user_sgpr_kernarg_preload_offset 0
		.amdhsa_user_sgpr_private_segment_size 0
		.amdhsa_uses_dynamic_stack 0
		.amdhsa_enable_private_segment 0
		.amdhsa_system_sgpr_workgroup_id_x 1
		.amdhsa_system_sgpr_workgroup_id_y 0
		.amdhsa_system_sgpr_workgroup_id_z 0
		.amdhsa_system_sgpr_workgroup_info 0
		.amdhsa_system_vgpr_workitem_id 0
		.amdhsa_next_free_vgpr 1
		.amdhsa_next_free_sgpr 0
		.amdhsa_accum_offset 4
		.amdhsa_reserve_vcc 0
		.amdhsa_float_round_mode_32 0
		.amdhsa_float_round_mode_16_64 0
		.amdhsa_float_denorm_mode_32 3
		.amdhsa_float_denorm_mode_16_64 3
		.amdhsa_dx10_clamp 1
		.amdhsa_ieee_mode 1
		.amdhsa_fp16_overflow 0
		.amdhsa_tg_split 0
		.amdhsa_exception_fp_ieee_invalid_op 0
		.amdhsa_exception_fp_denorm_src 0
		.amdhsa_exception_fp_ieee_div_zero 0
		.amdhsa_exception_fp_ieee_overflow 0
		.amdhsa_exception_fp_ieee_underflow 0
		.amdhsa_exception_fp_ieee_inexact 0
		.amdhsa_exception_int_div_zero 0
	.end_amdhsa_kernel
	.section	.text._ZN7rocprim17ROCPRIM_400000_NS6detail17trampoline_kernelINS0_14default_configENS1_38merge_sort_block_merge_config_selectorIiiEEZZNS1_27merge_sort_block_merge_implIS3_N6thrust23THRUST_200600_302600_NS6detail15normal_iteratorINS8_10device_ptrIiEEEESD_jNS1_19radix_merge_compareILb1ELb0EiNS0_19identity_decomposerEEEEE10hipError_tT0_T1_T2_jT3_P12ihipStream_tbPNSt15iterator_traitsISI_E10value_typeEPNSO_ISJ_E10value_typeEPSK_NS1_7vsmem_tEENKUlT_SI_SJ_SK_E_clIPiSD_S10_SD_EESH_SX_SI_SJ_SK_EUlSX_E_NS1_11comp_targetILNS1_3genE5ELNS1_11target_archE942ELNS1_3gpuE9ELNS1_3repE0EEENS1_48merge_mergepath_partition_config_static_selectorELNS0_4arch9wavefront6targetE1EEEvSJ_,"axG",@progbits,_ZN7rocprim17ROCPRIM_400000_NS6detail17trampoline_kernelINS0_14default_configENS1_38merge_sort_block_merge_config_selectorIiiEEZZNS1_27merge_sort_block_merge_implIS3_N6thrust23THRUST_200600_302600_NS6detail15normal_iteratorINS8_10device_ptrIiEEEESD_jNS1_19radix_merge_compareILb1ELb0EiNS0_19identity_decomposerEEEEE10hipError_tT0_T1_T2_jT3_P12ihipStream_tbPNSt15iterator_traitsISI_E10value_typeEPNSO_ISJ_E10value_typeEPSK_NS1_7vsmem_tEENKUlT_SI_SJ_SK_E_clIPiSD_S10_SD_EESH_SX_SI_SJ_SK_EUlSX_E_NS1_11comp_targetILNS1_3genE5ELNS1_11target_archE942ELNS1_3gpuE9ELNS1_3repE0EEENS1_48merge_mergepath_partition_config_static_selectorELNS0_4arch9wavefront6targetE1EEEvSJ_,comdat
.Lfunc_end887:
	.size	_ZN7rocprim17ROCPRIM_400000_NS6detail17trampoline_kernelINS0_14default_configENS1_38merge_sort_block_merge_config_selectorIiiEEZZNS1_27merge_sort_block_merge_implIS3_N6thrust23THRUST_200600_302600_NS6detail15normal_iteratorINS8_10device_ptrIiEEEESD_jNS1_19radix_merge_compareILb1ELb0EiNS0_19identity_decomposerEEEEE10hipError_tT0_T1_T2_jT3_P12ihipStream_tbPNSt15iterator_traitsISI_E10value_typeEPNSO_ISJ_E10value_typeEPSK_NS1_7vsmem_tEENKUlT_SI_SJ_SK_E_clIPiSD_S10_SD_EESH_SX_SI_SJ_SK_EUlSX_E_NS1_11comp_targetILNS1_3genE5ELNS1_11target_archE942ELNS1_3gpuE9ELNS1_3repE0EEENS1_48merge_mergepath_partition_config_static_selectorELNS0_4arch9wavefront6targetE1EEEvSJ_, .Lfunc_end887-_ZN7rocprim17ROCPRIM_400000_NS6detail17trampoline_kernelINS0_14default_configENS1_38merge_sort_block_merge_config_selectorIiiEEZZNS1_27merge_sort_block_merge_implIS3_N6thrust23THRUST_200600_302600_NS6detail15normal_iteratorINS8_10device_ptrIiEEEESD_jNS1_19radix_merge_compareILb1ELb0EiNS0_19identity_decomposerEEEEE10hipError_tT0_T1_T2_jT3_P12ihipStream_tbPNSt15iterator_traitsISI_E10value_typeEPNSO_ISJ_E10value_typeEPSK_NS1_7vsmem_tEENKUlT_SI_SJ_SK_E_clIPiSD_S10_SD_EESH_SX_SI_SJ_SK_EUlSX_E_NS1_11comp_targetILNS1_3genE5ELNS1_11target_archE942ELNS1_3gpuE9ELNS1_3repE0EEENS1_48merge_mergepath_partition_config_static_selectorELNS0_4arch9wavefront6targetE1EEEvSJ_
                                        ; -- End function
	.set _ZN7rocprim17ROCPRIM_400000_NS6detail17trampoline_kernelINS0_14default_configENS1_38merge_sort_block_merge_config_selectorIiiEEZZNS1_27merge_sort_block_merge_implIS3_N6thrust23THRUST_200600_302600_NS6detail15normal_iteratorINS8_10device_ptrIiEEEESD_jNS1_19radix_merge_compareILb1ELb0EiNS0_19identity_decomposerEEEEE10hipError_tT0_T1_T2_jT3_P12ihipStream_tbPNSt15iterator_traitsISI_E10value_typeEPNSO_ISJ_E10value_typeEPSK_NS1_7vsmem_tEENKUlT_SI_SJ_SK_E_clIPiSD_S10_SD_EESH_SX_SI_SJ_SK_EUlSX_E_NS1_11comp_targetILNS1_3genE5ELNS1_11target_archE942ELNS1_3gpuE9ELNS1_3repE0EEENS1_48merge_mergepath_partition_config_static_selectorELNS0_4arch9wavefront6targetE1EEEvSJ_.num_vgpr, 0
	.set _ZN7rocprim17ROCPRIM_400000_NS6detail17trampoline_kernelINS0_14default_configENS1_38merge_sort_block_merge_config_selectorIiiEEZZNS1_27merge_sort_block_merge_implIS3_N6thrust23THRUST_200600_302600_NS6detail15normal_iteratorINS8_10device_ptrIiEEEESD_jNS1_19radix_merge_compareILb1ELb0EiNS0_19identity_decomposerEEEEE10hipError_tT0_T1_T2_jT3_P12ihipStream_tbPNSt15iterator_traitsISI_E10value_typeEPNSO_ISJ_E10value_typeEPSK_NS1_7vsmem_tEENKUlT_SI_SJ_SK_E_clIPiSD_S10_SD_EESH_SX_SI_SJ_SK_EUlSX_E_NS1_11comp_targetILNS1_3genE5ELNS1_11target_archE942ELNS1_3gpuE9ELNS1_3repE0EEENS1_48merge_mergepath_partition_config_static_selectorELNS0_4arch9wavefront6targetE1EEEvSJ_.num_agpr, 0
	.set _ZN7rocprim17ROCPRIM_400000_NS6detail17trampoline_kernelINS0_14default_configENS1_38merge_sort_block_merge_config_selectorIiiEEZZNS1_27merge_sort_block_merge_implIS3_N6thrust23THRUST_200600_302600_NS6detail15normal_iteratorINS8_10device_ptrIiEEEESD_jNS1_19radix_merge_compareILb1ELb0EiNS0_19identity_decomposerEEEEE10hipError_tT0_T1_T2_jT3_P12ihipStream_tbPNSt15iterator_traitsISI_E10value_typeEPNSO_ISJ_E10value_typeEPSK_NS1_7vsmem_tEENKUlT_SI_SJ_SK_E_clIPiSD_S10_SD_EESH_SX_SI_SJ_SK_EUlSX_E_NS1_11comp_targetILNS1_3genE5ELNS1_11target_archE942ELNS1_3gpuE9ELNS1_3repE0EEENS1_48merge_mergepath_partition_config_static_selectorELNS0_4arch9wavefront6targetE1EEEvSJ_.numbered_sgpr, 0
	.set _ZN7rocprim17ROCPRIM_400000_NS6detail17trampoline_kernelINS0_14default_configENS1_38merge_sort_block_merge_config_selectorIiiEEZZNS1_27merge_sort_block_merge_implIS3_N6thrust23THRUST_200600_302600_NS6detail15normal_iteratorINS8_10device_ptrIiEEEESD_jNS1_19radix_merge_compareILb1ELb0EiNS0_19identity_decomposerEEEEE10hipError_tT0_T1_T2_jT3_P12ihipStream_tbPNSt15iterator_traitsISI_E10value_typeEPNSO_ISJ_E10value_typeEPSK_NS1_7vsmem_tEENKUlT_SI_SJ_SK_E_clIPiSD_S10_SD_EESH_SX_SI_SJ_SK_EUlSX_E_NS1_11comp_targetILNS1_3genE5ELNS1_11target_archE942ELNS1_3gpuE9ELNS1_3repE0EEENS1_48merge_mergepath_partition_config_static_selectorELNS0_4arch9wavefront6targetE1EEEvSJ_.num_named_barrier, 0
	.set _ZN7rocprim17ROCPRIM_400000_NS6detail17trampoline_kernelINS0_14default_configENS1_38merge_sort_block_merge_config_selectorIiiEEZZNS1_27merge_sort_block_merge_implIS3_N6thrust23THRUST_200600_302600_NS6detail15normal_iteratorINS8_10device_ptrIiEEEESD_jNS1_19radix_merge_compareILb1ELb0EiNS0_19identity_decomposerEEEEE10hipError_tT0_T1_T2_jT3_P12ihipStream_tbPNSt15iterator_traitsISI_E10value_typeEPNSO_ISJ_E10value_typeEPSK_NS1_7vsmem_tEENKUlT_SI_SJ_SK_E_clIPiSD_S10_SD_EESH_SX_SI_SJ_SK_EUlSX_E_NS1_11comp_targetILNS1_3genE5ELNS1_11target_archE942ELNS1_3gpuE9ELNS1_3repE0EEENS1_48merge_mergepath_partition_config_static_selectorELNS0_4arch9wavefront6targetE1EEEvSJ_.private_seg_size, 0
	.set _ZN7rocprim17ROCPRIM_400000_NS6detail17trampoline_kernelINS0_14default_configENS1_38merge_sort_block_merge_config_selectorIiiEEZZNS1_27merge_sort_block_merge_implIS3_N6thrust23THRUST_200600_302600_NS6detail15normal_iteratorINS8_10device_ptrIiEEEESD_jNS1_19radix_merge_compareILb1ELb0EiNS0_19identity_decomposerEEEEE10hipError_tT0_T1_T2_jT3_P12ihipStream_tbPNSt15iterator_traitsISI_E10value_typeEPNSO_ISJ_E10value_typeEPSK_NS1_7vsmem_tEENKUlT_SI_SJ_SK_E_clIPiSD_S10_SD_EESH_SX_SI_SJ_SK_EUlSX_E_NS1_11comp_targetILNS1_3genE5ELNS1_11target_archE942ELNS1_3gpuE9ELNS1_3repE0EEENS1_48merge_mergepath_partition_config_static_selectorELNS0_4arch9wavefront6targetE1EEEvSJ_.uses_vcc, 0
	.set _ZN7rocprim17ROCPRIM_400000_NS6detail17trampoline_kernelINS0_14default_configENS1_38merge_sort_block_merge_config_selectorIiiEEZZNS1_27merge_sort_block_merge_implIS3_N6thrust23THRUST_200600_302600_NS6detail15normal_iteratorINS8_10device_ptrIiEEEESD_jNS1_19radix_merge_compareILb1ELb0EiNS0_19identity_decomposerEEEEE10hipError_tT0_T1_T2_jT3_P12ihipStream_tbPNSt15iterator_traitsISI_E10value_typeEPNSO_ISJ_E10value_typeEPSK_NS1_7vsmem_tEENKUlT_SI_SJ_SK_E_clIPiSD_S10_SD_EESH_SX_SI_SJ_SK_EUlSX_E_NS1_11comp_targetILNS1_3genE5ELNS1_11target_archE942ELNS1_3gpuE9ELNS1_3repE0EEENS1_48merge_mergepath_partition_config_static_selectorELNS0_4arch9wavefront6targetE1EEEvSJ_.uses_flat_scratch, 0
	.set _ZN7rocprim17ROCPRIM_400000_NS6detail17trampoline_kernelINS0_14default_configENS1_38merge_sort_block_merge_config_selectorIiiEEZZNS1_27merge_sort_block_merge_implIS3_N6thrust23THRUST_200600_302600_NS6detail15normal_iteratorINS8_10device_ptrIiEEEESD_jNS1_19radix_merge_compareILb1ELb0EiNS0_19identity_decomposerEEEEE10hipError_tT0_T1_T2_jT3_P12ihipStream_tbPNSt15iterator_traitsISI_E10value_typeEPNSO_ISJ_E10value_typeEPSK_NS1_7vsmem_tEENKUlT_SI_SJ_SK_E_clIPiSD_S10_SD_EESH_SX_SI_SJ_SK_EUlSX_E_NS1_11comp_targetILNS1_3genE5ELNS1_11target_archE942ELNS1_3gpuE9ELNS1_3repE0EEENS1_48merge_mergepath_partition_config_static_selectorELNS0_4arch9wavefront6targetE1EEEvSJ_.has_dyn_sized_stack, 0
	.set _ZN7rocprim17ROCPRIM_400000_NS6detail17trampoline_kernelINS0_14default_configENS1_38merge_sort_block_merge_config_selectorIiiEEZZNS1_27merge_sort_block_merge_implIS3_N6thrust23THRUST_200600_302600_NS6detail15normal_iteratorINS8_10device_ptrIiEEEESD_jNS1_19radix_merge_compareILb1ELb0EiNS0_19identity_decomposerEEEEE10hipError_tT0_T1_T2_jT3_P12ihipStream_tbPNSt15iterator_traitsISI_E10value_typeEPNSO_ISJ_E10value_typeEPSK_NS1_7vsmem_tEENKUlT_SI_SJ_SK_E_clIPiSD_S10_SD_EESH_SX_SI_SJ_SK_EUlSX_E_NS1_11comp_targetILNS1_3genE5ELNS1_11target_archE942ELNS1_3gpuE9ELNS1_3repE0EEENS1_48merge_mergepath_partition_config_static_selectorELNS0_4arch9wavefront6targetE1EEEvSJ_.has_recursion, 0
	.set _ZN7rocprim17ROCPRIM_400000_NS6detail17trampoline_kernelINS0_14default_configENS1_38merge_sort_block_merge_config_selectorIiiEEZZNS1_27merge_sort_block_merge_implIS3_N6thrust23THRUST_200600_302600_NS6detail15normal_iteratorINS8_10device_ptrIiEEEESD_jNS1_19radix_merge_compareILb1ELb0EiNS0_19identity_decomposerEEEEE10hipError_tT0_T1_T2_jT3_P12ihipStream_tbPNSt15iterator_traitsISI_E10value_typeEPNSO_ISJ_E10value_typeEPSK_NS1_7vsmem_tEENKUlT_SI_SJ_SK_E_clIPiSD_S10_SD_EESH_SX_SI_SJ_SK_EUlSX_E_NS1_11comp_targetILNS1_3genE5ELNS1_11target_archE942ELNS1_3gpuE9ELNS1_3repE0EEENS1_48merge_mergepath_partition_config_static_selectorELNS0_4arch9wavefront6targetE1EEEvSJ_.has_indirect_call, 0
	.section	.AMDGPU.csdata,"",@progbits
; Kernel info:
; codeLenInByte = 0
; TotalNumSgprs: 6
; NumVgprs: 0
; NumAgprs: 0
; TotalNumVgprs: 0
; ScratchSize: 0
; MemoryBound: 0
; FloatMode: 240
; IeeeMode: 1
; LDSByteSize: 0 bytes/workgroup (compile time only)
; SGPRBlocks: 0
; VGPRBlocks: 0
; NumSGPRsForWavesPerEU: 6
; NumVGPRsForWavesPerEU: 1
; AccumOffset: 4
; Occupancy: 8
; WaveLimiterHint : 0
; COMPUTE_PGM_RSRC2:SCRATCH_EN: 0
; COMPUTE_PGM_RSRC2:USER_SGPR: 2
; COMPUTE_PGM_RSRC2:TRAP_HANDLER: 0
; COMPUTE_PGM_RSRC2:TGID_X_EN: 1
; COMPUTE_PGM_RSRC2:TGID_Y_EN: 0
; COMPUTE_PGM_RSRC2:TGID_Z_EN: 0
; COMPUTE_PGM_RSRC2:TIDIG_COMP_CNT: 0
; COMPUTE_PGM_RSRC3_GFX90A:ACCUM_OFFSET: 0
; COMPUTE_PGM_RSRC3_GFX90A:TG_SPLIT: 0
	.section	.text._ZN7rocprim17ROCPRIM_400000_NS6detail17trampoline_kernelINS0_14default_configENS1_38merge_sort_block_merge_config_selectorIiiEEZZNS1_27merge_sort_block_merge_implIS3_N6thrust23THRUST_200600_302600_NS6detail15normal_iteratorINS8_10device_ptrIiEEEESD_jNS1_19radix_merge_compareILb1ELb0EiNS0_19identity_decomposerEEEEE10hipError_tT0_T1_T2_jT3_P12ihipStream_tbPNSt15iterator_traitsISI_E10value_typeEPNSO_ISJ_E10value_typeEPSK_NS1_7vsmem_tEENKUlT_SI_SJ_SK_E_clIPiSD_S10_SD_EESH_SX_SI_SJ_SK_EUlSX_E_NS1_11comp_targetILNS1_3genE4ELNS1_11target_archE910ELNS1_3gpuE8ELNS1_3repE0EEENS1_48merge_mergepath_partition_config_static_selectorELNS0_4arch9wavefront6targetE1EEEvSJ_,"axG",@progbits,_ZN7rocprim17ROCPRIM_400000_NS6detail17trampoline_kernelINS0_14default_configENS1_38merge_sort_block_merge_config_selectorIiiEEZZNS1_27merge_sort_block_merge_implIS3_N6thrust23THRUST_200600_302600_NS6detail15normal_iteratorINS8_10device_ptrIiEEEESD_jNS1_19radix_merge_compareILb1ELb0EiNS0_19identity_decomposerEEEEE10hipError_tT0_T1_T2_jT3_P12ihipStream_tbPNSt15iterator_traitsISI_E10value_typeEPNSO_ISJ_E10value_typeEPSK_NS1_7vsmem_tEENKUlT_SI_SJ_SK_E_clIPiSD_S10_SD_EESH_SX_SI_SJ_SK_EUlSX_E_NS1_11comp_targetILNS1_3genE4ELNS1_11target_archE910ELNS1_3gpuE8ELNS1_3repE0EEENS1_48merge_mergepath_partition_config_static_selectorELNS0_4arch9wavefront6targetE1EEEvSJ_,comdat
	.protected	_ZN7rocprim17ROCPRIM_400000_NS6detail17trampoline_kernelINS0_14default_configENS1_38merge_sort_block_merge_config_selectorIiiEEZZNS1_27merge_sort_block_merge_implIS3_N6thrust23THRUST_200600_302600_NS6detail15normal_iteratorINS8_10device_ptrIiEEEESD_jNS1_19radix_merge_compareILb1ELb0EiNS0_19identity_decomposerEEEEE10hipError_tT0_T1_T2_jT3_P12ihipStream_tbPNSt15iterator_traitsISI_E10value_typeEPNSO_ISJ_E10value_typeEPSK_NS1_7vsmem_tEENKUlT_SI_SJ_SK_E_clIPiSD_S10_SD_EESH_SX_SI_SJ_SK_EUlSX_E_NS1_11comp_targetILNS1_3genE4ELNS1_11target_archE910ELNS1_3gpuE8ELNS1_3repE0EEENS1_48merge_mergepath_partition_config_static_selectorELNS0_4arch9wavefront6targetE1EEEvSJ_ ; -- Begin function _ZN7rocprim17ROCPRIM_400000_NS6detail17trampoline_kernelINS0_14default_configENS1_38merge_sort_block_merge_config_selectorIiiEEZZNS1_27merge_sort_block_merge_implIS3_N6thrust23THRUST_200600_302600_NS6detail15normal_iteratorINS8_10device_ptrIiEEEESD_jNS1_19radix_merge_compareILb1ELb0EiNS0_19identity_decomposerEEEEE10hipError_tT0_T1_T2_jT3_P12ihipStream_tbPNSt15iterator_traitsISI_E10value_typeEPNSO_ISJ_E10value_typeEPSK_NS1_7vsmem_tEENKUlT_SI_SJ_SK_E_clIPiSD_S10_SD_EESH_SX_SI_SJ_SK_EUlSX_E_NS1_11comp_targetILNS1_3genE4ELNS1_11target_archE910ELNS1_3gpuE8ELNS1_3repE0EEENS1_48merge_mergepath_partition_config_static_selectorELNS0_4arch9wavefront6targetE1EEEvSJ_
	.globl	_ZN7rocprim17ROCPRIM_400000_NS6detail17trampoline_kernelINS0_14default_configENS1_38merge_sort_block_merge_config_selectorIiiEEZZNS1_27merge_sort_block_merge_implIS3_N6thrust23THRUST_200600_302600_NS6detail15normal_iteratorINS8_10device_ptrIiEEEESD_jNS1_19radix_merge_compareILb1ELb0EiNS0_19identity_decomposerEEEEE10hipError_tT0_T1_T2_jT3_P12ihipStream_tbPNSt15iterator_traitsISI_E10value_typeEPNSO_ISJ_E10value_typeEPSK_NS1_7vsmem_tEENKUlT_SI_SJ_SK_E_clIPiSD_S10_SD_EESH_SX_SI_SJ_SK_EUlSX_E_NS1_11comp_targetILNS1_3genE4ELNS1_11target_archE910ELNS1_3gpuE8ELNS1_3repE0EEENS1_48merge_mergepath_partition_config_static_selectorELNS0_4arch9wavefront6targetE1EEEvSJ_
	.p2align	8
	.type	_ZN7rocprim17ROCPRIM_400000_NS6detail17trampoline_kernelINS0_14default_configENS1_38merge_sort_block_merge_config_selectorIiiEEZZNS1_27merge_sort_block_merge_implIS3_N6thrust23THRUST_200600_302600_NS6detail15normal_iteratorINS8_10device_ptrIiEEEESD_jNS1_19radix_merge_compareILb1ELb0EiNS0_19identity_decomposerEEEEE10hipError_tT0_T1_T2_jT3_P12ihipStream_tbPNSt15iterator_traitsISI_E10value_typeEPNSO_ISJ_E10value_typeEPSK_NS1_7vsmem_tEENKUlT_SI_SJ_SK_E_clIPiSD_S10_SD_EESH_SX_SI_SJ_SK_EUlSX_E_NS1_11comp_targetILNS1_3genE4ELNS1_11target_archE910ELNS1_3gpuE8ELNS1_3repE0EEENS1_48merge_mergepath_partition_config_static_selectorELNS0_4arch9wavefront6targetE1EEEvSJ_,@function
_ZN7rocprim17ROCPRIM_400000_NS6detail17trampoline_kernelINS0_14default_configENS1_38merge_sort_block_merge_config_selectorIiiEEZZNS1_27merge_sort_block_merge_implIS3_N6thrust23THRUST_200600_302600_NS6detail15normal_iteratorINS8_10device_ptrIiEEEESD_jNS1_19radix_merge_compareILb1ELb0EiNS0_19identity_decomposerEEEEE10hipError_tT0_T1_T2_jT3_P12ihipStream_tbPNSt15iterator_traitsISI_E10value_typeEPNSO_ISJ_E10value_typeEPSK_NS1_7vsmem_tEENKUlT_SI_SJ_SK_E_clIPiSD_S10_SD_EESH_SX_SI_SJ_SK_EUlSX_E_NS1_11comp_targetILNS1_3genE4ELNS1_11target_archE910ELNS1_3gpuE8ELNS1_3repE0EEENS1_48merge_mergepath_partition_config_static_selectorELNS0_4arch9wavefront6targetE1EEEvSJ_: ; @_ZN7rocprim17ROCPRIM_400000_NS6detail17trampoline_kernelINS0_14default_configENS1_38merge_sort_block_merge_config_selectorIiiEEZZNS1_27merge_sort_block_merge_implIS3_N6thrust23THRUST_200600_302600_NS6detail15normal_iteratorINS8_10device_ptrIiEEEESD_jNS1_19radix_merge_compareILb1ELb0EiNS0_19identity_decomposerEEEEE10hipError_tT0_T1_T2_jT3_P12ihipStream_tbPNSt15iterator_traitsISI_E10value_typeEPNSO_ISJ_E10value_typeEPSK_NS1_7vsmem_tEENKUlT_SI_SJ_SK_E_clIPiSD_S10_SD_EESH_SX_SI_SJ_SK_EUlSX_E_NS1_11comp_targetILNS1_3genE4ELNS1_11target_archE910ELNS1_3gpuE8ELNS1_3repE0EEENS1_48merge_mergepath_partition_config_static_selectorELNS0_4arch9wavefront6targetE1EEEvSJ_
; %bb.0:
	.section	.rodata,"a",@progbits
	.p2align	6, 0x0
	.amdhsa_kernel _ZN7rocprim17ROCPRIM_400000_NS6detail17trampoline_kernelINS0_14default_configENS1_38merge_sort_block_merge_config_selectorIiiEEZZNS1_27merge_sort_block_merge_implIS3_N6thrust23THRUST_200600_302600_NS6detail15normal_iteratorINS8_10device_ptrIiEEEESD_jNS1_19radix_merge_compareILb1ELb0EiNS0_19identity_decomposerEEEEE10hipError_tT0_T1_T2_jT3_P12ihipStream_tbPNSt15iterator_traitsISI_E10value_typeEPNSO_ISJ_E10value_typeEPSK_NS1_7vsmem_tEENKUlT_SI_SJ_SK_E_clIPiSD_S10_SD_EESH_SX_SI_SJ_SK_EUlSX_E_NS1_11comp_targetILNS1_3genE4ELNS1_11target_archE910ELNS1_3gpuE8ELNS1_3repE0EEENS1_48merge_mergepath_partition_config_static_selectorELNS0_4arch9wavefront6targetE1EEEvSJ_
		.amdhsa_group_segment_fixed_size 0
		.amdhsa_private_segment_fixed_size 0
		.amdhsa_kernarg_size 40
		.amdhsa_user_sgpr_count 2
		.amdhsa_user_sgpr_dispatch_ptr 0
		.amdhsa_user_sgpr_queue_ptr 0
		.amdhsa_user_sgpr_kernarg_segment_ptr 1
		.amdhsa_user_sgpr_dispatch_id 0
		.amdhsa_user_sgpr_kernarg_preload_length 0
		.amdhsa_user_sgpr_kernarg_preload_offset 0
		.amdhsa_user_sgpr_private_segment_size 0
		.amdhsa_uses_dynamic_stack 0
		.amdhsa_enable_private_segment 0
		.amdhsa_system_sgpr_workgroup_id_x 1
		.amdhsa_system_sgpr_workgroup_id_y 0
		.amdhsa_system_sgpr_workgroup_id_z 0
		.amdhsa_system_sgpr_workgroup_info 0
		.amdhsa_system_vgpr_workitem_id 0
		.amdhsa_next_free_vgpr 1
		.amdhsa_next_free_sgpr 0
		.amdhsa_accum_offset 4
		.amdhsa_reserve_vcc 0
		.amdhsa_float_round_mode_32 0
		.amdhsa_float_round_mode_16_64 0
		.amdhsa_float_denorm_mode_32 3
		.amdhsa_float_denorm_mode_16_64 3
		.amdhsa_dx10_clamp 1
		.amdhsa_ieee_mode 1
		.amdhsa_fp16_overflow 0
		.amdhsa_tg_split 0
		.amdhsa_exception_fp_ieee_invalid_op 0
		.amdhsa_exception_fp_denorm_src 0
		.amdhsa_exception_fp_ieee_div_zero 0
		.amdhsa_exception_fp_ieee_overflow 0
		.amdhsa_exception_fp_ieee_underflow 0
		.amdhsa_exception_fp_ieee_inexact 0
		.amdhsa_exception_int_div_zero 0
	.end_amdhsa_kernel
	.section	.text._ZN7rocprim17ROCPRIM_400000_NS6detail17trampoline_kernelINS0_14default_configENS1_38merge_sort_block_merge_config_selectorIiiEEZZNS1_27merge_sort_block_merge_implIS3_N6thrust23THRUST_200600_302600_NS6detail15normal_iteratorINS8_10device_ptrIiEEEESD_jNS1_19radix_merge_compareILb1ELb0EiNS0_19identity_decomposerEEEEE10hipError_tT0_T1_T2_jT3_P12ihipStream_tbPNSt15iterator_traitsISI_E10value_typeEPNSO_ISJ_E10value_typeEPSK_NS1_7vsmem_tEENKUlT_SI_SJ_SK_E_clIPiSD_S10_SD_EESH_SX_SI_SJ_SK_EUlSX_E_NS1_11comp_targetILNS1_3genE4ELNS1_11target_archE910ELNS1_3gpuE8ELNS1_3repE0EEENS1_48merge_mergepath_partition_config_static_selectorELNS0_4arch9wavefront6targetE1EEEvSJ_,"axG",@progbits,_ZN7rocprim17ROCPRIM_400000_NS6detail17trampoline_kernelINS0_14default_configENS1_38merge_sort_block_merge_config_selectorIiiEEZZNS1_27merge_sort_block_merge_implIS3_N6thrust23THRUST_200600_302600_NS6detail15normal_iteratorINS8_10device_ptrIiEEEESD_jNS1_19radix_merge_compareILb1ELb0EiNS0_19identity_decomposerEEEEE10hipError_tT0_T1_T2_jT3_P12ihipStream_tbPNSt15iterator_traitsISI_E10value_typeEPNSO_ISJ_E10value_typeEPSK_NS1_7vsmem_tEENKUlT_SI_SJ_SK_E_clIPiSD_S10_SD_EESH_SX_SI_SJ_SK_EUlSX_E_NS1_11comp_targetILNS1_3genE4ELNS1_11target_archE910ELNS1_3gpuE8ELNS1_3repE0EEENS1_48merge_mergepath_partition_config_static_selectorELNS0_4arch9wavefront6targetE1EEEvSJ_,comdat
.Lfunc_end888:
	.size	_ZN7rocprim17ROCPRIM_400000_NS6detail17trampoline_kernelINS0_14default_configENS1_38merge_sort_block_merge_config_selectorIiiEEZZNS1_27merge_sort_block_merge_implIS3_N6thrust23THRUST_200600_302600_NS6detail15normal_iteratorINS8_10device_ptrIiEEEESD_jNS1_19radix_merge_compareILb1ELb0EiNS0_19identity_decomposerEEEEE10hipError_tT0_T1_T2_jT3_P12ihipStream_tbPNSt15iterator_traitsISI_E10value_typeEPNSO_ISJ_E10value_typeEPSK_NS1_7vsmem_tEENKUlT_SI_SJ_SK_E_clIPiSD_S10_SD_EESH_SX_SI_SJ_SK_EUlSX_E_NS1_11comp_targetILNS1_3genE4ELNS1_11target_archE910ELNS1_3gpuE8ELNS1_3repE0EEENS1_48merge_mergepath_partition_config_static_selectorELNS0_4arch9wavefront6targetE1EEEvSJ_, .Lfunc_end888-_ZN7rocprim17ROCPRIM_400000_NS6detail17trampoline_kernelINS0_14default_configENS1_38merge_sort_block_merge_config_selectorIiiEEZZNS1_27merge_sort_block_merge_implIS3_N6thrust23THRUST_200600_302600_NS6detail15normal_iteratorINS8_10device_ptrIiEEEESD_jNS1_19radix_merge_compareILb1ELb0EiNS0_19identity_decomposerEEEEE10hipError_tT0_T1_T2_jT3_P12ihipStream_tbPNSt15iterator_traitsISI_E10value_typeEPNSO_ISJ_E10value_typeEPSK_NS1_7vsmem_tEENKUlT_SI_SJ_SK_E_clIPiSD_S10_SD_EESH_SX_SI_SJ_SK_EUlSX_E_NS1_11comp_targetILNS1_3genE4ELNS1_11target_archE910ELNS1_3gpuE8ELNS1_3repE0EEENS1_48merge_mergepath_partition_config_static_selectorELNS0_4arch9wavefront6targetE1EEEvSJ_
                                        ; -- End function
	.set _ZN7rocprim17ROCPRIM_400000_NS6detail17trampoline_kernelINS0_14default_configENS1_38merge_sort_block_merge_config_selectorIiiEEZZNS1_27merge_sort_block_merge_implIS3_N6thrust23THRUST_200600_302600_NS6detail15normal_iteratorINS8_10device_ptrIiEEEESD_jNS1_19radix_merge_compareILb1ELb0EiNS0_19identity_decomposerEEEEE10hipError_tT0_T1_T2_jT3_P12ihipStream_tbPNSt15iterator_traitsISI_E10value_typeEPNSO_ISJ_E10value_typeEPSK_NS1_7vsmem_tEENKUlT_SI_SJ_SK_E_clIPiSD_S10_SD_EESH_SX_SI_SJ_SK_EUlSX_E_NS1_11comp_targetILNS1_3genE4ELNS1_11target_archE910ELNS1_3gpuE8ELNS1_3repE0EEENS1_48merge_mergepath_partition_config_static_selectorELNS0_4arch9wavefront6targetE1EEEvSJ_.num_vgpr, 0
	.set _ZN7rocprim17ROCPRIM_400000_NS6detail17trampoline_kernelINS0_14default_configENS1_38merge_sort_block_merge_config_selectorIiiEEZZNS1_27merge_sort_block_merge_implIS3_N6thrust23THRUST_200600_302600_NS6detail15normal_iteratorINS8_10device_ptrIiEEEESD_jNS1_19radix_merge_compareILb1ELb0EiNS0_19identity_decomposerEEEEE10hipError_tT0_T1_T2_jT3_P12ihipStream_tbPNSt15iterator_traitsISI_E10value_typeEPNSO_ISJ_E10value_typeEPSK_NS1_7vsmem_tEENKUlT_SI_SJ_SK_E_clIPiSD_S10_SD_EESH_SX_SI_SJ_SK_EUlSX_E_NS1_11comp_targetILNS1_3genE4ELNS1_11target_archE910ELNS1_3gpuE8ELNS1_3repE0EEENS1_48merge_mergepath_partition_config_static_selectorELNS0_4arch9wavefront6targetE1EEEvSJ_.num_agpr, 0
	.set _ZN7rocprim17ROCPRIM_400000_NS6detail17trampoline_kernelINS0_14default_configENS1_38merge_sort_block_merge_config_selectorIiiEEZZNS1_27merge_sort_block_merge_implIS3_N6thrust23THRUST_200600_302600_NS6detail15normal_iteratorINS8_10device_ptrIiEEEESD_jNS1_19radix_merge_compareILb1ELb0EiNS0_19identity_decomposerEEEEE10hipError_tT0_T1_T2_jT3_P12ihipStream_tbPNSt15iterator_traitsISI_E10value_typeEPNSO_ISJ_E10value_typeEPSK_NS1_7vsmem_tEENKUlT_SI_SJ_SK_E_clIPiSD_S10_SD_EESH_SX_SI_SJ_SK_EUlSX_E_NS1_11comp_targetILNS1_3genE4ELNS1_11target_archE910ELNS1_3gpuE8ELNS1_3repE0EEENS1_48merge_mergepath_partition_config_static_selectorELNS0_4arch9wavefront6targetE1EEEvSJ_.numbered_sgpr, 0
	.set _ZN7rocprim17ROCPRIM_400000_NS6detail17trampoline_kernelINS0_14default_configENS1_38merge_sort_block_merge_config_selectorIiiEEZZNS1_27merge_sort_block_merge_implIS3_N6thrust23THRUST_200600_302600_NS6detail15normal_iteratorINS8_10device_ptrIiEEEESD_jNS1_19radix_merge_compareILb1ELb0EiNS0_19identity_decomposerEEEEE10hipError_tT0_T1_T2_jT3_P12ihipStream_tbPNSt15iterator_traitsISI_E10value_typeEPNSO_ISJ_E10value_typeEPSK_NS1_7vsmem_tEENKUlT_SI_SJ_SK_E_clIPiSD_S10_SD_EESH_SX_SI_SJ_SK_EUlSX_E_NS1_11comp_targetILNS1_3genE4ELNS1_11target_archE910ELNS1_3gpuE8ELNS1_3repE0EEENS1_48merge_mergepath_partition_config_static_selectorELNS0_4arch9wavefront6targetE1EEEvSJ_.num_named_barrier, 0
	.set _ZN7rocprim17ROCPRIM_400000_NS6detail17trampoline_kernelINS0_14default_configENS1_38merge_sort_block_merge_config_selectorIiiEEZZNS1_27merge_sort_block_merge_implIS3_N6thrust23THRUST_200600_302600_NS6detail15normal_iteratorINS8_10device_ptrIiEEEESD_jNS1_19radix_merge_compareILb1ELb0EiNS0_19identity_decomposerEEEEE10hipError_tT0_T1_T2_jT3_P12ihipStream_tbPNSt15iterator_traitsISI_E10value_typeEPNSO_ISJ_E10value_typeEPSK_NS1_7vsmem_tEENKUlT_SI_SJ_SK_E_clIPiSD_S10_SD_EESH_SX_SI_SJ_SK_EUlSX_E_NS1_11comp_targetILNS1_3genE4ELNS1_11target_archE910ELNS1_3gpuE8ELNS1_3repE0EEENS1_48merge_mergepath_partition_config_static_selectorELNS0_4arch9wavefront6targetE1EEEvSJ_.private_seg_size, 0
	.set _ZN7rocprim17ROCPRIM_400000_NS6detail17trampoline_kernelINS0_14default_configENS1_38merge_sort_block_merge_config_selectorIiiEEZZNS1_27merge_sort_block_merge_implIS3_N6thrust23THRUST_200600_302600_NS6detail15normal_iteratorINS8_10device_ptrIiEEEESD_jNS1_19radix_merge_compareILb1ELb0EiNS0_19identity_decomposerEEEEE10hipError_tT0_T1_T2_jT3_P12ihipStream_tbPNSt15iterator_traitsISI_E10value_typeEPNSO_ISJ_E10value_typeEPSK_NS1_7vsmem_tEENKUlT_SI_SJ_SK_E_clIPiSD_S10_SD_EESH_SX_SI_SJ_SK_EUlSX_E_NS1_11comp_targetILNS1_3genE4ELNS1_11target_archE910ELNS1_3gpuE8ELNS1_3repE0EEENS1_48merge_mergepath_partition_config_static_selectorELNS0_4arch9wavefront6targetE1EEEvSJ_.uses_vcc, 0
	.set _ZN7rocprim17ROCPRIM_400000_NS6detail17trampoline_kernelINS0_14default_configENS1_38merge_sort_block_merge_config_selectorIiiEEZZNS1_27merge_sort_block_merge_implIS3_N6thrust23THRUST_200600_302600_NS6detail15normal_iteratorINS8_10device_ptrIiEEEESD_jNS1_19radix_merge_compareILb1ELb0EiNS0_19identity_decomposerEEEEE10hipError_tT0_T1_T2_jT3_P12ihipStream_tbPNSt15iterator_traitsISI_E10value_typeEPNSO_ISJ_E10value_typeEPSK_NS1_7vsmem_tEENKUlT_SI_SJ_SK_E_clIPiSD_S10_SD_EESH_SX_SI_SJ_SK_EUlSX_E_NS1_11comp_targetILNS1_3genE4ELNS1_11target_archE910ELNS1_3gpuE8ELNS1_3repE0EEENS1_48merge_mergepath_partition_config_static_selectorELNS0_4arch9wavefront6targetE1EEEvSJ_.uses_flat_scratch, 0
	.set _ZN7rocprim17ROCPRIM_400000_NS6detail17trampoline_kernelINS0_14default_configENS1_38merge_sort_block_merge_config_selectorIiiEEZZNS1_27merge_sort_block_merge_implIS3_N6thrust23THRUST_200600_302600_NS6detail15normal_iteratorINS8_10device_ptrIiEEEESD_jNS1_19radix_merge_compareILb1ELb0EiNS0_19identity_decomposerEEEEE10hipError_tT0_T1_T2_jT3_P12ihipStream_tbPNSt15iterator_traitsISI_E10value_typeEPNSO_ISJ_E10value_typeEPSK_NS1_7vsmem_tEENKUlT_SI_SJ_SK_E_clIPiSD_S10_SD_EESH_SX_SI_SJ_SK_EUlSX_E_NS1_11comp_targetILNS1_3genE4ELNS1_11target_archE910ELNS1_3gpuE8ELNS1_3repE0EEENS1_48merge_mergepath_partition_config_static_selectorELNS0_4arch9wavefront6targetE1EEEvSJ_.has_dyn_sized_stack, 0
	.set _ZN7rocprim17ROCPRIM_400000_NS6detail17trampoline_kernelINS0_14default_configENS1_38merge_sort_block_merge_config_selectorIiiEEZZNS1_27merge_sort_block_merge_implIS3_N6thrust23THRUST_200600_302600_NS6detail15normal_iteratorINS8_10device_ptrIiEEEESD_jNS1_19radix_merge_compareILb1ELb0EiNS0_19identity_decomposerEEEEE10hipError_tT0_T1_T2_jT3_P12ihipStream_tbPNSt15iterator_traitsISI_E10value_typeEPNSO_ISJ_E10value_typeEPSK_NS1_7vsmem_tEENKUlT_SI_SJ_SK_E_clIPiSD_S10_SD_EESH_SX_SI_SJ_SK_EUlSX_E_NS1_11comp_targetILNS1_3genE4ELNS1_11target_archE910ELNS1_3gpuE8ELNS1_3repE0EEENS1_48merge_mergepath_partition_config_static_selectorELNS0_4arch9wavefront6targetE1EEEvSJ_.has_recursion, 0
	.set _ZN7rocprim17ROCPRIM_400000_NS6detail17trampoline_kernelINS0_14default_configENS1_38merge_sort_block_merge_config_selectorIiiEEZZNS1_27merge_sort_block_merge_implIS3_N6thrust23THRUST_200600_302600_NS6detail15normal_iteratorINS8_10device_ptrIiEEEESD_jNS1_19radix_merge_compareILb1ELb0EiNS0_19identity_decomposerEEEEE10hipError_tT0_T1_T2_jT3_P12ihipStream_tbPNSt15iterator_traitsISI_E10value_typeEPNSO_ISJ_E10value_typeEPSK_NS1_7vsmem_tEENKUlT_SI_SJ_SK_E_clIPiSD_S10_SD_EESH_SX_SI_SJ_SK_EUlSX_E_NS1_11comp_targetILNS1_3genE4ELNS1_11target_archE910ELNS1_3gpuE8ELNS1_3repE0EEENS1_48merge_mergepath_partition_config_static_selectorELNS0_4arch9wavefront6targetE1EEEvSJ_.has_indirect_call, 0
	.section	.AMDGPU.csdata,"",@progbits
; Kernel info:
; codeLenInByte = 0
; TotalNumSgprs: 6
; NumVgprs: 0
; NumAgprs: 0
; TotalNumVgprs: 0
; ScratchSize: 0
; MemoryBound: 0
; FloatMode: 240
; IeeeMode: 1
; LDSByteSize: 0 bytes/workgroup (compile time only)
; SGPRBlocks: 0
; VGPRBlocks: 0
; NumSGPRsForWavesPerEU: 6
; NumVGPRsForWavesPerEU: 1
; AccumOffset: 4
; Occupancy: 8
; WaveLimiterHint : 0
; COMPUTE_PGM_RSRC2:SCRATCH_EN: 0
; COMPUTE_PGM_RSRC2:USER_SGPR: 2
; COMPUTE_PGM_RSRC2:TRAP_HANDLER: 0
; COMPUTE_PGM_RSRC2:TGID_X_EN: 1
; COMPUTE_PGM_RSRC2:TGID_Y_EN: 0
; COMPUTE_PGM_RSRC2:TGID_Z_EN: 0
; COMPUTE_PGM_RSRC2:TIDIG_COMP_CNT: 0
; COMPUTE_PGM_RSRC3_GFX90A:ACCUM_OFFSET: 0
; COMPUTE_PGM_RSRC3_GFX90A:TG_SPLIT: 0
	.section	.text._ZN7rocprim17ROCPRIM_400000_NS6detail17trampoline_kernelINS0_14default_configENS1_38merge_sort_block_merge_config_selectorIiiEEZZNS1_27merge_sort_block_merge_implIS3_N6thrust23THRUST_200600_302600_NS6detail15normal_iteratorINS8_10device_ptrIiEEEESD_jNS1_19radix_merge_compareILb1ELb0EiNS0_19identity_decomposerEEEEE10hipError_tT0_T1_T2_jT3_P12ihipStream_tbPNSt15iterator_traitsISI_E10value_typeEPNSO_ISJ_E10value_typeEPSK_NS1_7vsmem_tEENKUlT_SI_SJ_SK_E_clIPiSD_S10_SD_EESH_SX_SI_SJ_SK_EUlSX_E_NS1_11comp_targetILNS1_3genE3ELNS1_11target_archE908ELNS1_3gpuE7ELNS1_3repE0EEENS1_48merge_mergepath_partition_config_static_selectorELNS0_4arch9wavefront6targetE1EEEvSJ_,"axG",@progbits,_ZN7rocprim17ROCPRIM_400000_NS6detail17trampoline_kernelINS0_14default_configENS1_38merge_sort_block_merge_config_selectorIiiEEZZNS1_27merge_sort_block_merge_implIS3_N6thrust23THRUST_200600_302600_NS6detail15normal_iteratorINS8_10device_ptrIiEEEESD_jNS1_19radix_merge_compareILb1ELb0EiNS0_19identity_decomposerEEEEE10hipError_tT0_T1_T2_jT3_P12ihipStream_tbPNSt15iterator_traitsISI_E10value_typeEPNSO_ISJ_E10value_typeEPSK_NS1_7vsmem_tEENKUlT_SI_SJ_SK_E_clIPiSD_S10_SD_EESH_SX_SI_SJ_SK_EUlSX_E_NS1_11comp_targetILNS1_3genE3ELNS1_11target_archE908ELNS1_3gpuE7ELNS1_3repE0EEENS1_48merge_mergepath_partition_config_static_selectorELNS0_4arch9wavefront6targetE1EEEvSJ_,comdat
	.protected	_ZN7rocprim17ROCPRIM_400000_NS6detail17trampoline_kernelINS0_14default_configENS1_38merge_sort_block_merge_config_selectorIiiEEZZNS1_27merge_sort_block_merge_implIS3_N6thrust23THRUST_200600_302600_NS6detail15normal_iteratorINS8_10device_ptrIiEEEESD_jNS1_19radix_merge_compareILb1ELb0EiNS0_19identity_decomposerEEEEE10hipError_tT0_T1_T2_jT3_P12ihipStream_tbPNSt15iterator_traitsISI_E10value_typeEPNSO_ISJ_E10value_typeEPSK_NS1_7vsmem_tEENKUlT_SI_SJ_SK_E_clIPiSD_S10_SD_EESH_SX_SI_SJ_SK_EUlSX_E_NS1_11comp_targetILNS1_3genE3ELNS1_11target_archE908ELNS1_3gpuE7ELNS1_3repE0EEENS1_48merge_mergepath_partition_config_static_selectorELNS0_4arch9wavefront6targetE1EEEvSJ_ ; -- Begin function _ZN7rocprim17ROCPRIM_400000_NS6detail17trampoline_kernelINS0_14default_configENS1_38merge_sort_block_merge_config_selectorIiiEEZZNS1_27merge_sort_block_merge_implIS3_N6thrust23THRUST_200600_302600_NS6detail15normal_iteratorINS8_10device_ptrIiEEEESD_jNS1_19radix_merge_compareILb1ELb0EiNS0_19identity_decomposerEEEEE10hipError_tT0_T1_T2_jT3_P12ihipStream_tbPNSt15iterator_traitsISI_E10value_typeEPNSO_ISJ_E10value_typeEPSK_NS1_7vsmem_tEENKUlT_SI_SJ_SK_E_clIPiSD_S10_SD_EESH_SX_SI_SJ_SK_EUlSX_E_NS1_11comp_targetILNS1_3genE3ELNS1_11target_archE908ELNS1_3gpuE7ELNS1_3repE0EEENS1_48merge_mergepath_partition_config_static_selectorELNS0_4arch9wavefront6targetE1EEEvSJ_
	.globl	_ZN7rocprim17ROCPRIM_400000_NS6detail17trampoline_kernelINS0_14default_configENS1_38merge_sort_block_merge_config_selectorIiiEEZZNS1_27merge_sort_block_merge_implIS3_N6thrust23THRUST_200600_302600_NS6detail15normal_iteratorINS8_10device_ptrIiEEEESD_jNS1_19radix_merge_compareILb1ELb0EiNS0_19identity_decomposerEEEEE10hipError_tT0_T1_T2_jT3_P12ihipStream_tbPNSt15iterator_traitsISI_E10value_typeEPNSO_ISJ_E10value_typeEPSK_NS1_7vsmem_tEENKUlT_SI_SJ_SK_E_clIPiSD_S10_SD_EESH_SX_SI_SJ_SK_EUlSX_E_NS1_11comp_targetILNS1_3genE3ELNS1_11target_archE908ELNS1_3gpuE7ELNS1_3repE0EEENS1_48merge_mergepath_partition_config_static_selectorELNS0_4arch9wavefront6targetE1EEEvSJ_
	.p2align	8
	.type	_ZN7rocprim17ROCPRIM_400000_NS6detail17trampoline_kernelINS0_14default_configENS1_38merge_sort_block_merge_config_selectorIiiEEZZNS1_27merge_sort_block_merge_implIS3_N6thrust23THRUST_200600_302600_NS6detail15normal_iteratorINS8_10device_ptrIiEEEESD_jNS1_19radix_merge_compareILb1ELb0EiNS0_19identity_decomposerEEEEE10hipError_tT0_T1_T2_jT3_P12ihipStream_tbPNSt15iterator_traitsISI_E10value_typeEPNSO_ISJ_E10value_typeEPSK_NS1_7vsmem_tEENKUlT_SI_SJ_SK_E_clIPiSD_S10_SD_EESH_SX_SI_SJ_SK_EUlSX_E_NS1_11comp_targetILNS1_3genE3ELNS1_11target_archE908ELNS1_3gpuE7ELNS1_3repE0EEENS1_48merge_mergepath_partition_config_static_selectorELNS0_4arch9wavefront6targetE1EEEvSJ_,@function
_ZN7rocprim17ROCPRIM_400000_NS6detail17trampoline_kernelINS0_14default_configENS1_38merge_sort_block_merge_config_selectorIiiEEZZNS1_27merge_sort_block_merge_implIS3_N6thrust23THRUST_200600_302600_NS6detail15normal_iteratorINS8_10device_ptrIiEEEESD_jNS1_19radix_merge_compareILb1ELb0EiNS0_19identity_decomposerEEEEE10hipError_tT0_T1_T2_jT3_P12ihipStream_tbPNSt15iterator_traitsISI_E10value_typeEPNSO_ISJ_E10value_typeEPSK_NS1_7vsmem_tEENKUlT_SI_SJ_SK_E_clIPiSD_S10_SD_EESH_SX_SI_SJ_SK_EUlSX_E_NS1_11comp_targetILNS1_3genE3ELNS1_11target_archE908ELNS1_3gpuE7ELNS1_3repE0EEENS1_48merge_mergepath_partition_config_static_selectorELNS0_4arch9wavefront6targetE1EEEvSJ_: ; @_ZN7rocprim17ROCPRIM_400000_NS6detail17trampoline_kernelINS0_14default_configENS1_38merge_sort_block_merge_config_selectorIiiEEZZNS1_27merge_sort_block_merge_implIS3_N6thrust23THRUST_200600_302600_NS6detail15normal_iteratorINS8_10device_ptrIiEEEESD_jNS1_19radix_merge_compareILb1ELb0EiNS0_19identity_decomposerEEEEE10hipError_tT0_T1_T2_jT3_P12ihipStream_tbPNSt15iterator_traitsISI_E10value_typeEPNSO_ISJ_E10value_typeEPSK_NS1_7vsmem_tEENKUlT_SI_SJ_SK_E_clIPiSD_S10_SD_EESH_SX_SI_SJ_SK_EUlSX_E_NS1_11comp_targetILNS1_3genE3ELNS1_11target_archE908ELNS1_3gpuE7ELNS1_3repE0EEENS1_48merge_mergepath_partition_config_static_selectorELNS0_4arch9wavefront6targetE1EEEvSJ_
; %bb.0:
	.section	.rodata,"a",@progbits
	.p2align	6, 0x0
	.amdhsa_kernel _ZN7rocprim17ROCPRIM_400000_NS6detail17trampoline_kernelINS0_14default_configENS1_38merge_sort_block_merge_config_selectorIiiEEZZNS1_27merge_sort_block_merge_implIS3_N6thrust23THRUST_200600_302600_NS6detail15normal_iteratorINS8_10device_ptrIiEEEESD_jNS1_19radix_merge_compareILb1ELb0EiNS0_19identity_decomposerEEEEE10hipError_tT0_T1_T2_jT3_P12ihipStream_tbPNSt15iterator_traitsISI_E10value_typeEPNSO_ISJ_E10value_typeEPSK_NS1_7vsmem_tEENKUlT_SI_SJ_SK_E_clIPiSD_S10_SD_EESH_SX_SI_SJ_SK_EUlSX_E_NS1_11comp_targetILNS1_3genE3ELNS1_11target_archE908ELNS1_3gpuE7ELNS1_3repE0EEENS1_48merge_mergepath_partition_config_static_selectorELNS0_4arch9wavefront6targetE1EEEvSJ_
		.amdhsa_group_segment_fixed_size 0
		.amdhsa_private_segment_fixed_size 0
		.amdhsa_kernarg_size 40
		.amdhsa_user_sgpr_count 2
		.amdhsa_user_sgpr_dispatch_ptr 0
		.amdhsa_user_sgpr_queue_ptr 0
		.amdhsa_user_sgpr_kernarg_segment_ptr 1
		.amdhsa_user_sgpr_dispatch_id 0
		.amdhsa_user_sgpr_kernarg_preload_length 0
		.amdhsa_user_sgpr_kernarg_preload_offset 0
		.amdhsa_user_sgpr_private_segment_size 0
		.amdhsa_uses_dynamic_stack 0
		.amdhsa_enable_private_segment 0
		.amdhsa_system_sgpr_workgroup_id_x 1
		.amdhsa_system_sgpr_workgroup_id_y 0
		.amdhsa_system_sgpr_workgroup_id_z 0
		.amdhsa_system_sgpr_workgroup_info 0
		.amdhsa_system_vgpr_workitem_id 0
		.amdhsa_next_free_vgpr 1
		.amdhsa_next_free_sgpr 0
		.amdhsa_accum_offset 4
		.amdhsa_reserve_vcc 0
		.amdhsa_float_round_mode_32 0
		.amdhsa_float_round_mode_16_64 0
		.amdhsa_float_denorm_mode_32 3
		.amdhsa_float_denorm_mode_16_64 3
		.amdhsa_dx10_clamp 1
		.amdhsa_ieee_mode 1
		.amdhsa_fp16_overflow 0
		.amdhsa_tg_split 0
		.amdhsa_exception_fp_ieee_invalid_op 0
		.amdhsa_exception_fp_denorm_src 0
		.amdhsa_exception_fp_ieee_div_zero 0
		.amdhsa_exception_fp_ieee_overflow 0
		.amdhsa_exception_fp_ieee_underflow 0
		.amdhsa_exception_fp_ieee_inexact 0
		.amdhsa_exception_int_div_zero 0
	.end_amdhsa_kernel
	.section	.text._ZN7rocprim17ROCPRIM_400000_NS6detail17trampoline_kernelINS0_14default_configENS1_38merge_sort_block_merge_config_selectorIiiEEZZNS1_27merge_sort_block_merge_implIS3_N6thrust23THRUST_200600_302600_NS6detail15normal_iteratorINS8_10device_ptrIiEEEESD_jNS1_19radix_merge_compareILb1ELb0EiNS0_19identity_decomposerEEEEE10hipError_tT0_T1_T2_jT3_P12ihipStream_tbPNSt15iterator_traitsISI_E10value_typeEPNSO_ISJ_E10value_typeEPSK_NS1_7vsmem_tEENKUlT_SI_SJ_SK_E_clIPiSD_S10_SD_EESH_SX_SI_SJ_SK_EUlSX_E_NS1_11comp_targetILNS1_3genE3ELNS1_11target_archE908ELNS1_3gpuE7ELNS1_3repE0EEENS1_48merge_mergepath_partition_config_static_selectorELNS0_4arch9wavefront6targetE1EEEvSJ_,"axG",@progbits,_ZN7rocprim17ROCPRIM_400000_NS6detail17trampoline_kernelINS0_14default_configENS1_38merge_sort_block_merge_config_selectorIiiEEZZNS1_27merge_sort_block_merge_implIS3_N6thrust23THRUST_200600_302600_NS6detail15normal_iteratorINS8_10device_ptrIiEEEESD_jNS1_19radix_merge_compareILb1ELb0EiNS0_19identity_decomposerEEEEE10hipError_tT0_T1_T2_jT3_P12ihipStream_tbPNSt15iterator_traitsISI_E10value_typeEPNSO_ISJ_E10value_typeEPSK_NS1_7vsmem_tEENKUlT_SI_SJ_SK_E_clIPiSD_S10_SD_EESH_SX_SI_SJ_SK_EUlSX_E_NS1_11comp_targetILNS1_3genE3ELNS1_11target_archE908ELNS1_3gpuE7ELNS1_3repE0EEENS1_48merge_mergepath_partition_config_static_selectorELNS0_4arch9wavefront6targetE1EEEvSJ_,comdat
.Lfunc_end889:
	.size	_ZN7rocprim17ROCPRIM_400000_NS6detail17trampoline_kernelINS0_14default_configENS1_38merge_sort_block_merge_config_selectorIiiEEZZNS1_27merge_sort_block_merge_implIS3_N6thrust23THRUST_200600_302600_NS6detail15normal_iteratorINS8_10device_ptrIiEEEESD_jNS1_19radix_merge_compareILb1ELb0EiNS0_19identity_decomposerEEEEE10hipError_tT0_T1_T2_jT3_P12ihipStream_tbPNSt15iterator_traitsISI_E10value_typeEPNSO_ISJ_E10value_typeEPSK_NS1_7vsmem_tEENKUlT_SI_SJ_SK_E_clIPiSD_S10_SD_EESH_SX_SI_SJ_SK_EUlSX_E_NS1_11comp_targetILNS1_3genE3ELNS1_11target_archE908ELNS1_3gpuE7ELNS1_3repE0EEENS1_48merge_mergepath_partition_config_static_selectorELNS0_4arch9wavefront6targetE1EEEvSJ_, .Lfunc_end889-_ZN7rocprim17ROCPRIM_400000_NS6detail17trampoline_kernelINS0_14default_configENS1_38merge_sort_block_merge_config_selectorIiiEEZZNS1_27merge_sort_block_merge_implIS3_N6thrust23THRUST_200600_302600_NS6detail15normal_iteratorINS8_10device_ptrIiEEEESD_jNS1_19radix_merge_compareILb1ELb0EiNS0_19identity_decomposerEEEEE10hipError_tT0_T1_T2_jT3_P12ihipStream_tbPNSt15iterator_traitsISI_E10value_typeEPNSO_ISJ_E10value_typeEPSK_NS1_7vsmem_tEENKUlT_SI_SJ_SK_E_clIPiSD_S10_SD_EESH_SX_SI_SJ_SK_EUlSX_E_NS1_11comp_targetILNS1_3genE3ELNS1_11target_archE908ELNS1_3gpuE7ELNS1_3repE0EEENS1_48merge_mergepath_partition_config_static_selectorELNS0_4arch9wavefront6targetE1EEEvSJ_
                                        ; -- End function
	.set _ZN7rocprim17ROCPRIM_400000_NS6detail17trampoline_kernelINS0_14default_configENS1_38merge_sort_block_merge_config_selectorIiiEEZZNS1_27merge_sort_block_merge_implIS3_N6thrust23THRUST_200600_302600_NS6detail15normal_iteratorINS8_10device_ptrIiEEEESD_jNS1_19radix_merge_compareILb1ELb0EiNS0_19identity_decomposerEEEEE10hipError_tT0_T1_T2_jT3_P12ihipStream_tbPNSt15iterator_traitsISI_E10value_typeEPNSO_ISJ_E10value_typeEPSK_NS1_7vsmem_tEENKUlT_SI_SJ_SK_E_clIPiSD_S10_SD_EESH_SX_SI_SJ_SK_EUlSX_E_NS1_11comp_targetILNS1_3genE3ELNS1_11target_archE908ELNS1_3gpuE7ELNS1_3repE0EEENS1_48merge_mergepath_partition_config_static_selectorELNS0_4arch9wavefront6targetE1EEEvSJ_.num_vgpr, 0
	.set _ZN7rocprim17ROCPRIM_400000_NS6detail17trampoline_kernelINS0_14default_configENS1_38merge_sort_block_merge_config_selectorIiiEEZZNS1_27merge_sort_block_merge_implIS3_N6thrust23THRUST_200600_302600_NS6detail15normal_iteratorINS8_10device_ptrIiEEEESD_jNS1_19radix_merge_compareILb1ELb0EiNS0_19identity_decomposerEEEEE10hipError_tT0_T1_T2_jT3_P12ihipStream_tbPNSt15iterator_traitsISI_E10value_typeEPNSO_ISJ_E10value_typeEPSK_NS1_7vsmem_tEENKUlT_SI_SJ_SK_E_clIPiSD_S10_SD_EESH_SX_SI_SJ_SK_EUlSX_E_NS1_11comp_targetILNS1_3genE3ELNS1_11target_archE908ELNS1_3gpuE7ELNS1_3repE0EEENS1_48merge_mergepath_partition_config_static_selectorELNS0_4arch9wavefront6targetE1EEEvSJ_.num_agpr, 0
	.set _ZN7rocprim17ROCPRIM_400000_NS6detail17trampoline_kernelINS0_14default_configENS1_38merge_sort_block_merge_config_selectorIiiEEZZNS1_27merge_sort_block_merge_implIS3_N6thrust23THRUST_200600_302600_NS6detail15normal_iteratorINS8_10device_ptrIiEEEESD_jNS1_19radix_merge_compareILb1ELb0EiNS0_19identity_decomposerEEEEE10hipError_tT0_T1_T2_jT3_P12ihipStream_tbPNSt15iterator_traitsISI_E10value_typeEPNSO_ISJ_E10value_typeEPSK_NS1_7vsmem_tEENKUlT_SI_SJ_SK_E_clIPiSD_S10_SD_EESH_SX_SI_SJ_SK_EUlSX_E_NS1_11comp_targetILNS1_3genE3ELNS1_11target_archE908ELNS1_3gpuE7ELNS1_3repE0EEENS1_48merge_mergepath_partition_config_static_selectorELNS0_4arch9wavefront6targetE1EEEvSJ_.numbered_sgpr, 0
	.set _ZN7rocprim17ROCPRIM_400000_NS6detail17trampoline_kernelINS0_14default_configENS1_38merge_sort_block_merge_config_selectorIiiEEZZNS1_27merge_sort_block_merge_implIS3_N6thrust23THRUST_200600_302600_NS6detail15normal_iteratorINS8_10device_ptrIiEEEESD_jNS1_19radix_merge_compareILb1ELb0EiNS0_19identity_decomposerEEEEE10hipError_tT0_T1_T2_jT3_P12ihipStream_tbPNSt15iterator_traitsISI_E10value_typeEPNSO_ISJ_E10value_typeEPSK_NS1_7vsmem_tEENKUlT_SI_SJ_SK_E_clIPiSD_S10_SD_EESH_SX_SI_SJ_SK_EUlSX_E_NS1_11comp_targetILNS1_3genE3ELNS1_11target_archE908ELNS1_3gpuE7ELNS1_3repE0EEENS1_48merge_mergepath_partition_config_static_selectorELNS0_4arch9wavefront6targetE1EEEvSJ_.num_named_barrier, 0
	.set _ZN7rocprim17ROCPRIM_400000_NS6detail17trampoline_kernelINS0_14default_configENS1_38merge_sort_block_merge_config_selectorIiiEEZZNS1_27merge_sort_block_merge_implIS3_N6thrust23THRUST_200600_302600_NS6detail15normal_iteratorINS8_10device_ptrIiEEEESD_jNS1_19radix_merge_compareILb1ELb0EiNS0_19identity_decomposerEEEEE10hipError_tT0_T1_T2_jT3_P12ihipStream_tbPNSt15iterator_traitsISI_E10value_typeEPNSO_ISJ_E10value_typeEPSK_NS1_7vsmem_tEENKUlT_SI_SJ_SK_E_clIPiSD_S10_SD_EESH_SX_SI_SJ_SK_EUlSX_E_NS1_11comp_targetILNS1_3genE3ELNS1_11target_archE908ELNS1_3gpuE7ELNS1_3repE0EEENS1_48merge_mergepath_partition_config_static_selectorELNS0_4arch9wavefront6targetE1EEEvSJ_.private_seg_size, 0
	.set _ZN7rocprim17ROCPRIM_400000_NS6detail17trampoline_kernelINS0_14default_configENS1_38merge_sort_block_merge_config_selectorIiiEEZZNS1_27merge_sort_block_merge_implIS3_N6thrust23THRUST_200600_302600_NS6detail15normal_iteratorINS8_10device_ptrIiEEEESD_jNS1_19radix_merge_compareILb1ELb0EiNS0_19identity_decomposerEEEEE10hipError_tT0_T1_T2_jT3_P12ihipStream_tbPNSt15iterator_traitsISI_E10value_typeEPNSO_ISJ_E10value_typeEPSK_NS1_7vsmem_tEENKUlT_SI_SJ_SK_E_clIPiSD_S10_SD_EESH_SX_SI_SJ_SK_EUlSX_E_NS1_11comp_targetILNS1_3genE3ELNS1_11target_archE908ELNS1_3gpuE7ELNS1_3repE0EEENS1_48merge_mergepath_partition_config_static_selectorELNS0_4arch9wavefront6targetE1EEEvSJ_.uses_vcc, 0
	.set _ZN7rocprim17ROCPRIM_400000_NS6detail17trampoline_kernelINS0_14default_configENS1_38merge_sort_block_merge_config_selectorIiiEEZZNS1_27merge_sort_block_merge_implIS3_N6thrust23THRUST_200600_302600_NS6detail15normal_iteratorINS8_10device_ptrIiEEEESD_jNS1_19radix_merge_compareILb1ELb0EiNS0_19identity_decomposerEEEEE10hipError_tT0_T1_T2_jT3_P12ihipStream_tbPNSt15iterator_traitsISI_E10value_typeEPNSO_ISJ_E10value_typeEPSK_NS1_7vsmem_tEENKUlT_SI_SJ_SK_E_clIPiSD_S10_SD_EESH_SX_SI_SJ_SK_EUlSX_E_NS1_11comp_targetILNS1_3genE3ELNS1_11target_archE908ELNS1_3gpuE7ELNS1_3repE0EEENS1_48merge_mergepath_partition_config_static_selectorELNS0_4arch9wavefront6targetE1EEEvSJ_.uses_flat_scratch, 0
	.set _ZN7rocprim17ROCPRIM_400000_NS6detail17trampoline_kernelINS0_14default_configENS1_38merge_sort_block_merge_config_selectorIiiEEZZNS1_27merge_sort_block_merge_implIS3_N6thrust23THRUST_200600_302600_NS6detail15normal_iteratorINS8_10device_ptrIiEEEESD_jNS1_19radix_merge_compareILb1ELb0EiNS0_19identity_decomposerEEEEE10hipError_tT0_T1_T2_jT3_P12ihipStream_tbPNSt15iterator_traitsISI_E10value_typeEPNSO_ISJ_E10value_typeEPSK_NS1_7vsmem_tEENKUlT_SI_SJ_SK_E_clIPiSD_S10_SD_EESH_SX_SI_SJ_SK_EUlSX_E_NS1_11comp_targetILNS1_3genE3ELNS1_11target_archE908ELNS1_3gpuE7ELNS1_3repE0EEENS1_48merge_mergepath_partition_config_static_selectorELNS0_4arch9wavefront6targetE1EEEvSJ_.has_dyn_sized_stack, 0
	.set _ZN7rocprim17ROCPRIM_400000_NS6detail17trampoline_kernelINS0_14default_configENS1_38merge_sort_block_merge_config_selectorIiiEEZZNS1_27merge_sort_block_merge_implIS3_N6thrust23THRUST_200600_302600_NS6detail15normal_iteratorINS8_10device_ptrIiEEEESD_jNS1_19radix_merge_compareILb1ELb0EiNS0_19identity_decomposerEEEEE10hipError_tT0_T1_T2_jT3_P12ihipStream_tbPNSt15iterator_traitsISI_E10value_typeEPNSO_ISJ_E10value_typeEPSK_NS1_7vsmem_tEENKUlT_SI_SJ_SK_E_clIPiSD_S10_SD_EESH_SX_SI_SJ_SK_EUlSX_E_NS1_11comp_targetILNS1_3genE3ELNS1_11target_archE908ELNS1_3gpuE7ELNS1_3repE0EEENS1_48merge_mergepath_partition_config_static_selectorELNS0_4arch9wavefront6targetE1EEEvSJ_.has_recursion, 0
	.set _ZN7rocprim17ROCPRIM_400000_NS6detail17trampoline_kernelINS0_14default_configENS1_38merge_sort_block_merge_config_selectorIiiEEZZNS1_27merge_sort_block_merge_implIS3_N6thrust23THRUST_200600_302600_NS6detail15normal_iteratorINS8_10device_ptrIiEEEESD_jNS1_19radix_merge_compareILb1ELb0EiNS0_19identity_decomposerEEEEE10hipError_tT0_T1_T2_jT3_P12ihipStream_tbPNSt15iterator_traitsISI_E10value_typeEPNSO_ISJ_E10value_typeEPSK_NS1_7vsmem_tEENKUlT_SI_SJ_SK_E_clIPiSD_S10_SD_EESH_SX_SI_SJ_SK_EUlSX_E_NS1_11comp_targetILNS1_3genE3ELNS1_11target_archE908ELNS1_3gpuE7ELNS1_3repE0EEENS1_48merge_mergepath_partition_config_static_selectorELNS0_4arch9wavefront6targetE1EEEvSJ_.has_indirect_call, 0
	.section	.AMDGPU.csdata,"",@progbits
; Kernel info:
; codeLenInByte = 0
; TotalNumSgprs: 6
; NumVgprs: 0
; NumAgprs: 0
; TotalNumVgprs: 0
; ScratchSize: 0
; MemoryBound: 0
; FloatMode: 240
; IeeeMode: 1
; LDSByteSize: 0 bytes/workgroup (compile time only)
; SGPRBlocks: 0
; VGPRBlocks: 0
; NumSGPRsForWavesPerEU: 6
; NumVGPRsForWavesPerEU: 1
; AccumOffset: 4
; Occupancy: 8
; WaveLimiterHint : 0
; COMPUTE_PGM_RSRC2:SCRATCH_EN: 0
; COMPUTE_PGM_RSRC2:USER_SGPR: 2
; COMPUTE_PGM_RSRC2:TRAP_HANDLER: 0
; COMPUTE_PGM_RSRC2:TGID_X_EN: 1
; COMPUTE_PGM_RSRC2:TGID_Y_EN: 0
; COMPUTE_PGM_RSRC2:TGID_Z_EN: 0
; COMPUTE_PGM_RSRC2:TIDIG_COMP_CNT: 0
; COMPUTE_PGM_RSRC3_GFX90A:ACCUM_OFFSET: 0
; COMPUTE_PGM_RSRC3_GFX90A:TG_SPLIT: 0
	.section	.text._ZN7rocprim17ROCPRIM_400000_NS6detail17trampoline_kernelINS0_14default_configENS1_38merge_sort_block_merge_config_selectorIiiEEZZNS1_27merge_sort_block_merge_implIS3_N6thrust23THRUST_200600_302600_NS6detail15normal_iteratorINS8_10device_ptrIiEEEESD_jNS1_19radix_merge_compareILb1ELb0EiNS0_19identity_decomposerEEEEE10hipError_tT0_T1_T2_jT3_P12ihipStream_tbPNSt15iterator_traitsISI_E10value_typeEPNSO_ISJ_E10value_typeEPSK_NS1_7vsmem_tEENKUlT_SI_SJ_SK_E_clIPiSD_S10_SD_EESH_SX_SI_SJ_SK_EUlSX_E_NS1_11comp_targetILNS1_3genE2ELNS1_11target_archE906ELNS1_3gpuE6ELNS1_3repE0EEENS1_48merge_mergepath_partition_config_static_selectorELNS0_4arch9wavefront6targetE1EEEvSJ_,"axG",@progbits,_ZN7rocprim17ROCPRIM_400000_NS6detail17trampoline_kernelINS0_14default_configENS1_38merge_sort_block_merge_config_selectorIiiEEZZNS1_27merge_sort_block_merge_implIS3_N6thrust23THRUST_200600_302600_NS6detail15normal_iteratorINS8_10device_ptrIiEEEESD_jNS1_19radix_merge_compareILb1ELb0EiNS0_19identity_decomposerEEEEE10hipError_tT0_T1_T2_jT3_P12ihipStream_tbPNSt15iterator_traitsISI_E10value_typeEPNSO_ISJ_E10value_typeEPSK_NS1_7vsmem_tEENKUlT_SI_SJ_SK_E_clIPiSD_S10_SD_EESH_SX_SI_SJ_SK_EUlSX_E_NS1_11comp_targetILNS1_3genE2ELNS1_11target_archE906ELNS1_3gpuE6ELNS1_3repE0EEENS1_48merge_mergepath_partition_config_static_selectorELNS0_4arch9wavefront6targetE1EEEvSJ_,comdat
	.protected	_ZN7rocprim17ROCPRIM_400000_NS6detail17trampoline_kernelINS0_14default_configENS1_38merge_sort_block_merge_config_selectorIiiEEZZNS1_27merge_sort_block_merge_implIS3_N6thrust23THRUST_200600_302600_NS6detail15normal_iteratorINS8_10device_ptrIiEEEESD_jNS1_19radix_merge_compareILb1ELb0EiNS0_19identity_decomposerEEEEE10hipError_tT0_T1_T2_jT3_P12ihipStream_tbPNSt15iterator_traitsISI_E10value_typeEPNSO_ISJ_E10value_typeEPSK_NS1_7vsmem_tEENKUlT_SI_SJ_SK_E_clIPiSD_S10_SD_EESH_SX_SI_SJ_SK_EUlSX_E_NS1_11comp_targetILNS1_3genE2ELNS1_11target_archE906ELNS1_3gpuE6ELNS1_3repE0EEENS1_48merge_mergepath_partition_config_static_selectorELNS0_4arch9wavefront6targetE1EEEvSJ_ ; -- Begin function _ZN7rocprim17ROCPRIM_400000_NS6detail17trampoline_kernelINS0_14default_configENS1_38merge_sort_block_merge_config_selectorIiiEEZZNS1_27merge_sort_block_merge_implIS3_N6thrust23THRUST_200600_302600_NS6detail15normal_iteratorINS8_10device_ptrIiEEEESD_jNS1_19radix_merge_compareILb1ELb0EiNS0_19identity_decomposerEEEEE10hipError_tT0_T1_T2_jT3_P12ihipStream_tbPNSt15iterator_traitsISI_E10value_typeEPNSO_ISJ_E10value_typeEPSK_NS1_7vsmem_tEENKUlT_SI_SJ_SK_E_clIPiSD_S10_SD_EESH_SX_SI_SJ_SK_EUlSX_E_NS1_11comp_targetILNS1_3genE2ELNS1_11target_archE906ELNS1_3gpuE6ELNS1_3repE0EEENS1_48merge_mergepath_partition_config_static_selectorELNS0_4arch9wavefront6targetE1EEEvSJ_
	.globl	_ZN7rocprim17ROCPRIM_400000_NS6detail17trampoline_kernelINS0_14default_configENS1_38merge_sort_block_merge_config_selectorIiiEEZZNS1_27merge_sort_block_merge_implIS3_N6thrust23THRUST_200600_302600_NS6detail15normal_iteratorINS8_10device_ptrIiEEEESD_jNS1_19radix_merge_compareILb1ELb0EiNS0_19identity_decomposerEEEEE10hipError_tT0_T1_T2_jT3_P12ihipStream_tbPNSt15iterator_traitsISI_E10value_typeEPNSO_ISJ_E10value_typeEPSK_NS1_7vsmem_tEENKUlT_SI_SJ_SK_E_clIPiSD_S10_SD_EESH_SX_SI_SJ_SK_EUlSX_E_NS1_11comp_targetILNS1_3genE2ELNS1_11target_archE906ELNS1_3gpuE6ELNS1_3repE0EEENS1_48merge_mergepath_partition_config_static_selectorELNS0_4arch9wavefront6targetE1EEEvSJ_
	.p2align	8
	.type	_ZN7rocprim17ROCPRIM_400000_NS6detail17trampoline_kernelINS0_14default_configENS1_38merge_sort_block_merge_config_selectorIiiEEZZNS1_27merge_sort_block_merge_implIS3_N6thrust23THRUST_200600_302600_NS6detail15normal_iteratorINS8_10device_ptrIiEEEESD_jNS1_19radix_merge_compareILb1ELb0EiNS0_19identity_decomposerEEEEE10hipError_tT0_T1_T2_jT3_P12ihipStream_tbPNSt15iterator_traitsISI_E10value_typeEPNSO_ISJ_E10value_typeEPSK_NS1_7vsmem_tEENKUlT_SI_SJ_SK_E_clIPiSD_S10_SD_EESH_SX_SI_SJ_SK_EUlSX_E_NS1_11comp_targetILNS1_3genE2ELNS1_11target_archE906ELNS1_3gpuE6ELNS1_3repE0EEENS1_48merge_mergepath_partition_config_static_selectorELNS0_4arch9wavefront6targetE1EEEvSJ_,@function
_ZN7rocprim17ROCPRIM_400000_NS6detail17trampoline_kernelINS0_14default_configENS1_38merge_sort_block_merge_config_selectorIiiEEZZNS1_27merge_sort_block_merge_implIS3_N6thrust23THRUST_200600_302600_NS6detail15normal_iteratorINS8_10device_ptrIiEEEESD_jNS1_19radix_merge_compareILb1ELb0EiNS0_19identity_decomposerEEEEE10hipError_tT0_T1_T2_jT3_P12ihipStream_tbPNSt15iterator_traitsISI_E10value_typeEPNSO_ISJ_E10value_typeEPSK_NS1_7vsmem_tEENKUlT_SI_SJ_SK_E_clIPiSD_S10_SD_EESH_SX_SI_SJ_SK_EUlSX_E_NS1_11comp_targetILNS1_3genE2ELNS1_11target_archE906ELNS1_3gpuE6ELNS1_3repE0EEENS1_48merge_mergepath_partition_config_static_selectorELNS0_4arch9wavefront6targetE1EEEvSJ_: ; @_ZN7rocprim17ROCPRIM_400000_NS6detail17trampoline_kernelINS0_14default_configENS1_38merge_sort_block_merge_config_selectorIiiEEZZNS1_27merge_sort_block_merge_implIS3_N6thrust23THRUST_200600_302600_NS6detail15normal_iteratorINS8_10device_ptrIiEEEESD_jNS1_19radix_merge_compareILb1ELb0EiNS0_19identity_decomposerEEEEE10hipError_tT0_T1_T2_jT3_P12ihipStream_tbPNSt15iterator_traitsISI_E10value_typeEPNSO_ISJ_E10value_typeEPSK_NS1_7vsmem_tEENKUlT_SI_SJ_SK_E_clIPiSD_S10_SD_EESH_SX_SI_SJ_SK_EUlSX_E_NS1_11comp_targetILNS1_3genE2ELNS1_11target_archE906ELNS1_3gpuE6ELNS1_3repE0EEENS1_48merge_mergepath_partition_config_static_selectorELNS0_4arch9wavefront6targetE1EEEvSJ_
; %bb.0:
	.section	.rodata,"a",@progbits
	.p2align	6, 0x0
	.amdhsa_kernel _ZN7rocprim17ROCPRIM_400000_NS6detail17trampoline_kernelINS0_14default_configENS1_38merge_sort_block_merge_config_selectorIiiEEZZNS1_27merge_sort_block_merge_implIS3_N6thrust23THRUST_200600_302600_NS6detail15normal_iteratorINS8_10device_ptrIiEEEESD_jNS1_19radix_merge_compareILb1ELb0EiNS0_19identity_decomposerEEEEE10hipError_tT0_T1_T2_jT3_P12ihipStream_tbPNSt15iterator_traitsISI_E10value_typeEPNSO_ISJ_E10value_typeEPSK_NS1_7vsmem_tEENKUlT_SI_SJ_SK_E_clIPiSD_S10_SD_EESH_SX_SI_SJ_SK_EUlSX_E_NS1_11comp_targetILNS1_3genE2ELNS1_11target_archE906ELNS1_3gpuE6ELNS1_3repE0EEENS1_48merge_mergepath_partition_config_static_selectorELNS0_4arch9wavefront6targetE1EEEvSJ_
		.amdhsa_group_segment_fixed_size 0
		.amdhsa_private_segment_fixed_size 0
		.amdhsa_kernarg_size 40
		.amdhsa_user_sgpr_count 2
		.amdhsa_user_sgpr_dispatch_ptr 0
		.amdhsa_user_sgpr_queue_ptr 0
		.amdhsa_user_sgpr_kernarg_segment_ptr 1
		.amdhsa_user_sgpr_dispatch_id 0
		.amdhsa_user_sgpr_kernarg_preload_length 0
		.amdhsa_user_sgpr_kernarg_preload_offset 0
		.amdhsa_user_sgpr_private_segment_size 0
		.amdhsa_uses_dynamic_stack 0
		.amdhsa_enable_private_segment 0
		.amdhsa_system_sgpr_workgroup_id_x 1
		.amdhsa_system_sgpr_workgroup_id_y 0
		.amdhsa_system_sgpr_workgroup_id_z 0
		.amdhsa_system_sgpr_workgroup_info 0
		.amdhsa_system_vgpr_workitem_id 0
		.amdhsa_next_free_vgpr 1
		.amdhsa_next_free_sgpr 0
		.amdhsa_accum_offset 4
		.amdhsa_reserve_vcc 0
		.amdhsa_float_round_mode_32 0
		.amdhsa_float_round_mode_16_64 0
		.amdhsa_float_denorm_mode_32 3
		.amdhsa_float_denorm_mode_16_64 3
		.amdhsa_dx10_clamp 1
		.amdhsa_ieee_mode 1
		.amdhsa_fp16_overflow 0
		.amdhsa_tg_split 0
		.amdhsa_exception_fp_ieee_invalid_op 0
		.amdhsa_exception_fp_denorm_src 0
		.amdhsa_exception_fp_ieee_div_zero 0
		.amdhsa_exception_fp_ieee_overflow 0
		.amdhsa_exception_fp_ieee_underflow 0
		.amdhsa_exception_fp_ieee_inexact 0
		.amdhsa_exception_int_div_zero 0
	.end_amdhsa_kernel
	.section	.text._ZN7rocprim17ROCPRIM_400000_NS6detail17trampoline_kernelINS0_14default_configENS1_38merge_sort_block_merge_config_selectorIiiEEZZNS1_27merge_sort_block_merge_implIS3_N6thrust23THRUST_200600_302600_NS6detail15normal_iteratorINS8_10device_ptrIiEEEESD_jNS1_19radix_merge_compareILb1ELb0EiNS0_19identity_decomposerEEEEE10hipError_tT0_T1_T2_jT3_P12ihipStream_tbPNSt15iterator_traitsISI_E10value_typeEPNSO_ISJ_E10value_typeEPSK_NS1_7vsmem_tEENKUlT_SI_SJ_SK_E_clIPiSD_S10_SD_EESH_SX_SI_SJ_SK_EUlSX_E_NS1_11comp_targetILNS1_3genE2ELNS1_11target_archE906ELNS1_3gpuE6ELNS1_3repE0EEENS1_48merge_mergepath_partition_config_static_selectorELNS0_4arch9wavefront6targetE1EEEvSJ_,"axG",@progbits,_ZN7rocprim17ROCPRIM_400000_NS6detail17trampoline_kernelINS0_14default_configENS1_38merge_sort_block_merge_config_selectorIiiEEZZNS1_27merge_sort_block_merge_implIS3_N6thrust23THRUST_200600_302600_NS6detail15normal_iteratorINS8_10device_ptrIiEEEESD_jNS1_19radix_merge_compareILb1ELb0EiNS0_19identity_decomposerEEEEE10hipError_tT0_T1_T2_jT3_P12ihipStream_tbPNSt15iterator_traitsISI_E10value_typeEPNSO_ISJ_E10value_typeEPSK_NS1_7vsmem_tEENKUlT_SI_SJ_SK_E_clIPiSD_S10_SD_EESH_SX_SI_SJ_SK_EUlSX_E_NS1_11comp_targetILNS1_3genE2ELNS1_11target_archE906ELNS1_3gpuE6ELNS1_3repE0EEENS1_48merge_mergepath_partition_config_static_selectorELNS0_4arch9wavefront6targetE1EEEvSJ_,comdat
.Lfunc_end890:
	.size	_ZN7rocprim17ROCPRIM_400000_NS6detail17trampoline_kernelINS0_14default_configENS1_38merge_sort_block_merge_config_selectorIiiEEZZNS1_27merge_sort_block_merge_implIS3_N6thrust23THRUST_200600_302600_NS6detail15normal_iteratorINS8_10device_ptrIiEEEESD_jNS1_19radix_merge_compareILb1ELb0EiNS0_19identity_decomposerEEEEE10hipError_tT0_T1_T2_jT3_P12ihipStream_tbPNSt15iterator_traitsISI_E10value_typeEPNSO_ISJ_E10value_typeEPSK_NS1_7vsmem_tEENKUlT_SI_SJ_SK_E_clIPiSD_S10_SD_EESH_SX_SI_SJ_SK_EUlSX_E_NS1_11comp_targetILNS1_3genE2ELNS1_11target_archE906ELNS1_3gpuE6ELNS1_3repE0EEENS1_48merge_mergepath_partition_config_static_selectorELNS0_4arch9wavefront6targetE1EEEvSJ_, .Lfunc_end890-_ZN7rocprim17ROCPRIM_400000_NS6detail17trampoline_kernelINS0_14default_configENS1_38merge_sort_block_merge_config_selectorIiiEEZZNS1_27merge_sort_block_merge_implIS3_N6thrust23THRUST_200600_302600_NS6detail15normal_iteratorINS8_10device_ptrIiEEEESD_jNS1_19radix_merge_compareILb1ELb0EiNS0_19identity_decomposerEEEEE10hipError_tT0_T1_T2_jT3_P12ihipStream_tbPNSt15iterator_traitsISI_E10value_typeEPNSO_ISJ_E10value_typeEPSK_NS1_7vsmem_tEENKUlT_SI_SJ_SK_E_clIPiSD_S10_SD_EESH_SX_SI_SJ_SK_EUlSX_E_NS1_11comp_targetILNS1_3genE2ELNS1_11target_archE906ELNS1_3gpuE6ELNS1_3repE0EEENS1_48merge_mergepath_partition_config_static_selectorELNS0_4arch9wavefront6targetE1EEEvSJ_
                                        ; -- End function
	.set _ZN7rocprim17ROCPRIM_400000_NS6detail17trampoline_kernelINS0_14default_configENS1_38merge_sort_block_merge_config_selectorIiiEEZZNS1_27merge_sort_block_merge_implIS3_N6thrust23THRUST_200600_302600_NS6detail15normal_iteratorINS8_10device_ptrIiEEEESD_jNS1_19radix_merge_compareILb1ELb0EiNS0_19identity_decomposerEEEEE10hipError_tT0_T1_T2_jT3_P12ihipStream_tbPNSt15iterator_traitsISI_E10value_typeEPNSO_ISJ_E10value_typeEPSK_NS1_7vsmem_tEENKUlT_SI_SJ_SK_E_clIPiSD_S10_SD_EESH_SX_SI_SJ_SK_EUlSX_E_NS1_11comp_targetILNS1_3genE2ELNS1_11target_archE906ELNS1_3gpuE6ELNS1_3repE0EEENS1_48merge_mergepath_partition_config_static_selectorELNS0_4arch9wavefront6targetE1EEEvSJ_.num_vgpr, 0
	.set _ZN7rocprim17ROCPRIM_400000_NS6detail17trampoline_kernelINS0_14default_configENS1_38merge_sort_block_merge_config_selectorIiiEEZZNS1_27merge_sort_block_merge_implIS3_N6thrust23THRUST_200600_302600_NS6detail15normal_iteratorINS8_10device_ptrIiEEEESD_jNS1_19radix_merge_compareILb1ELb0EiNS0_19identity_decomposerEEEEE10hipError_tT0_T1_T2_jT3_P12ihipStream_tbPNSt15iterator_traitsISI_E10value_typeEPNSO_ISJ_E10value_typeEPSK_NS1_7vsmem_tEENKUlT_SI_SJ_SK_E_clIPiSD_S10_SD_EESH_SX_SI_SJ_SK_EUlSX_E_NS1_11comp_targetILNS1_3genE2ELNS1_11target_archE906ELNS1_3gpuE6ELNS1_3repE0EEENS1_48merge_mergepath_partition_config_static_selectorELNS0_4arch9wavefront6targetE1EEEvSJ_.num_agpr, 0
	.set _ZN7rocprim17ROCPRIM_400000_NS6detail17trampoline_kernelINS0_14default_configENS1_38merge_sort_block_merge_config_selectorIiiEEZZNS1_27merge_sort_block_merge_implIS3_N6thrust23THRUST_200600_302600_NS6detail15normal_iteratorINS8_10device_ptrIiEEEESD_jNS1_19radix_merge_compareILb1ELb0EiNS0_19identity_decomposerEEEEE10hipError_tT0_T1_T2_jT3_P12ihipStream_tbPNSt15iterator_traitsISI_E10value_typeEPNSO_ISJ_E10value_typeEPSK_NS1_7vsmem_tEENKUlT_SI_SJ_SK_E_clIPiSD_S10_SD_EESH_SX_SI_SJ_SK_EUlSX_E_NS1_11comp_targetILNS1_3genE2ELNS1_11target_archE906ELNS1_3gpuE6ELNS1_3repE0EEENS1_48merge_mergepath_partition_config_static_selectorELNS0_4arch9wavefront6targetE1EEEvSJ_.numbered_sgpr, 0
	.set _ZN7rocprim17ROCPRIM_400000_NS6detail17trampoline_kernelINS0_14default_configENS1_38merge_sort_block_merge_config_selectorIiiEEZZNS1_27merge_sort_block_merge_implIS3_N6thrust23THRUST_200600_302600_NS6detail15normal_iteratorINS8_10device_ptrIiEEEESD_jNS1_19radix_merge_compareILb1ELb0EiNS0_19identity_decomposerEEEEE10hipError_tT0_T1_T2_jT3_P12ihipStream_tbPNSt15iterator_traitsISI_E10value_typeEPNSO_ISJ_E10value_typeEPSK_NS1_7vsmem_tEENKUlT_SI_SJ_SK_E_clIPiSD_S10_SD_EESH_SX_SI_SJ_SK_EUlSX_E_NS1_11comp_targetILNS1_3genE2ELNS1_11target_archE906ELNS1_3gpuE6ELNS1_3repE0EEENS1_48merge_mergepath_partition_config_static_selectorELNS0_4arch9wavefront6targetE1EEEvSJ_.num_named_barrier, 0
	.set _ZN7rocprim17ROCPRIM_400000_NS6detail17trampoline_kernelINS0_14default_configENS1_38merge_sort_block_merge_config_selectorIiiEEZZNS1_27merge_sort_block_merge_implIS3_N6thrust23THRUST_200600_302600_NS6detail15normal_iteratorINS8_10device_ptrIiEEEESD_jNS1_19radix_merge_compareILb1ELb0EiNS0_19identity_decomposerEEEEE10hipError_tT0_T1_T2_jT3_P12ihipStream_tbPNSt15iterator_traitsISI_E10value_typeEPNSO_ISJ_E10value_typeEPSK_NS1_7vsmem_tEENKUlT_SI_SJ_SK_E_clIPiSD_S10_SD_EESH_SX_SI_SJ_SK_EUlSX_E_NS1_11comp_targetILNS1_3genE2ELNS1_11target_archE906ELNS1_3gpuE6ELNS1_3repE0EEENS1_48merge_mergepath_partition_config_static_selectorELNS0_4arch9wavefront6targetE1EEEvSJ_.private_seg_size, 0
	.set _ZN7rocprim17ROCPRIM_400000_NS6detail17trampoline_kernelINS0_14default_configENS1_38merge_sort_block_merge_config_selectorIiiEEZZNS1_27merge_sort_block_merge_implIS3_N6thrust23THRUST_200600_302600_NS6detail15normal_iteratorINS8_10device_ptrIiEEEESD_jNS1_19radix_merge_compareILb1ELb0EiNS0_19identity_decomposerEEEEE10hipError_tT0_T1_T2_jT3_P12ihipStream_tbPNSt15iterator_traitsISI_E10value_typeEPNSO_ISJ_E10value_typeEPSK_NS1_7vsmem_tEENKUlT_SI_SJ_SK_E_clIPiSD_S10_SD_EESH_SX_SI_SJ_SK_EUlSX_E_NS1_11comp_targetILNS1_3genE2ELNS1_11target_archE906ELNS1_3gpuE6ELNS1_3repE0EEENS1_48merge_mergepath_partition_config_static_selectorELNS0_4arch9wavefront6targetE1EEEvSJ_.uses_vcc, 0
	.set _ZN7rocprim17ROCPRIM_400000_NS6detail17trampoline_kernelINS0_14default_configENS1_38merge_sort_block_merge_config_selectorIiiEEZZNS1_27merge_sort_block_merge_implIS3_N6thrust23THRUST_200600_302600_NS6detail15normal_iteratorINS8_10device_ptrIiEEEESD_jNS1_19radix_merge_compareILb1ELb0EiNS0_19identity_decomposerEEEEE10hipError_tT0_T1_T2_jT3_P12ihipStream_tbPNSt15iterator_traitsISI_E10value_typeEPNSO_ISJ_E10value_typeEPSK_NS1_7vsmem_tEENKUlT_SI_SJ_SK_E_clIPiSD_S10_SD_EESH_SX_SI_SJ_SK_EUlSX_E_NS1_11comp_targetILNS1_3genE2ELNS1_11target_archE906ELNS1_3gpuE6ELNS1_3repE0EEENS1_48merge_mergepath_partition_config_static_selectorELNS0_4arch9wavefront6targetE1EEEvSJ_.uses_flat_scratch, 0
	.set _ZN7rocprim17ROCPRIM_400000_NS6detail17trampoline_kernelINS0_14default_configENS1_38merge_sort_block_merge_config_selectorIiiEEZZNS1_27merge_sort_block_merge_implIS3_N6thrust23THRUST_200600_302600_NS6detail15normal_iteratorINS8_10device_ptrIiEEEESD_jNS1_19radix_merge_compareILb1ELb0EiNS0_19identity_decomposerEEEEE10hipError_tT0_T1_T2_jT3_P12ihipStream_tbPNSt15iterator_traitsISI_E10value_typeEPNSO_ISJ_E10value_typeEPSK_NS1_7vsmem_tEENKUlT_SI_SJ_SK_E_clIPiSD_S10_SD_EESH_SX_SI_SJ_SK_EUlSX_E_NS1_11comp_targetILNS1_3genE2ELNS1_11target_archE906ELNS1_3gpuE6ELNS1_3repE0EEENS1_48merge_mergepath_partition_config_static_selectorELNS0_4arch9wavefront6targetE1EEEvSJ_.has_dyn_sized_stack, 0
	.set _ZN7rocprim17ROCPRIM_400000_NS6detail17trampoline_kernelINS0_14default_configENS1_38merge_sort_block_merge_config_selectorIiiEEZZNS1_27merge_sort_block_merge_implIS3_N6thrust23THRUST_200600_302600_NS6detail15normal_iteratorINS8_10device_ptrIiEEEESD_jNS1_19radix_merge_compareILb1ELb0EiNS0_19identity_decomposerEEEEE10hipError_tT0_T1_T2_jT3_P12ihipStream_tbPNSt15iterator_traitsISI_E10value_typeEPNSO_ISJ_E10value_typeEPSK_NS1_7vsmem_tEENKUlT_SI_SJ_SK_E_clIPiSD_S10_SD_EESH_SX_SI_SJ_SK_EUlSX_E_NS1_11comp_targetILNS1_3genE2ELNS1_11target_archE906ELNS1_3gpuE6ELNS1_3repE0EEENS1_48merge_mergepath_partition_config_static_selectorELNS0_4arch9wavefront6targetE1EEEvSJ_.has_recursion, 0
	.set _ZN7rocprim17ROCPRIM_400000_NS6detail17trampoline_kernelINS0_14default_configENS1_38merge_sort_block_merge_config_selectorIiiEEZZNS1_27merge_sort_block_merge_implIS3_N6thrust23THRUST_200600_302600_NS6detail15normal_iteratorINS8_10device_ptrIiEEEESD_jNS1_19radix_merge_compareILb1ELb0EiNS0_19identity_decomposerEEEEE10hipError_tT0_T1_T2_jT3_P12ihipStream_tbPNSt15iterator_traitsISI_E10value_typeEPNSO_ISJ_E10value_typeEPSK_NS1_7vsmem_tEENKUlT_SI_SJ_SK_E_clIPiSD_S10_SD_EESH_SX_SI_SJ_SK_EUlSX_E_NS1_11comp_targetILNS1_3genE2ELNS1_11target_archE906ELNS1_3gpuE6ELNS1_3repE0EEENS1_48merge_mergepath_partition_config_static_selectorELNS0_4arch9wavefront6targetE1EEEvSJ_.has_indirect_call, 0
	.section	.AMDGPU.csdata,"",@progbits
; Kernel info:
; codeLenInByte = 0
; TotalNumSgprs: 6
; NumVgprs: 0
; NumAgprs: 0
; TotalNumVgprs: 0
; ScratchSize: 0
; MemoryBound: 0
; FloatMode: 240
; IeeeMode: 1
; LDSByteSize: 0 bytes/workgroup (compile time only)
; SGPRBlocks: 0
; VGPRBlocks: 0
; NumSGPRsForWavesPerEU: 6
; NumVGPRsForWavesPerEU: 1
; AccumOffset: 4
; Occupancy: 8
; WaveLimiterHint : 0
; COMPUTE_PGM_RSRC2:SCRATCH_EN: 0
; COMPUTE_PGM_RSRC2:USER_SGPR: 2
; COMPUTE_PGM_RSRC2:TRAP_HANDLER: 0
; COMPUTE_PGM_RSRC2:TGID_X_EN: 1
; COMPUTE_PGM_RSRC2:TGID_Y_EN: 0
; COMPUTE_PGM_RSRC2:TGID_Z_EN: 0
; COMPUTE_PGM_RSRC2:TIDIG_COMP_CNT: 0
; COMPUTE_PGM_RSRC3_GFX90A:ACCUM_OFFSET: 0
; COMPUTE_PGM_RSRC3_GFX90A:TG_SPLIT: 0
	.section	.text._ZN7rocprim17ROCPRIM_400000_NS6detail17trampoline_kernelINS0_14default_configENS1_38merge_sort_block_merge_config_selectorIiiEEZZNS1_27merge_sort_block_merge_implIS3_N6thrust23THRUST_200600_302600_NS6detail15normal_iteratorINS8_10device_ptrIiEEEESD_jNS1_19radix_merge_compareILb1ELb0EiNS0_19identity_decomposerEEEEE10hipError_tT0_T1_T2_jT3_P12ihipStream_tbPNSt15iterator_traitsISI_E10value_typeEPNSO_ISJ_E10value_typeEPSK_NS1_7vsmem_tEENKUlT_SI_SJ_SK_E_clIPiSD_S10_SD_EESH_SX_SI_SJ_SK_EUlSX_E_NS1_11comp_targetILNS1_3genE9ELNS1_11target_archE1100ELNS1_3gpuE3ELNS1_3repE0EEENS1_48merge_mergepath_partition_config_static_selectorELNS0_4arch9wavefront6targetE1EEEvSJ_,"axG",@progbits,_ZN7rocprim17ROCPRIM_400000_NS6detail17trampoline_kernelINS0_14default_configENS1_38merge_sort_block_merge_config_selectorIiiEEZZNS1_27merge_sort_block_merge_implIS3_N6thrust23THRUST_200600_302600_NS6detail15normal_iteratorINS8_10device_ptrIiEEEESD_jNS1_19radix_merge_compareILb1ELb0EiNS0_19identity_decomposerEEEEE10hipError_tT0_T1_T2_jT3_P12ihipStream_tbPNSt15iterator_traitsISI_E10value_typeEPNSO_ISJ_E10value_typeEPSK_NS1_7vsmem_tEENKUlT_SI_SJ_SK_E_clIPiSD_S10_SD_EESH_SX_SI_SJ_SK_EUlSX_E_NS1_11comp_targetILNS1_3genE9ELNS1_11target_archE1100ELNS1_3gpuE3ELNS1_3repE0EEENS1_48merge_mergepath_partition_config_static_selectorELNS0_4arch9wavefront6targetE1EEEvSJ_,comdat
	.protected	_ZN7rocprim17ROCPRIM_400000_NS6detail17trampoline_kernelINS0_14default_configENS1_38merge_sort_block_merge_config_selectorIiiEEZZNS1_27merge_sort_block_merge_implIS3_N6thrust23THRUST_200600_302600_NS6detail15normal_iteratorINS8_10device_ptrIiEEEESD_jNS1_19radix_merge_compareILb1ELb0EiNS0_19identity_decomposerEEEEE10hipError_tT0_T1_T2_jT3_P12ihipStream_tbPNSt15iterator_traitsISI_E10value_typeEPNSO_ISJ_E10value_typeEPSK_NS1_7vsmem_tEENKUlT_SI_SJ_SK_E_clIPiSD_S10_SD_EESH_SX_SI_SJ_SK_EUlSX_E_NS1_11comp_targetILNS1_3genE9ELNS1_11target_archE1100ELNS1_3gpuE3ELNS1_3repE0EEENS1_48merge_mergepath_partition_config_static_selectorELNS0_4arch9wavefront6targetE1EEEvSJ_ ; -- Begin function _ZN7rocprim17ROCPRIM_400000_NS6detail17trampoline_kernelINS0_14default_configENS1_38merge_sort_block_merge_config_selectorIiiEEZZNS1_27merge_sort_block_merge_implIS3_N6thrust23THRUST_200600_302600_NS6detail15normal_iteratorINS8_10device_ptrIiEEEESD_jNS1_19radix_merge_compareILb1ELb0EiNS0_19identity_decomposerEEEEE10hipError_tT0_T1_T2_jT3_P12ihipStream_tbPNSt15iterator_traitsISI_E10value_typeEPNSO_ISJ_E10value_typeEPSK_NS1_7vsmem_tEENKUlT_SI_SJ_SK_E_clIPiSD_S10_SD_EESH_SX_SI_SJ_SK_EUlSX_E_NS1_11comp_targetILNS1_3genE9ELNS1_11target_archE1100ELNS1_3gpuE3ELNS1_3repE0EEENS1_48merge_mergepath_partition_config_static_selectorELNS0_4arch9wavefront6targetE1EEEvSJ_
	.globl	_ZN7rocprim17ROCPRIM_400000_NS6detail17trampoline_kernelINS0_14default_configENS1_38merge_sort_block_merge_config_selectorIiiEEZZNS1_27merge_sort_block_merge_implIS3_N6thrust23THRUST_200600_302600_NS6detail15normal_iteratorINS8_10device_ptrIiEEEESD_jNS1_19radix_merge_compareILb1ELb0EiNS0_19identity_decomposerEEEEE10hipError_tT0_T1_T2_jT3_P12ihipStream_tbPNSt15iterator_traitsISI_E10value_typeEPNSO_ISJ_E10value_typeEPSK_NS1_7vsmem_tEENKUlT_SI_SJ_SK_E_clIPiSD_S10_SD_EESH_SX_SI_SJ_SK_EUlSX_E_NS1_11comp_targetILNS1_3genE9ELNS1_11target_archE1100ELNS1_3gpuE3ELNS1_3repE0EEENS1_48merge_mergepath_partition_config_static_selectorELNS0_4arch9wavefront6targetE1EEEvSJ_
	.p2align	8
	.type	_ZN7rocprim17ROCPRIM_400000_NS6detail17trampoline_kernelINS0_14default_configENS1_38merge_sort_block_merge_config_selectorIiiEEZZNS1_27merge_sort_block_merge_implIS3_N6thrust23THRUST_200600_302600_NS6detail15normal_iteratorINS8_10device_ptrIiEEEESD_jNS1_19radix_merge_compareILb1ELb0EiNS0_19identity_decomposerEEEEE10hipError_tT0_T1_T2_jT3_P12ihipStream_tbPNSt15iterator_traitsISI_E10value_typeEPNSO_ISJ_E10value_typeEPSK_NS1_7vsmem_tEENKUlT_SI_SJ_SK_E_clIPiSD_S10_SD_EESH_SX_SI_SJ_SK_EUlSX_E_NS1_11comp_targetILNS1_3genE9ELNS1_11target_archE1100ELNS1_3gpuE3ELNS1_3repE0EEENS1_48merge_mergepath_partition_config_static_selectorELNS0_4arch9wavefront6targetE1EEEvSJ_,@function
_ZN7rocprim17ROCPRIM_400000_NS6detail17trampoline_kernelINS0_14default_configENS1_38merge_sort_block_merge_config_selectorIiiEEZZNS1_27merge_sort_block_merge_implIS3_N6thrust23THRUST_200600_302600_NS6detail15normal_iteratorINS8_10device_ptrIiEEEESD_jNS1_19radix_merge_compareILb1ELb0EiNS0_19identity_decomposerEEEEE10hipError_tT0_T1_T2_jT3_P12ihipStream_tbPNSt15iterator_traitsISI_E10value_typeEPNSO_ISJ_E10value_typeEPSK_NS1_7vsmem_tEENKUlT_SI_SJ_SK_E_clIPiSD_S10_SD_EESH_SX_SI_SJ_SK_EUlSX_E_NS1_11comp_targetILNS1_3genE9ELNS1_11target_archE1100ELNS1_3gpuE3ELNS1_3repE0EEENS1_48merge_mergepath_partition_config_static_selectorELNS0_4arch9wavefront6targetE1EEEvSJ_: ; @_ZN7rocprim17ROCPRIM_400000_NS6detail17trampoline_kernelINS0_14default_configENS1_38merge_sort_block_merge_config_selectorIiiEEZZNS1_27merge_sort_block_merge_implIS3_N6thrust23THRUST_200600_302600_NS6detail15normal_iteratorINS8_10device_ptrIiEEEESD_jNS1_19radix_merge_compareILb1ELb0EiNS0_19identity_decomposerEEEEE10hipError_tT0_T1_T2_jT3_P12ihipStream_tbPNSt15iterator_traitsISI_E10value_typeEPNSO_ISJ_E10value_typeEPSK_NS1_7vsmem_tEENKUlT_SI_SJ_SK_E_clIPiSD_S10_SD_EESH_SX_SI_SJ_SK_EUlSX_E_NS1_11comp_targetILNS1_3genE9ELNS1_11target_archE1100ELNS1_3gpuE3ELNS1_3repE0EEENS1_48merge_mergepath_partition_config_static_selectorELNS0_4arch9wavefront6targetE1EEEvSJ_
; %bb.0:
	.section	.rodata,"a",@progbits
	.p2align	6, 0x0
	.amdhsa_kernel _ZN7rocprim17ROCPRIM_400000_NS6detail17trampoline_kernelINS0_14default_configENS1_38merge_sort_block_merge_config_selectorIiiEEZZNS1_27merge_sort_block_merge_implIS3_N6thrust23THRUST_200600_302600_NS6detail15normal_iteratorINS8_10device_ptrIiEEEESD_jNS1_19radix_merge_compareILb1ELb0EiNS0_19identity_decomposerEEEEE10hipError_tT0_T1_T2_jT3_P12ihipStream_tbPNSt15iterator_traitsISI_E10value_typeEPNSO_ISJ_E10value_typeEPSK_NS1_7vsmem_tEENKUlT_SI_SJ_SK_E_clIPiSD_S10_SD_EESH_SX_SI_SJ_SK_EUlSX_E_NS1_11comp_targetILNS1_3genE9ELNS1_11target_archE1100ELNS1_3gpuE3ELNS1_3repE0EEENS1_48merge_mergepath_partition_config_static_selectorELNS0_4arch9wavefront6targetE1EEEvSJ_
		.amdhsa_group_segment_fixed_size 0
		.amdhsa_private_segment_fixed_size 0
		.amdhsa_kernarg_size 40
		.amdhsa_user_sgpr_count 2
		.amdhsa_user_sgpr_dispatch_ptr 0
		.amdhsa_user_sgpr_queue_ptr 0
		.amdhsa_user_sgpr_kernarg_segment_ptr 1
		.amdhsa_user_sgpr_dispatch_id 0
		.amdhsa_user_sgpr_kernarg_preload_length 0
		.amdhsa_user_sgpr_kernarg_preload_offset 0
		.amdhsa_user_sgpr_private_segment_size 0
		.amdhsa_uses_dynamic_stack 0
		.amdhsa_enable_private_segment 0
		.amdhsa_system_sgpr_workgroup_id_x 1
		.amdhsa_system_sgpr_workgroup_id_y 0
		.amdhsa_system_sgpr_workgroup_id_z 0
		.amdhsa_system_sgpr_workgroup_info 0
		.amdhsa_system_vgpr_workitem_id 0
		.amdhsa_next_free_vgpr 1
		.amdhsa_next_free_sgpr 0
		.amdhsa_accum_offset 4
		.amdhsa_reserve_vcc 0
		.amdhsa_float_round_mode_32 0
		.amdhsa_float_round_mode_16_64 0
		.amdhsa_float_denorm_mode_32 3
		.amdhsa_float_denorm_mode_16_64 3
		.amdhsa_dx10_clamp 1
		.amdhsa_ieee_mode 1
		.amdhsa_fp16_overflow 0
		.amdhsa_tg_split 0
		.amdhsa_exception_fp_ieee_invalid_op 0
		.amdhsa_exception_fp_denorm_src 0
		.amdhsa_exception_fp_ieee_div_zero 0
		.amdhsa_exception_fp_ieee_overflow 0
		.amdhsa_exception_fp_ieee_underflow 0
		.amdhsa_exception_fp_ieee_inexact 0
		.amdhsa_exception_int_div_zero 0
	.end_amdhsa_kernel
	.section	.text._ZN7rocprim17ROCPRIM_400000_NS6detail17trampoline_kernelINS0_14default_configENS1_38merge_sort_block_merge_config_selectorIiiEEZZNS1_27merge_sort_block_merge_implIS3_N6thrust23THRUST_200600_302600_NS6detail15normal_iteratorINS8_10device_ptrIiEEEESD_jNS1_19radix_merge_compareILb1ELb0EiNS0_19identity_decomposerEEEEE10hipError_tT0_T1_T2_jT3_P12ihipStream_tbPNSt15iterator_traitsISI_E10value_typeEPNSO_ISJ_E10value_typeEPSK_NS1_7vsmem_tEENKUlT_SI_SJ_SK_E_clIPiSD_S10_SD_EESH_SX_SI_SJ_SK_EUlSX_E_NS1_11comp_targetILNS1_3genE9ELNS1_11target_archE1100ELNS1_3gpuE3ELNS1_3repE0EEENS1_48merge_mergepath_partition_config_static_selectorELNS0_4arch9wavefront6targetE1EEEvSJ_,"axG",@progbits,_ZN7rocprim17ROCPRIM_400000_NS6detail17trampoline_kernelINS0_14default_configENS1_38merge_sort_block_merge_config_selectorIiiEEZZNS1_27merge_sort_block_merge_implIS3_N6thrust23THRUST_200600_302600_NS6detail15normal_iteratorINS8_10device_ptrIiEEEESD_jNS1_19radix_merge_compareILb1ELb0EiNS0_19identity_decomposerEEEEE10hipError_tT0_T1_T2_jT3_P12ihipStream_tbPNSt15iterator_traitsISI_E10value_typeEPNSO_ISJ_E10value_typeEPSK_NS1_7vsmem_tEENKUlT_SI_SJ_SK_E_clIPiSD_S10_SD_EESH_SX_SI_SJ_SK_EUlSX_E_NS1_11comp_targetILNS1_3genE9ELNS1_11target_archE1100ELNS1_3gpuE3ELNS1_3repE0EEENS1_48merge_mergepath_partition_config_static_selectorELNS0_4arch9wavefront6targetE1EEEvSJ_,comdat
.Lfunc_end891:
	.size	_ZN7rocprim17ROCPRIM_400000_NS6detail17trampoline_kernelINS0_14default_configENS1_38merge_sort_block_merge_config_selectorIiiEEZZNS1_27merge_sort_block_merge_implIS3_N6thrust23THRUST_200600_302600_NS6detail15normal_iteratorINS8_10device_ptrIiEEEESD_jNS1_19radix_merge_compareILb1ELb0EiNS0_19identity_decomposerEEEEE10hipError_tT0_T1_T2_jT3_P12ihipStream_tbPNSt15iterator_traitsISI_E10value_typeEPNSO_ISJ_E10value_typeEPSK_NS1_7vsmem_tEENKUlT_SI_SJ_SK_E_clIPiSD_S10_SD_EESH_SX_SI_SJ_SK_EUlSX_E_NS1_11comp_targetILNS1_3genE9ELNS1_11target_archE1100ELNS1_3gpuE3ELNS1_3repE0EEENS1_48merge_mergepath_partition_config_static_selectorELNS0_4arch9wavefront6targetE1EEEvSJ_, .Lfunc_end891-_ZN7rocprim17ROCPRIM_400000_NS6detail17trampoline_kernelINS0_14default_configENS1_38merge_sort_block_merge_config_selectorIiiEEZZNS1_27merge_sort_block_merge_implIS3_N6thrust23THRUST_200600_302600_NS6detail15normal_iteratorINS8_10device_ptrIiEEEESD_jNS1_19radix_merge_compareILb1ELb0EiNS0_19identity_decomposerEEEEE10hipError_tT0_T1_T2_jT3_P12ihipStream_tbPNSt15iterator_traitsISI_E10value_typeEPNSO_ISJ_E10value_typeEPSK_NS1_7vsmem_tEENKUlT_SI_SJ_SK_E_clIPiSD_S10_SD_EESH_SX_SI_SJ_SK_EUlSX_E_NS1_11comp_targetILNS1_3genE9ELNS1_11target_archE1100ELNS1_3gpuE3ELNS1_3repE0EEENS1_48merge_mergepath_partition_config_static_selectorELNS0_4arch9wavefront6targetE1EEEvSJ_
                                        ; -- End function
	.set _ZN7rocprim17ROCPRIM_400000_NS6detail17trampoline_kernelINS0_14default_configENS1_38merge_sort_block_merge_config_selectorIiiEEZZNS1_27merge_sort_block_merge_implIS3_N6thrust23THRUST_200600_302600_NS6detail15normal_iteratorINS8_10device_ptrIiEEEESD_jNS1_19radix_merge_compareILb1ELb0EiNS0_19identity_decomposerEEEEE10hipError_tT0_T1_T2_jT3_P12ihipStream_tbPNSt15iterator_traitsISI_E10value_typeEPNSO_ISJ_E10value_typeEPSK_NS1_7vsmem_tEENKUlT_SI_SJ_SK_E_clIPiSD_S10_SD_EESH_SX_SI_SJ_SK_EUlSX_E_NS1_11comp_targetILNS1_3genE9ELNS1_11target_archE1100ELNS1_3gpuE3ELNS1_3repE0EEENS1_48merge_mergepath_partition_config_static_selectorELNS0_4arch9wavefront6targetE1EEEvSJ_.num_vgpr, 0
	.set _ZN7rocprim17ROCPRIM_400000_NS6detail17trampoline_kernelINS0_14default_configENS1_38merge_sort_block_merge_config_selectorIiiEEZZNS1_27merge_sort_block_merge_implIS3_N6thrust23THRUST_200600_302600_NS6detail15normal_iteratorINS8_10device_ptrIiEEEESD_jNS1_19radix_merge_compareILb1ELb0EiNS0_19identity_decomposerEEEEE10hipError_tT0_T1_T2_jT3_P12ihipStream_tbPNSt15iterator_traitsISI_E10value_typeEPNSO_ISJ_E10value_typeEPSK_NS1_7vsmem_tEENKUlT_SI_SJ_SK_E_clIPiSD_S10_SD_EESH_SX_SI_SJ_SK_EUlSX_E_NS1_11comp_targetILNS1_3genE9ELNS1_11target_archE1100ELNS1_3gpuE3ELNS1_3repE0EEENS1_48merge_mergepath_partition_config_static_selectorELNS0_4arch9wavefront6targetE1EEEvSJ_.num_agpr, 0
	.set _ZN7rocprim17ROCPRIM_400000_NS6detail17trampoline_kernelINS0_14default_configENS1_38merge_sort_block_merge_config_selectorIiiEEZZNS1_27merge_sort_block_merge_implIS3_N6thrust23THRUST_200600_302600_NS6detail15normal_iteratorINS8_10device_ptrIiEEEESD_jNS1_19radix_merge_compareILb1ELb0EiNS0_19identity_decomposerEEEEE10hipError_tT0_T1_T2_jT3_P12ihipStream_tbPNSt15iterator_traitsISI_E10value_typeEPNSO_ISJ_E10value_typeEPSK_NS1_7vsmem_tEENKUlT_SI_SJ_SK_E_clIPiSD_S10_SD_EESH_SX_SI_SJ_SK_EUlSX_E_NS1_11comp_targetILNS1_3genE9ELNS1_11target_archE1100ELNS1_3gpuE3ELNS1_3repE0EEENS1_48merge_mergepath_partition_config_static_selectorELNS0_4arch9wavefront6targetE1EEEvSJ_.numbered_sgpr, 0
	.set _ZN7rocprim17ROCPRIM_400000_NS6detail17trampoline_kernelINS0_14default_configENS1_38merge_sort_block_merge_config_selectorIiiEEZZNS1_27merge_sort_block_merge_implIS3_N6thrust23THRUST_200600_302600_NS6detail15normal_iteratorINS8_10device_ptrIiEEEESD_jNS1_19radix_merge_compareILb1ELb0EiNS0_19identity_decomposerEEEEE10hipError_tT0_T1_T2_jT3_P12ihipStream_tbPNSt15iterator_traitsISI_E10value_typeEPNSO_ISJ_E10value_typeEPSK_NS1_7vsmem_tEENKUlT_SI_SJ_SK_E_clIPiSD_S10_SD_EESH_SX_SI_SJ_SK_EUlSX_E_NS1_11comp_targetILNS1_3genE9ELNS1_11target_archE1100ELNS1_3gpuE3ELNS1_3repE0EEENS1_48merge_mergepath_partition_config_static_selectorELNS0_4arch9wavefront6targetE1EEEvSJ_.num_named_barrier, 0
	.set _ZN7rocprim17ROCPRIM_400000_NS6detail17trampoline_kernelINS0_14default_configENS1_38merge_sort_block_merge_config_selectorIiiEEZZNS1_27merge_sort_block_merge_implIS3_N6thrust23THRUST_200600_302600_NS6detail15normal_iteratorINS8_10device_ptrIiEEEESD_jNS1_19radix_merge_compareILb1ELb0EiNS0_19identity_decomposerEEEEE10hipError_tT0_T1_T2_jT3_P12ihipStream_tbPNSt15iterator_traitsISI_E10value_typeEPNSO_ISJ_E10value_typeEPSK_NS1_7vsmem_tEENKUlT_SI_SJ_SK_E_clIPiSD_S10_SD_EESH_SX_SI_SJ_SK_EUlSX_E_NS1_11comp_targetILNS1_3genE9ELNS1_11target_archE1100ELNS1_3gpuE3ELNS1_3repE0EEENS1_48merge_mergepath_partition_config_static_selectorELNS0_4arch9wavefront6targetE1EEEvSJ_.private_seg_size, 0
	.set _ZN7rocprim17ROCPRIM_400000_NS6detail17trampoline_kernelINS0_14default_configENS1_38merge_sort_block_merge_config_selectorIiiEEZZNS1_27merge_sort_block_merge_implIS3_N6thrust23THRUST_200600_302600_NS6detail15normal_iteratorINS8_10device_ptrIiEEEESD_jNS1_19radix_merge_compareILb1ELb0EiNS0_19identity_decomposerEEEEE10hipError_tT0_T1_T2_jT3_P12ihipStream_tbPNSt15iterator_traitsISI_E10value_typeEPNSO_ISJ_E10value_typeEPSK_NS1_7vsmem_tEENKUlT_SI_SJ_SK_E_clIPiSD_S10_SD_EESH_SX_SI_SJ_SK_EUlSX_E_NS1_11comp_targetILNS1_3genE9ELNS1_11target_archE1100ELNS1_3gpuE3ELNS1_3repE0EEENS1_48merge_mergepath_partition_config_static_selectorELNS0_4arch9wavefront6targetE1EEEvSJ_.uses_vcc, 0
	.set _ZN7rocprim17ROCPRIM_400000_NS6detail17trampoline_kernelINS0_14default_configENS1_38merge_sort_block_merge_config_selectorIiiEEZZNS1_27merge_sort_block_merge_implIS3_N6thrust23THRUST_200600_302600_NS6detail15normal_iteratorINS8_10device_ptrIiEEEESD_jNS1_19radix_merge_compareILb1ELb0EiNS0_19identity_decomposerEEEEE10hipError_tT0_T1_T2_jT3_P12ihipStream_tbPNSt15iterator_traitsISI_E10value_typeEPNSO_ISJ_E10value_typeEPSK_NS1_7vsmem_tEENKUlT_SI_SJ_SK_E_clIPiSD_S10_SD_EESH_SX_SI_SJ_SK_EUlSX_E_NS1_11comp_targetILNS1_3genE9ELNS1_11target_archE1100ELNS1_3gpuE3ELNS1_3repE0EEENS1_48merge_mergepath_partition_config_static_selectorELNS0_4arch9wavefront6targetE1EEEvSJ_.uses_flat_scratch, 0
	.set _ZN7rocprim17ROCPRIM_400000_NS6detail17trampoline_kernelINS0_14default_configENS1_38merge_sort_block_merge_config_selectorIiiEEZZNS1_27merge_sort_block_merge_implIS3_N6thrust23THRUST_200600_302600_NS6detail15normal_iteratorINS8_10device_ptrIiEEEESD_jNS1_19radix_merge_compareILb1ELb0EiNS0_19identity_decomposerEEEEE10hipError_tT0_T1_T2_jT3_P12ihipStream_tbPNSt15iterator_traitsISI_E10value_typeEPNSO_ISJ_E10value_typeEPSK_NS1_7vsmem_tEENKUlT_SI_SJ_SK_E_clIPiSD_S10_SD_EESH_SX_SI_SJ_SK_EUlSX_E_NS1_11comp_targetILNS1_3genE9ELNS1_11target_archE1100ELNS1_3gpuE3ELNS1_3repE0EEENS1_48merge_mergepath_partition_config_static_selectorELNS0_4arch9wavefront6targetE1EEEvSJ_.has_dyn_sized_stack, 0
	.set _ZN7rocprim17ROCPRIM_400000_NS6detail17trampoline_kernelINS0_14default_configENS1_38merge_sort_block_merge_config_selectorIiiEEZZNS1_27merge_sort_block_merge_implIS3_N6thrust23THRUST_200600_302600_NS6detail15normal_iteratorINS8_10device_ptrIiEEEESD_jNS1_19radix_merge_compareILb1ELb0EiNS0_19identity_decomposerEEEEE10hipError_tT0_T1_T2_jT3_P12ihipStream_tbPNSt15iterator_traitsISI_E10value_typeEPNSO_ISJ_E10value_typeEPSK_NS1_7vsmem_tEENKUlT_SI_SJ_SK_E_clIPiSD_S10_SD_EESH_SX_SI_SJ_SK_EUlSX_E_NS1_11comp_targetILNS1_3genE9ELNS1_11target_archE1100ELNS1_3gpuE3ELNS1_3repE0EEENS1_48merge_mergepath_partition_config_static_selectorELNS0_4arch9wavefront6targetE1EEEvSJ_.has_recursion, 0
	.set _ZN7rocprim17ROCPRIM_400000_NS6detail17trampoline_kernelINS0_14default_configENS1_38merge_sort_block_merge_config_selectorIiiEEZZNS1_27merge_sort_block_merge_implIS3_N6thrust23THRUST_200600_302600_NS6detail15normal_iteratorINS8_10device_ptrIiEEEESD_jNS1_19radix_merge_compareILb1ELb0EiNS0_19identity_decomposerEEEEE10hipError_tT0_T1_T2_jT3_P12ihipStream_tbPNSt15iterator_traitsISI_E10value_typeEPNSO_ISJ_E10value_typeEPSK_NS1_7vsmem_tEENKUlT_SI_SJ_SK_E_clIPiSD_S10_SD_EESH_SX_SI_SJ_SK_EUlSX_E_NS1_11comp_targetILNS1_3genE9ELNS1_11target_archE1100ELNS1_3gpuE3ELNS1_3repE0EEENS1_48merge_mergepath_partition_config_static_selectorELNS0_4arch9wavefront6targetE1EEEvSJ_.has_indirect_call, 0
	.section	.AMDGPU.csdata,"",@progbits
; Kernel info:
; codeLenInByte = 0
; TotalNumSgprs: 6
; NumVgprs: 0
; NumAgprs: 0
; TotalNumVgprs: 0
; ScratchSize: 0
; MemoryBound: 0
; FloatMode: 240
; IeeeMode: 1
; LDSByteSize: 0 bytes/workgroup (compile time only)
; SGPRBlocks: 0
; VGPRBlocks: 0
; NumSGPRsForWavesPerEU: 6
; NumVGPRsForWavesPerEU: 1
; AccumOffset: 4
; Occupancy: 8
; WaveLimiterHint : 0
; COMPUTE_PGM_RSRC2:SCRATCH_EN: 0
; COMPUTE_PGM_RSRC2:USER_SGPR: 2
; COMPUTE_PGM_RSRC2:TRAP_HANDLER: 0
; COMPUTE_PGM_RSRC2:TGID_X_EN: 1
; COMPUTE_PGM_RSRC2:TGID_Y_EN: 0
; COMPUTE_PGM_RSRC2:TGID_Z_EN: 0
; COMPUTE_PGM_RSRC2:TIDIG_COMP_CNT: 0
; COMPUTE_PGM_RSRC3_GFX90A:ACCUM_OFFSET: 0
; COMPUTE_PGM_RSRC3_GFX90A:TG_SPLIT: 0
	.section	.text._ZN7rocprim17ROCPRIM_400000_NS6detail17trampoline_kernelINS0_14default_configENS1_38merge_sort_block_merge_config_selectorIiiEEZZNS1_27merge_sort_block_merge_implIS3_N6thrust23THRUST_200600_302600_NS6detail15normal_iteratorINS8_10device_ptrIiEEEESD_jNS1_19radix_merge_compareILb1ELb0EiNS0_19identity_decomposerEEEEE10hipError_tT0_T1_T2_jT3_P12ihipStream_tbPNSt15iterator_traitsISI_E10value_typeEPNSO_ISJ_E10value_typeEPSK_NS1_7vsmem_tEENKUlT_SI_SJ_SK_E_clIPiSD_S10_SD_EESH_SX_SI_SJ_SK_EUlSX_E_NS1_11comp_targetILNS1_3genE8ELNS1_11target_archE1030ELNS1_3gpuE2ELNS1_3repE0EEENS1_48merge_mergepath_partition_config_static_selectorELNS0_4arch9wavefront6targetE1EEEvSJ_,"axG",@progbits,_ZN7rocprim17ROCPRIM_400000_NS6detail17trampoline_kernelINS0_14default_configENS1_38merge_sort_block_merge_config_selectorIiiEEZZNS1_27merge_sort_block_merge_implIS3_N6thrust23THRUST_200600_302600_NS6detail15normal_iteratorINS8_10device_ptrIiEEEESD_jNS1_19radix_merge_compareILb1ELb0EiNS0_19identity_decomposerEEEEE10hipError_tT0_T1_T2_jT3_P12ihipStream_tbPNSt15iterator_traitsISI_E10value_typeEPNSO_ISJ_E10value_typeEPSK_NS1_7vsmem_tEENKUlT_SI_SJ_SK_E_clIPiSD_S10_SD_EESH_SX_SI_SJ_SK_EUlSX_E_NS1_11comp_targetILNS1_3genE8ELNS1_11target_archE1030ELNS1_3gpuE2ELNS1_3repE0EEENS1_48merge_mergepath_partition_config_static_selectorELNS0_4arch9wavefront6targetE1EEEvSJ_,comdat
	.protected	_ZN7rocprim17ROCPRIM_400000_NS6detail17trampoline_kernelINS0_14default_configENS1_38merge_sort_block_merge_config_selectorIiiEEZZNS1_27merge_sort_block_merge_implIS3_N6thrust23THRUST_200600_302600_NS6detail15normal_iteratorINS8_10device_ptrIiEEEESD_jNS1_19radix_merge_compareILb1ELb0EiNS0_19identity_decomposerEEEEE10hipError_tT0_T1_T2_jT3_P12ihipStream_tbPNSt15iterator_traitsISI_E10value_typeEPNSO_ISJ_E10value_typeEPSK_NS1_7vsmem_tEENKUlT_SI_SJ_SK_E_clIPiSD_S10_SD_EESH_SX_SI_SJ_SK_EUlSX_E_NS1_11comp_targetILNS1_3genE8ELNS1_11target_archE1030ELNS1_3gpuE2ELNS1_3repE0EEENS1_48merge_mergepath_partition_config_static_selectorELNS0_4arch9wavefront6targetE1EEEvSJ_ ; -- Begin function _ZN7rocprim17ROCPRIM_400000_NS6detail17trampoline_kernelINS0_14default_configENS1_38merge_sort_block_merge_config_selectorIiiEEZZNS1_27merge_sort_block_merge_implIS3_N6thrust23THRUST_200600_302600_NS6detail15normal_iteratorINS8_10device_ptrIiEEEESD_jNS1_19radix_merge_compareILb1ELb0EiNS0_19identity_decomposerEEEEE10hipError_tT0_T1_T2_jT3_P12ihipStream_tbPNSt15iterator_traitsISI_E10value_typeEPNSO_ISJ_E10value_typeEPSK_NS1_7vsmem_tEENKUlT_SI_SJ_SK_E_clIPiSD_S10_SD_EESH_SX_SI_SJ_SK_EUlSX_E_NS1_11comp_targetILNS1_3genE8ELNS1_11target_archE1030ELNS1_3gpuE2ELNS1_3repE0EEENS1_48merge_mergepath_partition_config_static_selectorELNS0_4arch9wavefront6targetE1EEEvSJ_
	.globl	_ZN7rocprim17ROCPRIM_400000_NS6detail17trampoline_kernelINS0_14default_configENS1_38merge_sort_block_merge_config_selectorIiiEEZZNS1_27merge_sort_block_merge_implIS3_N6thrust23THRUST_200600_302600_NS6detail15normal_iteratorINS8_10device_ptrIiEEEESD_jNS1_19radix_merge_compareILb1ELb0EiNS0_19identity_decomposerEEEEE10hipError_tT0_T1_T2_jT3_P12ihipStream_tbPNSt15iterator_traitsISI_E10value_typeEPNSO_ISJ_E10value_typeEPSK_NS1_7vsmem_tEENKUlT_SI_SJ_SK_E_clIPiSD_S10_SD_EESH_SX_SI_SJ_SK_EUlSX_E_NS1_11comp_targetILNS1_3genE8ELNS1_11target_archE1030ELNS1_3gpuE2ELNS1_3repE0EEENS1_48merge_mergepath_partition_config_static_selectorELNS0_4arch9wavefront6targetE1EEEvSJ_
	.p2align	8
	.type	_ZN7rocprim17ROCPRIM_400000_NS6detail17trampoline_kernelINS0_14default_configENS1_38merge_sort_block_merge_config_selectorIiiEEZZNS1_27merge_sort_block_merge_implIS3_N6thrust23THRUST_200600_302600_NS6detail15normal_iteratorINS8_10device_ptrIiEEEESD_jNS1_19radix_merge_compareILb1ELb0EiNS0_19identity_decomposerEEEEE10hipError_tT0_T1_T2_jT3_P12ihipStream_tbPNSt15iterator_traitsISI_E10value_typeEPNSO_ISJ_E10value_typeEPSK_NS1_7vsmem_tEENKUlT_SI_SJ_SK_E_clIPiSD_S10_SD_EESH_SX_SI_SJ_SK_EUlSX_E_NS1_11comp_targetILNS1_3genE8ELNS1_11target_archE1030ELNS1_3gpuE2ELNS1_3repE0EEENS1_48merge_mergepath_partition_config_static_selectorELNS0_4arch9wavefront6targetE1EEEvSJ_,@function
_ZN7rocprim17ROCPRIM_400000_NS6detail17trampoline_kernelINS0_14default_configENS1_38merge_sort_block_merge_config_selectorIiiEEZZNS1_27merge_sort_block_merge_implIS3_N6thrust23THRUST_200600_302600_NS6detail15normal_iteratorINS8_10device_ptrIiEEEESD_jNS1_19radix_merge_compareILb1ELb0EiNS0_19identity_decomposerEEEEE10hipError_tT0_T1_T2_jT3_P12ihipStream_tbPNSt15iterator_traitsISI_E10value_typeEPNSO_ISJ_E10value_typeEPSK_NS1_7vsmem_tEENKUlT_SI_SJ_SK_E_clIPiSD_S10_SD_EESH_SX_SI_SJ_SK_EUlSX_E_NS1_11comp_targetILNS1_3genE8ELNS1_11target_archE1030ELNS1_3gpuE2ELNS1_3repE0EEENS1_48merge_mergepath_partition_config_static_selectorELNS0_4arch9wavefront6targetE1EEEvSJ_: ; @_ZN7rocprim17ROCPRIM_400000_NS6detail17trampoline_kernelINS0_14default_configENS1_38merge_sort_block_merge_config_selectorIiiEEZZNS1_27merge_sort_block_merge_implIS3_N6thrust23THRUST_200600_302600_NS6detail15normal_iteratorINS8_10device_ptrIiEEEESD_jNS1_19radix_merge_compareILb1ELb0EiNS0_19identity_decomposerEEEEE10hipError_tT0_T1_T2_jT3_P12ihipStream_tbPNSt15iterator_traitsISI_E10value_typeEPNSO_ISJ_E10value_typeEPSK_NS1_7vsmem_tEENKUlT_SI_SJ_SK_E_clIPiSD_S10_SD_EESH_SX_SI_SJ_SK_EUlSX_E_NS1_11comp_targetILNS1_3genE8ELNS1_11target_archE1030ELNS1_3gpuE2ELNS1_3repE0EEENS1_48merge_mergepath_partition_config_static_selectorELNS0_4arch9wavefront6targetE1EEEvSJ_
; %bb.0:
	.section	.rodata,"a",@progbits
	.p2align	6, 0x0
	.amdhsa_kernel _ZN7rocprim17ROCPRIM_400000_NS6detail17trampoline_kernelINS0_14default_configENS1_38merge_sort_block_merge_config_selectorIiiEEZZNS1_27merge_sort_block_merge_implIS3_N6thrust23THRUST_200600_302600_NS6detail15normal_iteratorINS8_10device_ptrIiEEEESD_jNS1_19radix_merge_compareILb1ELb0EiNS0_19identity_decomposerEEEEE10hipError_tT0_T1_T2_jT3_P12ihipStream_tbPNSt15iterator_traitsISI_E10value_typeEPNSO_ISJ_E10value_typeEPSK_NS1_7vsmem_tEENKUlT_SI_SJ_SK_E_clIPiSD_S10_SD_EESH_SX_SI_SJ_SK_EUlSX_E_NS1_11comp_targetILNS1_3genE8ELNS1_11target_archE1030ELNS1_3gpuE2ELNS1_3repE0EEENS1_48merge_mergepath_partition_config_static_selectorELNS0_4arch9wavefront6targetE1EEEvSJ_
		.amdhsa_group_segment_fixed_size 0
		.amdhsa_private_segment_fixed_size 0
		.amdhsa_kernarg_size 40
		.amdhsa_user_sgpr_count 2
		.amdhsa_user_sgpr_dispatch_ptr 0
		.amdhsa_user_sgpr_queue_ptr 0
		.amdhsa_user_sgpr_kernarg_segment_ptr 1
		.amdhsa_user_sgpr_dispatch_id 0
		.amdhsa_user_sgpr_kernarg_preload_length 0
		.amdhsa_user_sgpr_kernarg_preload_offset 0
		.amdhsa_user_sgpr_private_segment_size 0
		.amdhsa_uses_dynamic_stack 0
		.amdhsa_enable_private_segment 0
		.amdhsa_system_sgpr_workgroup_id_x 1
		.amdhsa_system_sgpr_workgroup_id_y 0
		.amdhsa_system_sgpr_workgroup_id_z 0
		.amdhsa_system_sgpr_workgroup_info 0
		.amdhsa_system_vgpr_workitem_id 0
		.amdhsa_next_free_vgpr 1
		.amdhsa_next_free_sgpr 0
		.amdhsa_accum_offset 4
		.amdhsa_reserve_vcc 0
		.amdhsa_float_round_mode_32 0
		.amdhsa_float_round_mode_16_64 0
		.amdhsa_float_denorm_mode_32 3
		.amdhsa_float_denorm_mode_16_64 3
		.amdhsa_dx10_clamp 1
		.amdhsa_ieee_mode 1
		.amdhsa_fp16_overflow 0
		.amdhsa_tg_split 0
		.amdhsa_exception_fp_ieee_invalid_op 0
		.amdhsa_exception_fp_denorm_src 0
		.amdhsa_exception_fp_ieee_div_zero 0
		.amdhsa_exception_fp_ieee_overflow 0
		.amdhsa_exception_fp_ieee_underflow 0
		.amdhsa_exception_fp_ieee_inexact 0
		.amdhsa_exception_int_div_zero 0
	.end_amdhsa_kernel
	.section	.text._ZN7rocprim17ROCPRIM_400000_NS6detail17trampoline_kernelINS0_14default_configENS1_38merge_sort_block_merge_config_selectorIiiEEZZNS1_27merge_sort_block_merge_implIS3_N6thrust23THRUST_200600_302600_NS6detail15normal_iteratorINS8_10device_ptrIiEEEESD_jNS1_19radix_merge_compareILb1ELb0EiNS0_19identity_decomposerEEEEE10hipError_tT0_T1_T2_jT3_P12ihipStream_tbPNSt15iterator_traitsISI_E10value_typeEPNSO_ISJ_E10value_typeEPSK_NS1_7vsmem_tEENKUlT_SI_SJ_SK_E_clIPiSD_S10_SD_EESH_SX_SI_SJ_SK_EUlSX_E_NS1_11comp_targetILNS1_3genE8ELNS1_11target_archE1030ELNS1_3gpuE2ELNS1_3repE0EEENS1_48merge_mergepath_partition_config_static_selectorELNS0_4arch9wavefront6targetE1EEEvSJ_,"axG",@progbits,_ZN7rocprim17ROCPRIM_400000_NS6detail17trampoline_kernelINS0_14default_configENS1_38merge_sort_block_merge_config_selectorIiiEEZZNS1_27merge_sort_block_merge_implIS3_N6thrust23THRUST_200600_302600_NS6detail15normal_iteratorINS8_10device_ptrIiEEEESD_jNS1_19radix_merge_compareILb1ELb0EiNS0_19identity_decomposerEEEEE10hipError_tT0_T1_T2_jT3_P12ihipStream_tbPNSt15iterator_traitsISI_E10value_typeEPNSO_ISJ_E10value_typeEPSK_NS1_7vsmem_tEENKUlT_SI_SJ_SK_E_clIPiSD_S10_SD_EESH_SX_SI_SJ_SK_EUlSX_E_NS1_11comp_targetILNS1_3genE8ELNS1_11target_archE1030ELNS1_3gpuE2ELNS1_3repE0EEENS1_48merge_mergepath_partition_config_static_selectorELNS0_4arch9wavefront6targetE1EEEvSJ_,comdat
.Lfunc_end892:
	.size	_ZN7rocprim17ROCPRIM_400000_NS6detail17trampoline_kernelINS0_14default_configENS1_38merge_sort_block_merge_config_selectorIiiEEZZNS1_27merge_sort_block_merge_implIS3_N6thrust23THRUST_200600_302600_NS6detail15normal_iteratorINS8_10device_ptrIiEEEESD_jNS1_19radix_merge_compareILb1ELb0EiNS0_19identity_decomposerEEEEE10hipError_tT0_T1_T2_jT3_P12ihipStream_tbPNSt15iterator_traitsISI_E10value_typeEPNSO_ISJ_E10value_typeEPSK_NS1_7vsmem_tEENKUlT_SI_SJ_SK_E_clIPiSD_S10_SD_EESH_SX_SI_SJ_SK_EUlSX_E_NS1_11comp_targetILNS1_3genE8ELNS1_11target_archE1030ELNS1_3gpuE2ELNS1_3repE0EEENS1_48merge_mergepath_partition_config_static_selectorELNS0_4arch9wavefront6targetE1EEEvSJ_, .Lfunc_end892-_ZN7rocprim17ROCPRIM_400000_NS6detail17trampoline_kernelINS0_14default_configENS1_38merge_sort_block_merge_config_selectorIiiEEZZNS1_27merge_sort_block_merge_implIS3_N6thrust23THRUST_200600_302600_NS6detail15normal_iteratorINS8_10device_ptrIiEEEESD_jNS1_19radix_merge_compareILb1ELb0EiNS0_19identity_decomposerEEEEE10hipError_tT0_T1_T2_jT3_P12ihipStream_tbPNSt15iterator_traitsISI_E10value_typeEPNSO_ISJ_E10value_typeEPSK_NS1_7vsmem_tEENKUlT_SI_SJ_SK_E_clIPiSD_S10_SD_EESH_SX_SI_SJ_SK_EUlSX_E_NS1_11comp_targetILNS1_3genE8ELNS1_11target_archE1030ELNS1_3gpuE2ELNS1_3repE0EEENS1_48merge_mergepath_partition_config_static_selectorELNS0_4arch9wavefront6targetE1EEEvSJ_
                                        ; -- End function
	.set _ZN7rocprim17ROCPRIM_400000_NS6detail17trampoline_kernelINS0_14default_configENS1_38merge_sort_block_merge_config_selectorIiiEEZZNS1_27merge_sort_block_merge_implIS3_N6thrust23THRUST_200600_302600_NS6detail15normal_iteratorINS8_10device_ptrIiEEEESD_jNS1_19radix_merge_compareILb1ELb0EiNS0_19identity_decomposerEEEEE10hipError_tT0_T1_T2_jT3_P12ihipStream_tbPNSt15iterator_traitsISI_E10value_typeEPNSO_ISJ_E10value_typeEPSK_NS1_7vsmem_tEENKUlT_SI_SJ_SK_E_clIPiSD_S10_SD_EESH_SX_SI_SJ_SK_EUlSX_E_NS1_11comp_targetILNS1_3genE8ELNS1_11target_archE1030ELNS1_3gpuE2ELNS1_3repE0EEENS1_48merge_mergepath_partition_config_static_selectorELNS0_4arch9wavefront6targetE1EEEvSJ_.num_vgpr, 0
	.set _ZN7rocprim17ROCPRIM_400000_NS6detail17trampoline_kernelINS0_14default_configENS1_38merge_sort_block_merge_config_selectorIiiEEZZNS1_27merge_sort_block_merge_implIS3_N6thrust23THRUST_200600_302600_NS6detail15normal_iteratorINS8_10device_ptrIiEEEESD_jNS1_19radix_merge_compareILb1ELb0EiNS0_19identity_decomposerEEEEE10hipError_tT0_T1_T2_jT3_P12ihipStream_tbPNSt15iterator_traitsISI_E10value_typeEPNSO_ISJ_E10value_typeEPSK_NS1_7vsmem_tEENKUlT_SI_SJ_SK_E_clIPiSD_S10_SD_EESH_SX_SI_SJ_SK_EUlSX_E_NS1_11comp_targetILNS1_3genE8ELNS1_11target_archE1030ELNS1_3gpuE2ELNS1_3repE0EEENS1_48merge_mergepath_partition_config_static_selectorELNS0_4arch9wavefront6targetE1EEEvSJ_.num_agpr, 0
	.set _ZN7rocprim17ROCPRIM_400000_NS6detail17trampoline_kernelINS0_14default_configENS1_38merge_sort_block_merge_config_selectorIiiEEZZNS1_27merge_sort_block_merge_implIS3_N6thrust23THRUST_200600_302600_NS6detail15normal_iteratorINS8_10device_ptrIiEEEESD_jNS1_19radix_merge_compareILb1ELb0EiNS0_19identity_decomposerEEEEE10hipError_tT0_T1_T2_jT3_P12ihipStream_tbPNSt15iterator_traitsISI_E10value_typeEPNSO_ISJ_E10value_typeEPSK_NS1_7vsmem_tEENKUlT_SI_SJ_SK_E_clIPiSD_S10_SD_EESH_SX_SI_SJ_SK_EUlSX_E_NS1_11comp_targetILNS1_3genE8ELNS1_11target_archE1030ELNS1_3gpuE2ELNS1_3repE0EEENS1_48merge_mergepath_partition_config_static_selectorELNS0_4arch9wavefront6targetE1EEEvSJ_.numbered_sgpr, 0
	.set _ZN7rocprim17ROCPRIM_400000_NS6detail17trampoline_kernelINS0_14default_configENS1_38merge_sort_block_merge_config_selectorIiiEEZZNS1_27merge_sort_block_merge_implIS3_N6thrust23THRUST_200600_302600_NS6detail15normal_iteratorINS8_10device_ptrIiEEEESD_jNS1_19radix_merge_compareILb1ELb0EiNS0_19identity_decomposerEEEEE10hipError_tT0_T1_T2_jT3_P12ihipStream_tbPNSt15iterator_traitsISI_E10value_typeEPNSO_ISJ_E10value_typeEPSK_NS1_7vsmem_tEENKUlT_SI_SJ_SK_E_clIPiSD_S10_SD_EESH_SX_SI_SJ_SK_EUlSX_E_NS1_11comp_targetILNS1_3genE8ELNS1_11target_archE1030ELNS1_3gpuE2ELNS1_3repE0EEENS1_48merge_mergepath_partition_config_static_selectorELNS0_4arch9wavefront6targetE1EEEvSJ_.num_named_barrier, 0
	.set _ZN7rocprim17ROCPRIM_400000_NS6detail17trampoline_kernelINS0_14default_configENS1_38merge_sort_block_merge_config_selectorIiiEEZZNS1_27merge_sort_block_merge_implIS3_N6thrust23THRUST_200600_302600_NS6detail15normal_iteratorINS8_10device_ptrIiEEEESD_jNS1_19radix_merge_compareILb1ELb0EiNS0_19identity_decomposerEEEEE10hipError_tT0_T1_T2_jT3_P12ihipStream_tbPNSt15iterator_traitsISI_E10value_typeEPNSO_ISJ_E10value_typeEPSK_NS1_7vsmem_tEENKUlT_SI_SJ_SK_E_clIPiSD_S10_SD_EESH_SX_SI_SJ_SK_EUlSX_E_NS1_11comp_targetILNS1_3genE8ELNS1_11target_archE1030ELNS1_3gpuE2ELNS1_3repE0EEENS1_48merge_mergepath_partition_config_static_selectorELNS0_4arch9wavefront6targetE1EEEvSJ_.private_seg_size, 0
	.set _ZN7rocprim17ROCPRIM_400000_NS6detail17trampoline_kernelINS0_14default_configENS1_38merge_sort_block_merge_config_selectorIiiEEZZNS1_27merge_sort_block_merge_implIS3_N6thrust23THRUST_200600_302600_NS6detail15normal_iteratorINS8_10device_ptrIiEEEESD_jNS1_19radix_merge_compareILb1ELb0EiNS0_19identity_decomposerEEEEE10hipError_tT0_T1_T2_jT3_P12ihipStream_tbPNSt15iterator_traitsISI_E10value_typeEPNSO_ISJ_E10value_typeEPSK_NS1_7vsmem_tEENKUlT_SI_SJ_SK_E_clIPiSD_S10_SD_EESH_SX_SI_SJ_SK_EUlSX_E_NS1_11comp_targetILNS1_3genE8ELNS1_11target_archE1030ELNS1_3gpuE2ELNS1_3repE0EEENS1_48merge_mergepath_partition_config_static_selectorELNS0_4arch9wavefront6targetE1EEEvSJ_.uses_vcc, 0
	.set _ZN7rocprim17ROCPRIM_400000_NS6detail17trampoline_kernelINS0_14default_configENS1_38merge_sort_block_merge_config_selectorIiiEEZZNS1_27merge_sort_block_merge_implIS3_N6thrust23THRUST_200600_302600_NS6detail15normal_iteratorINS8_10device_ptrIiEEEESD_jNS1_19radix_merge_compareILb1ELb0EiNS0_19identity_decomposerEEEEE10hipError_tT0_T1_T2_jT3_P12ihipStream_tbPNSt15iterator_traitsISI_E10value_typeEPNSO_ISJ_E10value_typeEPSK_NS1_7vsmem_tEENKUlT_SI_SJ_SK_E_clIPiSD_S10_SD_EESH_SX_SI_SJ_SK_EUlSX_E_NS1_11comp_targetILNS1_3genE8ELNS1_11target_archE1030ELNS1_3gpuE2ELNS1_3repE0EEENS1_48merge_mergepath_partition_config_static_selectorELNS0_4arch9wavefront6targetE1EEEvSJ_.uses_flat_scratch, 0
	.set _ZN7rocprim17ROCPRIM_400000_NS6detail17trampoline_kernelINS0_14default_configENS1_38merge_sort_block_merge_config_selectorIiiEEZZNS1_27merge_sort_block_merge_implIS3_N6thrust23THRUST_200600_302600_NS6detail15normal_iteratorINS8_10device_ptrIiEEEESD_jNS1_19radix_merge_compareILb1ELb0EiNS0_19identity_decomposerEEEEE10hipError_tT0_T1_T2_jT3_P12ihipStream_tbPNSt15iterator_traitsISI_E10value_typeEPNSO_ISJ_E10value_typeEPSK_NS1_7vsmem_tEENKUlT_SI_SJ_SK_E_clIPiSD_S10_SD_EESH_SX_SI_SJ_SK_EUlSX_E_NS1_11comp_targetILNS1_3genE8ELNS1_11target_archE1030ELNS1_3gpuE2ELNS1_3repE0EEENS1_48merge_mergepath_partition_config_static_selectorELNS0_4arch9wavefront6targetE1EEEvSJ_.has_dyn_sized_stack, 0
	.set _ZN7rocprim17ROCPRIM_400000_NS6detail17trampoline_kernelINS0_14default_configENS1_38merge_sort_block_merge_config_selectorIiiEEZZNS1_27merge_sort_block_merge_implIS3_N6thrust23THRUST_200600_302600_NS6detail15normal_iteratorINS8_10device_ptrIiEEEESD_jNS1_19radix_merge_compareILb1ELb0EiNS0_19identity_decomposerEEEEE10hipError_tT0_T1_T2_jT3_P12ihipStream_tbPNSt15iterator_traitsISI_E10value_typeEPNSO_ISJ_E10value_typeEPSK_NS1_7vsmem_tEENKUlT_SI_SJ_SK_E_clIPiSD_S10_SD_EESH_SX_SI_SJ_SK_EUlSX_E_NS1_11comp_targetILNS1_3genE8ELNS1_11target_archE1030ELNS1_3gpuE2ELNS1_3repE0EEENS1_48merge_mergepath_partition_config_static_selectorELNS0_4arch9wavefront6targetE1EEEvSJ_.has_recursion, 0
	.set _ZN7rocprim17ROCPRIM_400000_NS6detail17trampoline_kernelINS0_14default_configENS1_38merge_sort_block_merge_config_selectorIiiEEZZNS1_27merge_sort_block_merge_implIS3_N6thrust23THRUST_200600_302600_NS6detail15normal_iteratorINS8_10device_ptrIiEEEESD_jNS1_19radix_merge_compareILb1ELb0EiNS0_19identity_decomposerEEEEE10hipError_tT0_T1_T2_jT3_P12ihipStream_tbPNSt15iterator_traitsISI_E10value_typeEPNSO_ISJ_E10value_typeEPSK_NS1_7vsmem_tEENKUlT_SI_SJ_SK_E_clIPiSD_S10_SD_EESH_SX_SI_SJ_SK_EUlSX_E_NS1_11comp_targetILNS1_3genE8ELNS1_11target_archE1030ELNS1_3gpuE2ELNS1_3repE0EEENS1_48merge_mergepath_partition_config_static_selectorELNS0_4arch9wavefront6targetE1EEEvSJ_.has_indirect_call, 0
	.section	.AMDGPU.csdata,"",@progbits
; Kernel info:
; codeLenInByte = 0
; TotalNumSgprs: 6
; NumVgprs: 0
; NumAgprs: 0
; TotalNumVgprs: 0
; ScratchSize: 0
; MemoryBound: 0
; FloatMode: 240
; IeeeMode: 1
; LDSByteSize: 0 bytes/workgroup (compile time only)
; SGPRBlocks: 0
; VGPRBlocks: 0
; NumSGPRsForWavesPerEU: 6
; NumVGPRsForWavesPerEU: 1
; AccumOffset: 4
; Occupancy: 8
; WaveLimiterHint : 0
; COMPUTE_PGM_RSRC2:SCRATCH_EN: 0
; COMPUTE_PGM_RSRC2:USER_SGPR: 2
; COMPUTE_PGM_RSRC2:TRAP_HANDLER: 0
; COMPUTE_PGM_RSRC2:TGID_X_EN: 1
; COMPUTE_PGM_RSRC2:TGID_Y_EN: 0
; COMPUTE_PGM_RSRC2:TGID_Z_EN: 0
; COMPUTE_PGM_RSRC2:TIDIG_COMP_CNT: 0
; COMPUTE_PGM_RSRC3_GFX90A:ACCUM_OFFSET: 0
; COMPUTE_PGM_RSRC3_GFX90A:TG_SPLIT: 0
	.section	.text._ZN7rocprim17ROCPRIM_400000_NS6detail17trampoline_kernelINS0_14default_configENS1_38merge_sort_block_merge_config_selectorIiiEEZZNS1_27merge_sort_block_merge_implIS3_N6thrust23THRUST_200600_302600_NS6detail15normal_iteratorINS8_10device_ptrIiEEEESD_jNS1_19radix_merge_compareILb1ELb0EiNS0_19identity_decomposerEEEEE10hipError_tT0_T1_T2_jT3_P12ihipStream_tbPNSt15iterator_traitsISI_E10value_typeEPNSO_ISJ_E10value_typeEPSK_NS1_7vsmem_tEENKUlT_SI_SJ_SK_E_clIPiSD_S10_SD_EESH_SX_SI_SJ_SK_EUlSX_E0_NS1_11comp_targetILNS1_3genE0ELNS1_11target_archE4294967295ELNS1_3gpuE0ELNS1_3repE0EEENS1_38merge_mergepath_config_static_selectorELNS0_4arch9wavefront6targetE1EEEvSJ_,"axG",@progbits,_ZN7rocprim17ROCPRIM_400000_NS6detail17trampoline_kernelINS0_14default_configENS1_38merge_sort_block_merge_config_selectorIiiEEZZNS1_27merge_sort_block_merge_implIS3_N6thrust23THRUST_200600_302600_NS6detail15normal_iteratorINS8_10device_ptrIiEEEESD_jNS1_19radix_merge_compareILb1ELb0EiNS0_19identity_decomposerEEEEE10hipError_tT0_T1_T2_jT3_P12ihipStream_tbPNSt15iterator_traitsISI_E10value_typeEPNSO_ISJ_E10value_typeEPSK_NS1_7vsmem_tEENKUlT_SI_SJ_SK_E_clIPiSD_S10_SD_EESH_SX_SI_SJ_SK_EUlSX_E0_NS1_11comp_targetILNS1_3genE0ELNS1_11target_archE4294967295ELNS1_3gpuE0ELNS1_3repE0EEENS1_38merge_mergepath_config_static_selectorELNS0_4arch9wavefront6targetE1EEEvSJ_,comdat
	.protected	_ZN7rocprim17ROCPRIM_400000_NS6detail17trampoline_kernelINS0_14default_configENS1_38merge_sort_block_merge_config_selectorIiiEEZZNS1_27merge_sort_block_merge_implIS3_N6thrust23THRUST_200600_302600_NS6detail15normal_iteratorINS8_10device_ptrIiEEEESD_jNS1_19radix_merge_compareILb1ELb0EiNS0_19identity_decomposerEEEEE10hipError_tT0_T1_T2_jT3_P12ihipStream_tbPNSt15iterator_traitsISI_E10value_typeEPNSO_ISJ_E10value_typeEPSK_NS1_7vsmem_tEENKUlT_SI_SJ_SK_E_clIPiSD_S10_SD_EESH_SX_SI_SJ_SK_EUlSX_E0_NS1_11comp_targetILNS1_3genE0ELNS1_11target_archE4294967295ELNS1_3gpuE0ELNS1_3repE0EEENS1_38merge_mergepath_config_static_selectorELNS0_4arch9wavefront6targetE1EEEvSJ_ ; -- Begin function _ZN7rocprim17ROCPRIM_400000_NS6detail17trampoline_kernelINS0_14default_configENS1_38merge_sort_block_merge_config_selectorIiiEEZZNS1_27merge_sort_block_merge_implIS3_N6thrust23THRUST_200600_302600_NS6detail15normal_iteratorINS8_10device_ptrIiEEEESD_jNS1_19radix_merge_compareILb1ELb0EiNS0_19identity_decomposerEEEEE10hipError_tT0_T1_T2_jT3_P12ihipStream_tbPNSt15iterator_traitsISI_E10value_typeEPNSO_ISJ_E10value_typeEPSK_NS1_7vsmem_tEENKUlT_SI_SJ_SK_E_clIPiSD_S10_SD_EESH_SX_SI_SJ_SK_EUlSX_E0_NS1_11comp_targetILNS1_3genE0ELNS1_11target_archE4294967295ELNS1_3gpuE0ELNS1_3repE0EEENS1_38merge_mergepath_config_static_selectorELNS0_4arch9wavefront6targetE1EEEvSJ_
	.globl	_ZN7rocprim17ROCPRIM_400000_NS6detail17trampoline_kernelINS0_14default_configENS1_38merge_sort_block_merge_config_selectorIiiEEZZNS1_27merge_sort_block_merge_implIS3_N6thrust23THRUST_200600_302600_NS6detail15normal_iteratorINS8_10device_ptrIiEEEESD_jNS1_19radix_merge_compareILb1ELb0EiNS0_19identity_decomposerEEEEE10hipError_tT0_T1_T2_jT3_P12ihipStream_tbPNSt15iterator_traitsISI_E10value_typeEPNSO_ISJ_E10value_typeEPSK_NS1_7vsmem_tEENKUlT_SI_SJ_SK_E_clIPiSD_S10_SD_EESH_SX_SI_SJ_SK_EUlSX_E0_NS1_11comp_targetILNS1_3genE0ELNS1_11target_archE4294967295ELNS1_3gpuE0ELNS1_3repE0EEENS1_38merge_mergepath_config_static_selectorELNS0_4arch9wavefront6targetE1EEEvSJ_
	.p2align	8
	.type	_ZN7rocprim17ROCPRIM_400000_NS6detail17trampoline_kernelINS0_14default_configENS1_38merge_sort_block_merge_config_selectorIiiEEZZNS1_27merge_sort_block_merge_implIS3_N6thrust23THRUST_200600_302600_NS6detail15normal_iteratorINS8_10device_ptrIiEEEESD_jNS1_19radix_merge_compareILb1ELb0EiNS0_19identity_decomposerEEEEE10hipError_tT0_T1_T2_jT3_P12ihipStream_tbPNSt15iterator_traitsISI_E10value_typeEPNSO_ISJ_E10value_typeEPSK_NS1_7vsmem_tEENKUlT_SI_SJ_SK_E_clIPiSD_S10_SD_EESH_SX_SI_SJ_SK_EUlSX_E0_NS1_11comp_targetILNS1_3genE0ELNS1_11target_archE4294967295ELNS1_3gpuE0ELNS1_3repE0EEENS1_38merge_mergepath_config_static_selectorELNS0_4arch9wavefront6targetE1EEEvSJ_,@function
_ZN7rocprim17ROCPRIM_400000_NS6detail17trampoline_kernelINS0_14default_configENS1_38merge_sort_block_merge_config_selectorIiiEEZZNS1_27merge_sort_block_merge_implIS3_N6thrust23THRUST_200600_302600_NS6detail15normal_iteratorINS8_10device_ptrIiEEEESD_jNS1_19radix_merge_compareILb1ELb0EiNS0_19identity_decomposerEEEEE10hipError_tT0_T1_T2_jT3_P12ihipStream_tbPNSt15iterator_traitsISI_E10value_typeEPNSO_ISJ_E10value_typeEPSK_NS1_7vsmem_tEENKUlT_SI_SJ_SK_E_clIPiSD_S10_SD_EESH_SX_SI_SJ_SK_EUlSX_E0_NS1_11comp_targetILNS1_3genE0ELNS1_11target_archE4294967295ELNS1_3gpuE0ELNS1_3repE0EEENS1_38merge_mergepath_config_static_selectorELNS0_4arch9wavefront6targetE1EEEvSJ_: ; @_ZN7rocprim17ROCPRIM_400000_NS6detail17trampoline_kernelINS0_14default_configENS1_38merge_sort_block_merge_config_selectorIiiEEZZNS1_27merge_sort_block_merge_implIS3_N6thrust23THRUST_200600_302600_NS6detail15normal_iteratorINS8_10device_ptrIiEEEESD_jNS1_19radix_merge_compareILb1ELb0EiNS0_19identity_decomposerEEEEE10hipError_tT0_T1_T2_jT3_P12ihipStream_tbPNSt15iterator_traitsISI_E10value_typeEPNSO_ISJ_E10value_typeEPSK_NS1_7vsmem_tEENKUlT_SI_SJ_SK_E_clIPiSD_S10_SD_EESH_SX_SI_SJ_SK_EUlSX_E0_NS1_11comp_targetILNS1_3genE0ELNS1_11target_archE4294967295ELNS1_3gpuE0ELNS1_3repE0EEENS1_38merge_mergepath_config_static_selectorELNS0_4arch9wavefront6targetE1EEEvSJ_
; %bb.0:
	s_load_dwordx2 s[28:29], s[0:1], 0x40
	s_load_dword s5, s[0:1], 0x30
	s_add_u32 s24, s0, 64
	s_addc_u32 s25, s1, 0
	s_waitcnt lgkmcnt(0)
	s_mul_i32 s4, s29, s4
	s_add_i32 s3, s4, s3
	s_mul_i32 s3, s3, s28
	s_add_i32 s26, s3, s2
	s_cmp_ge_u32 s26, s5
	s_cbranch_scc1 .LBB893_46
; %bb.1:
	s_load_dwordx8 s[8:15], s[0:1], 0x10
	s_load_dwordx2 s[20:21], s[0:1], 0x8
	s_load_dwordx2 s[4:5], s[0:1], 0x38
	s_mov_b32 s27, 0
	s_mov_b32 s23, s27
	s_waitcnt lgkmcnt(0)
	s_lshr_b32 s29, s14, 10
	s_cmp_lg_u32 s26, s29
	s_cselect_b64 s[18:19], -1, 0
	s_lshl_b64 s[0:1], s[26:27], 2
	s_add_u32 s0, s4, s0
	s_addc_u32 s1, s5, s1
	s_load_dwordx2 s[4:5], s[0:1], 0x0
	s_lshr_b32 s0, s15, 9
	s_and_b32 s0, s0, 0x7ffffe
	s_sub_i32 s0, 0, s0
	s_and_b32 s1, s26, s0
	s_lshl_b32 s3, s1, 10
	s_lshl_b32 s16, s26, 10
	;; [unrolled: 1-line block ×3, first 2 shown]
	s_sub_i32 s6, s16, s3
	s_add_i32 s1, s1, s15
	s_add_i32 s6, s1, s6
	s_waitcnt lgkmcnt(0)
	s_sub_i32 s7, s6, s4
	s_sub_i32 s6, s6, s5
	;; [unrolled: 1-line block ×3, first 2 shown]
	s_min_u32 s22, s14, s7
	s_addk_i32 s6, 0x400
	s_or_b32 s0, s26, s0
	s_min_u32 s3, s14, s1
	s_add_i32 s1, s1, s15
	s_cmp_eq_u32 s0, -1
	s_cselect_b32 s0, s1, s6
	s_cselect_b32 s1, s3, s5
	s_mov_b32 s5, s27
	s_min_u32 s17, s0, s14
	s_sub_i32 s15, s1, s4
	s_lshl_b64 s[0:1], s[4:5], 2
	s_add_u32 s6, s20, s0
	s_addc_u32 s7, s21, s1
	s_lshl_b64 s[4:5], s[22:23], 2
	s_add_u32 s20, s20, s4
	s_addc_u32 s21, s21, s5
	s_cmp_lt_u32 s2, s28
	v_mov_b32_e32 v11, 0
	s_cselect_b32 s2, 12, 18
	global_load_dword v1, v11, s[24:25] offset:14
	s_add_u32 s2, s24, s2
	s_addc_u32 s3, s25, 0
	global_load_ushort v2, v11, s[2:3]
	s_cmp_eq_u32 s26, s29
	v_lshlrev_b32_e32 v10, 2, v0
	s_waitcnt vmcnt(1)
	v_lshrrev_b32_e32 v3, 16, v1
	v_and_b32_e32 v1, 0xffff, v1
	v_mul_lo_u32 v1, v1, v3
	s_waitcnt vmcnt(0)
	v_mul_lo_u32 v1, v1, v2
	v_add_u32_e32 v14, v1, v0
	v_add_u32_e32 v12, v14, v1
	s_cbranch_scc1 .LBB893_3
; %bb.2:
	v_subrev_co_u32_e32 v4, vcc, s15, v0
	v_mov_b32_e32 v5, v11
	v_lshl_add_u64 v[2:3], s[6:7], 0, v[10:11]
	v_lshl_add_u64 v[4:5], v[4:5], 2, s[20:21]
	v_cndmask_b32_e32 v3, v5, v3, vcc
	v_cndmask_b32_e32 v2, v4, v2, vcc
	global_load_dword v2, v[2:3], off
	v_mov_b32_e32 v15, v11
	v_subrev_co_u32_e32 v6, vcc, s15, v14
	v_mov_b32_e32 v7, v11
	v_lshl_add_u64 v[4:5], v[14:15], 2, s[6:7]
	v_lshl_add_u64 v[6:7], v[6:7], 2, s[20:21]
	v_cndmask_b32_e32 v5, v7, v5, vcc
	v_cndmask_b32_e32 v4, v6, v4, vcc
	v_mov_b32_e32 v13, v11
	v_subrev_co_u32_e32 v6, vcc, s15, v12
	v_mov_b32_e32 v7, v11
	global_load_dword v3, v[4:5], off
	v_lshl_add_u64 v[4:5], v[12:13], 2, s[6:7]
	v_lshl_add_u64 v[6:7], v[6:7], 2, s[20:21]
	v_cndmask_b32_e32 v5, v7, v5, vcc
	v_cndmask_b32_e32 v4, v6, v4, vcc
	global_load_dword v4, v[4:5], off
	v_add_u32_e32 v6, v12, v1
	s_mov_b64 s[2:3], -1
	s_sub_i32 s17, s17, s22
	s_cbranch_execz .LBB893_4
	s_branch .LBB893_9
.LBB893_3:
	s_mov_b64 s[2:3], 0
                                        ; implicit-def: $vgpr6
                                        ; implicit-def: $vgpr2_vgpr3_vgpr4_vgpr5
	s_sub_i32 s17, s17, s22
.LBB893_4:
	s_add_i32 s22, s17, s15
	s_waitcnt vmcnt(2)
	v_mov_b32_e32 v2, 0
	v_cmp_gt_u32_e32 vcc, s22, v0
	s_waitcnt vmcnt(1)
	v_mov_b32_e32 v3, v2
	s_waitcnt vmcnt(0)
	v_mov_b32_e32 v4, v2
	v_mov_b32_e32 v5, v2
	s_and_saveexec_b64 s[2:3], vcc
	s_cbranch_execnz .LBB893_47
; %bb.5:
	s_or_b64 exec, exec, s[2:3]
	v_cmp_gt_u32_e32 vcc, s22, v14
	s_and_saveexec_b64 s[2:3], vcc
	s_cbranch_execnz .LBB893_48
.LBB893_6:
	s_or_b64 exec, exec, s[2:3]
	v_cmp_gt_u32_e32 vcc, s22, v12
	s_and_saveexec_b64 s[2:3], vcc
	s_cbranch_execz .LBB893_8
.LBB893_7:
	v_mov_b32_e32 v13, 0
	v_subrev_co_u32_e32 v8, vcc, s15, v12
	v_mov_b32_e32 v9, v13
	v_lshl_add_u64 v[6:7], v[12:13], 2, s[6:7]
	v_lshl_add_u64 v[8:9], v[8:9], 2, s[20:21]
	v_cndmask_b32_e32 v7, v9, v7, vcc
	v_cndmask_b32_e32 v6, v8, v6, vcc
	global_load_dword v4, v[6:7], off
.LBB893_8:
	s_or_b64 exec, exec, s[2:3]
	v_add_u32_e32 v6, v12, v1
	v_cmp_gt_u32_e64 s[2:3], s22, v6
.LBB893_9:
	s_and_saveexec_b64 s[22:23], s[2:3]
	s_cbranch_execz .LBB893_11
; %bb.10:
	v_mov_b32_e32 v7, 0
	v_lshl_add_u64 v[8:9], v[6:7], 2, s[6:7]
	v_subrev_co_u32_e32 v6, vcc, s15, v6
	v_lshl_add_u64 v[6:7], v[6:7], 2, s[20:21]
	s_nop 0
	v_cndmask_b32_e32 v7, v7, v9, vcc
	v_cndmask_b32_e32 v6, v6, v8, vcc
	global_load_dword v5, v[6:7], off
.LBB893_11:
	s_or_b64 exec, exec, s[22:23]
	s_add_u32 s0, s10, s0
	s_addc_u32 s1, s11, s1
	s_add_u32 s2, s10, s4
	v_mov_b32_e32 v11, 0
	s_addc_u32 s3, s11, s5
	s_andn2_b64 vcc, exec, s[18:19]
	s_waitcnt vmcnt(0)
	ds_write2st64_b32 v10, v2, v3 offset1:4
	ds_write2st64_b32 v10, v4, v5 offset0:8 offset1:12
	s_cbranch_vccnz .LBB893_13
; %bb.12:
	v_subrev_co_u32_e32 v8, vcc, s15, v0
	v_mov_b32_e32 v9, v11
	v_lshl_add_u64 v[6:7], s[0:1], 0, v[10:11]
	v_lshl_add_u64 v[8:9], v[8:9], 2, s[2:3]
	v_cndmask_b32_e32 v7, v9, v7, vcc
	v_cndmask_b32_e32 v6, v8, v6, vcc
	v_mov_b32_e32 v15, v11
	v_subrev_co_u32_e32 v16, vcc, s15, v14
	v_mov_b32_e32 v17, v11
	v_lshl_add_u64 v[8:9], v[14:15], 2, s[0:1]
	v_lshl_add_u64 v[16:17], v[16:17], 2, s[2:3]
	v_cndmask_b32_e32 v9, v17, v9, vcc
	v_cndmask_b32_e32 v8, v16, v8, vcc
	v_mov_b32_e32 v13, v11
	v_subrev_co_u32_e32 v16, vcc, s15, v12
	v_mov_b32_e32 v17, v11
	global_load_dword v6, v[6:7], off
	v_lshl_add_u64 v[16:17], v[16:17], 2, s[2:3]
	global_load_dword v7, v[8:9], off
	v_lshl_add_u64 v[8:9], v[12:13], 2, s[0:1]
	v_cndmask_b32_e32 v9, v17, v9, vcc
	v_cndmask_b32_e32 v8, v16, v8, vcc
	v_add_u32_e32 v16, v12, v1
	v_mov_b32_e32 v17, v11
	v_lshl_add_u64 v[18:19], v[16:17], 2, s[0:1]
	v_subrev_co_u32_e32 v16, vcc, s15, v16
	v_lshl_add_u64 v[16:17], v[16:17], 2, s[2:3]
	s_nop 0
	v_cndmask_b32_e32 v17, v17, v19, vcc
	v_cndmask_b32_e32 v16, v16, v18, vcc
	global_load_dword v8, v[8:9], off
	s_add_i32 s20, s17, s15
	global_load_dword v9, v[16:17], off
	s_cbranch_execz .LBB893_14
	s_branch .LBB893_21
.LBB893_13:
                                        ; implicit-def: $vgpr6_vgpr7_vgpr8_vgpr9
                                        ; implicit-def: $sgpr20
.LBB893_14:
	s_add_i32 s20, s17, s15
	s_waitcnt vmcnt(3)
	v_mov_b32_e32 v6, 0
	v_cmp_gt_u32_e32 vcc, s20, v0
	s_waitcnt vmcnt(2)
	v_mov_b32_e32 v7, v6
	s_waitcnt vmcnt(1)
	v_mov_b32_e32 v8, v6
	;; [unrolled: 2-line block ×3, first 2 shown]
	s_and_saveexec_b64 s[4:5], vcc
	s_cbranch_execnz .LBB893_49
; %bb.15:
	s_or_b64 exec, exec, s[4:5]
	v_cmp_gt_u32_e32 vcc, s20, v14
	s_and_saveexec_b64 s[4:5], vcc
	s_cbranch_execnz .LBB893_50
.LBB893_16:
	s_or_b64 exec, exec, s[4:5]
	v_cmp_gt_u32_e32 vcc, s20, v12
	s_and_saveexec_b64 s[4:5], vcc
	s_cbranch_execz .LBB893_18
.LBB893_17:
	v_mov_b32_e32 v13, 0
	v_subrev_co_u32_e32 v16, vcc, s15, v12
	v_mov_b32_e32 v17, v13
	v_lshl_add_u64 v[14:15], v[12:13], 2, s[0:1]
	v_lshl_add_u64 v[16:17], v[16:17], 2, s[2:3]
	v_cndmask_b32_e32 v15, v17, v15, vcc
	v_cndmask_b32_e32 v14, v16, v14, vcc
	global_load_dword v8, v[14:15], off
.LBB893_18:
	s_or_b64 exec, exec, s[4:5]
	v_add_u32_e32 v12, v12, v1
	v_cmp_gt_u32_e32 vcc, s20, v12
	s_and_saveexec_b64 s[4:5], vcc
	s_cbranch_execz .LBB893_20
; %bb.19:
	v_mov_b32_e32 v13, 0
	v_lshl_add_u64 v[14:15], v[12:13], 2, s[0:1]
	v_subrev_co_u32_e32 v12, vcc, s15, v12
	v_lshl_add_u64 v[12:13], v[12:13], 2, s[2:3]
	s_nop 0
	v_cndmask_b32_e32 v13, v13, v15, vcc
	v_cndmask_b32_e32 v12, v12, v14, vcc
	global_load_dword v9, v[12:13], off
.LBB893_20:
	s_or_b64 exec, exec, s[4:5]
.LBB893_21:
	v_min_u32_e32 v11, s20, v10
	v_sub_u32_e64 v1, v11, s17 clamp
	v_min_u32_e32 v12, s15, v11
	v_cmp_lt_u32_e32 vcc, v1, v12
	s_waitcnt lgkmcnt(0)
	s_barrier
	s_and_saveexec_b64 s[0:1], vcc
	s_cbranch_execz .LBB893_25
; %bb.22:
	v_lshlrev_b32_e32 v13, 2, v11
	v_lshl_add_u32 v13, s15, 2, v13
	s_mov_b64 s[2:3], 0
.LBB893_23:                             ; =>This Inner Loop Header: Depth=1
	v_add_u32_e32 v14, v12, v1
	v_lshrrev_b32_e32 v14, 1, v14
	v_not_b32_e32 v15, v14
	v_lshlrev_b32_e32 v16, 2, v14
	v_lshl_add_u32 v15, v15, 2, v13
	ds_read_b32 v16, v16
	ds_read_b32 v15, v15
	v_add_u32_e32 v17, 1, v14
	s_waitcnt lgkmcnt(0)
	v_cmp_gt_i32_e32 vcc, v15, v16
	s_nop 1
	v_cndmask_b32_e32 v12, v12, v14, vcc
	v_cndmask_b32_e32 v1, v17, v1, vcc
	v_cmp_ge_u32_e32 vcc, v1, v12
	s_or_b64 s[2:3], vcc, s[2:3]
	s_andn2_b64 exec, exec, s[2:3]
	s_cbranch_execnz .LBB893_23
; %bb.24:
	s_or_b64 exec, exec, s[2:3]
.LBB893_25:
	s_or_b64 exec, exec, s[0:1]
	v_sub_u32_e32 v11, v11, v1
	v_add_u32_e32 v14, s15, v11
	v_cmp_ge_u32_e32 vcc, s15, v1
	v_cmp_ge_u32_e64 s[0:1], s20, v14
	s_or_b64 s[0:1], vcc, s[0:1]
	v_mov_b32_e32 v15, 0
	v_mov_b32_e32 v13, 0
	v_mov_b32_e32 v12, 0
	v_mov_b32_e32 v11, 0
	s_and_saveexec_b64 s[10:11], s[0:1]
	s_cbranch_execz .LBB893_31
; %bb.26:
	v_cmp_gt_u32_e32 vcc, s15, v1
                                        ; implicit-def: $vgpr2
	s_and_saveexec_b64 s[0:1], vcc
; %bb.27:
	v_lshlrev_b32_e32 v2, 2, v1
	ds_read_b32 v2, v2
; %bb.28:
	s_or_b64 exec, exec, s[0:1]
	v_cmp_le_u32_e64 s[0:1], s20, v14
	v_cmp_gt_u32_e64 s[2:3], s20, v14
                                        ; implicit-def: $vgpr3
	s_and_saveexec_b64 s[4:5], s[2:3]
; %bb.29:
	v_lshlrev_b32_e32 v3, 2, v14
	ds_read_b32 v3, v3
; %bb.30:
	s_or_b64 exec, exec, s[4:5]
	s_waitcnt lgkmcnt(0)
	v_cmp_le_i32_e64 s[2:3], v3, v2
	s_and_b64 s[2:3], vcc, s[2:3]
	s_or_b64 vcc, s[0:1], s[2:3]
	v_mov_b32_e32 v4, s20
	v_mov_b32_e32 v5, s15
	v_cndmask_b32_e32 v11, v14, v1, vcc
	v_cndmask_b32_e32 v12, v4, v5, vcc
	v_add_u32_e32 v13, 1, v11
	v_add_u32_e32 v12, -1, v12
	v_min_u32_e32 v12, v13, v12
	v_lshlrev_b32_e32 v12, 2, v12
	ds_read_b32 v12, v12
	v_cndmask_b32_e32 v1, v1, v13, vcc
	v_cndmask_b32_e32 v14, v13, v14, vcc
	v_cmp_gt_u32_e64 s[2:3], s15, v1
	v_cmp_le_u32_e64 s[0:1], s20, v14
	s_waitcnt lgkmcnt(0)
	v_cndmask_b32_e32 v15, v12, v3, vcc
	v_cndmask_b32_e32 v16, v2, v12, vcc
	v_cmp_le_i32_e64 s[4:5], v15, v16
	s_and_b64 s[2:3], s[2:3], s[4:5]
	s_or_b64 s[0:1], s[0:1], s[2:3]
	v_cndmask_b32_e64 v12, v14, v1, s[0:1]
	v_cndmask_b32_e64 v13, v4, v5, s[0:1]
	v_add_u32_e32 v17, 1, v12
	v_add_u32_e32 v13, -1, v13
	v_min_u32_e32 v13, v17, v13
	v_lshlrev_b32_e32 v13, 2, v13
	ds_read_b32 v13, v13
	v_cndmask_b32_e64 v1, v1, v17, s[0:1]
	v_cndmask_b32_e64 v14, v17, v14, s[0:1]
	v_cmp_gt_u32_e64 s[4:5], s15, v1
	v_cmp_le_u32_e64 s[2:3], s20, v14
	s_waitcnt lgkmcnt(0)
	v_cndmask_b32_e64 v18, v13, v15, s[0:1]
	v_cndmask_b32_e64 v19, v16, v13, s[0:1]
	v_cmp_le_i32_e64 s[6:7], v18, v19
	s_and_b64 s[4:5], s[4:5], s[6:7]
	s_or_b64 s[2:3], s[2:3], s[4:5]
	v_cndmask_b32_e64 v13, v14, v1, s[2:3]
	v_cndmask_b32_e64 v4, v4, v5, s[2:3]
	v_add_u32_e32 v5, 1, v13
	v_add_u32_e32 v4, -1, v4
	v_min_u32_e32 v4, v5, v4
	v_lshlrev_b32_e32 v4, 2, v4
	ds_read_b32 v17, v4
	v_cndmask_b32_e32 v2, v3, v2, vcc
	v_cndmask_b32_e64 v3, v15, v16, s[0:1]
	v_cndmask_b32_e64 v1, v1, v5, s[2:3]
	;; [unrolled: 1-line block ×3, first 2 shown]
	s_waitcnt lgkmcnt(0)
	v_cndmask_b32_e64 v16, v17, v18, s[2:3]
	v_cndmask_b32_e64 v17, v19, v17, s[2:3]
	;; [unrolled: 1-line block ×3, first 2 shown]
	v_cmp_gt_u32_e64 s[0:1], s15, v1
	v_cmp_le_i32_e64 s[2:3], v16, v17
	v_cmp_le_u32_e32 vcc, s20, v14
	s_and_b64 s[0:1], s[0:1], s[2:3]
	s_or_b64 vcc, vcc, s[0:1]
	v_cndmask_b32_e32 v15, v14, v1, vcc
	v_cndmask_b32_e32 v5, v16, v17, vcc
.LBB893_31:
	s_or_b64 exec, exec, s[10:11]
	s_barrier
	s_waitcnt vmcnt(0)
	ds_write2st64_b32 v10, v6, v7 offset1:4
	ds_write2st64_b32 v10, v8, v9 offset0:8 offset1:12
	v_lshlrev_b32_e32 v1, 2, v11
	v_lshrrev_b32_e32 v11, 3, v0
	v_lshlrev_b32_e32 v9, 2, v10
	v_lshlrev_b32_e32 v6, 2, v12
	;; [unrolled: 1-line block ×4, first 2 shown]
	v_lshl_add_u32 v9, v11, 2, v9
	s_waitcnt lgkmcnt(0)
	s_barrier
	ds_read_b32 v1, v1
	ds_read_b32 v6, v6
	;; [unrolled: 1-line block ×4, first 2 shown]
	s_waitcnt lgkmcnt(0)
	s_barrier
	s_barrier
	ds_write2_b32 v9, v2, v3 offset1:1
	ds_write2_b32 v9, v4, v5 offset0:2 offset1:3
	v_and_b32_e32 v2, 28, v11
	v_or_b32_e32 v16, 0x100, v0
	v_add_u32_e32 v4, v2, v10
	v_lshrrev_b32_e32 v2, 3, v16
	v_and_b32_e32 v2, 60, v2
	v_or_b32_e32 v15, 0x200, v0
	s_mov_b32 s17, 0
	v_add_u32_e32 v5, v2, v10
	v_lshrrev_b32_e32 v2, 3, v15
	s_lshl_b64 s[4:5], s[16:17], 2
	v_and_b32_e32 v2, 0x5c, v2
	v_or_b32_e32 v14, 0x300, v0
	s_add_u32 s0, s8, s4
	v_add_u32_e32 v12, v2, v10
	v_lshrrev_b32_e32 v2, 3, v14
	s_addc_u32 s1, s9, s5
	v_and_b32_e32 v2, 0x7c, v2
	v_mov_b32_e32 v11, 0
	v_add_u32_e32 v13, v2, v10
	v_lshl_add_u64 v[2:3], s[0:1], 0, v[10:11]
	s_and_b64 vcc, exec, s[18:19]
	s_waitcnt lgkmcnt(0)
	s_cbranch_vccz .LBB893_33
; %bb.32:
	s_barrier
	ds_read_b32 v11, v4
	ds_read_b32 v17, v5 offset:1024
	ds_read_b32 v18, v12 offset:2048
	;; [unrolled: 1-line block ×3, first 2 shown]
	s_add_u32 s0, s12, s4
	s_addc_u32 s1, s13, s5
	s_waitcnt lgkmcnt(3)
	global_store_dword v[2:3], v11, off
	s_waitcnt lgkmcnt(2)
	global_store_dword v[2:3], v17, off offset:1024
	s_waitcnt lgkmcnt(1)
	global_store_dword v[2:3], v18, off offset:2048
	;; [unrolled: 2-line block ×3, first 2 shown]
	s_barrier
	ds_write2_b32 v9, v1, v6 offset1:1
	ds_write2_b32 v9, v7, v8 offset0:2 offset1:3
	s_waitcnt lgkmcnt(0)
	s_barrier
	ds_read_b32 v11, v4
	ds_read_b32 v18, v5 offset:1024
	ds_read_b32 v19, v12 offset:2048
	;; [unrolled: 1-line block ×3, first 2 shown]
	s_waitcnt lgkmcnt(3)
	global_store_dword v10, v11, s[0:1]
	s_waitcnt lgkmcnt(2)
	global_store_dword v10, v18, s[0:1] offset:1024
	s_waitcnt lgkmcnt(1)
	global_store_dword v10, v19, s[0:1] offset:2048
	s_mov_b64 s[6:7], -1
	s_cbranch_execz .LBB893_34
	s_branch .LBB893_44
.LBB893_33:
	s_mov_b64 s[6:7], 0
                                        ; implicit-def: $vgpr17
.LBB893_34:
	s_barrier
	s_waitcnt lgkmcnt(0)
	ds_read_b32 v18, v5 offset:1024
	ds_read_b32 v17, v12 offset:2048
	;; [unrolled: 1-line block ×3, first 2 shown]
	s_sub_i32 s8, s14, s16
	v_cmp_gt_u32_e32 vcc, s8, v0
	s_and_saveexec_b64 s[0:1], vcc
	s_cbranch_execnz .LBB893_51
; %bb.35:
	s_or_b64 exec, exec, s[0:1]
	v_cmp_gt_u32_e64 s[0:1], s8, v16
	s_and_saveexec_b64 s[2:3], s[0:1]
	s_cbranch_execnz .LBB893_52
.LBB893_36:
	s_or_b64 exec, exec, s[2:3]
	v_cmp_gt_u32_e64 s[2:3], s8, v15
	s_and_saveexec_b64 s[6:7], s[2:3]
	s_cbranch_execnz .LBB893_53
.LBB893_37:
	s_or_b64 exec, exec, s[6:7]
	v_cmp_gt_u32_e64 s[6:7], s8, v14
	s_and_saveexec_b64 s[8:9], s[6:7]
	s_cbranch_execz .LBB893_39
.LBB893_38:
	s_waitcnt lgkmcnt(0)
	global_store_dword v[2:3], v11, off offset:3072
.LBB893_39:
	s_or_b64 exec, exec, s[8:9]
	s_waitcnt lgkmcnt(0)
	s_barrier
	ds_write2_b32 v9, v1, v6 offset1:1
	ds_write2_b32 v9, v7, v8 offset0:2 offset1:3
	s_waitcnt lgkmcnt(0)
	s_barrier
	ds_read_b32 v3, v5 offset:1024
	ds_read_b32 v2, v12 offset:2048
	;; [unrolled: 1-line block ×3, first 2 shown]
	s_add_u32 s8, s12, s4
	s_addc_u32 s9, s13, s5
	v_mov_b32_e32 v11, 0
	v_lshl_add_u64 v[0:1], s[8:9], 0, v[10:11]
	s_and_saveexec_b64 s[8:9], vcc
	s_cbranch_execnz .LBB893_54
; %bb.40:
	s_or_b64 exec, exec, s[8:9]
	s_and_saveexec_b64 s[8:9], s[0:1]
	s_cbranch_execnz .LBB893_55
.LBB893_41:
	s_or_b64 exec, exec, s[8:9]
	s_and_saveexec_b64 s[0:1], s[2:3]
	s_cbranch_execz .LBB893_43
.LBB893_42:
	s_waitcnt lgkmcnt(1)
	global_store_dword v[0:1], v2, off offset:2048
.LBB893_43:
	s_or_b64 exec, exec, s[0:1]
.LBB893_44:
	s_and_saveexec_b64 s[0:1], s[6:7]
	s_cbranch_execz .LBB893_46
; %bb.45:
	s_add_u32 s0, s12, s4
	s_addc_u32 s1, s13, s5
	s_waitcnt lgkmcnt(0)
	global_store_dword v10, v17, s[0:1] offset:3072
.LBB893_46:
	s_endpgm
.LBB893_47:
	v_mov_b32_e32 v11, v2
	v_subrev_co_u32_e32 v6, vcc, s15, v0
	v_mov_b32_e32 v7, v2
	v_lshl_add_u64 v[4:5], s[6:7], 0, v[10:11]
	v_lshl_add_u64 v[6:7], v[6:7], 2, s[20:21]
	v_cndmask_b32_e32 v5, v7, v5, vcc
	v_cndmask_b32_e32 v4, v6, v4, vcc
	global_load_dword v4, v[4:5], off
	v_mov_b32_e32 v5, v2
	v_mov_b32_e32 v6, v2
	;; [unrolled: 1-line block ×3, first 2 shown]
	s_waitcnt vmcnt(0)
	v_mov_b64_e32 v[2:3], v[4:5]
	v_mov_b64_e32 v[4:5], v[6:7]
	s_or_b64 exec, exec, s[2:3]
	v_cmp_gt_u32_e32 vcc, s22, v14
	s_and_saveexec_b64 s[2:3], vcc
	s_cbranch_execz .LBB893_6
.LBB893_48:
	v_mov_b32_e32 v15, 0
	v_subrev_co_u32_e32 v8, vcc, s15, v14
	v_mov_b32_e32 v9, v15
	v_lshl_add_u64 v[6:7], v[14:15], 2, s[6:7]
	v_lshl_add_u64 v[8:9], v[8:9], 2, s[20:21]
	v_cndmask_b32_e32 v7, v9, v7, vcc
	v_cndmask_b32_e32 v6, v8, v6, vcc
	global_load_dword v3, v[6:7], off
	s_or_b64 exec, exec, s[2:3]
	v_cmp_gt_u32_e32 vcc, s22, v12
	s_and_saveexec_b64 s[2:3], vcc
	s_cbranch_execnz .LBB893_7
	s_branch .LBB893_8
.LBB893_49:
	v_mov_b32_e32 v11, v6
	v_subrev_co_u32_e32 v16, vcc, s15, v0
	v_mov_b32_e32 v17, v6
	v_lshl_add_u64 v[8:9], s[0:1], 0, v[10:11]
	v_lshl_add_u64 v[16:17], v[16:17], 2, s[2:3]
	v_cndmask_b32_e32 v9, v17, v9, vcc
	v_cndmask_b32_e32 v8, v16, v8, vcc
	global_load_dword v16, v[8:9], off
	v_mov_b32_e32 v17, v6
	v_mov_b32_e32 v18, v6
	;; [unrolled: 1-line block ×3, first 2 shown]
	s_waitcnt vmcnt(0)
	v_mov_b64_e32 v[6:7], v[16:17]
	v_mov_b64_e32 v[8:9], v[18:19]
	s_or_b64 exec, exec, s[4:5]
	v_cmp_gt_u32_e32 vcc, s20, v14
	s_and_saveexec_b64 s[4:5], vcc
	s_cbranch_execz .LBB893_16
.LBB893_50:
	v_mov_b32_e32 v15, 0
	v_lshl_add_u64 v[16:17], v[14:15], 2, s[0:1]
	v_subrev_co_u32_e32 v14, vcc, s15, v14
	v_lshl_add_u64 v[14:15], v[14:15], 2, s[2:3]
	s_nop 0
	v_cndmask_b32_e32 v15, v15, v17, vcc
	v_cndmask_b32_e32 v14, v14, v16, vcc
	global_load_dword v7, v[14:15], off
	s_or_b64 exec, exec, s[4:5]
	v_cmp_gt_u32_e32 vcc, s20, v12
	s_and_saveexec_b64 s[4:5], vcc
	s_cbranch_execnz .LBB893_17
	s_branch .LBB893_18
.LBB893_51:
	ds_read_b32 v0, v4
	s_waitcnt lgkmcnt(0)
	global_store_dword v[2:3], v0, off
	s_or_b64 exec, exec, s[0:1]
	v_cmp_gt_u32_e64 s[0:1], s8, v16
	s_and_saveexec_b64 s[2:3], s[0:1]
	s_cbranch_execz .LBB893_36
.LBB893_52:
	s_waitcnt lgkmcnt(2)
	global_store_dword v[2:3], v18, off offset:1024
	s_or_b64 exec, exec, s[2:3]
	v_cmp_gt_u32_e64 s[2:3], s8, v15
	s_and_saveexec_b64 s[6:7], s[2:3]
	s_cbranch_execz .LBB893_37
.LBB893_53:
	s_waitcnt lgkmcnt(1)
	global_store_dword v[2:3], v17, off offset:2048
	s_or_b64 exec, exec, s[6:7]
	v_cmp_gt_u32_e64 s[6:7], s8, v14
	s_and_saveexec_b64 s[8:9], s[6:7]
	s_cbranch_execnz .LBB893_38
	s_branch .LBB893_39
.LBB893_54:
	ds_read_b32 v4, v4
	s_waitcnt lgkmcnt(0)
	global_store_dword v[0:1], v4, off
	s_or_b64 exec, exec, s[8:9]
	s_and_saveexec_b64 s[8:9], s[0:1]
	s_cbranch_execz .LBB893_41
.LBB893_55:
	s_waitcnt lgkmcnt(2)
	global_store_dword v[0:1], v3, off offset:1024
	s_or_b64 exec, exec, s[8:9]
	s_and_saveexec_b64 s[0:1], s[2:3]
	s_cbranch_execnz .LBB893_42
	s_branch .LBB893_43
	.section	.rodata,"a",@progbits
	.p2align	6, 0x0
	.amdhsa_kernel _ZN7rocprim17ROCPRIM_400000_NS6detail17trampoline_kernelINS0_14default_configENS1_38merge_sort_block_merge_config_selectorIiiEEZZNS1_27merge_sort_block_merge_implIS3_N6thrust23THRUST_200600_302600_NS6detail15normal_iteratorINS8_10device_ptrIiEEEESD_jNS1_19radix_merge_compareILb1ELb0EiNS0_19identity_decomposerEEEEE10hipError_tT0_T1_T2_jT3_P12ihipStream_tbPNSt15iterator_traitsISI_E10value_typeEPNSO_ISJ_E10value_typeEPSK_NS1_7vsmem_tEENKUlT_SI_SJ_SK_E_clIPiSD_S10_SD_EESH_SX_SI_SJ_SK_EUlSX_E0_NS1_11comp_targetILNS1_3genE0ELNS1_11target_archE4294967295ELNS1_3gpuE0ELNS1_3repE0EEENS1_38merge_mergepath_config_static_selectorELNS0_4arch9wavefront6targetE1EEEvSJ_
		.amdhsa_group_segment_fixed_size 4224
		.amdhsa_private_segment_fixed_size 0
		.amdhsa_kernarg_size 320
		.amdhsa_user_sgpr_count 2
		.amdhsa_user_sgpr_dispatch_ptr 0
		.amdhsa_user_sgpr_queue_ptr 0
		.amdhsa_user_sgpr_kernarg_segment_ptr 1
		.amdhsa_user_sgpr_dispatch_id 0
		.amdhsa_user_sgpr_kernarg_preload_length 0
		.amdhsa_user_sgpr_kernarg_preload_offset 0
		.amdhsa_user_sgpr_private_segment_size 0
		.amdhsa_uses_dynamic_stack 0
		.amdhsa_enable_private_segment 0
		.amdhsa_system_sgpr_workgroup_id_x 1
		.amdhsa_system_sgpr_workgroup_id_y 1
		.amdhsa_system_sgpr_workgroup_id_z 1
		.amdhsa_system_sgpr_workgroup_info 0
		.amdhsa_system_vgpr_workitem_id 0
		.amdhsa_next_free_vgpr 20
		.amdhsa_next_free_sgpr 30
		.amdhsa_accum_offset 20
		.amdhsa_reserve_vcc 1
		.amdhsa_float_round_mode_32 0
		.amdhsa_float_round_mode_16_64 0
		.amdhsa_float_denorm_mode_32 3
		.amdhsa_float_denorm_mode_16_64 3
		.amdhsa_dx10_clamp 1
		.amdhsa_ieee_mode 1
		.amdhsa_fp16_overflow 0
		.amdhsa_tg_split 0
		.amdhsa_exception_fp_ieee_invalid_op 0
		.amdhsa_exception_fp_denorm_src 0
		.amdhsa_exception_fp_ieee_div_zero 0
		.amdhsa_exception_fp_ieee_overflow 0
		.amdhsa_exception_fp_ieee_underflow 0
		.amdhsa_exception_fp_ieee_inexact 0
		.amdhsa_exception_int_div_zero 0
	.end_amdhsa_kernel
	.section	.text._ZN7rocprim17ROCPRIM_400000_NS6detail17trampoline_kernelINS0_14default_configENS1_38merge_sort_block_merge_config_selectorIiiEEZZNS1_27merge_sort_block_merge_implIS3_N6thrust23THRUST_200600_302600_NS6detail15normal_iteratorINS8_10device_ptrIiEEEESD_jNS1_19radix_merge_compareILb1ELb0EiNS0_19identity_decomposerEEEEE10hipError_tT0_T1_T2_jT3_P12ihipStream_tbPNSt15iterator_traitsISI_E10value_typeEPNSO_ISJ_E10value_typeEPSK_NS1_7vsmem_tEENKUlT_SI_SJ_SK_E_clIPiSD_S10_SD_EESH_SX_SI_SJ_SK_EUlSX_E0_NS1_11comp_targetILNS1_3genE0ELNS1_11target_archE4294967295ELNS1_3gpuE0ELNS1_3repE0EEENS1_38merge_mergepath_config_static_selectorELNS0_4arch9wavefront6targetE1EEEvSJ_,"axG",@progbits,_ZN7rocprim17ROCPRIM_400000_NS6detail17trampoline_kernelINS0_14default_configENS1_38merge_sort_block_merge_config_selectorIiiEEZZNS1_27merge_sort_block_merge_implIS3_N6thrust23THRUST_200600_302600_NS6detail15normal_iteratorINS8_10device_ptrIiEEEESD_jNS1_19radix_merge_compareILb1ELb0EiNS0_19identity_decomposerEEEEE10hipError_tT0_T1_T2_jT3_P12ihipStream_tbPNSt15iterator_traitsISI_E10value_typeEPNSO_ISJ_E10value_typeEPSK_NS1_7vsmem_tEENKUlT_SI_SJ_SK_E_clIPiSD_S10_SD_EESH_SX_SI_SJ_SK_EUlSX_E0_NS1_11comp_targetILNS1_3genE0ELNS1_11target_archE4294967295ELNS1_3gpuE0ELNS1_3repE0EEENS1_38merge_mergepath_config_static_selectorELNS0_4arch9wavefront6targetE1EEEvSJ_,comdat
.Lfunc_end893:
	.size	_ZN7rocprim17ROCPRIM_400000_NS6detail17trampoline_kernelINS0_14default_configENS1_38merge_sort_block_merge_config_selectorIiiEEZZNS1_27merge_sort_block_merge_implIS3_N6thrust23THRUST_200600_302600_NS6detail15normal_iteratorINS8_10device_ptrIiEEEESD_jNS1_19radix_merge_compareILb1ELb0EiNS0_19identity_decomposerEEEEE10hipError_tT0_T1_T2_jT3_P12ihipStream_tbPNSt15iterator_traitsISI_E10value_typeEPNSO_ISJ_E10value_typeEPSK_NS1_7vsmem_tEENKUlT_SI_SJ_SK_E_clIPiSD_S10_SD_EESH_SX_SI_SJ_SK_EUlSX_E0_NS1_11comp_targetILNS1_3genE0ELNS1_11target_archE4294967295ELNS1_3gpuE0ELNS1_3repE0EEENS1_38merge_mergepath_config_static_selectorELNS0_4arch9wavefront6targetE1EEEvSJ_, .Lfunc_end893-_ZN7rocprim17ROCPRIM_400000_NS6detail17trampoline_kernelINS0_14default_configENS1_38merge_sort_block_merge_config_selectorIiiEEZZNS1_27merge_sort_block_merge_implIS3_N6thrust23THRUST_200600_302600_NS6detail15normal_iteratorINS8_10device_ptrIiEEEESD_jNS1_19radix_merge_compareILb1ELb0EiNS0_19identity_decomposerEEEEE10hipError_tT0_T1_T2_jT3_P12ihipStream_tbPNSt15iterator_traitsISI_E10value_typeEPNSO_ISJ_E10value_typeEPSK_NS1_7vsmem_tEENKUlT_SI_SJ_SK_E_clIPiSD_S10_SD_EESH_SX_SI_SJ_SK_EUlSX_E0_NS1_11comp_targetILNS1_3genE0ELNS1_11target_archE4294967295ELNS1_3gpuE0ELNS1_3repE0EEENS1_38merge_mergepath_config_static_selectorELNS0_4arch9wavefront6targetE1EEEvSJ_
                                        ; -- End function
	.set _ZN7rocprim17ROCPRIM_400000_NS6detail17trampoline_kernelINS0_14default_configENS1_38merge_sort_block_merge_config_selectorIiiEEZZNS1_27merge_sort_block_merge_implIS3_N6thrust23THRUST_200600_302600_NS6detail15normal_iteratorINS8_10device_ptrIiEEEESD_jNS1_19radix_merge_compareILb1ELb0EiNS0_19identity_decomposerEEEEE10hipError_tT0_T1_T2_jT3_P12ihipStream_tbPNSt15iterator_traitsISI_E10value_typeEPNSO_ISJ_E10value_typeEPSK_NS1_7vsmem_tEENKUlT_SI_SJ_SK_E_clIPiSD_S10_SD_EESH_SX_SI_SJ_SK_EUlSX_E0_NS1_11comp_targetILNS1_3genE0ELNS1_11target_archE4294967295ELNS1_3gpuE0ELNS1_3repE0EEENS1_38merge_mergepath_config_static_selectorELNS0_4arch9wavefront6targetE1EEEvSJ_.num_vgpr, 20
	.set _ZN7rocprim17ROCPRIM_400000_NS6detail17trampoline_kernelINS0_14default_configENS1_38merge_sort_block_merge_config_selectorIiiEEZZNS1_27merge_sort_block_merge_implIS3_N6thrust23THRUST_200600_302600_NS6detail15normal_iteratorINS8_10device_ptrIiEEEESD_jNS1_19radix_merge_compareILb1ELb0EiNS0_19identity_decomposerEEEEE10hipError_tT0_T1_T2_jT3_P12ihipStream_tbPNSt15iterator_traitsISI_E10value_typeEPNSO_ISJ_E10value_typeEPSK_NS1_7vsmem_tEENKUlT_SI_SJ_SK_E_clIPiSD_S10_SD_EESH_SX_SI_SJ_SK_EUlSX_E0_NS1_11comp_targetILNS1_3genE0ELNS1_11target_archE4294967295ELNS1_3gpuE0ELNS1_3repE0EEENS1_38merge_mergepath_config_static_selectorELNS0_4arch9wavefront6targetE1EEEvSJ_.num_agpr, 0
	.set _ZN7rocprim17ROCPRIM_400000_NS6detail17trampoline_kernelINS0_14default_configENS1_38merge_sort_block_merge_config_selectorIiiEEZZNS1_27merge_sort_block_merge_implIS3_N6thrust23THRUST_200600_302600_NS6detail15normal_iteratorINS8_10device_ptrIiEEEESD_jNS1_19radix_merge_compareILb1ELb0EiNS0_19identity_decomposerEEEEE10hipError_tT0_T1_T2_jT3_P12ihipStream_tbPNSt15iterator_traitsISI_E10value_typeEPNSO_ISJ_E10value_typeEPSK_NS1_7vsmem_tEENKUlT_SI_SJ_SK_E_clIPiSD_S10_SD_EESH_SX_SI_SJ_SK_EUlSX_E0_NS1_11comp_targetILNS1_3genE0ELNS1_11target_archE4294967295ELNS1_3gpuE0ELNS1_3repE0EEENS1_38merge_mergepath_config_static_selectorELNS0_4arch9wavefront6targetE1EEEvSJ_.numbered_sgpr, 30
	.set _ZN7rocprim17ROCPRIM_400000_NS6detail17trampoline_kernelINS0_14default_configENS1_38merge_sort_block_merge_config_selectorIiiEEZZNS1_27merge_sort_block_merge_implIS3_N6thrust23THRUST_200600_302600_NS6detail15normal_iteratorINS8_10device_ptrIiEEEESD_jNS1_19radix_merge_compareILb1ELb0EiNS0_19identity_decomposerEEEEE10hipError_tT0_T1_T2_jT3_P12ihipStream_tbPNSt15iterator_traitsISI_E10value_typeEPNSO_ISJ_E10value_typeEPSK_NS1_7vsmem_tEENKUlT_SI_SJ_SK_E_clIPiSD_S10_SD_EESH_SX_SI_SJ_SK_EUlSX_E0_NS1_11comp_targetILNS1_3genE0ELNS1_11target_archE4294967295ELNS1_3gpuE0ELNS1_3repE0EEENS1_38merge_mergepath_config_static_selectorELNS0_4arch9wavefront6targetE1EEEvSJ_.num_named_barrier, 0
	.set _ZN7rocprim17ROCPRIM_400000_NS6detail17trampoline_kernelINS0_14default_configENS1_38merge_sort_block_merge_config_selectorIiiEEZZNS1_27merge_sort_block_merge_implIS3_N6thrust23THRUST_200600_302600_NS6detail15normal_iteratorINS8_10device_ptrIiEEEESD_jNS1_19radix_merge_compareILb1ELb0EiNS0_19identity_decomposerEEEEE10hipError_tT0_T1_T2_jT3_P12ihipStream_tbPNSt15iterator_traitsISI_E10value_typeEPNSO_ISJ_E10value_typeEPSK_NS1_7vsmem_tEENKUlT_SI_SJ_SK_E_clIPiSD_S10_SD_EESH_SX_SI_SJ_SK_EUlSX_E0_NS1_11comp_targetILNS1_3genE0ELNS1_11target_archE4294967295ELNS1_3gpuE0ELNS1_3repE0EEENS1_38merge_mergepath_config_static_selectorELNS0_4arch9wavefront6targetE1EEEvSJ_.private_seg_size, 0
	.set _ZN7rocprim17ROCPRIM_400000_NS6detail17trampoline_kernelINS0_14default_configENS1_38merge_sort_block_merge_config_selectorIiiEEZZNS1_27merge_sort_block_merge_implIS3_N6thrust23THRUST_200600_302600_NS6detail15normal_iteratorINS8_10device_ptrIiEEEESD_jNS1_19radix_merge_compareILb1ELb0EiNS0_19identity_decomposerEEEEE10hipError_tT0_T1_T2_jT3_P12ihipStream_tbPNSt15iterator_traitsISI_E10value_typeEPNSO_ISJ_E10value_typeEPSK_NS1_7vsmem_tEENKUlT_SI_SJ_SK_E_clIPiSD_S10_SD_EESH_SX_SI_SJ_SK_EUlSX_E0_NS1_11comp_targetILNS1_3genE0ELNS1_11target_archE4294967295ELNS1_3gpuE0ELNS1_3repE0EEENS1_38merge_mergepath_config_static_selectorELNS0_4arch9wavefront6targetE1EEEvSJ_.uses_vcc, 1
	.set _ZN7rocprim17ROCPRIM_400000_NS6detail17trampoline_kernelINS0_14default_configENS1_38merge_sort_block_merge_config_selectorIiiEEZZNS1_27merge_sort_block_merge_implIS3_N6thrust23THRUST_200600_302600_NS6detail15normal_iteratorINS8_10device_ptrIiEEEESD_jNS1_19radix_merge_compareILb1ELb0EiNS0_19identity_decomposerEEEEE10hipError_tT0_T1_T2_jT3_P12ihipStream_tbPNSt15iterator_traitsISI_E10value_typeEPNSO_ISJ_E10value_typeEPSK_NS1_7vsmem_tEENKUlT_SI_SJ_SK_E_clIPiSD_S10_SD_EESH_SX_SI_SJ_SK_EUlSX_E0_NS1_11comp_targetILNS1_3genE0ELNS1_11target_archE4294967295ELNS1_3gpuE0ELNS1_3repE0EEENS1_38merge_mergepath_config_static_selectorELNS0_4arch9wavefront6targetE1EEEvSJ_.uses_flat_scratch, 0
	.set _ZN7rocprim17ROCPRIM_400000_NS6detail17trampoline_kernelINS0_14default_configENS1_38merge_sort_block_merge_config_selectorIiiEEZZNS1_27merge_sort_block_merge_implIS3_N6thrust23THRUST_200600_302600_NS6detail15normal_iteratorINS8_10device_ptrIiEEEESD_jNS1_19radix_merge_compareILb1ELb0EiNS0_19identity_decomposerEEEEE10hipError_tT0_T1_T2_jT3_P12ihipStream_tbPNSt15iterator_traitsISI_E10value_typeEPNSO_ISJ_E10value_typeEPSK_NS1_7vsmem_tEENKUlT_SI_SJ_SK_E_clIPiSD_S10_SD_EESH_SX_SI_SJ_SK_EUlSX_E0_NS1_11comp_targetILNS1_3genE0ELNS1_11target_archE4294967295ELNS1_3gpuE0ELNS1_3repE0EEENS1_38merge_mergepath_config_static_selectorELNS0_4arch9wavefront6targetE1EEEvSJ_.has_dyn_sized_stack, 0
	.set _ZN7rocprim17ROCPRIM_400000_NS6detail17trampoline_kernelINS0_14default_configENS1_38merge_sort_block_merge_config_selectorIiiEEZZNS1_27merge_sort_block_merge_implIS3_N6thrust23THRUST_200600_302600_NS6detail15normal_iteratorINS8_10device_ptrIiEEEESD_jNS1_19radix_merge_compareILb1ELb0EiNS0_19identity_decomposerEEEEE10hipError_tT0_T1_T2_jT3_P12ihipStream_tbPNSt15iterator_traitsISI_E10value_typeEPNSO_ISJ_E10value_typeEPSK_NS1_7vsmem_tEENKUlT_SI_SJ_SK_E_clIPiSD_S10_SD_EESH_SX_SI_SJ_SK_EUlSX_E0_NS1_11comp_targetILNS1_3genE0ELNS1_11target_archE4294967295ELNS1_3gpuE0ELNS1_3repE0EEENS1_38merge_mergepath_config_static_selectorELNS0_4arch9wavefront6targetE1EEEvSJ_.has_recursion, 0
	.set _ZN7rocprim17ROCPRIM_400000_NS6detail17trampoline_kernelINS0_14default_configENS1_38merge_sort_block_merge_config_selectorIiiEEZZNS1_27merge_sort_block_merge_implIS3_N6thrust23THRUST_200600_302600_NS6detail15normal_iteratorINS8_10device_ptrIiEEEESD_jNS1_19radix_merge_compareILb1ELb0EiNS0_19identity_decomposerEEEEE10hipError_tT0_T1_T2_jT3_P12ihipStream_tbPNSt15iterator_traitsISI_E10value_typeEPNSO_ISJ_E10value_typeEPSK_NS1_7vsmem_tEENKUlT_SI_SJ_SK_E_clIPiSD_S10_SD_EESH_SX_SI_SJ_SK_EUlSX_E0_NS1_11comp_targetILNS1_3genE0ELNS1_11target_archE4294967295ELNS1_3gpuE0ELNS1_3repE0EEENS1_38merge_mergepath_config_static_selectorELNS0_4arch9wavefront6targetE1EEEvSJ_.has_indirect_call, 0
	.section	.AMDGPU.csdata,"",@progbits
; Kernel info:
; codeLenInByte = 2908
; TotalNumSgprs: 36
; NumVgprs: 20
; NumAgprs: 0
; TotalNumVgprs: 20
; ScratchSize: 0
; MemoryBound: 0
; FloatMode: 240
; IeeeMode: 1
; LDSByteSize: 4224 bytes/workgroup (compile time only)
; SGPRBlocks: 4
; VGPRBlocks: 2
; NumSGPRsForWavesPerEU: 36
; NumVGPRsForWavesPerEU: 20
; AccumOffset: 20
; Occupancy: 8
; WaveLimiterHint : 1
; COMPUTE_PGM_RSRC2:SCRATCH_EN: 0
; COMPUTE_PGM_RSRC2:USER_SGPR: 2
; COMPUTE_PGM_RSRC2:TRAP_HANDLER: 0
; COMPUTE_PGM_RSRC2:TGID_X_EN: 1
; COMPUTE_PGM_RSRC2:TGID_Y_EN: 1
; COMPUTE_PGM_RSRC2:TGID_Z_EN: 1
; COMPUTE_PGM_RSRC2:TIDIG_COMP_CNT: 0
; COMPUTE_PGM_RSRC3_GFX90A:ACCUM_OFFSET: 4
; COMPUTE_PGM_RSRC3_GFX90A:TG_SPLIT: 0
	.section	.text._ZN7rocprim17ROCPRIM_400000_NS6detail17trampoline_kernelINS0_14default_configENS1_38merge_sort_block_merge_config_selectorIiiEEZZNS1_27merge_sort_block_merge_implIS3_N6thrust23THRUST_200600_302600_NS6detail15normal_iteratorINS8_10device_ptrIiEEEESD_jNS1_19radix_merge_compareILb1ELb0EiNS0_19identity_decomposerEEEEE10hipError_tT0_T1_T2_jT3_P12ihipStream_tbPNSt15iterator_traitsISI_E10value_typeEPNSO_ISJ_E10value_typeEPSK_NS1_7vsmem_tEENKUlT_SI_SJ_SK_E_clIPiSD_S10_SD_EESH_SX_SI_SJ_SK_EUlSX_E0_NS1_11comp_targetILNS1_3genE10ELNS1_11target_archE1201ELNS1_3gpuE5ELNS1_3repE0EEENS1_38merge_mergepath_config_static_selectorELNS0_4arch9wavefront6targetE1EEEvSJ_,"axG",@progbits,_ZN7rocprim17ROCPRIM_400000_NS6detail17trampoline_kernelINS0_14default_configENS1_38merge_sort_block_merge_config_selectorIiiEEZZNS1_27merge_sort_block_merge_implIS3_N6thrust23THRUST_200600_302600_NS6detail15normal_iteratorINS8_10device_ptrIiEEEESD_jNS1_19radix_merge_compareILb1ELb0EiNS0_19identity_decomposerEEEEE10hipError_tT0_T1_T2_jT3_P12ihipStream_tbPNSt15iterator_traitsISI_E10value_typeEPNSO_ISJ_E10value_typeEPSK_NS1_7vsmem_tEENKUlT_SI_SJ_SK_E_clIPiSD_S10_SD_EESH_SX_SI_SJ_SK_EUlSX_E0_NS1_11comp_targetILNS1_3genE10ELNS1_11target_archE1201ELNS1_3gpuE5ELNS1_3repE0EEENS1_38merge_mergepath_config_static_selectorELNS0_4arch9wavefront6targetE1EEEvSJ_,comdat
	.protected	_ZN7rocprim17ROCPRIM_400000_NS6detail17trampoline_kernelINS0_14default_configENS1_38merge_sort_block_merge_config_selectorIiiEEZZNS1_27merge_sort_block_merge_implIS3_N6thrust23THRUST_200600_302600_NS6detail15normal_iteratorINS8_10device_ptrIiEEEESD_jNS1_19radix_merge_compareILb1ELb0EiNS0_19identity_decomposerEEEEE10hipError_tT0_T1_T2_jT3_P12ihipStream_tbPNSt15iterator_traitsISI_E10value_typeEPNSO_ISJ_E10value_typeEPSK_NS1_7vsmem_tEENKUlT_SI_SJ_SK_E_clIPiSD_S10_SD_EESH_SX_SI_SJ_SK_EUlSX_E0_NS1_11comp_targetILNS1_3genE10ELNS1_11target_archE1201ELNS1_3gpuE5ELNS1_3repE0EEENS1_38merge_mergepath_config_static_selectorELNS0_4arch9wavefront6targetE1EEEvSJ_ ; -- Begin function _ZN7rocprim17ROCPRIM_400000_NS6detail17trampoline_kernelINS0_14default_configENS1_38merge_sort_block_merge_config_selectorIiiEEZZNS1_27merge_sort_block_merge_implIS3_N6thrust23THRUST_200600_302600_NS6detail15normal_iteratorINS8_10device_ptrIiEEEESD_jNS1_19radix_merge_compareILb1ELb0EiNS0_19identity_decomposerEEEEE10hipError_tT0_T1_T2_jT3_P12ihipStream_tbPNSt15iterator_traitsISI_E10value_typeEPNSO_ISJ_E10value_typeEPSK_NS1_7vsmem_tEENKUlT_SI_SJ_SK_E_clIPiSD_S10_SD_EESH_SX_SI_SJ_SK_EUlSX_E0_NS1_11comp_targetILNS1_3genE10ELNS1_11target_archE1201ELNS1_3gpuE5ELNS1_3repE0EEENS1_38merge_mergepath_config_static_selectorELNS0_4arch9wavefront6targetE1EEEvSJ_
	.globl	_ZN7rocprim17ROCPRIM_400000_NS6detail17trampoline_kernelINS0_14default_configENS1_38merge_sort_block_merge_config_selectorIiiEEZZNS1_27merge_sort_block_merge_implIS3_N6thrust23THRUST_200600_302600_NS6detail15normal_iteratorINS8_10device_ptrIiEEEESD_jNS1_19radix_merge_compareILb1ELb0EiNS0_19identity_decomposerEEEEE10hipError_tT0_T1_T2_jT3_P12ihipStream_tbPNSt15iterator_traitsISI_E10value_typeEPNSO_ISJ_E10value_typeEPSK_NS1_7vsmem_tEENKUlT_SI_SJ_SK_E_clIPiSD_S10_SD_EESH_SX_SI_SJ_SK_EUlSX_E0_NS1_11comp_targetILNS1_3genE10ELNS1_11target_archE1201ELNS1_3gpuE5ELNS1_3repE0EEENS1_38merge_mergepath_config_static_selectorELNS0_4arch9wavefront6targetE1EEEvSJ_
	.p2align	8
	.type	_ZN7rocprim17ROCPRIM_400000_NS6detail17trampoline_kernelINS0_14default_configENS1_38merge_sort_block_merge_config_selectorIiiEEZZNS1_27merge_sort_block_merge_implIS3_N6thrust23THRUST_200600_302600_NS6detail15normal_iteratorINS8_10device_ptrIiEEEESD_jNS1_19radix_merge_compareILb1ELb0EiNS0_19identity_decomposerEEEEE10hipError_tT0_T1_T2_jT3_P12ihipStream_tbPNSt15iterator_traitsISI_E10value_typeEPNSO_ISJ_E10value_typeEPSK_NS1_7vsmem_tEENKUlT_SI_SJ_SK_E_clIPiSD_S10_SD_EESH_SX_SI_SJ_SK_EUlSX_E0_NS1_11comp_targetILNS1_3genE10ELNS1_11target_archE1201ELNS1_3gpuE5ELNS1_3repE0EEENS1_38merge_mergepath_config_static_selectorELNS0_4arch9wavefront6targetE1EEEvSJ_,@function
_ZN7rocprim17ROCPRIM_400000_NS6detail17trampoline_kernelINS0_14default_configENS1_38merge_sort_block_merge_config_selectorIiiEEZZNS1_27merge_sort_block_merge_implIS3_N6thrust23THRUST_200600_302600_NS6detail15normal_iteratorINS8_10device_ptrIiEEEESD_jNS1_19radix_merge_compareILb1ELb0EiNS0_19identity_decomposerEEEEE10hipError_tT0_T1_T2_jT3_P12ihipStream_tbPNSt15iterator_traitsISI_E10value_typeEPNSO_ISJ_E10value_typeEPSK_NS1_7vsmem_tEENKUlT_SI_SJ_SK_E_clIPiSD_S10_SD_EESH_SX_SI_SJ_SK_EUlSX_E0_NS1_11comp_targetILNS1_3genE10ELNS1_11target_archE1201ELNS1_3gpuE5ELNS1_3repE0EEENS1_38merge_mergepath_config_static_selectorELNS0_4arch9wavefront6targetE1EEEvSJ_: ; @_ZN7rocprim17ROCPRIM_400000_NS6detail17trampoline_kernelINS0_14default_configENS1_38merge_sort_block_merge_config_selectorIiiEEZZNS1_27merge_sort_block_merge_implIS3_N6thrust23THRUST_200600_302600_NS6detail15normal_iteratorINS8_10device_ptrIiEEEESD_jNS1_19radix_merge_compareILb1ELb0EiNS0_19identity_decomposerEEEEE10hipError_tT0_T1_T2_jT3_P12ihipStream_tbPNSt15iterator_traitsISI_E10value_typeEPNSO_ISJ_E10value_typeEPSK_NS1_7vsmem_tEENKUlT_SI_SJ_SK_E_clIPiSD_S10_SD_EESH_SX_SI_SJ_SK_EUlSX_E0_NS1_11comp_targetILNS1_3genE10ELNS1_11target_archE1201ELNS1_3gpuE5ELNS1_3repE0EEENS1_38merge_mergepath_config_static_selectorELNS0_4arch9wavefront6targetE1EEEvSJ_
; %bb.0:
	.section	.rodata,"a",@progbits
	.p2align	6, 0x0
	.amdhsa_kernel _ZN7rocprim17ROCPRIM_400000_NS6detail17trampoline_kernelINS0_14default_configENS1_38merge_sort_block_merge_config_selectorIiiEEZZNS1_27merge_sort_block_merge_implIS3_N6thrust23THRUST_200600_302600_NS6detail15normal_iteratorINS8_10device_ptrIiEEEESD_jNS1_19radix_merge_compareILb1ELb0EiNS0_19identity_decomposerEEEEE10hipError_tT0_T1_T2_jT3_P12ihipStream_tbPNSt15iterator_traitsISI_E10value_typeEPNSO_ISJ_E10value_typeEPSK_NS1_7vsmem_tEENKUlT_SI_SJ_SK_E_clIPiSD_S10_SD_EESH_SX_SI_SJ_SK_EUlSX_E0_NS1_11comp_targetILNS1_3genE10ELNS1_11target_archE1201ELNS1_3gpuE5ELNS1_3repE0EEENS1_38merge_mergepath_config_static_selectorELNS0_4arch9wavefront6targetE1EEEvSJ_
		.amdhsa_group_segment_fixed_size 0
		.amdhsa_private_segment_fixed_size 0
		.amdhsa_kernarg_size 64
		.amdhsa_user_sgpr_count 2
		.amdhsa_user_sgpr_dispatch_ptr 0
		.amdhsa_user_sgpr_queue_ptr 0
		.amdhsa_user_sgpr_kernarg_segment_ptr 1
		.amdhsa_user_sgpr_dispatch_id 0
		.amdhsa_user_sgpr_kernarg_preload_length 0
		.amdhsa_user_sgpr_kernarg_preload_offset 0
		.amdhsa_user_sgpr_private_segment_size 0
		.amdhsa_uses_dynamic_stack 0
		.amdhsa_enable_private_segment 0
		.amdhsa_system_sgpr_workgroup_id_x 1
		.amdhsa_system_sgpr_workgroup_id_y 0
		.amdhsa_system_sgpr_workgroup_id_z 0
		.amdhsa_system_sgpr_workgroup_info 0
		.amdhsa_system_vgpr_workitem_id 0
		.amdhsa_next_free_vgpr 1
		.amdhsa_next_free_sgpr 0
		.amdhsa_accum_offset 4
		.amdhsa_reserve_vcc 0
		.amdhsa_float_round_mode_32 0
		.amdhsa_float_round_mode_16_64 0
		.amdhsa_float_denorm_mode_32 3
		.amdhsa_float_denorm_mode_16_64 3
		.amdhsa_dx10_clamp 1
		.amdhsa_ieee_mode 1
		.amdhsa_fp16_overflow 0
		.amdhsa_tg_split 0
		.amdhsa_exception_fp_ieee_invalid_op 0
		.amdhsa_exception_fp_denorm_src 0
		.amdhsa_exception_fp_ieee_div_zero 0
		.amdhsa_exception_fp_ieee_overflow 0
		.amdhsa_exception_fp_ieee_underflow 0
		.amdhsa_exception_fp_ieee_inexact 0
		.amdhsa_exception_int_div_zero 0
	.end_amdhsa_kernel
	.section	.text._ZN7rocprim17ROCPRIM_400000_NS6detail17trampoline_kernelINS0_14default_configENS1_38merge_sort_block_merge_config_selectorIiiEEZZNS1_27merge_sort_block_merge_implIS3_N6thrust23THRUST_200600_302600_NS6detail15normal_iteratorINS8_10device_ptrIiEEEESD_jNS1_19radix_merge_compareILb1ELb0EiNS0_19identity_decomposerEEEEE10hipError_tT0_T1_T2_jT3_P12ihipStream_tbPNSt15iterator_traitsISI_E10value_typeEPNSO_ISJ_E10value_typeEPSK_NS1_7vsmem_tEENKUlT_SI_SJ_SK_E_clIPiSD_S10_SD_EESH_SX_SI_SJ_SK_EUlSX_E0_NS1_11comp_targetILNS1_3genE10ELNS1_11target_archE1201ELNS1_3gpuE5ELNS1_3repE0EEENS1_38merge_mergepath_config_static_selectorELNS0_4arch9wavefront6targetE1EEEvSJ_,"axG",@progbits,_ZN7rocprim17ROCPRIM_400000_NS6detail17trampoline_kernelINS0_14default_configENS1_38merge_sort_block_merge_config_selectorIiiEEZZNS1_27merge_sort_block_merge_implIS3_N6thrust23THRUST_200600_302600_NS6detail15normal_iteratorINS8_10device_ptrIiEEEESD_jNS1_19radix_merge_compareILb1ELb0EiNS0_19identity_decomposerEEEEE10hipError_tT0_T1_T2_jT3_P12ihipStream_tbPNSt15iterator_traitsISI_E10value_typeEPNSO_ISJ_E10value_typeEPSK_NS1_7vsmem_tEENKUlT_SI_SJ_SK_E_clIPiSD_S10_SD_EESH_SX_SI_SJ_SK_EUlSX_E0_NS1_11comp_targetILNS1_3genE10ELNS1_11target_archE1201ELNS1_3gpuE5ELNS1_3repE0EEENS1_38merge_mergepath_config_static_selectorELNS0_4arch9wavefront6targetE1EEEvSJ_,comdat
.Lfunc_end894:
	.size	_ZN7rocprim17ROCPRIM_400000_NS6detail17trampoline_kernelINS0_14default_configENS1_38merge_sort_block_merge_config_selectorIiiEEZZNS1_27merge_sort_block_merge_implIS3_N6thrust23THRUST_200600_302600_NS6detail15normal_iteratorINS8_10device_ptrIiEEEESD_jNS1_19radix_merge_compareILb1ELb0EiNS0_19identity_decomposerEEEEE10hipError_tT0_T1_T2_jT3_P12ihipStream_tbPNSt15iterator_traitsISI_E10value_typeEPNSO_ISJ_E10value_typeEPSK_NS1_7vsmem_tEENKUlT_SI_SJ_SK_E_clIPiSD_S10_SD_EESH_SX_SI_SJ_SK_EUlSX_E0_NS1_11comp_targetILNS1_3genE10ELNS1_11target_archE1201ELNS1_3gpuE5ELNS1_3repE0EEENS1_38merge_mergepath_config_static_selectorELNS0_4arch9wavefront6targetE1EEEvSJ_, .Lfunc_end894-_ZN7rocprim17ROCPRIM_400000_NS6detail17trampoline_kernelINS0_14default_configENS1_38merge_sort_block_merge_config_selectorIiiEEZZNS1_27merge_sort_block_merge_implIS3_N6thrust23THRUST_200600_302600_NS6detail15normal_iteratorINS8_10device_ptrIiEEEESD_jNS1_19radix_merge_compareILb1ELb0EiNS0_19identity_decomposerEEEEE10hipError_tT0_T1_T2_jT3_P12ihipStream_tbPNSt15iterator_traitsISI_E10value_typeEPNSO_ISJ_E10value_typeEPSK_NS1_7vsmem_tEENKUlT_SI_SJ_SK_E_clIPiSD_S10_SD_EESH_SX_SI_SJ_SK_EUlSX_E0_NS1_11comp_targetILNS1_3genE10ELNS1_11target_archE1201ELNS1_3gpuE5ELNS1_3repE0EEENS1_38merge_mergepath_config_static_selectorELNS0_4arch9wavefront6targetE1EEEvSJ_
                                        ; -- End function
	.set _ZN7rocprim17ROCPRIM_400000_NS6detail17trampoline_kernelINS0_14default_configENS1_38merge_sort_block_merge_config_selectorIiiEEZZNS1_27merge_sort_block_merge_implIS3_N6thrust23THRUST_200600_302600_NS6detail15normal_iteratorINS8_10device_ptrIiEEEESD_jNS1_19radix_merge_compareILb1ELb0EiNS0_19identity_decomposerEEEEE10hipError_tT0_T1_T2_jT3_P12ihipStream_tbPNSt15iterator_traitsISI_E10value_typeEPNSO_ISJ_E10value_typeEPSK_NS1_7vsmem_tEENKUlT_SI_SJ_SK_E_clIPiSD_S10_SD_EESH_SX_SI_SJ_SK_EUlSX_E0_NS1_11comp_targetILNS1_3genE10ELNS1_11target_archE1201ELNS1_3gpuE5ELNS1_3repE0EEENS1_38merge_mergepath_config_static_selectorELNS0_4arch9wavefront6targetE1EEEvSJ_.num_vgpr, 0
	.set _ZN7rocprim17ROCPRIM_400000_NS6detail17trampoline_kernelINS0_14default_configENS1_38merge_sort_block_merge_config_selectorIiiEEZZNS1_27merge_sort_block_merge_implIS3_N6thrust23THRUST_200600_302600_NS6detail15normal_iteratorINS8_10device_ptrIiEEEESD_jNS1_19radix_merge_compareILb1ELb0EiNS0_19identity_decomposerEEEEE10hipError_tT0_T1_T2_jT3_P12ihipStream_tbPNSt15iterator_traitsISI_E10value_typeEPNSO_ISJ_E10value_typeEPSK_NS1_7vsmem_tEENKUlT_SI_SJ_SK_E_clIPiSD_S10_SD_EESH_SX_SI_SJ_SK_EUlSX_E0_NS1_11comp_targetILNS1_3genE10ELNS1_11target_archE1201ELNS1_3gpuE5ELNS1_3repE0EEENS1_38merge_mergepath_config_static_selectorELNS0_4arch9wavefront6targetE1EEEvSJ_.num_agpr, 0
	.set _ZN7rocprim17ROCPRIM_400000_NS6detail17trampoline_kernelINS0_14default_configENS1_38merge_sort_block_merge_config_selectorIiiEEZZNS1_27merge_sort_block_merge_implIS3_N6thrust23THRUST_200600_302600_NS6detail15normal_iteratorINS8_10device_ptrIiEEEESD_jNS1_19radix_merge_compareILb1ELb0EiNS0_19identity_decomposerEEEEE10hipError_tT0_T1_T2_jT3_P12ihipStream_tbPNSt15iterator_traitsISI_E10value_typeEPNSO_ISJ_E10value_typeEPSK_NS1_7vsmem_tEENKUlT_SI_SJ_SK_E_clIPiSD_S10_SD_EESH_SX_SI_SJ_SK_EUlSX_E0_NS1_11comp_targetILNS1_3genE10ELNS1_11target_archE1201ELNS1_3gpuE5ELNS1_3repE0EEENS1_38merge_mergepath_config_static_selectorELNS0_4arch9wavefront6targetE1EEEvSJ_.numbered_sgpr, 0
	.set _ZN7rocprim17ROCPRIM_400000_NS6detail17trampoline_kernelINS0_14default_configENS1_38merge_sort_block_merge_config_selectorIiiEEZZNS1_27merge_sort_block_merge_implIS3_N6thrust23THRUST_200600_302600_NS6detail15normal_iteratorINS8_10device_ptrIiEEEESD_jNS1_19radix_merge_compareILb1ELb0EiNS0_19identity_decomposerEEEEE10hipError_tT0_T1_T2_jT3_P12ihipStream_tbPNSt15iterator_traitsISI_E10value_typeEPNSO_ISJ_E10value_typeEPSK_NS1_7vsmem_tEENKUlT_SI_SJ_SK_E_clIPiSD_S10_SD_EESH_SX_SI_SJ_SK_EUlSX_E0_NS1_11comp_targetILNS1_3genE10ELNS1_11target_archE1201ELNS1_3gpuE5ELNS1_3repE0EEENS1_38merge_mergepath_config_static_selectorELNS0_4arch9wavefront6targetE1EEEvSJ_.num_named_barrier, 0
	.set _ZN7rocprim17ROCPRIM_400000_NS6detail17trampoline_kernelINS0_14default_configENS1_38merge_sort_block_merge_config_selectorIiiEEZZNS1_27merge_sort_block_merge_implIS3_N6thrust23THRUST_200600_302600_NS6detail15normal_iteratorINS8_10device_ptrIiEEEESD_jNS1_19radix_merge_compareILb1ELb0EiNS0_19identity_decomposerEEEEE10hipError_tT0_T1_T2_jT3_P12ihipStream_tbPNSt15iterator_traitsISI_E10value_typeEPNSO_ISJ_E10value_typeEPSK_NS1_7vsmem_tEENKUlT_SI_SJ_SK_E_clIPiSD_S10_SD_EESH_SX_SI_SJ_SK_EUlSX_E0_NS1_11comp_targetILNS1_3genE10ELNS1_11target_archE1201ELNS1_3gpuE5ELNS1_3repE0EEENS1_38merge_mergepath_config_static_selectorELNS0_4arch9wavefront6targetE1EEEvSJ_.private_seg_size, 0
	.set _ZN7rocprim17ROCPRIM_400000_NS6detail17trampoline_kernelINS0_14default_configENS1_38merge_sort_block_merge_config_selectorIiiEEZZNS1_27merge_sort_block_merge_implIS3_N6thrust23THRUST_200600_302600_NS6detail15normal_iteratorINS8_10device_ptrIiEEEESD_jNS1_19radix_merge_compareILb1ELb0EiNS0_19identity_decomposerEEEEE10hipError_tT0_T1_T2_jT3_P12ihipStream_tbPNSt15iterator_traitsISI_E10value_typeEPNSO_ISJ_E10value_typeEPSK_NS1_7vsmem_tEENKUlT_SI_SJ_SK_E_clIPiSD_S10_SD_EESH_SX_SI_SJ_SK_EUlSX_E0_NS1_11comp_targetILNS1_3genE10ELNS1_11target_archE1201ELNS1_3gpuE5ELNS1_3repE0EEENS1_38merge_mergepath_config_static_selectorELNS0_4arch9wavefront6targetE1EEEvSJ_.uses_vcc, 0
	.set _ZN7rocprim17ROCPRIM_400000_NS6detail17trampoline_kernelINS0_14default_configENS1_38merge_sort_block_merge_config_selectorIiiEEZZNS1_27merge_sort_block_merge_implIS3_N6thrust23THRUST_200600_302600_NS6detail15normal_iteratorINS8_10device_ptrIiEEEESD_jNS1_19radix_merge_compareILb1ELb0EiNS0_19identity_decomposerEEEEE10hipError_tT0_T1_T2_jT3_P12ihipStream_tbPNSt15iterator_traitsISI_E10value_typeEPNSO_ISJ_E10value_typeEPSK_NS1_7vsmem_tEENKUlT_SI_SJ_SK_E_clIPiSD_S10_SD_EESH_SX_SI_SJ_SK_EUlSX_E0_NS1_11comp_targetILNS1_3genE10ELNS1_11target_archE1201ELNS1_3gpuE5ELNS1_3repE0EEENS1_38merge_mergepath_config_static_selectorELNS0_4arch9wavefront6targetE1EEEvSJ_.uses_flat_scratch, 0
	.set _ZN7rocprim17ROCPRIM_400000_NS6detail17trampoline_kernelINS0_14default_configENS1_38merge_sort_block_merge_config_selectorIiiEEZZNS1_27merge_sort_block_merge_implIS3_N6thrust23THRUST_200600_302600_NS6detail15normal_iteratorINS8_10device_ptrIiEEEESD_jNS1_19radix_merge_compareILb1ELb0EiNS0_19identity_decomposerEEEEE10hipError_tT0_T1_T2_jT3_P12ihipStream_tbPNSt15iterator_traitsISI_E10value_typeEPNSO_ISJ_E10value_typeEPSK_NS1_7vsmem_tEENKUlT_SI_SJ_SK_E_clIPiSD_S10_SD_EESH_SX_SI_SJ_SK_EUlSX_E0_NS1_11comp_targetILNS1_3genE10ELNS1_11target_archE1201ELNS1_3gpuE5ELNS1_3repE0EEENS1_38merge_mergepath_config_static_selectorELNS0_4arch9wavefront6targetE1EEEvSJ_.has_dyn_sized_stack, 0
	.set _ZN7rocprim17ROCPRIM_400000_NS6detail17trampoline_kernelINS0_14default_configENS1_38merge_sort_block_merge_config_selectorIiiEEZZNS1_27merge_sort_block_merge_implIS3_N6thrust23THRUST_200600_302600_NS6detail15normal_iteratorINS8_10device_ptrIiEEEESD_jNS1_19radix_merge_compareILb1ELb0EiNS0_19identity_decomposerEEEEE10hipError_tT0_T1_T2_jT3_P12ihipStream_tbPNSt15iterator_traitsISI_E10value_typeEPNSO_ISJ_E10value_typeEPSK_NS1_7vsmem_tEENKUlT_SI_SJ_SK_E_clIPiSD_S10_SD_EESH_SX_SI_SJ_SK_EUlSX_E0_NS1_11comp_targetILNS1_3genE10ELNS1_11target_archE1201ELNS1_3gpuE5ELNS1_3repE0EEENS1_38merge_mergepath_config_static_selectorELNS0_4arch9wavefront6targetE1EEEvSJ_.has_recursion, 0
	.set _ZN7rocprim17ROCPRIM_400000_NS6detail17trampoline_kernelINS0_14default_configENS1_38merge_sort_block_merge_config_selectorIiiEEZZNS1_27merge_sort_block_merge_implIS3_N6thrust23THRUST_200600_302600_NS6detail15normal_iteratorINS8_10device_ptrIiEEEESD_jNS1_19radix_merge_compareILb1ELb0EiNS0_19identity_decomposerEEEEE10hipError_tT0_T1_T2_jT3_P12ihipStream_tbPNSt15iterator_traitsISI_E10value_typeEPNSO_ISJ_E10value_typeEPSK_NS1_7vsmem_tEENKUlT_SI_SJ_SK_E_clIPiSD_S10_SD_EESH_SX_SI_SJ_SK_EUlSX_E0_NS1_11comp_targetILNS1_3genE10ELNS1_11target_archE1201ELNS1_3gpuE5ELNS1_3repE0EEENS1_38merge_mergepath_config_static_selectorELNS0_4arch9wavefront6targetE1EEEvSJ_.has_indirect_call, 0
	.section	.AMDGPU.csdata,"",@progbits
; Kernel info:
; codeLenInByte = 0
; TotalNumSgprs: 6
; NumVgprs: 0
; NumAgprs: 0
; TotalNumVgprs: 0
; ScratchSize: 0
; MemoryBound: 0
; FloatMode: 240
; IeeeMode: 1
; LDSByteSize: 0 bytes/workgroup (compile time only)
; SGPRBlocks: 0
; VGPRBlocks: 0
; NumSGPRsForWavesPerEU: 6
; NumVGPRsForWavesPerEU: 1
; AccumOffset: 4
; Occupancy: 8
; WaveLimiterHint : 0
; COMPUTE_PGM_RSRC2:SCRATCH_EN: 0
; COMPUTE_PGM_RSRC2:USER_SGPR: 2
; COMPUTE_PGM_RSRC2:TRAP_HANDLER: 0
; COMPUTE_PGM_RSRC2:TGID_X_EN: 1
; COMPUTE_PGM_RSRC2:TGID_Y_EN: 0
; COMPUTE_PGM_RSRC2:TGID_Z_EN: 0
; COMPUTE_PGM_RSRC2:TIDIG_COMP_CNT: 0
; COMPUTE_PGM_RSRC3_GFX90A:ACCUM_OFFSET: 0
; COMPUTE_PGM_RSRC3_GFX90A:TG_SPLIT: 0
	.section	.text._ZN7rocprim17ROCPRIM_400000_NS6detail17trampoline_kernelINS0_14default_configENS1_38merge_sort_block_merge_config_selectorIiiEEZZNS1_27merge_sort_block_merge_implIS3_N6thrust23THRUST_200600_302600_NS6detail15normal_iteratorINS8_10device_ptrIiEEEESD_jNS1_19radix_merge_compareILb1ELb0EiNS0_19identity_decomposerEEEEE10hipError_tT0_T1_T2_jT3_P12ihipStream_tbPNSt15iterator_traitsISI_E10value_typeEPNSO_ISJ_E10value_typeEPSK_NS1_7vsmem_tEENKUlT_SI_SJ_SK_E_clIPiSD_S10_SD_EESH_SX_SI_SJ_SK_EUlSX_E0_NS1_11comp_targetILNS1_3genE5ELNS1_11target_archE942ELNS1_3gpuE9ELNS1_3repE0EEENS1_38merge_mergepath_config_static_selectorELNS0_4arch9wavefront6targetE1EEEvSJ_,"axG",@progbits,_ZN7rocprim17ROCPRIM_400000_NS6detail17trampoline_kernelINS0_14default_configENS1_38merge_sort_block_merge_config_selectorIiiEEZZNS1_27merge_sort_block_merge_implIS3_N6thrust23THRUST_200600_302600_NS6detail15normal_iteratorINS8_10device_ptrIiEEEESD_jNS1_19radix_merge_compareILb1ELb0EiNS0_19identity_decomposerEEEEE10hipError_tT0_T1_T2_jT3_P12ihipStream_tbPNSt15iterator_traitsISI_E10value_typeEPNSO_ISJ_E10value_typeEPSK_NS1_7vsmem_tEENKUlT_SI_SJ_SK_E_clIPiSD_S10_SD_EESH_SX_SI_SJ_SK_EUlSX_E0_NS1_11comp_targetILNS1_3genE5ELNS1_11target_archE942ELNS1_3gpuE9ELNS1_3repE0EEENS1_38merge_mergepath_config_static_selectorELNS0_4arch9wavefront6targetE1EEEvSJ_,comdat
	.protected	_ZN7rocprim17ROCPRIM_400000_NS6detail17trampoline_kernelINS0_14default_configENS1_38merge_sort_block_merge_config_selectorIiiEEZZNS1_27merge_sort_block_merge_implIS3_N6thrust23THRUST_200600_302600_NS6detail15normal_iteratorINS8_10device_ptrIiEEEESD_jNS1_19radix_merge_compareILb1ELb0EiNS0_19identity_decomposerEEEEE10hipError_tT0_T1_T2_jT3_P12ihipStream_tbPNSt15iterator_traitsISI_E10value_typeEPNSO_ISJ_E10value_typeEPSK_NS1_7vsmem_tEENKUlT_SI_SJ_SK_E_clIPiSD_S10_SD_EESH_SX_SI_SJ_SK_EUlSX_E0_NS1_11comp_targetILNS1_3genE5ELNS1_11target_archE942ELNS1_3gpuE9ELNS1_3repE0EEENS1_38merge_mergepath_config_static_selectorELNS0_4arch9wavefront6targetE1EEEvSJ_ ; -- Begin function _ZN7rocprim17ROCPRIM_400000_NS6detail17trampoline_kernelINS0_14default_configENS1_38merge_sort_block_merge_config_selectorIiiEEZZNS1_27merge_sort_block_merge_implIS3_N6thrust23THRUST_200600_302600_NS6detail15normal_iteratorINS8_10device_ptrIiEEEESD_jNS1_19radix_merge_compareILb1ELb0EiNS0_19identity_decomposerEEEEE10hipError_tT0_T1_T2_jT3_P12ihipStream_tbPNSt15iterator_traitsISI_E10value_typeEPNSO_ISJ_E10value_typeEPSK_NS1_7vsmem_tEENKUlT_SI_SJ_SK_E_clIPiSD_S10_SD_EESH_SX_SI_SJ_SK_EUlSX_E0_NS1_11comp_targetILNS1_3genE5ELNS1_11target_archE942ELNS1_3gpuE9ELNS1_3repE0EEENS1_38merge_mergepath_config_static_selectorELNS0_4arch9wavefront6targetE1EEEvSJ_
	.globl	_ZN7rocprim17ROCPRIM_400000_NS6detail17trampoline_kernelINS0_14default_configENS1_38merge_sort_block_merge_config_selectorIiiEEZZNS1_27merge_sort_block_merge_implIS3_N6thrust23THRUST_200600_302600_NS6detail15normal_iteratorINS8_10device_ptrIiEEEESD_jNS1_19radix_merge_compareILb1ELb0EiNS0_19identity_decomposerEEEEE10hipError_tT0_T1_T2_jT3_P12ihipStream_tbPNSt15iterator_traitsISI_E10value_typeEPNSO_ISJ_E10value_typeEPSK_NS1_7vsmem_tEENKUlT_SI_SJ_SK_E_clIPiSD_S10_SD_EESH_SX_SI_SJ_SK_EUlSX_E0_NS1_11comp_targetILNS1_3genE5ELNS1_11target_archE942ELNS1_3gpuE9ELNS1_3repE0EEENS1_38merge_mergepath_config_static_selectorELNS0_4arch9wavefront6targetE1EEEvSJ_
	.p2align	8
	.type	_ZN7rocprim17ROCPRIM_400000_NS6detail17trampoline_kernelINS0_14default_configENS1_38merge_sort_block_merge_config_selectorIiiEEZZNS1_27merge_sort_block_merge_implIS3_N6thrust23THRUST_200600_302600_NS6detail15normal_iteratorINS8_10device_ptrIiEEEESD_jNS1_19radix_merge_compareILb1ELb0EiNS0_19identity_decomposerEEEEE10hipError_tT0_T1_T2_jT3_P12ihipStream_tbPNSt15iterator_traitsISI_E10value_typeEPNSO_ISJ_E10value_typeEPSK_NS1_7vsmem_tEENKUlT_SI_SJ_SK_E_clIPiSD_S10_SD_EESH_SX_SI_SJ_SK_EUlSX_E0_NS1_11comp_targetILNS1_3genE5ELNS1_11target_archE942ELNS1_3gpuE9ELNS1_3repE0EEENS1_38merge_mergepath_config_static_selectorELNS0_4arch9wavefront6targetE1EEEvSJ_,@function
_ZN7rocprim17ROCPRIM_400000_NS6detail17trampoline_kernelINS0_14default_configENS1_38merge_sort_block_merge_config_selectorIiiEEZZNS1_27merge_sort_block_merge_implIS3_N6thrust23THRUST_200600_302600_NS6detail15normal_iteratorINS8_10device_ptrIiEEEESD_jNS1_19radix_merge_compareILb1ELb0EiNS0_19identity_decomposerEEEEE10hipError_tT0_T1_T2_jT3_P12ihipStream_tbPNSt15iterator_traitsISI_E10value_typeEPNSO_ISJ_E10value_typeEPSK_NS1_7vsmem_tEENKUlT_SI_SJ_SK_E_clIPiSD_S10_SD_EESH_SX_SI_SJ_SK_EUlSX_E0_NS1_11comp_targetILNS1_3genE5ELNS1_11target_archE942ELNS1_3gpuE9ELNS1_3repE0EEENS1_38merge_mergepath_config_static_selectorELNS0_4arch9wavefront6targetE1EEEvSJ_: ; @_ZN7rocprim17ROCPRIM_400000_NS6detail17trampoline_kernelINS0_14default_configENS1_38merge_sort_block_merge_config_selectorIiiEEZZNS1_27merge_sort_block_merge_implIS3_N6thrust23THRUST_200600_302600_NS6detail15normal_iteratorINS8_10device_ptrIiEEEESD_jNS1_19radix_merge_compareILb1ELb0EiNS0_19identity_decomposerEEEEE10hipError_tT0_T1_T2_jT3_P12ihipStream_tbPNSt15iterator_traitsISI_E10value_typeEPNSO_ISJ_E10value_typeEPSK_NS1_7vsmem_tEENKUlT_SI_SJ_SK_E_clIPiSD_S10_SD_EESH_SX_SI_SJ_SK_EUlSX_E0_NS1_11comp_targetILNS1_3genE5ELNS1_11target_archE942ELNS1_3gpuE9ELNS1_3repE0EEENS1_38merge_mergepath_config_static_selectorELNS0_4arch9wavefront6targetE1EEEvSJ_
; %bb.0:
	.section	.rodata,"a",@progbits
	.p2align	6, 0x0
	.amdhsa_kernel _ZN7rocprim17ROCPRIM_400000_NS6detail17trampoline_kernelINS0_14default_configENS1_38merge_sort_block_merge_config_selectorIiiEEZZNS1_27merge_sort_block_merge_implIS3_N6thrust23THRUST_200600_302600_NS6detail15normal_iteratorINS8_10device_ptrIiEEEESD_jNS1_19radix_merge_compareILb1ELb0EiNS0_19identity_decomposerEEEEE10hipError_tT0_T1_T2_jT3_P12ihipStream_tbPNSt15iterator_traitsISI_E10value_typeEPNSO_ISJ_E10value_typeEPSK_NS1_7vsmem_tEENKUlT_SI_SJ_SK_E_clIPiSD_S10_SD_EESH_SX_SI_SJ_SK_EUlSX_E0_NS1_11comp_targetILNS1_3genE5ELNS1_11target_archE942ELNS1_3gpuE9ELNS1_3repE0EEENS1_38merge_mergepath_config_static_selectorELNS0_4arch9wavefront6targetE1EEEvSJ_
		.amdhsa_group_segment_fixed_size 0
		.amdhsa_private_segment_fixed_size 0
		.amdhsa_kernarg_size 64
		.amdhsa_user_sgpr_count 2
		.amdhsa_user_sgpr_dispatch_ptr 0
		.amdhsa_user_sgpr_queue_ptr 0
		.amdhsa_user_sgpr_kernarg_segment_ptr 1
		.amdhsa_user_sgpr_dispatch_id 0
		.amdhsa_user_sgpr_kernarg_preload_length 0
		.amdhsa_user_sgpr_kernarg_preload_offset 0
		.amdhsa_user_sgpr_private_segment_size 0
		.amdhsa_uses_dynamic_stack 0
		.amdhsa_enable_private_segment 0
		.amdhsa_system_sgpr_workgroup_id_x 1
		.amdhsa_system_sgpr_workgroup_id_y 0
		.amdhsa_system_sgpr_workgroup_id_z 0
		.amdhsa_system_sgpr_workgroup_info 0
		.amdhsa_system_vgpr_workitem_id 0
		.amdhsa_next_free_vgpr 1
		.amdhsa_next_free_sgpr 0
		.amdhsa_accum_offset 4
		.amdhsa_reserve_vcc 0
		.amdhsa_float_round_mode_32 0
		.amdhsa_float_round_mode_16_64 0
		.amdhsa_float_denorm_mode_32 3
		.amdhsa_float_denorm_mode_16_64 3
		.amdhsa_dx10_clamp 1
		.amdhsa_ieee_mode 1
		.amdhsa_fp16_overflow 0
		.amdhsa_tg_split 0
		.amdhsa_exception_fp_ieee_invalid_op 0
		.amdhsa_exception_fp_denorm_src 0
		.amdhsa_exception_fp_ieee_div_zero 0
		.amdhsa_exception_fp_ieee_overflow 0
		.amdhsa_exception_fp_ieee_underflow 0
		.amdhsa_exception_fp_ieee_inexact 0
		.amdhsa_exception_int_div_zero 0
	.end_amdhsa_kernel
	.section	.text._ZN7rocprim17ROCPRIM_400000_NS6detail17trampoline_kernelINS0_14default_configENS1_38merge_sort_block_merge_config_selectorIiiEEZZNS1_27merge_sort_block_merge_implIS3_N6thrust23THRUST_200600_302600_NS6detail15normal_iteratorINS8_10device_ptrIiEEEESD_jNS1_19radix_merge_compareILb1ELb0EiNS0_19identity_decomposerEEEEE10hipError_tT0_T1_T2_jT3_P12ihipStream_tbPNSt15iterator_traitsISI_E10value_typeEPNSO_ISJ_E10value_typeEPSK_NS1_7vsmem_tEENKUlT_SI_SJ_SK_E_clIPiSD_S10_SD_EESH_SX_SI_SJ_SK_EUlSX_E0_NS1_11comp_targetILNS1_3genE5ELNS1_11target_archE942ELNS1_3gpuE9ELNS1_3repE0EEENS1_38merge_mergepath_config_static_selectorELNS0_4arch9wavefront6targetE1EEEvSJ_,"axG",@progbits,_ZN7rocprim17ROCPRIM_400000_NS6detail17trampoline_kernelINS0_14default_configENS1_38merge_sort_block_merge_config_selectorIiiEEZZNS1_27merge_sort_block_merge_implIS3_N6thrust23THRUST_200600_302600_NS6detail15normal_iteratorINS8_10device_ptrIiEEEESD_jNS1_19radix_merge_compareILb1ELb0EiNS0_19identity_decomposerEEEEE10hipError_tT0_T1_T2_jT3_P12ihipStream_tbPNSt15iterator_traitsISI_E10value_typeEPNSO_ISJ_E10value_typeEPSK_NS1_7vsmem_tEENKUlT_SI_SJ_SK_E_clIPiSD_S10_SD_EESH_SX_SI_SJ_SK_EUlSX_E0_NS1_11comp_targetILNS1_3genE5ELNS1_11target_archE942ELNS1_3gpuE9ELNS1_3repE0EEENS1_38merge_mergepath_config_static_selectorELNS0_4arch9wavefront6targetE1EEEvSJ_,comdat
.Lfunc_end895:
	.size	_ZN7rocprim17ROCPRIM_400000_NS6detail17trampoline_kernelINS0_14default_configENS1_38merge_sort_block_merge_config_selectorIiiEEZZNS1_27merge_sort_block_merge_implIS3_N6thrust23THRUST_200600_302600_NS6detail15normal_iteratorINS8_10device_ptrIiEEEESD_jNS1_19radix_merge_compareILb1ELb0EiNS0_19identity_decomposerEEEEE10hipError_tT0_T1_T2_jT3_P12ihipStream_tbPNSt15iterator_traitsISI_E10value_typeEPNSO_ISJ_E10value_typeEPSK_NS1_7vsmem_tEENKUlT_SI_SJ_SK_E_clIPiSD_S10_SD_EESH_SX_SI_SJ_SK_EUlSX_E0_NS1_11comp_targetILNS1_3genE5ELNS1_11target_archE942ELNS1_3gpuE9ELNS1_3repE0EEENS1_38merge_mergepath_config_static_selectorELNS0_4arch9wavefront6targetE1EEEvSJ_, .Lfunc_end895-_ZN7rocprim17ROCPRIM_400000_NS6detail17trampoline_kernelINS0_14default_configENS1_38merge_sort_block_merge_config_selectorIiiEEZZNS1_27merge_sort_block_merge_implIS3_N6thrust23THRUST_200600_302600_NS6detail15normal_iteratorINS8_10device_ptrIiEEEESD_jNS1_19radix_merge_compareILb1ELb0EiNS0_19identity_decomposerEEEEE10hipError_tT0_T1_T2_jT3_P12ihipStream_tbPNSt15iterator_traitsISI_E10value_typeEPNSO_ISJ_E10value_typeEPSK_NS1_7vsmem_tEENKUlT_SI_SJ_SK_E_clIPiSD_S10_SD_EESH_SX_SI_SJ_SK_EUlSX_E0_NS1_11comp_targetILNS1_3genE5ELNS1_11target_archE942ELNS1_3gpuE9ELNS1_3repE0EEENS1_38merge_mergepath_config_static_selectorELNS0_4arch9wavefront6targetE1EEEvSJ_
                                        ; -- End function
	.set _ZN7rocprim17ROCPRIM_400000_NS6detail17trampoline_kernelINS0_14default_configENS1_38merge_sort_block_merge_config_selectorIiiEEZZNS1_27merge_sort_block_merge_implIS3_N6thrust23THRUST_200600_302600_NS6detail15normal_iteratorINS8_10device_ptrIiEEEESD_jNS1_19radix_merge_compareILb1ELb0EiNS0_19identity_decomposerEEEEE10hipError_tT0_T1_T2_jT3_P12ihipStream_tbPNSt15iterator_traitsISI_E10value_typeEPNSO_ISJ_E10value_typeEPSK_NS1_7vsmem_tEENKUlT_SI_SJ_SK_E_clIPiSD_S10_SD_EESH_SX_SI_SJ_SK_EUlSX_E0_NS1_11comp_targetILNS1_3genE5ELNS1_11target_archE942ELNS1_3gpuE9ELNS1_3repE0EEENS1_38merge_mergepath_config_static_selectorELNS0_4arch9wavefront6targetE1EEEvSJ_.num_vgpr, 0
	.set _ZN7rocprim17ROCPRIM_400000_NS6detail17trampoline_kernelINS0_14default_configENS1_38merge_sort_block_merge_config_selectorIiiEEZZNS1_27merge_sort_block_merge_implIS3_N6thrust23THRUST_200600_302600_NS6detail15normal_iteratorINS8_10device_ptrIiEEEESD_jNS1_19radix_merge_compareILb1ELb0EiNS0_19identity_decomposerEEEEE10hipError_tT0_T1_T2_jT3_P12ihipStream_tbPNSt15iterator_traitsISI_E10value_typeEPNSO_ISJ_E10value_typeEPSK_NS1_7vsmem_tEENKUlT_SI_SJ_SK_E_clIPiSD_S10_SD_EESH_SX_SI_SJ_SK_EUlSX_E0_NS1_11comp_targetILNS1_3genE5ELNS1_11target_archE942ELNS1_3gpuE9ELNS1_3repE0EEENS1_38merge_mergepath_config_static_selectorELNS0_4arch9wavefront6targetE1EEEvSJ_.num_agpr, 0
	.set _ZN7rocprim17ROCPRIM_400000_NS6detail17trampoline_kernelINS0_14default_configENS1_38merge_sort_block_merge_config_selectorIiiEEZZNS1_27merge_sort_block_merge_implIS3_N6thrust23THRUST_200600_302600_NS6detail15normal_iteratorINS8_10device_ptrIiEEEESD_jNS1_19radix_merge_compareILb1ELb0EiNS0_19identity_decomposerEEEEE10hipError_tT0_T1_T2_jT3_P12ihipStream_tbPNSt15iterator_traitsISI_E10value_typeEPNSO_ISJ_E10value_typeEPSK_NS1_7vsmem_tEENKUlT_SI_SJ_SK_E_clIPiSD_S10_SD_EESH_SX_SI_SJ_SK_EUlSX_E0_NS1_11comp_targetILNS1_3genE5ELNS1_11target_archE942ELNS1_3gpuE9ELNS1_3repE0EEENS1_38merge_mergepath_config_static_selectorELNS0_4arch9wavefront6targetE1EEEvSJ_.numbered_sgpr, 0
	.set _ZN7rocprim17ROCPRIM_400000_NS6detail17trampoline_kernelINS0_14default_configENS1_38merge_sort_block_merge_config_selectorIiiEEZZNS1_27merge_sort_block_merge_implIS3_N6thrust23THRUST_200600_302600_NS6detail15normal_iteratorINS8_10device_ptrIiEEEESD_jNS1_19radix_merge_compareILb1ELb0EiNS0_19identity_decomposerEEEEE10hipError_tT0_T1_T2_jT3_P12ihipStream_tbPNSt15iterator_traitsISI_E10value_typeEPNSO_ISJ_E10value_typeEPSK_NS1_7vsmem_tEENKUlT_SI_SJ_SK_E_clIPiSD_S10_SD_EESH_SX_SI_SJ_SK_EUlSX_E0_NS1_11comp_targetILNS1_3genE5ELNS1_11target_archE942ELNS1_3gpuE9ELNS1_3repE0EEENS1_38merge_mergepath_config_static_selectorELNS0_4arch9wavefront6targetE1EEEvSJ_.num_named_barrier, 0
	.set _ZN7rocprim17ROCPRIM_400000_NS6detail17trampoline_kernelINS0_14default_configENS1_38merge_sort_block_merge_config_selectorIiiEEZZNS1_27merge_sort_block_merge_implIS3_N6thrust23THRUST_200600_302600_NS6detail15normal_iteratorINS8_10device_ptrIiEEEESD_jNS1_19radix_merge_compareILb1ELb0EiNS0_19identity_decomposerEEEEE10hipError_tT0_T1_T2_jT3_P12ihipStream_tbPNSt15iterator_traitsISI_E10value_typeEPNSO_ISJ_E10value_typeEPSK_NS1_7vsmem_tEENKUlT_SI_SJ_SK_E_clIPiSD_S10_SD_EESH_SX_SI_SJ_SK_EUlSX_E0_NS1_11comp_targetILNS1_3genE5ELNS1_11target_archE942ELNS1_3gpuE9ELNS1_3repE0EEENS1_38merge_mergepath_config_static_selectorELNS0_4arch9wavefront6targetE1EEEvSJ_.private_seg_size, 0
	.set _ZN7rocprim17ROCPRIM_400000_NS6detail17trampoline_kernelINS0_14default_configENS1_38merge_sort_block_merge_config_selectorIiiEEZZNS1_27merge_sort_block_merge_implIS3_N6thrust23THRUST_200600_302600_NS6detail15normal_iteratorINS8_10device_ptrIiEEEESD_jNS1_19radix_merge_compareILb1ELb0EiNS0_19identity_decomposerEEEEE10hipError_tT0_T1_T2_jT3_P12ihipStream_tbPNSt15iterator_traitsISI_E10value_typeEPNSO_ISJ_E10value_typeEPSK_NS1_7vsmem_tEENKUlT_SI_SJ_SK_E_clIPiSD_S10_SD_EESH_SX_SI_SJ_SK_EUlSX_E0_NS1_11comp_targetILNS1_3genE5ELNS1_11target_archE942ELNS1_3gpuE9ELNS1_3repE0EEENS1_38merge_mergepath_config_static_selectorELNS0_4arch9wavefront6targetE1EEEvSJ_.uses_vcc, 0
	.set _ZN7rocprim17ROCPRIM_400000_NS6detail17trampoline_kernelINS0_14default_configENS1_38merge_sort_block_merge_config_selectorIiiEEZZNS1_27merge_sort_block_merge_implIS3_N6thrust23THRUST_200600_302600_NS6detail15normal_iteratorINS8_10device_ptrIiEEEESD_jNS1_19radix_merge_compareILb1ELb0EiNS0_19identity_decomposerEEEEE10hipError_tT0_T1_T2_jT3_P12ihipStream_tbPNSt15iterator_traitsISI_E10value_typeEPNSO_ISJ_E10value_typeEPSK_NS1_7vsmem_tEENKUlT_SI_SJ_SK_E_clIPiSD_S10_SD_EESH_SX_SI_SJ_SK_EUlSX_E0_NS1_11comp_targetILNS1_3genE5ELNS1_11target_archE942ELNS1_3gpuE9ELNS1_3repE0EEENS1_38merge_mergepath_config_static_selectorELNS0_4arch9wavefront6targetE1EEEvSJ_.uses_flat_scratch, 0
	.set _ZN7rocprim17ROCPRIM_400000_NS6detail17trampoline_kernelINS0_14default_configENS1_38merge_sort_block_merge_config_selectorIiiEEZZNS1_27merge_sort_block_merge_implIS3_N6thrust23THRUST_200600_302600_NS6detail15normal_iteratorINS8_10device_ptrIiEEEESD_jNS1_19radix_merge_compareILb1ELb0EiNS0_19identity_decomposerEEEEE10hipError_tT0_T1_T2_jT3_P12ihipStream_tbPNSt15iterator_traitsISI_E10value_typeEPNSO_ISJ_E10value_typeEPSK_NS1_7vsmem_tEENKUlT_SI_SJ_SK_E_clIPiSD_S10_SD_EESH_SX_SI_SJ_SK_EUlSX_E0_NS1_11comp_targetILNS1_3genE5ELNS1_11target_archE942ELNS1_3gpuE9ELNS1_3repE0EEENS1_38merge_mergepath_config_static_selectorELNS0_4arch9wavefront6targetE1EEEvSJ_.has_dyn_sized_stack, 0
	.set _ZN7rocprim17ROCPRIM_400000_NS6detail17trampoline_kernelINS0_14default_configENS1_38merge_sort_block_merge_config_selectorIiiEEZZNS1_27merge_sort_block_merge_implIS3_N6thrust23THRUST_200600_302600_NS6detail15normal_iteratorINS8_10device_ptrIiEEEESD_jNS1_19radix_merge_compareILb1ELb0EiNS0_19identity_decomposerEEEEE10hipError_tT0_T1_T2_jT3_P12ihipStream_tbPNSt15iterator_traitsISI_E10value_typeEPNSO_ISJ_E10value_typeEPSK_NS1_7vsmem_tEENKUlT_SI_SJ_SK_E_clIPiSD_S10_SD_EESH_SX_SI_SJ_SK_EUlSX_E0_NS1_11comp_targetILNS1_3genE5ELNS1_11target_archE942ELNS1_3gpuE9ELNS1_3repE0EEENS1_38merge_mergepath_config_static_selectorELNS0_4arch9wavefront6targetE1EEEvSJ_.has_recursion, 0
	.set _ZN7rocprim17ROCPRIM_400000_NS6detail17trampoline_kernelINS0_14default_configENS1_38merge_sort_block_merge_config_selectorIiiEEZZNS1_27merge_sort_block_merge_implIS3_N6thrust23THRUST_200600_302600_NS6detail15normal_iteratorINS8_10device_ptrIiEEEESD_jNS1_19radix_merge_compareILb1ELb0EiNS0_19identity_decomposerEEEEE10hipError_tT0_T1_T2_jT3_P12ihipStream_tbPNSt15iterator_traitsISI_E10value_typeEPNSO_ISJ_E10value_typeEPSK_NS1_7vsmem_tEENKUlT_SI_SJ_SK_E_clIPiSD_S10_SD_EESH_SX_SI_SJ_SK_EUlSX_E0_NS1_11comp_targetILNS1_3genE5ELNS1_11target_archE942ELNS1_3gpuE9ELNS1_3repE0EEENS1_38merge_mergepath_config_static_selectorELNS0_4arch9wavefront6targetE1EEEvSJ_.has_indirect_call, 0
	.section	.AMDGPU.csdata,"",@progbits
; Kernel info:
; codeLenInByte = 0
; TotalNumSgprs: 6
; NumVgprs: 0
; NumAgprs: 0
; TotalNumVgprs: 0
; ScratchSize: 0
; MemoryBound: 0
; FloatMode: 240
; IeeeMode: 1
; LDSByteSize: 0 bytes/workgroup (compile time only)
; SGPRBlocks: 0
; VGPRBlocks: 0
; NumSGPRsForWavesPerEU: 6
; NumVGPRsForWavesPerEU: 1
; AccumOffset: 4
; Occupancy: 8
; WaveLimiterHint : 0
; COMPUTE_PGM_RSRC2:SCRATCH_EN: 0
; COMPUTE_PGM_RSRC2:USER_SGPR: 2
; COMPUTE_PGM_RSRC2:TRAP_HANDLER: 0
; COMPUTE_PGM_RSRC2:TGID_X_EN: 1
; COMPUTE_PGM_RSRC2:TGID_Y_EN: 0
; COMPUTE_PGM_RSRC2:TGID_Z_EN: 0
; COMPUTE_PGM_RSRC2:TIDIG_COMP_CNT: 0
; COMPUTE_PGM_RSRC3_GFX90A:ACCUM_OFFSET: 0
; COMPUTE_PGM_RSRC3_GFX90A:TG_SPLIT: 0
	.section	.text._ZN7rocprim17ROCPRIM_400000_NS6detail17trampoline_kernelINS0_14default_configENS1_38merge_sort_block_merge_config_selectorIiiEEZZNS1_27merge_sort_block_merge_implIS3_N6thrust23THRUST_200600_302600_NS6detail15normal_iteratorINS8_10device_ptrIiEEEESD_jNS1_19radix_merge_compareILb1ELb0EiNS0_19identity_decomposerEEEEE10hipError_tT0_T1_T2_jT3_P12ihipStream_tbPNSt15iterator_traitsISI_E10value_typeEPNSO_ISJ_E10value_typeEPSK_NS1_7vsmem_tEENKUlT_SI_SJ_SK_E_clIPiSD_S10_SD_EESH_SX_SI_SJ_SK_EUlSX_E0_NS1_11comp_targetILNS1_3genE4ELNS1_11target_archE910ELNS1_3gpuE8ELNS1_3repE0EEENS1_38merge_mergepath_config_static_selectorELNS0_4arch9wavefront6targetE1EEEvSJ_,"axG",@progbits,_ZN7rocprim17ROCPRIM_400000_NS6detail17trampoline_kernelINS0_14default_configENS1_38merge_sort_block_merge_config_selectorIiiEEZZNS1_27merge_sort_block_merge_implIS3_N6thrust23THRUST_200600_302600_NS6detail15normal_iteratorINS8_10device_ptrIiEEEESD_jNS1_19radix_merge_compareILb1ELb0EiNS0_19identity_decomposerEEEEE10hipError_tT0_T1_T2_jT3_P12ihipStream_tbPNSt15iterator_traitsISI_E10value_typeEPNSO_ISJ_E10value_typeEPSK_NS1_7vsmem_tEENKUlT_SI_SJ_SK_E_clIPiSD_S10_SD_EESH_SX_SI_SJ_SK_EUlSX_E0_NS1_11comp_targetILNS1_3genE4ELNS1_11target_archE910ELNS1_3gpuE8ELNS1_3repE0EEENS1_38merge_mergepath_config_static_selectorELNS0_4arch9wavefront6targetE1EEEvSJ_,comdat
	.protected	_ZN7rocprim17ROCPRIM_400000_NS6detail17trampoline_kernelINS0_14default_configENS1_38merge_sort_block_merge_config_selectorIiiEEZZNS1_27merge_sort_block_merge_implIS3_N6thrust23THRUST_200600_302600_NS6detail15normal_iteratorINS8_10device_ptrIiEEEESD_jNS1_19radix_merge_compareILb1ELb0EiNS0_19identity_decomposerEEEEE10hipError_tT0_T1_T2_jT3_P12ihipStream_tbPNSt15iterator_traitsISI_E10value_typeEPNSO_ISJ_E10value_typeEPSK_NS1_7vsmem_tEENKUlT_SI_SJ_SK_E_clIPiSD_S10_SD_EESH_SX_SI_SJ_SK_EUlSX_E0_NS1_11comp_targetILNS1_3genE4ELNS1_11target_archE910ELNS1_3gpuE8ELNS1_3repE0EEENS1_38merge_mergepath_config_static_selectorELNS0_4arch9wavefront6targetE1EEEvSJ_ ; -- Begin function _ZN7rocprim17ROCPRIM_400000_NS6detail17trampoline_kernelINS0_14default_configENS1_38merge_sort_block_merge_config_selectorIiiEEZZNS1_27merge_sort_block_merge_implIS3_N6thrust23THRUST_200600_302600_NS6detail15normal_iteratorINS8_10device_ptrIiEEEESD_jNS1_19radix_merge_compareILb1ELb0EiNS0_19identity_decomposerEEEEE10hipError_tT0_T1_T2_jT3_P12ihipStream_tbPNSt15iterator_traitsISI_E10value_typeEPNSO_ISJ_E10value_typeEPSK_NS1_7vsmem_tEENKUlT_SI_SJ_SK_E_clIPiSD_S10_SD_EESH_SX_SI_SJ_SK_EUlSX_E0_NS1_11comp_targetILNS1_3genE4ELNS1_11target_archE910ELNS1_3gpuE8ELNS1_3repE0EEENS1_38merge_mergepath_config_static_selectorELNS0_4arch9wavefront6targetE1EEEvSJ_
	.globl	_ZN7rocprim17ROCPRIM_400000_NS6detail17trampoline_kernelINS0_14default_configENS1_38merge_sort_block_merge_config_selectorIiiEEZZNS1_27merge_sort_block_merge_implIS3_N6thrust23THRUST_200600_302600_NS6detail15normal_iteratorINS8_10device_ptrIiEEEESD_jNS1_19radix_merge_compareILb1ELb0EiNS0_19identity_decomposerEEEEE10hipError_tT0_T1_T2_jT3_P12ihipStream_tbPNSt15iterator_traitsISI_E10value_typeEPNSO_ISJ_E10value_typeEPSK_NS1_7vsmem_tEENKUlT_SI_SJ_SK_E_clIPiSD_S10_SD_EESH_SX_SI_SJ_SK_EUlSX_E0_NS1_11comp_targetILNS1_3genE4ELNS1_11target_archE910ELNS1_3gpuE8ELNS1_3repE0EEENS1_38merge_mergepath_config_static_selectorELNS0_4arch9wavefront6targetE1EEEvSJ_
	.p2align	8
	.type	_ZN7rocprim17ROCPRIM_400000_NS6detail17trampoline_kernelINS0_14default_configENS1_38merge_sort_block_merge_config_selectorIiiEEZZNS1_27merge_sort_block_merge_implIS3_N6thrust23THRUST_200600_302600_NS6detail15normal_iteratorINS8_10device_ptrIiEEEESD_jNS1_19radix_merge_compareILb1ELb0EiNS0_19identity_decomposerEEEEE10hipError_tT0_T1_T2_jT3_P12ihipStream_tbPNSt15iterator_traitsISI_E10value_typeEPNSO_ISJ_E10value_typeEPSK_NS1_7vsmem_tEENKUlT_SI_SJ_SK_E_clIPiSD_S10_SD_EESH_SX_SI_SJ_SK_EUlSX_E0_NS1_11comp_targetILNS1_3genE4ELNS1_11target_archE910ELNS1_3gpuE8ELNS1_3repE0EEENS1_38merge_mergepath_config_static_selectorELNS0_4arch9wavefront6targetE1EEEvSJ_,@function
_ZN7rocprim17ROCPRIM_400000_NS6detail17trampoline_kernelINS0_14default_configENS1_38merge_sort_block_merge_config_selectorIiiEEZZNS1_27merge_sort_block_merge_implIS3_N6thrust23THRUST_200600_302600_NS6detail15normal_iteratorINS8_10device_ptrIiEEEESD_jNS1_19radix_merge_compareILb1ELb0EiNS0_19identity_decomposerEEEEE10hipError_tT0_T1_T2_jT3_P12ihipStream_tbPNSt15iterator_traitsISI_E10value_typeEPNSO_ISJ_E10value_typeEPSK_NS1_7vsmem_tEENKUlT_SI_SJ_SK_E_clIPiSD_S10_SD_EESH_SX_SI_SJ_SK_EUlSX_E0_NS1_11comp_targetILNS1_3genE4ELNS1_11target_archE910ELNS1_3gpuE8ELNS1_3repE0EEENS1_38merge_mergepath_config_static_selectorELNS0_4arch9wavefront6targetE1EEEvSJ_: ; @_ZN7rocprim17ROCPRIM_400000_NS6detail17trampoline_kernelINS0_14default_configENS1_38merge_sort_block_merge_config_selectorIiiEEZZNS1_27merge_sort_block_merge_implIS3_N6thrust23THRUST_200600_302600_NS6detail15normal_iteratorINS8_10device_ptrIiEEEESD_jNS1_19radix_merge_compareILb1ELb0EiNS0_19identity_decomposerEEEEE10hipError_tT0_T1_T2_jT3_P12ihipStream_tbPNSt15iterator_traitsISI_E10value_typeEPNSO_ISJ_E10value_typeEPSK_NS1_7vsmem_tEENKUlT_SI_SJ_SK_E_clIPiSD_S10_SD_EESH_SX_SI_SJ_SK_EUlSX_E0_NS1_11comp_targetILNS1_3genE4ELNS1_11target_archE910ELNS1_3gpuE8ELNS1_3repE0EEENS1_38merge_mergepath_config_static_selectorELNS0_4arch9wavefront6targetE1EEEvSJ_
; %bb.0:
	.section	.rodata,"a",@progbits
	.p2align	6, 0x0
	.amdhsa_kernel _ZN7rocprim17ROCPRIM_400000_NS6detail17trampoline_kernelINS0_14default_configENS1_38merge_sort_block_merge_config_selectorIiiEEZZNS1_27merge_sort_block_merge_implIS3_N6thrust23THRUST_200600_302600_NS6detail15normal_iteratorINS8_10device_ptrIiEEEESD_jNS1_19radix_merge_compareILb1ELb0EiNS0_19identity_decomposerEEEEE10hipError_tT0_T1_T2_jT3_P12ihipStream_tbPNSt15iterator_traitsISI_E10value_typeEPNSO_ISJ_E10value_typeEPSK_NS1_7vsmem_tEENKUlT_SI_SJ_SK_E_clIPiSD_S10_SD_EESH_SX_SI_SJ_SK_EUlSX_E0_NS1_11comp_targetILNS1_3genE4ELNS1_11target_archE910ELNS1_3gpuE8ELNS1_3repE0EEENS1_38merge_mergepath_config_static_selectorELNS0_4arch9wavefront6targetE1EEEvSJ_
		.amdhsa_group_segment_fixed_size 0
		.amdhsa_private_segment_fixed_size 0
		.amdhsa_kernarg_size 64
		.amdhsa_user_sgpr_count 2
		.amdhsa_user_sgpr_dispatch_ptr 0
		.amdhsa_user_sgpr_queue_ptr 0
		.amdhsa_user_sgpr_kernarg_segment_ptr 1
		.amdhsa_user_sgpr_dispatch_id 0
		.amdhsa_user_sgpr_kernarg_preload_length 0
		.amdhsa_user_sgpr_kernarg_preload_offset 0
		.amdhsa_user_sgpr_private_segment_size 0
		.amdhsa_uses_dynamic_stack 0
		.amdhsa_enable_private_segment 0
		.amdhsa_system_sgpr_workgroup_id_x 1
		.amdhsa_system_sgpr_workgroup_id_y 0
		.amdhsa_system_sgpr_workgroup_id_z 0
		.amdhsa_system_sgpr_workgroup_info 0
		.amdhsa_system_vgpr_workitem_id 0
		.amdhsa_next_free_vgpr 1
		.amdhsa_next_free_sgpr 0
		.amdhsa_accum_offset 4
		.amdhsa_reserve_vcc 0
		.amdhsa_float_round_mode_32 0
		.amdhsa_float_round_mode_16_64 0
		.amdhsa_float_denorm_mode_32 3
		.amdhsa_float_denorm_mode_16_64 3
		.amdhsa_dx10_clamp 1
		.amdhsa_ieee_mode 1
		.amdhsa_fp16_overflow 0
		.amdhsa_tg_split 0
		.amdhsa_exception_fp_ieee_invalid_op 0
		.amdhsa_exception_fp_denorm_src 0
		.amdhsa_exception_fp_ieee_div_zero 0
		.amdhsa_exception_fp_ieee_overflow 0
		.amdhsa_exception_fp_ieee_underflow 0
		.amdhsa_exception_fp_ieee_inexact 0
		.amdhsa_exception_int_div_zero 0
	.end_amdhsa_kernel
	.section	.text._ZN7rocprim17ROCPRIM_400000_NS6detail17trampoline_kernelINS0_14default_configENS1_38merge_sort_block_merge_config_selectorIiiEEZZNS1_27merge_sort_block_merge_implIS3_N6thrust23THRUST_200600_302600_NS6detail15normal_iteratorINS8_10device_ptrIiEEEESD_jNS1_19radix_merge_compareILb1ELb0EiNS0_19identity_decomposerEEEEE10hipError_tT0_T1_T2_jT3_P12ihipStream_tbPNSt15iterator_traitsISI_E10value_typeEPNSO_ISJ_E10value_typeEPSK_NS1_7vsmem_tEENKUlT_SI_SJ_SK_E_clIPiSD_S10_SD_EESH_SX_SI_SJ_SK_EUlSX_E0_NS1_11comp_targetILNS1_3genE4ELNS1_11target_archE910ELNS1_3gpuE8ELNS1_3repE0EEENS1_38merge_mergepath_config_static_selectorELNS0_4arch9wavefront6targetE1EEEvSJ_,"axG",@progbits,_ZN7rocprim17ROCPRIM_400000_NS6detail17trampoline_kernelINS0_14default_configENS1_38merge_sort_block_merge_config_selectorIiiEEZZNS1_27merge_sort_block_merge_implIS3_N6thrust23THRUST_200600_302600_NS6detail15normal_iteratorINS8_10device_ptrIiEEEESD_jNS1_19radix_merge_compareILb1ELb0EiNS0_19identity_decomposerEEEEE10hipError_tT0_T1_T2_jT3_P12ihipStream_tbPNSt15iterator_traitsISI_E10value_typeEPNSO_ISJ_E10value_typeEPSK_NS1_7vsmem_tEENKUlT_SI_SJ_SK_E_clIPiSD_S10_SD_EESH_SX_SI_SJ_SK_EUlSX_E0_NS1_11comp_targetILNS1_3genE4ELNS1_11target_archE910ELNS1_3gpuE8ELNS1_3repE0EEENS1_38merge_mergepath_config_static_selectorELNS0_4arch9wavefront6targetE1EEEvSJ_,comdat
.Lfunc_end896:
	.size	_ZN7rocprim17ROCPRIM_400000_NS6detail17trampoline_kernelINS0_14default_configENS1_38merge_sort_block_merge_config_selectorIiiEEZZNS1_27merge_sort_block_merge_implIS3_N6thrust23THRUST_200600_302600_NS6detail15normal_iteratorINS8_10device_ptrIiEEEESD_jNS1_19radix_merge_compareILb1ELb0EiNS0_19identity_decomposerEEEEE10hipError_tT0_T1_T2_jT3_P12ihipStream_tbPNSt15iterator_traitsISI_E10value_typeEPNSO_ISJ_E10value_typeEPSK_NS1_7vsmem_tEENKUlT_SI_SJ_SK_E_clIPiSD_S10_SD_EESH_SX_SI_SJ_SK_EUlSX_E0_NS1_11comp_targetILNS1_3genE4ELNS1_11target_archE910ELNS1_3gpuE8ELNS1_3repE0EEENS1_38merge_mergepath_config_static_selectorELNS0_4arch9wavefront6targetE1EEEvSJ_, .Lfunc_end896-_ZN7rocprim17ROCPRIM_400000_NS6detail17trampoline_kernelINS0_14default_configENS1_38merge_sort_block_merge_config_selectorIiiEEZZNS1_27merge_sort_block_merge_implIS3_N6thrust23THRUST_200600_302600_NS6detail15normal_iteratorINS8_10device_ptrIiEEEESD_jNS1_19radix_merge_compareILb1ELb0EiNS0_19identity_decomposerEEEEE10hipError_tT0_T1_T2_jT3_P12ihipStream_tbPNSt15iterator_traitsISI_E10value_typeEPNSO_ISJ_E10value_typeEPSK_NS1_7vsmem_tEENKUlT_SI_SJ_SK_E_clIPiSD_S10_SD_EESH_SX_SI_SJ_SK_EUlSX_E0_NS1_11comp_targetILNS1_3genE4ELNS1_11target_archE910ELNS1_3gpuE8ELNS1_3repE0EEENS1_38merge_mergepath_config_static_selectorELNS0_4arch9wavefront6targetE1EEEvSJ_
                                        ; -- End function
	.set _ZN7rocprim17ROCPRIM_400000_NS6detail17trampoline_kernelINS0_14default_configENS1_38merge_sort_block_merge_config_selectorIiiEEZZNS1_27merge_sort_block_merge_implIS3_N6thrust23THRUST_200600_302600_NS6detail15normal_iteratorINS8_10device_ptrIiEEEESD_jNS1_19radix_merge_compareILb1ELb0EiNS0_19identity_decomposerEEEEE10hipError_tT0_T1_T2_jT3_P12ihipStream_tbPNSt15iterator_traitsISI_E10value_typeEPNSO_ISJ_E10value_typeEPSK_NS1_7vsmem_tEENKUlT_SI_SJ_SK_E_clIPiSD_S10_SD_EESH_SX_SI_SJ_SK_EUlSX_E0_NS1_11comp_targetILNS1_3genE4ELNS1_11target_archE910ELNS1_3gpuE8ELNS1_3repE0EEENS1_38merge_mergepath_config_static_selectorELNS0_4arch9wavefront6targetE1EEEvSJ_.num_vgpr, 0
	.set _ZN7rocprim17ROCPRIM_400000_NS6detail17trampoline_kernelINS0_14default_configENS1_38merge_sort_block_merge_config_selectorIiiEEZZNS1_27merge_sort_block_merge_implIS3_N6thrust23THRUST_200600_302600_NS6detail15normal_iteratorINS8_10device_ptrIiEEEESD_jNS1_19radix_merge_compareILb1ELb0EiNS0_19identity_decomposerEEEEE10hipError_tT0_T1_T2_jT3_P12ihipStream_tbPNSt15iterator_traitsISI_E10value_typeEPNSO_ISJ_E10value_typeEPSK_NS1_7vsmem_tEENKUlT_SI_SJ_SK_E_clIPiSD_S10_SD_EESH_SX_SI_SJ_SK_EUlSX_E0_NS1_11comp_targetILNS1_3genE4ELNS1_11target_archE910ELNS1_3gpuE8ELNS1_3repE0EEENS1_38merge_mergepath_config_static_selectorELNS0_4arch9wavefront6targetE1EEEvSJ_.num_agpr, 0
	.set _ZN7rocprim17ROCPRIM_400000_NS6detail17trampoline_kernelINS0_14default_configENS1_38merge_sort_block_merge_config_selectorIiiEEZZNS1_27merge_sort_block_merge_implIS3_N6thrust23THRUST_200600_302600_NS6detail15normal_iteratorINS8_10device_ptrIiEEEESD_jNS1_19radix_merge_compareILb1ELb0EiNS0_19identity_decomposerEEEEE10hipError_tT0_T1_T2_jT3_P12ihipStream_tbPNSt15iterator_traitsISI_E10value_typeEPNSO_ISJ_E10value_typeEPSK_NS1_7vsmem_tEENKUlT_SI_SJ_SK_E_clIPiSD_S10_SD_EESH_SX_SI_SJ_SK_EUlSX_E0_NS1_11comp_targetILNS1_3genE4ELNS1_11target_archE910ELNS1_3gpuE8ELNS1_3repE0EEENS1_38merge_mergepath_config_static_selectorELNS0_4arch9wavefront6targetE1EEEvSJ_.numbered_sgpr, 0
	.set _ZN7rocprim17ROCPRIM_400000_NS6detail17trampoline_kernelINS0_14default_configENS1_38merge_sort_block_merge_config_selectorIiiEEZZNS1_27merge_sort_block_merge_implIS3_N6thrust23THRUST_200600_302600_NS6detail15normal_iteratorINS8_10device_ptrIiEEEESD_jNS1_19radix_merge_compareILb1ELb0EiNS0_19identity_decomposerEEEEE10hipError_tT0_T1_T2_jT3_P12ihipStream_tbPNSt15iterator_traitsISI_E10value_typeEPNSO_ISJ_E10value_typeEPSK_NS1_7vsmem_tEENKUlT_SI_SJ_SK_E_clIPiSD_S10_SD_EESH_SX_SI_SJ_SK_EUlSX_E0_NS1_11comp_targetILNS1_3genE4ELNS1_11target_archE910ELNS1_3gpuE8ELNS1_3repE0EEENS1_38merge_mergepath_config_static_selectorELNS0_4arch9wavefront6targetE1EEEvSJ_.num_named_barrier, 0
	.set _ZN7rocprim17ROCPRIM_400000_NS6detail17trampoline_kernelINS0_14default_configENS1_38merge_sort_block_merge_config_selectorIiiEEZZNS1_27merge_sort_block_merge_implIS3_N6thrust23THRUST_200600_302600_NS6detail15normal_iteratorINS8_10device_ptrIiEEEESD_jNS1_19radix_merge_compareILb1ELb0EiNS0_19identity_decomposerEEEEE10hipError_tT0_T1_T2_jT3_P12ihipStream_tbPNSt15iterator_traitsISI_E10value_typeEPNSO_ISJ_E10value_typeEPSK_NS1_7vsmem_tEENKUlT_SI_SJ_SK_E_clIPiSD_S10_SD_EESH_SX_SI_SJ_SK_EUlSX_E0_NS1_11comp_targetILNS1_3genE4ELNS1_11target_archE910ELNS1_3gpuE8ELNS1_3repE0EEENS1_38merge_mergepath_config_static_selectorELNS0_4arch9wavefront6targetE1EEEvSJ_.private_seg_size, 0
	.set _ZN7rocprim17ROCPRIM_400000_NS6detail17trampoline_kernelINS0_14default_configENS1_38merge_sort_block_merge_config_selectorIiiEEZZNS1_27merge_sort_block_merge_implIS3_N6thrust23THRUST_200600_302600_NS6detail15normal_iteratorINS8_10device_ptrIiEEEESD_jNS1_19radix_merge_compareILb1ELb0EiNS0_19identity_decomposerEEEEE10hipError_tT0_T1_T2_jT3_P12ihipStream_tbPNSt15iterator_traitsISI_E10value_typeEPNSO_ISJ_E10value_typeEPSK_NS1_7vsmem_tEENKUlT_SI_SJ_SK_E_clIPiSD_S10_SD_EESH_SX_SI_SJ_SK_EUlSX_E0_NS1_11comp_targetILNS1_3genE4ELNS1_11target_archE910ELNS1_3gpuE8ELNS1_3repE0EEENS1_38merge_mergepath_config_static_selectorELNS0_4arch9wavefront6targetE1EEEvSJ_.uses_vcc, 0
	.set _ZN7rocprim17ROCPRIM_400000_NS6detail17trampoline_kernelINS0_14default_configENS1_38merge_sort_block_merge_config_selectorIiiEEZZNS1_27merge_sort_block_merge_implIS3_N6thrust23THRUST_200600_302600_NS6detail15normal_iteratorINS8_10device_ptrIiEEEESD_jNS1_19radix_merge_compareILb1ELb0EiNS0_19identity_decomposerEEEEE10hipError_tT0_T1_T2_jT3_P12ihipStream_tbPNSt15iterator_traitsISI_E10value_typeEPNSO_ISJ_E10value_typeEPSK_NS1_7vsmem_tEENKUlT_SI_SJ_SK_E_clIPiSD_S10_SD_EESH_SX_SI_SJ_SK_EUlSX_E0_NS1_11comp_targetILNS1_3genE4ELNS1_11target_archE910ELNS1_3gpuE8ELNS1_3repE0EEENS1_38merge_mergepath_config_static_selectorELNS0_4arch9wavefront6targetE1EEEvSJ_.uses_flat_scratch, 0
	.set _ZN7rocprim17ROCPRIM_400000_NS6detail17trampoline_kernelINS0_14default_configENS1_38merge_sort_block_merge_config_selectorIiiEEZZNS1_27merge_sort_block_merge_implIS3_N6thrust23THRUST_200600_302600_NS6detail15normal_iteratorINS8_10device_ptrIiEEEESD_jNS1_19radix_merge_compareILb1ELb0EiNS0_19identity_decomposerEEEEE10hipError_tT0_T1_T2_jT3_P12ihipStream_tbPNSt15iterator_traitsISI_E10value_typeEPNSO_ISJ_E10value_typeEPSK_NS1_7vsmem_tEENKUlT_SI_SJ_SK_E_clIPiSD_S10_SD_EESH_SX_SI_SJ_SK_EUlSX_E0_NS1_11comp_targetILNS1_3genE4ELNS1_11target_archE910ELNS1_3gpuE8ELNS1_3repE0EEENS1_38merge_mergepath_config_static_selectorELNS0_4arch9wavefront6targetE1EEEvSJ_.has_dyn_sized_stack, 0
	.set _ZN7rocprim17ROCPRIM_400000_NS6detail17trampoline_kernelINS0_14default_configENS1_38merge_sort_block_merge_config_selectorIiiEEZZNS1_27merge_sort_block_merge_implIS3_N6thrust23THRUST_200600_302600_NS6detail15normal_iteratorINS8_10device_ptrIiEEEESD_jNS1_19radix_merge_compareILb1ELb0EiNS0_19identity_decomposerEEEEE10hipError_tT0_T1_T2_jT3_P12ihipStream_tbPNSt15iterator_traitsISI_E10value_typeEPNSO_ISJ_E10value_typeEPSK_NS1_7vsmem_tEENKUlT_SI_SJ_SK_E_clIPiSD_S10_SD_EESH_SX_SI_SJ_SK_EUlSX_E0_NS1_11comp_targetILNS1_3genE4ELNS1_11target_archE910ELNS1_3gpuE8ELNS1_3repE0EEENS1_38merge_mergepath_config_static_selectorELNS0_4arch9wavefront6targetE1EEEvSJ_.has_recursion, 0
	.set _ZN7rocprim17ROCPRIM_400000_NS6detail17trampoline_kernelINS0_14default_configENS1_38merge_sort_block_merge_config_selectorIiiEEZZNS1_27merge_sort_block_merge_implIS3_N6thrust23THRUST_200600_302600_NS6detail15normal_iteratorINS8_10device_ptrIiEEEESD_jNS1_19radix_merge_compareILb1ELb0EiNS0_19identity_decomposerEEEEE10hipError_tT0_T1_T2_jT3_P12ihipStream_tbPNSt15iterator_traitsISI_E10value_typeEPNSO_ISJ_E10value_typeEPSK_NS1_7vsmem_tEENKUlT_SI_SJ_SK_E_clIPiSD_S10_SD_EESH_SX_SI_SJ_SK_EUlSX_E0_NS1_11comp_targetILNS1_3genE4ELNS1_11target_archE910ELNS1_3gpuE8ELNS1_3repE0EEENS1_38merge_mergepath_config_static_selectorELNS0_4arch9wavefront6targetE1EEEvSJ_.has_indirect_call, 0
	.section	.AMDGPU.csdata,"",@progbits
; Kernel info:
; codeLenInByte = 0
; TotalNumSgprs: 6
; NumVgprs: 0
; NumAgprs: 0
; TotalNumVgprs: 0
; ScratchSize: 0
; MemoryBound: 0
; FloatMode: 240
; IeeeMode: 1
; LDSByteSize: 0 bytes/workgroup (compile time only)
; SGPRBlocks: 0
; VGPRBlocks: 0
; NumSGPRsForWavesPerEU: 6
; NumVGPRsForWavesPerEU: 1
; AccumOffset: 4
; Occupancy: 8
; WaveLimiterHint : 0
; COMPUTE_PGM_RSRC2:SCRATCH_EN: 0
; COMPUTE_PGM_RSRC2:USER_SGPR: 2
; COMPUTE_PGM_RSRC2:TRAP_HANDLER: 0
; COMPUTE_PGM_RSRC2:TGID_X_EN: 1
; COMPUTE_PGM_RSRC2:TGID_Y_EN: 0
; COMPUTE_PGM_RSRC2:TGID_Z_EN: 0
; COMPUTE_PGM_RSRC2:TIDIG_COMP_CNT: 0
; COMPUTE_PGM_RSRC3_GFX90A:ACCUM_OFFSET: 0
; COMPUTE_PGM_RSRC3_GFX90A:TG_SPLIT: 0
	.section	.text._ZN7rocprim17ROCPRIM_400000_NS6detail17trampoline_kernelINS0_14default_configENS1_38merge_sort_block_merge_config_selectorIiiEEZZNS1_27merge_sort_block_merge_implIS3_N6thrust23THRUST_200600_302600_NS6detail15normal_iteratorINS8_10device_ptrIiEEEESD_jNS1_19radix_merge_compareILb1ELb0EiNS0_19identity_decomposerEEEEE10hipError_tT0_T1_T2_jT3_P12ihipStream_tbPNSt15iterator_traitsISI_E10value_typeEPNSO_ISJ_E10value_typeEPSK_NS1_7vsmem_tEENKUlT_SI_SJ_SK_E_clIPiSD_S10_SD_EESH_SX_SI_SJ_SK_EUlSX_E0_NS1_11comp_targetILNS1_3genE3ELNS1_11target_archE908ELNS1_3gpuE7ELNS1_3repE0EEENS1_38merge_mergepath_config_static_selectorELNS0_4arch9wavefront6targetE1EEEvSJ_,"axG",@progbits,_ZN7rocprim17ROCPRIM_400000_NS6detail17trampoline_kernelINS0_14default_configENS1_38merge_sort_block_merge_config_selectorIiiEEZZNS1_27merge_sort_block_merge_implIS3_N6thrust23THRUST_200600_302600_NS6detail15normal_iteratorINS8_10device_ptrIiEEEESD_jNS1_19radix_merge_compareILb1ELb0EiNS0_19identity_decomposerEEEEE10hipError_tT0_T1_T2_jT3_P12ihipStream_tbPNSt15iterator_traitsISI_E10value_typeEPNSO_ISJ_E10value_typeEPSK_NS1_7vsmem_tEENKUlT_SI_SJ_SK_E_clIPiSD_S10_SD_EESH_SX_SI_SJ_SK_EUlSX_E0_NS1_11comp_targetILNS1_3genE3ELNS1_11target_archE908ELNS1_3gpuE7ELNS1_3repE0EEENS1_38merge_mergepath_config_static_selectorELNS0_4arch9wavefront6targetE1EEEvSJ_,comdat
	.protected	_ZN7rocprim17ROCPRIM_400000_NS6detail17trampoline_kernelINS0_14default_configENS1_38merge_sort_block_merge_config_selectorIiiEEZZNS1_27merge_sort_block_merge_implIS3_N6thrust23THRUST_200600_302600_NS6detail15normal_iteratorINS8_10device_ptrIiEEEESD_jNS1_19radix_merge_compareILb1ELb0EiNS0_19identity_decomposerEEEEE10hipError_tT0_T1_T2_jT3_P12ihipStream_tbPNSt15iterator_traitsISI_E10value_typeEPNSO_ISJ_E10value_typeEPSK_NS1_7vsmem_tEENKUlT_SI_SJ_SK_E_clIPiSD_S10_SD_EESH_SX_SI_SJ_SK_EUlSX_E0_NS1_11comp_targetILNS1_3genE3ELNS1_11target_archE908ELNS1_3gpuE7ELNS1_3repE0EEENS1_38merge_mergepath_config_static_selectorELNS0_4arch9wavefront6targetE1EEEvSJ_ ; -- Begin function _ZN7rocprim17ROCPRIM_400000_NS6detail17trampoline_kernelINS0_14default_configENS1_38merge_sort_block_merge_config_selectorIiiEEZZNS1_27merge_sort_block_merge_implIS3_N6thrust23THRUST_200600_302600_NS6detail15normal_iteratorINS8_10device_ptrIiEEEESD_jNS1_19radix_merge_compareILb1ELb0EiNS0_19identity_decomposerEEEEE10hipError_tT0_T1_T2_jT3_P12ihipStream_tbPNSt15iterator_traitsISI_E10value_typeEPNSO_ISJ_E10value_typeEPSK_NS1_7vsmem_tEENKUlT_SI_SJ_SK_E_clIPiSD_S10_SD_EESH_SX_SI_SJ_SK_EUlSX_E0_NS1_11comp_targetILNS1_3genE3ELNS1_11target_archE908ELNS1_3gpuE7ELNS1_3repE0EEENS1_38merge_mergepath_config_static_selectorELNS0_4arch9wavefront6targetE1EEEvSJ_
	.globl	_ZN7rocprim17ROCPRIM_400000_NS6detail17trampoline_kernelINS0_14default_configENS1_38merge_sort_block_merge_config_selectorIiiEEZZNS1_27merge_sort_block_merge_implIS3_N6thrust23THRUST_200600_302600_NS6detail15normal_iteratorINS8_10device_ptrIiEEEESD_jNS1_19radix_merge_compareILb1ELb0EiNS0_19identity_decomposerEEEEE10hipError_tT0_T1_T2_jT3_P12ihipStream_tbPNSt15iterator_traitsISI_E10value_typeEPNSO_ISJ_E10value_typeEPSK_NS1_7vsmem_tEENKUlT_SI_SJ_SK_E_clIPiSD_S10_SD_EESH_SX_SI_SJ_SK_EUlSX_E0_NS1_11comp_targetILNS1_3genE3ELNS1_11target_archE908ELNS1_3gpuE7ELNS1_3repE0EEENS1_38merge_mergepath_config_static_selectorELNS0_4arch9wavefront6targetE1EEEvSJ_
	.p2align	8
	.type	_ZN7rocprim17ROCPRIM_400000_NS6detail17trampoline_kernelINS0_14default_configENS1_38merge_sort_block_merge_config_selectorIiiEEZZNS1_27merge_sort_block_merge_implIS3_N6thrust23THRUST_200600_302600_NS6detail15normal_iteratorINS8_10device_ptrIiEEEESD_jNS1_19radix_merge_compareILb1ELb0EiNS0_19identity_decomposerEEEEE10hipError_tT0_T1_T2_jT3_P12ihipStream_tbPNSt15iterator_traitsISI_E10value_typeEPNSO_ISJ_E10value_typeEPSK_NS1_7vsmem_tEENKUlT_SI_SJ_SK_E_clIPiSD_S10_SD_EESH_SX_SI_SJ_SK_EUlSX_E0_NS1_11comp_targetILNS1_3genE3ELNS1_11target_archE908ELNS1_3gpuE7ELNS1_3repE0EEENS1_38merge_mergepath_config_static_selectorELNS0_4arch9wavefront6targetE1EEEvSJ_,@function
_ZN7rocprim17ROCPRIM_400000_NS6detail17trampoline_kernelINS0_14default_configENS1_38merge_sort_block_merge_config_selectorIiiEEZZNS1_27merge_sort_block_merge_implIS3_N6thrust23THRUST_200600_302600_NS6detail15normal_iteratorINS8_10device_ptrIiEEEESD_jNS1_19radix_merge_compareILb1ELb0EiNS0_19identity_decomposerEEEEE10hipError_tT0_T1_T2_jT3_P12ihipStream_tbPNSt15iterator_traitsISI_E10value_typeEPNSO_ISJ_E10value_typeEPSK_NS1_7vsmem_tEENKUlT_SI_SJ_SK_E_clIPiSD_S10_SD_EESH_SX_SI_SJ_SK_EUlSX_E0_NS1_11comp_targetILNS1_3genE3ELNS1_11target_archE908ELNS1_3gpuE7ELNS1_3repE0EEENS1_38merge_mergepath_config_static_selectorELNS0_4arch9wavefront6targetE1EEEvSJ_: ; @_ZN7rocprim17ROCPRIM_400000_NS6detail17trampoline_kernelINS0_14default_configENS1_38merge_sort_block_merge_config_selectorIiiEEZZNS1_27merge_sort_block_merge_implIS3_N6thrust23THRUST_200600_302600_NS6detail15normal_iteratorINS8_10device_ptrIiEEEESD_jNS1_19radix_merge_compareILb1ELb0EiNS0_19identity_decomposerEEEEE10hipError_tT0_T1_T2_jT3_P12ihipStream_tbPNSt15iterator_traitsISI_E10value_typeEPNSO_ISJ_E10value_typeEPSK_NS1_7vsmem_tEENKUlT_SI_SJ_SK_E_clIPiSD_S10_SD_EESH_SX_SI_SJ_SK_EUlSX_E0_NS1_11comp_targetILNS1_3genE3ELNS1_11target_archE908ELNS1_3gpuE7ELNS1_3repE0EEENS1_38merge_mergepath_config_static_selectorELNS0_4arch9wavefront6targetE1EEEvSJ_
; %bb.0:
	.section	.rodata,"a",@progbits
	.p2align	6, 0x0
	.amdhsa_kernel _ZN7rocprim17ROCPRIM_400000_NS6detail17trampoline_kernelINS0_14default_configENS1_38merge_sort_block_merge_config_selectorIiiEEZZNS1_27merge_sort_block_merge_implIS3_N6thrust23THRUST_200600_302600_NS6detail15normal_iteratorINS8_10device_ptrIiEEEESD_jNS1_19radix_merge_compareILb1ELb0EiNS0_19identity_decomposerEEEEE10hipError_tT0_T1_T2_jT3_P12ihipStream_tbPNSt15iterator_traitsISI_E10value_typeEPNSO_ISJ_E10value_typeEPSK_NS1_7vsmem_tEENKUlT_SI_SJ_SK_E_clIPiSD_S10_SD_EESH_SX_SI_SJ_SK_EUlSX_E0_NS1_11comp_targetILNS1_3genE3ELNS1_11target_archE908ELNS1_3gpuE7ELNS1_3repE0EEENS1_38merge_mergepath_config_static_selectorELNS0_4arch9wavefront6targetE1EEEvSJ_
		.amdhsa_group_segment_fixed_size 0
		.amdhsa_private_segment_fixed_size 0
		.amdhsa_kernarg_size 64
		.amdhsa_user_sgpr_count 2
		.amdhsa_user_sgpr_dispatch_ptr 0
		.amdhsa_user_sgpr_queue_ptr 0
		.amdhsa_user_sgpr_kernarg_segment_ptr 1
		.amdhsa_user_sgpr_dispatch_id 0
		.amdhsa_user_sgpr_kernarg_preload_length 0
		.amdhsa_user_sgpr_kernarg_preload_offset 0
		.amdhsa_user_sgpr_private_segment_size 0
		.amdhsa_uses_dynamic_stack 0
		.amdhsa_enable_private_segment 0
		.amdhsa_system_sgpr_workgroup_id_x 1
		.amdhsa_system_sgpr_workgroup_id_y 0
		.amdhsa_system_sgpr_workgroup_id_z 0
		.amdhsa_system_sgpr_workgroup_info 0
		.amdhsa_system_vgpr_workitem_id 0
		.amdhsa_next_free_vgpr 1
		.amdhsa_next_free_sgpr 0
		.amdhsa_accum_offset 4
		.amdhsa_reserve_vcc 0
		.amdhsa_float_round_mode_32 0
		.amdhsa_float_round_mode_16_64 0
		.amdhsa_float_denorm_mode_32 3
		.amdhsa_float_denorm_mode_16_64 3
		.amdhsa_dx10_clamp 1
		.amdhsa_ieee_mode 1
		.amdhsa_fp16_overflow 0
		.amdhsa_tg_split 0
		.amdhsa_exception_fp_ieee_invalid_op 0
		.amdhsa_exception_fp_denorm_src 0
		.amdhsa_exception_fp_ieee_div_zero 0
		.amdhsa_exception_fp_ieee_overflow 0
		.amdhsa_exception_fp_ieee_underflow 0
		.amdhsa_exception_fp_ieee_inexact 0
		.amdhsa_exception_int_div_zero 0
	.end_amdhsa_kernel
	.section	.text._ZN7rocprim17ROCPRIM_400000_NS6detail17trampoline_kernelINS0_14default_configENS1_38merge_sort_block_merge_config_selectorIiiEEZZNS1_27merge_sort_block_merge_implIS3_N6thrust23THRUST_200600_302600_NS6detail15normal_iteratorINS8_10device_ptrIiEEEESD_jNS1_19radix_merge_compareILb1ELb0EiNS0_19identity_decomposerEEEEE10hipError_tT0_T1_T2_jT3_P12ihipStream_tbPNSt15iterator_traitsISI_E10value_typeEPNSO_ISJ_E10value_typeEPSK_NS1_7vsmem_tEENKUlT_SI_SJ_SK_E_clIPiSD_S10_SD_EESH_SX_SI_SJ_SK_EUlSX_E0_NS1_11comp_targetILNS1_3genE3ELNS1_11target_archE908ELNS1_3gpuE7ELNS1_3repE0EEENS1_38merge_mergepath_config_static_selectorELNS0_4arch9wavefront6targetE1EEEvSJ_,"axG",@progbits,_ZN7rocprim17ROCPRIM_400000_NS6detail17trampoline_kernelINS0_14default_configENS1_38merge_sort_block_merge_config_selectorIiiEEZZNS1_27merge_sort_block_merge_implIS3_N6thrust23THRUST_200600_302600_NS6detail15normal_iteratorINS8_10device_ptrIiEEEESD_jNS1_19radix_merge_compareILb1ELb0EiNS0_19identity_decomposerEEEEE10hipError_tT0_T1_T2_jT3_P12ihipStream_tbPNSt15iterator_traitsISI_E10value_typeEPNSO_ISJ_E10value_typeEPSK_NS1_7vsmem_tEENKUlT_SI_SJ_SK_E_clIPiSD_S10_SD_EESH_SX_SI_SJ_SK_EUlSX_E0_NS1_11comp_targetILNS1_3genE3ELNS1_11target_archE908ELNS1_3gpuE7ELNS1_3repE0EEENS1_38merge_mergepath_config_static_selectorELNS0_4arch9wavefront6targetE1EEEvSJ_,comdat
.Lfunc_end897:
	.size	_ZN7rocprim17ROCPRIM_400000_NS6detail17trampoline_kernelINS0_14default_configENS1_38merge_sort_block_merge_config_selectorIiiEEZZNS1_27merge_sort_block_merge_implIS3_N6thrust23THRUST_200600_302600_NS6detail15normal_iteratorINS8_10device_ptrIiEEEESD_jNS1_19radix_merge_compareILb1ELb0EiNS0_19identity_decomposerEEEEE10hipError_tT0_T1_T2_jT3_P12ihipStream_tbPNSt15iterator_traitsISI_E10value_typeEPNSO_ISJ_E10value_typeEPSK_NS1_7vsmem_tEENKUlT_SI_SJ_SK_E_clIPiSD_S10_SD_EESH_SX_SI_SJ_SK_EUlSX_E0_NS1_11comp_targetILNS1_3genE3ELNS1_11target_archE908ELNS1_3gpuE7ELNS1_3repE0EEENS1_38merge_mergepath_config_static_selectorELNS0_4arch9wavefront6targetE1EEEvSJ_, .Lfunc_end897-_ZN7rocprim17ROCPRIM_400000_NS6detail17trampoline_kernelINS0_14default_configENS1_38merge_sort_block_merge_config_selectorIiiEEZZNS1_27merge_sort_block_merge_implIS3_N6thrust23THRUST_200600_302600_NS6detail15normal_iteratorINS8_10device_ptrIiEEEESD_jNS1_19radix_merge_compareILb1ELb0EiNS0_19identity_decomposerEEEEE10hipError_tT0_T1_T2_jT3_P12ihipStream_tbPNSt15iterator_traitsISI_E10value_typeEPNSO_ISJ_E10value_typeEPSK_NS1_7vsmem_tEENKUlT_SI_SJ_SK_E_clIPiSD_S10_SD_EESH_SX_SI_SJ_SK_EUlSX_E0_NS1_11comp_targetILNS1_3genE3ELNS1_11target_archE908ELNS1_3gpuE7ELNS1_3repE0EEENS1_38merge_mergepath_config_static_selectorELNS0_4arch9wavefront6targetE1EEEvSJ_
                                        ; -- End function
	.set _ZN7rocprim17ROCPRIM_400000_NS6detail17trampoline_kernelINS0_14default_configENS1_38merge_sort_block_merge_config_selectorIiiEEZZNS1_27merge_sort_block_merge_implIS3_N6thrust23THRUST_200600_302600_NS6detail15normal_iteratorINS8_10device_ptrIiEEEESD_jNS1_19radix_merge_compareILb1ELb0EiNS0_19identity_decomposerEEEEE10hipError_tT0_T1_T2_jT3_P12ihipStream_tbPNSt15iterator_traitsISI_E10value_typeEPNSO_ISJ_E10value_typeEPSK_NS1_7vsmem_tEENKUlT_SI_SJ_SK_E_clIPiSD_S10_SD_EESH_SX_SI_SJ_SK_EUlSX_E0_NS1_11comp_targetILNS1_3genE3ELNS1_11target_archE908ELNS1_3gpuE7ELNS1_3repE0EEENS1_38merge_mergepath_config_static_selectorELNS0_4arch9wavefront6targetE1EEEvSJ_.num_vgpr, 0
	.set _ZN7rocprim17ROCPRIM_400000_NS6detail17trampoline_kernelINS0_14default_configENS1_38merge_sort_block_merge_config_selectorIiiEEZZNS1_27merge_sort_block_merge_implIS3_N6thrust23THRUST_200600_302600_NS6detail15normal_iteratorINS8_10device_ptrIiEEEESD_jNS1_19radix_merge_compareILb1ELb0EiNS0_19identity_decomposerEEEEE10hipError_tT0_T1_T2_jT3_P12ihipStream_tbPNSt15iterator_traitsISI_E10value_typeEPNSO_ISJ_E10value_typeEPSK_NS1_7vsmem_tEENKUlT_SI_SJ_SK_E_clIPiSD_S10_SD_EESH_SX_SI_SJ_SK_EUlSX_E0_NS1_11comp_targetILNS1_3genE3ELNS1_11target_archE908ELNS1_3gpuE7ELNS1_3repE0EEENS1_38merge_mergepath_config_static_selectorELNS0_4arch9wavefront6targetE1EEEvSJ_.num_agpr, 0
	.set _ZN7rocprim17ROCPRIM_400000_NS6detail17trampoline_kernelINS0_14default_configENS1_38merge_sort_block_merge_config_selectorIiiEEZZNS1_27merge_sort_block_merge_implIS3_N6thrust23THRUST_200600_302600_NS6detail15normal_iteratorINS8_10device_ptrIiEEEESD_jNS1_19radix_merge_compareILb1ELb0EiNS0_19identity_decomposerEEEEE10hipError_tT0_T1_T2_jT3_P12ihipStream_tbPNSt15iterator_traitsISI_E10value_typeEPNSO_ISJ_E10value_typeEPSK_NS1_7vsmem_tEENKUlT_SI_SJ_SK_E_clIPiSD_S10_SD_EESH_SX_SI_SJ_SK_EUlSX_E0_NS1_11comp_targetILNS1_3genE3ELNS1_11target_archE908ELNS1_3gpuE7ELNS1_3repE0EEENS1_38merge_mergepath_config_static_selectorELNS0_4arch9wavefront6targetE1EEEvSJ_.numbered_sgpr, 0
	.set _ZN7rocprim17ROCPRIM_400000_NS6detail17trampoline_kernelINS0_14default_configENS1_38merge_sort_block_merge_config_selectorIiiEEZZNS1_27merge_sort_block_merge_implIS3_N6thrust23THRUST_200600_302600_NS6detail15normal_iteratorINS8_10device_ptrIiEEEESD_jNS1_19radix_merge_compareILb1ELb0EiNS0_19identity_decomposerEEEEE10hipError_tT0_T1_T2_jT3_P12ihipStream_tbPNSt15iterator_traitsISI_E10value_typeEPNSO_ISJ_E10value_typeEPSK_NS1_7vsmem_tEENKUlT_SI_SJ_SK_E_clIPiSD_S10_SD_EESH_SX_SI_SJ_SK_EUlSX_E0_NS1_11comp_targetILNS1_3genE3ELNS1_11target_archE908ELNS1_3gpuE7ELNS1_3repE0EEENS1_38merge_mergepath_config_static_selectorELNS0_4arch9wavefront6targetE1EEEvSJ_.num_named_barrier, 0
	.set _ZN7rocprim17ROCPRIM_400000_NS6detail17trampoline_kernelINS0_14default_configENS1_38merge_sort_block_merge_config_selectorIiiEEZZNS1_27merge_sort_block_merge_implIS3_N6thrust23THRUST_200600_302600_NS6detail15normal_iteratorINS8_10device_ptrIiEEEESD_jNS1_19radix_merge_compareILb1ELb0EiNS0_19identity_decomposerEEEEE10hipError_tT0_T1_T2_jT3_P12ihipStream_tbPNSt15iterator_traitsISI_E10value_typeEPNSO_ISJ_E10value_typeEPSK_NS1_7vsmem_tEENKUlT_SI_SJ_SK_E_clIPiSD_S10_SD_EESH_SX_SI_SJ_SK_EUlSX_E0_NS1_11comp_targetILNS1_3genE3ELNS1_11target_archE908ELNS1_3gpuE7ELNS1_3repE0EEENS1_38merge_mergepath_config_static_selectorELNS0_4arch9wavefront6targetE1EEEvSJ_.private_seg_size, 0
	.set _ZN7rocprim17ROCPRIM_400000_NS6detail17trampoline_kernelINS0_14default_configENS1_38merge_sort_block_merge_config_selectorIiiEEZZNS1_27merge_sort_block_merge_implIS3_N6thrust23THRUST_200600_302600_NS6detail15normal_iteratorINS8_10device_ptrIiEEEESD_jNS1_19radix_merge_compareILb1ELb0EiNS0_19identity_decomposerEEEEE10hipError_tT0_T1_T2_jT3_P12ihipStream_tbPNSt15iterator_traitsISI_E10value_typeEPNSO_ISJ_E10value_typeEPSK_NS1_7vsmem_tEENKUlT_SI_SJ_SK_E_clIPiSD_S10_SD_EESH_SX_SI_SJ_SK_EUlSX_E0_NS1_11comp_targetILNS1_3genE3ELNS1_11target_archE908ELNS1_3gpuE7ELNS1_3repE0EEENS1_38merge_mergepath_config_static_selectorELNS0_4arch9wavefront6targetE1EEEvSJ_.uses_vcc, 0
	.set _ZN7rocprim17ROCPRIM_400000_NS6detail17trampoline_kernelINS0_14default_configENS1_38merge_sort_block_merge_config_selectorIiiEEZZNS1_27merge_sort_block_merge_implIS3_N6thrust23THRUST_200600_302600_NS6detail15normal_iteratorINS8_10device_ptrIiEEEESD_jNS1_19radix_merge_compareILb1ELb0EiNS0_19identity_decomposerEEEEE10hipError_tT0_T1_T2_jT3_P12ihipStream_tbPNSt15iterator_traitsISI_E10value_typeEPNSO_ISJ_E10value_typeEPSK_NS1_7vsmem_tEENKUlT_SI_SJ_SK_E_clIPiSD_S10_SD_EESH_SX_SI_SJ_SK_EUlSX_E0_NS1_11comp_targetILNS1_3genE3ELNS1_11target_archE908ELNS1_3gpuE7ELNS1_3repE0EEENS1_38merge_mergepath_config_static_selectorELNS0_4arch9wavefront6targetE1EEEvSJ_.uses_flat_scratch, 0
	.set _ZN7rocprim17ROCPRIM_400000_NS6detail17trampoline_kernelINS0_14default_configENS1_38merge_sort_block_merge_config_selectorIiiEEZZNS1_27merge_sort_block_merge_implIS3_N6thrust23THRUST_200600_302600_NS6detail15normal_iteratorINS8_10device_ptrIiEEEESD_jNS1_19radix_merge_compareILb1ELb0EiNS0_19identity_decomposerEEEEE10hipError_tT0_T1_T2_jT3_P12ihipStream_tbPNSt15iterator_traitsISI_E10value_typeEPNSO_ISJ_E10value_typeEPSK_NS1_7vsmem_tEENKUlT_SI_SJ_SK_E_clIPiSD_S10_SD_EESH_SX_SI_SJ_SK_EUlSX_E0_NS1_11comp_targetILNS1_3genE3ELNS1_11target_archE908ELNS1_3gpuE7ELNS1_3repE0EEENS1_38merge_mergepath_config_static_selectorELNS0_4arch9wavefront6targetE1EEEvSJ_.has_dyn_sized_stack, 0
	.set _ZN7rocprim17ROCPRIM_400000_NS6detail17trampoline_kernelINS0_14default_configENS1_38merge_sort_block_merge_config_selectorIiiEEZZNS1_27merge_sort_block_merge_implIS3_N6thrust23THRUST_200600_302600_NS6detail15normal_iteratorINS8_10device_ptrIiEEEESD_jNS1_19radix_merge_compareILb1ELb0EiNS0_19identity_decomposerEEEEE10hipError_tT0_T1_T2_jT3_P12ihipStream_tbPNSt15iterator_traitsISI_E10value_typeEPNSO_ISJ_E10value_typeEPSK_NS1_7vsmem_tEENKUlT_SI_SJ_SK_E_clIPiSD_S10_SD_EESH_SX_SI_SJ_SK_EUlSX_E0_NS1_11comp_targetILNS1_3genE3ELNS1_11target_archE908ELNS1_3gpuE7ELNS1_3repE0EEENS1_38merge_mergepath_config_static_selectorELNS0_4arch9wavefront6targetE1EEEvSJ_.has_recursion, 0
	.set _ZN7rocprim17ROCPRIM_400000_NS6detail17trampoline_kernelINS0_14default_configENS1_38merge_sort_block_merge_config_selectorIiiEEZZNS1_27merge_sort_block_merge_implIS3_N6thrust23THRUST_200600_302600_NS6detail15normal_iteratorINS8_10device_ptrIiEEEESD_jNS1_19radix_merge_compareILb1ELb0EiNS0_19identity_decomposerEEEEE10hipError_tT0_T1_T2_jT3_P12ihipStream_tbPNSt15iterator_traitsISI_E10value_typeEPNSO_ISJ_E10value_typeEPSK_NS1_7vsmem_tEENKUlT_SI_SJ_SK_E_clIPiSD_S10_SD_EESH_SX_SI_SJ_SK_EUlSX_E0_NS1_11comp_targetILNS1_3genE3ELNS1_11target_archE908ELNS1_3gpuE7ELNS1_3repE0EEENS1_38merge_mergepath_config_static_selectorELNS0_4arch9wavefront6targetE1EEEvSJ_.has_indirect_call, 0
	.section	.AMDGPU.csdata,"",@progbits
; Kernel info:
; codeLenInByte = 0
; TotalNumSgprs: 6
; NumVgprs: 0
; NumAgprs: 0
; TotalNumVgprs: 0
; ScratchSize: 0
; MemoryBound: 0
; FloatMode: 240
; IeeeMode: 1
; LDSByteSize: 0 bytes/workgroup (compile time only)
; SGPRBlocks: 0
; VGPRBlocks: 0
; NumSGPRsForWavesPerEU: 6
; NumVGPRsForWavesPerEU: 1
; AccumOffset: 4
; Occupancy: 8
; WaveLimiterHint : 0
; COMPUTE_PGM_RSRC2:SCRATCH_EN: 0
; COMPUTE_PGM_RSRC2:USER_SGPR: 2
; COMPUTE_PGM_RSRC2:TRAP_HANDLER: 0
; COMPUTE_PGM_RSRC2:TGID_X_EN: 1
; COMPUTE_PGM_RSRC2:TGID_Y_EN: 0
; COMPUTE_PGM_RSRC2:TGID_Z_EN: 0
; COMPUTE_PGM_RSRC2:TIDIG_COMP_CNT: 0
; COMPUTE_PGM_RSRC3_GFX90A:ACCUM_OFFSET: 0
; COMPUTE_PGM_RSRC3_GFX90A:TG_SPLIT: 0
	.section	.text._ZN7rocprim17ROCPRIM_400000_NS6detail17trampoline_kernelINS0_14default_configENS1_38merge_sort_block_merge_config_selectorIiiEEZZNS1_27merge_sort_block_merge_implIS3_N6thrust23THRUST_200600_302600_NS6detail15normal_iteratorINS8_10device_ptrIiEEEESD_jNS1_19radix_merge_compareILb1ELb0EiNS0_19identity_decomposerEEEEE10hipError_tT0_T1_T2_jT3_P12ihipStream_tbPNSt15iterator_traitsISI_E10value_typeEPNSO_ISJ_E10value_typeEPSK_NS1_7vsmem_tEENKUlT_SI_SJ_SK_E_clIPiSD_S10_SD_EESH_SX_SI_SJ_SK_EUlSX_E0_NS1_11comp_targetILNS1_3genE2ELNS1_11target_archE906ELNS1_3gpuE6ELNS1_3repE0EEENS1_38merge_mergepath_config_static_selectorELNS0_4arch9wavefront6targetE1EEEvSJ_,"axG",@progbits,_ZN7rocprim17ROCPRIM_400000_NS6detail17trampoline_kernelINS0_14default_configENS1_38merge_sort_block_merge_config_selectorIiiEEZZNS1_27merge_sort_block_merge_implIS3_N6thrust23THRUST_200600_302600_NS6detail15normal_iteratorINS8_10device_ptrIiEEEESD_jNS1_19radix_merge_compareILb1ELb0EiNS0_19identity_decomposerEEEEE10hipError_tT0_T1_T2_jT3_P12ihipStream_tbPNSt15iterator_traitsISI_E10value_typeEPNSO_ISJ_E10value_typeEPSK_NS1_7vsmem_tEENKUlT_SI_SJ_SK_E_clIPiSD_S10_SD_EESH_SX_SI_SJ_SK_EUlSX_E0_NS1_11comp_targetILNS1_3genE2ELNS1_11target_archE906ELNS1_3gpuE6ELNS1_3repE0EEENS1_38merge_mergepath_config_static_selectorELNS0_4arch9wavefront6targetE1EEEvSJ_,comdat
	.protected	_ZN7rocprim17ROCPRIM_400000_NS6detail17trampoline_kernelINS0_14default_configENS1_38merge_sort_block_merge_config_selectorIiiEEZZNS1_27merge_sort_block_merge_implIS3_N6thrust23THRUST_200600_302600_NS6detail15normal_iteratorINS8_10device_ptrIiEEEESD_jNS1_19radix_merge_compareILb1ELb0EiNS0_19identity_decomposerEEEEE10hipError_tT0_T1_T2_jT3_P12ihipStream_tbPNSt15iterator_traitsISI_E10value_typeEPNSO_ISJ_E10value_typeEPSK_NS1_7vsmem_tEENKUlT_SI_SJ_SK_E_clIPiSD_S10_SD_EESH_SX_SI_SJ_SK_EUlSX_E0_NS1_11comp_targetILNS1_3genE2ELNS1_11target_archE906ELNS1_3gpuE6ELNS1_3repE0EEENS1_38merge_mergepath_config_static_selectorELNS0_4arch9wavefront6targetE1EEEvSJ_ ; -- Begin function _ZN7rocprim17ROCPRIM_400000_NS6detail17trampoline_kernelINS0_14default_configENS1_38merge_sort_block_merge_config_selectorIiiEEZZNS1_27merge_sort_block_merge_implIS3_N6thrust23THRUST_200600_302600_NS6detail15normal_iteratorINS8_10device_ptrIiEEEESD_jNS1_19radix_merge_compareILb1ELb0EiNS0_19identity_decomposerEEEEE10hipError_tT0_T1_T2_jT3_P12ihipStream_tbPNSt15iterator_traitsISI_E10value_typeEPNSO_ISJ_E10value_typeEPSK_NS1_7vsmem_tEENKUlT_SI_SJ_SK_E_clIPiSD_S10_SD_EESH_SX_SI_SJ_SK_EUlSX_E0_NS1_11comp_targetILNS1_3genE2ELNS1_11target_archE906ELNS1_3gpuE6ELNS1_3repE0EEENS1_38merge_mergepath_config_static_selectorELNS0_4arch9wavefront6targetE1EEEvSJ_
	.globl	_ZN7rocprim17ROCPRIM_400000_NS6detail17trampoline_kernelINS0_14default_configENS1_38merge_sort_block_merge_config_selectorIiiEEZZNS1_27merge_sort_block_merge_implIS3_N6thrust23THRUST_200600_302600_NS6detail15normal_iteratorINS8_10device_ptrIiEEEESD_jNS1_19radix_merge_compareILb1ELb0EiNS0_19identity_decomposerEEEEE10hipError_tT0_T1_T2_jT3_P12ihipStream_tbPNSt15iterator_traitsISI_E10value_typeEPNSO_ISJ_E10value_typeEPSK_NS1_7vsmem_tEENKUlT_SI_SJ_SK_E_clIPiSD_S10_SD_EESH_SX_SI_SJ_SK_EUlSX_E0_NS1_11comp_targetILNS1_3genE2ELNS1_11target_archE906ELNS1_3gpuE6ELNS1_3repE0EEENS1_38merge_mergepath_config_static_selectorELNS0_4arch9wavefront6targetE1EEEvSJ_
	.p2align	8
	.type	_ZN7rocprim17ROCPRIM_400000_NS6detail17trampoline_kernelINS0_14default_configENS1_38merge_sort_block_merge_config_selectorIiiEEZZNS1_27merge_sort_block_merge_implIS3_N6thrust23THRUST_200600_302600_NS6detail15normal_iteratorINS8_10device_ptrIiEEEESD_jNS1_19radix_merge_compareILb1ELb0EiNS0_19identity_decomposerEEEEE10hipError_tT0_T1_T2_jT3_P12ihipStream_tbPNSt15iterator_traitsISI_E10value_typeEPNSO_ISJ_E10value_typeEPSK_NS1_7vsmem_tEENKUlT_SI_SJ_SK_E_clIPiSD_S10_SD_EESH_SX_SI_SJ_SK_EUlSX_E0_NS1_11comp_targetILNS1_3genE2ELNS1_11target_archE906ELNS1_3gpuE6ELNS1_3repE0EEENS1_38merge_mergepath_config_static_selectorELNS0_4arch9wavefront6targetE1EEEvSJ_,@function
_ZN7rocprim17ROCPRIM_400000_NS6detail17trampoline_kernelINS0_14default_configENS1_38merge_sort_block_merge_config_selectorIiiEEZZNS1_27merge_sort_block_merge_implIS3_N6thrust23THRUST_200600_302600_NS6detail15normal_iteratorINS8_10device_ptrIiEEEESD_jNS1_19radix_merge_compareILb1ELb0EiNS0_19identity_decomposerEEEEE10hipError_tT0_T1_T2_jT3_P12ihipStream_tbPNSt15iterator_traitsISI_E10value_typeEPNSO_ISJ_E10value_typeEPSK_NS1_7vsmem_tEENKUlT_SI_SJ_SK_E_clIPiSD_S10_SD_EESH_SX_SI_SJ_SK_EUlSX_E0_NS1_11comp_targetILNS1_3genE2ELNS1_11target_archE906ELNS1_3gpuE6ELNS1_3repE0EEENS1_38merge_mergepath_config_static_selectorELNS0_4arch9wavefront6targetE1EEEvSJ_: ; @_ZN7rocprim17ROCPRIM_400000_NS6detail17trampoline_kernelINS0_14default_configENS1_38merge_sort_block_merge_config_selectorIiiEEZZNS1_27merge_sort_block_merge_implIS3_N6thrust23THRUST_200600_302600_NS6detail15normal_iteratorINS8_10device_ptrIiEEEESD_jNS1_19radix_merge_compareILb1ELb0EiNS0_19identity_decomposerEEEEE10hipError_tT0_T1_T2_jT3_P12ihipStream_tbPNSt15iterator_traitsISI_E10value_typeEPNSO_ISJ_E10value_typeEPSK_NS1_7vsmem_tEENKUlT_SI_SJ_SK_E_clIPiSD_S10_SD_EESH_SX_SI_SJ_SK_EUlSX_E0_NS1_11comp_targetILNS1_3genE2ELNS1_11target_archE906ELNS1_3gpuE6ELNS1_3repE0EEENS1_38merge_mergepath_config_static_selectorELNS0_4arch9wavefront6targetE1EEEvSJ_
; %bb.0:
	.section	.rodata,"a",@progbits
	.p2align	6, 0x0
	.amdhsa_kernel _ZN7rocprim17ROCPRIM_400000_NS6detail17trampoline_kernelINS0_14default_configENS1_38merge_sort_block_merge_config_selectorIiiEEZZNS1_27merge_sort_block_merge_implIS3_N6thrust23THRUST_200600_302600_NS6detail15normal_iteratorINS8_10device_ptrIiEEEESD_jNS1_19radix_merge_compareILb1ELb0EiNS0_19identity_decomposerEEEEE10hipError_tT0_T1_T2_jT3_P12ihipStream_tbPNSt15iterator_traitsISI_E10value_typeEPNSO_ISJ_E10value_typeEPSK_NS1_7vsmem_tEENKUlT_SI_SJ_SK_E_clIPiSD_S10_SD_EESH_SX_SI_SJ_SK_EUlSX_E0_NS1_11comp_targetILNS1_3genE2ELNS1_11target_archE906ELNS1_3gpuE6ELNS1_3repE0EEENS1_38merge_mergepath_config_static_selectorELNS0_4arch9wavefront6targetE1EEEvSJ_
		.amdhsa_group_segment_fixed_size 0
		.amdhsa_private_segment_fixed_size 0
		.amdhsa_kernarg_size 64
		.amdhsa_user_sgpr_count 2
		.amdhsa_user_sgpr_dispatch_ptr 0
		.amdhsa_user_sgpr_queue_ptr 0
		.amdhsa_user_sgpr_kernarg_segment_ptr 1
		.amdhsa_user_sgpr_dispatch_id 0
		.amdhsa_user_sgpr_kernarg_preload_length 0
		.amdhsa_user_sgpr_kernarg_preload_offset 0
		.amdhsa_user_sgpr_private_segment_size 0
		.amdhsa_uses_dynamic_stack 0
		.amdhsa_enable_private_segment 0
		.amdhsa_system_sgpr_workgroup_id_x 1
		.amdhsa_system_sgpr_workgroup_id_y 0
		.amdhsa_system_sgpr_workgroup_id_z 0
		.amdhsa_system_sgpr_workgroup_info 0
		.amdhsa_system_vgpr_workitem_id 0
		.amdhsa_next_free_vgpr 1
		.amdhsa_next_free_sgpr 0
		.amdhsa_accum_offset 4
		.amdhsa_reserve_vcc 0
		.amdhsa_float_round_mode_32 0
		.amdhsa_float_round_mode_16_64 0
		.amdhsa_float_denorm_mode_32 3
		.amdhsa_float_denorm_mode_16_64 3
		.amdhsa_dx10_clamp 1
		.amdhsa_ieee_mode 1
		.amdhsa_fp16_overflow 0
		.amdhsa_tg_split 0
		.amdhsa_exception_fp_ieee_invalid_op 0
		.amdhsa_exception_fp_denorm_src 0
		.amdhsa_exception_fp_ieee_div_zero 0
		.amdhsa_exception_fp_ieee_overflow 0
		.amdhsa_exception_fp_ieee_underflow 0
		.amdhsa_exception_fp_ieee_inexact 0
		.amdhsa_exception_int_div_zero 0
	.end_amdhsa_kernel
	.section	.text._ZN7rocprim17ROCPRIM_400000_NS6detail17trampoline_kernelINS0_14default_configENS1_38merge_sort_block_merge_config_selectorIiiEEZZNS1_27merge_sort_block_merge_implIS3_N6thrust23THRUST_200600_302600_NS6detail15normal_iteratorINS8_10device_ptrIiEEEESD_jNS1_19radix_merge_compareILb1ELb0EiNS0_19identity_decomposerEEEEE10hipError_tT0_T1_T2_jT3_P12ihipStream_tbPNSt15iterator_traitsISI_E10value_typeEPNSO_ISJ_E10value_typeEPSK_NS1_7vsmem_tEENKUlT_SI_SJ_SK_E_clIPiSD_S10_SD_EESH_SX_SI_SJ_SK_EUlSX_E0_NS1_11comp_targetILNS1_3genE2ELNS1_11target_archE906ELNS1_3gpuE6ELNS1_3repE0EEENS1_38merge_mergepath_config_static_selectorELNS0_4arch9wavefront6targetE1EEEvSJ_,"axG",@progbits,_ZN7rocprim17ROCPRIM_400000_NS6detail17trampoline_kernelINS0_14default_configENS1_38merge_sort_block_merge_config_selectorIiiEEZZNS1_27merge_sort_block_merge_implIS3_N6thrust23THRUST_200600_302600_NS6detail15normal_iteratorINS8_10device_ptrIiEEEESD_jNS1_19radix_merge_compareILb1ELb0EiNS0_19identity_decomposerEEEEE10hipError_tT0_T1_T2_jT3_P12ihipStream_tbPNSt15iterator_traitsISI_E10value_typeEPNSO_ISJ_E10value_typeEPSK_NS1_7vsmem_tEENKUlT_SI_SJ_SK_E_clIPiSD_S10_SD_EESH_SX_SI_SJ_SK_EUlSX_E0_NS1_11comp_targetILNS1_3genE2ELNS1_11target_archE906ELNS1_3gpuE6ELNS1_3repE0EEENS1_38merge_mergepath_config_static_selectorELNS0_4arch9wavefront6targetE1EEEvSJ_,comdat
.Lfunc_end898:
	.size	_ZN7rocprim17ROCPRIM_400000_NS6detail17trampoline_kernelINS0_14default_configENS1_38merge_sort_block_merge_config_selectorIiiEEZZNS1_27merge_sort_block_merge_implIS3_N6thrust23THRUST_200600_302600_NS6detail15normal_iteratorINS8_10device_ptrIiEEEESD_jNS1_19radix_merge_compareILb1ELb0EiNS0_19identity_decomposerEEEEE10hipError_tT0_T1_T2_jT3_P12ihipStream_tbPNSt15iterator_traitsISI_E10value_typeEPNSO_ISJ_E10value_typeEPSK_NS1_7vsmem_tEENKUlT_SI_SJ_SK_E_clIPiSD_S10_SD_EESH_SX_SI_SJ_SK_EUlSX_E0_NS1_11comp_targetILNS1_3genE2ELNS1_11target_archE906ELNS1_3gpuE6ELNS1_3repE0EEENS1_38merge_mergepath_config_static_selectorELNS0_4arch9wavefront6targetE1EEEvSJ_, .Lfunc_end898-_ZN7rocprim17ROCPRIM_400000_NS6detail17trampoline_kernelINS0_14default_configENS1_38merge_sort_block_merge_config_selectorIiiEEZZNS1_27merge_sort_block_merge_implIS3_N6thrust23THRUST_200600_302600_NS6detail15normal_iteratorINS8_10device_ptrIiEEEESD_jNS1_19radix_merge_compareILb1ELb0EiNS0_19identity_decomposerEEEEE10hipError_tT0_T1_T2_jT3_P12ihipStream_tbPNSt15iterator_traitsISI_E10value_typeEPNSO_ISJ_E10value_typeEPSK_NS1_7vsmem_tEENKUlT_SI_SJ_SK_E_clIPiSD_S10_SD_EESH_SX_SI_SJ_SK_EUlSX_E0_NS1_11comp_targetILNS1_3genE2ELNS1_11target_archE906ELNS1_3gpuE6ELNS1_3repE0EEENS1_38merge_mergepath_config_static_selectorELNS0_4arch9wavefront6targetE1EEEvSJ_
                                        ; -- End function
	.set _ZN7rocprim17ROCPRIM_400000_NS6detail17trampoline_kernelINS0_14default_configENS1_38merge_sort_block_merge_config_selectorIiiEEZZNS1_27merge_sort_block_merge_implIS3_N6thrust23THRUST_200600_302600_NS6detail15normal_iteratorINS8_10device_ptrIiEEEESD_jNS1_19radix_merge_compareILb1ELb0EiNS0_19identity_decomposerEEEEE10hipError_tT0_T1_T2_jT3_P12ihipStream_tbPNSt15iterator_traitsISI_E10value_typeEPNSO_ISJ_E10value_typeEPSK_NS1_7vsmem_tEENKUlT_SI_SJ_SK_E_clIPiSD_S10_SD_EESH_SX_SI_SJ_SK_EUlSX_E0_NS1_11comp_targetILNS1_3genE2ELNS1_11target_archE906ELNS1_3gpuE6ELNS1_3repE0EEENS1_38merge_mergepath_config_static_selectorELNS0_4arch9wavefront6targetE1EEEvSJ_.num_vgpr, 0
	.set _ZN7rocprim17ROCPRIM_400000_NS6detail17trampoline_kernelINS0_14default_configENS1_38merge_sort_block_merge_config_selectorIiiEEZZNS1_27merge_sort_block_merge_implIS3_N6thrust23THRUST_200600_302600_NS6detail15normal_iteratorINS8_10device_ptrIiEEEESD_jNS1_19radix_merge_compareILb1ELb0EiNS0_19identity_decomposerEEEEE10hipError_tT0_T1_T2_jT3_P12ihipStream_tbPNSt15iterator_traitsISI_E10value_typeEPNSO_ISJ_E10value_typeEPSK_NS1_7vsmem_tEENKUlT_SI_SJ_SK_E_clIPiSD_S10_SD_EESH_SX_SI_SJ_SK_EUlSX_E0_NS1_11comp_targetILNS1_3genE2ELNS1_11target_archE906ELNS1_3gpuE6ELNS1_3repE0EEENS1_38merge_mergepath_config_static_selectorELNS0_4arch9wavefront6targetE1EEEvSJ_.num_agpr, 0
	.set _ZN7rocprim17ROCPRIM_400000_NS6detail17trampoline_kernelINS0_14default_configENS1_38merge_sort_block_merge_config_selectorIiiEEZZNS1_27merge_sort_block_merge_implIS3_N6thrust23THRUST_200600_302600_NS6detail15normal_iteratorINS8_10device_ptrIiEEEESD_jNS1_19radix_merge_compareILb1ELb0EiNS0_19identity_decomposerEEEEE10hipError_tT0_T1_T2_jT3_P12ihipStream_tbPNSt15iterator_traitsISI_E10value_typeEPNSO_ISJ_E10value_typeEPSK_NS1_7vsmem_tEENKUlT_SI_SJ_SK_E_clIPiSD_S10_SD_EESH_SX_SI_SJ_SK_EUlSX_E0_NS1_11comp_targetILNS1_3genE2ELNS1_11target_archE906ELNS1_3gpuE6ELNS1_3repE0EEENS1_38merge_mergepath_config_static_selectorELNS0_4arch9wavefront6targetE1EEEvSJ_.numbered_sgpr, 0
	.set _ZN7rocprim17ROCPRIM_400000_NS6detail17trampoline_kernelINS0_14default_configENS1_38merge_sort_block_merge_config_selectorIiiEEZZNS1_27merge_sort_block_merge_implIS3_N6thrust23THRUST_200600_302600_NS6detail15normal_iteratorINS8_10device_ptrIiEEEESD_jNS1_19radix_merge_compareILb1ELb0EiNS0_19identity_decomposerEEEEE10hipError_tT0_T1_T2_jT3_P12ihipStream_tbPNSt15iterator_traitsISI_E10value_typeEPNSO_ISJ_E10value_typeEPSK_NS1_7vsmem_tEENKUlT_SI_SJ_SK_E_clIPiSD_S10_SD_EESH_SX_SI_SJ_SK_EUlSX_E0_NS1_11comp_targetILNS1_3genE2ELNS1_11target_archE906ELNS1_3gpuE6ELNS1_3repE0EEENS1_38merge_mergepath_config_static_selectorELNS0_4arch9wavefront6targetE1EEEvSJ_.num_named_barrier, 0
	.set _ZN7rocprim17ROCPRIM_400000_NS6detail17trampoline_kernelINS0_14default_configENS1_38merge_sort_block_merge_config_selectorIiiEEZZNS1_27merge_sort_block_merge_implIS3_N6thrust23THRUST_200600_302600_NS6detail15normal_iteratorINS8_10device_ptrIiEEEESD_jNS1_19radix_merge_compareILb1ELb0EiNS0_19identity_decomposerEEEEE10hipError_tT0_T1_T2_jT3_P12ihipStream_tbPNSt15iterator_traitsISI_E10value_typeEPNSO_ISJ_E10value_typeEPSK_NS1_7vsmem_tEENKUlT_SI_SJ_SK_E_clIPiSD_S10_SD_EESH_SX_SI_SJ_SK_EUlSX_E0_NS1_11comp_targetILNS1_3genE2ELNS1_11target_archE906ELNS1_3gpuE6ELNS1_3repE0EEENS1_38merge_mergepath_config_static_selectorELNS0_4arch9wavefront6targetE1EEEvSJ_.private_seg_size, 0
	.set _ZN7rocprim17ROCPRIM_400000_NS6detail17trampoline_kernelINS0_14default_configENS1_38merge_sort_block_merge_config_selectorIiiEEZZNS1_27merge_sort_block_merge_implIS3_N6thrust23THRUST_200600_302600_NS6detail15normal_iteratorINS8_10device_ptrIiEEEESD_jNS1_19radix_merge_compareILb1ELb0EiNS0_19identity_decomposerEEEEE10hipError_tT0_T1_T2_jT3_P12ihipStream_tbPNSt15iterator_traitsISI_E10value_typeEPNSO_ISJ_E10value_typeEPSK_NS1_7vsmem_tEENKUlT_SI_SJ_SK_E_clIPiSD_S10_SD_EESH_SX_SI_SJ_SK_EUlSX_E0_NS1_11comp_targetILNS1_3genE2ELNS1_11target_archE906ELNS1_3gpuE6ELNS1_3repE0EEENS1_38merge_mergepath_config_static_selectorELNS0_4arch9wavefront6targetE1EEEvSJ_.uses_vcc, 0
	.set _ZN7rocprim17ROCPRIM_400000_NS6detail17trampoline_kernelINS0_14default_configENS1_38merge_sort_block_merge_config_selectorIiiEEZZNS1_27merge_sort_block_merge_implIS3_N6thrust23THRUST_200600_302600_NS6detail15normal_iteratorINS8_10device_ptrIiEEEESD_jNS1_19radix_merge_compareILb1ELb0EiNS0_19identity_decomposerEEEEE10hipError_tT0_T1_T2_jT3_P12ihipStream_tbPNSt15iterator_traitsISI_E10value_typeEPNSO_ISJ_E10value_typeEPSK_NS1_7vsmem_tEENKUlT_SI_SJ_SK_E_clIPiSD_S10_SD_EESH_SX_SI_SJ_SK_EUlSX_E0_NS1_11comp_targetILNS1_3genE2ELNS1_11target_archE906ELNS1_3gpuE6ELNS1_3repE0EEENS1_38merge_mergepath_config_static_selectorELNS0_4arch9wavefront6targetE1EEEvSJ_.uses_flat_scratch, 0
	.set _ZN7rocprim17ROCPRIM_400000_NS6detail17trampoline_kernelINS0_14default_configENS1_38merge_sort_block_merge_config_selectorIiiEEZZNS1_27merge_sort_block_merge_implIS3_N6thrust23THRUST_200600_302600_NS6detail15normal_iteratorINS8_10device_ptrIiEEEESD_jNS1_19radix_merge_compareILb1ELb0EiNS0_19identity_decomposerEEEEE10hipError_tT0_T1_T2_jT3_P12ihipStream_tbPNSt15iterator_traitsISI_E10value_typeEPNSO_ISJ_E10value_typeEPSK_NS1_7vsmem_tEENKUlT_SI_SJ_SK_E_clIPiSD_S10_SD_EESH_SX_SI_SJ_SK_EUlSX_E0_NS1_11comp_targetILNS1_3genE2ELNS1_11target_archE906ELNS1_3gpuE6ELNS1_3repE0EEENS1_38merge_mergepath_config_static_selectorELNS0_4arch9wavefront6targetE1EEEvSJ_.has_dyn_sized_stack, 0
	.set _ZN7rocprim17ROCPRIM_400000_NS6detail17trampoline_kernelINS0_14default_configENS1_38merge_sort_block_merge_config_selectorIiiEEZZNS1_27merge_sort_block_merge_implIS3_N6thrust23THRUST_200600_302600_NS6detail15normal_iteratorINS8_10device_ptrIiEEEESD_jNS1_19radix_merge_compareILb1ELb0EiNS0_19identity_decomposerEEEEE10hipError_tT0_T1_T2_jT3_P12ihipStream_tbPNSt15iterator_traitsISI_E10value_typeEPNSO_ISJ_E10value_typeEPSK_NS1_7vsmem_tEENKUlT_SI_SJ_SK_E_clIPiSD_S10_SD_EESH_SX_SI_SJ_SK_EUlSX_E0_NS1_11comp_targetILNS1_3genE2ELNS1_11target_archE906ELNS1_3gpuE6ELNS1_3repE0EEENS1_38merge_mergepath_config_static_selectorELNS0_4arch9wavefront6targetE1EEEvSJ_.has_recursion, 0
	.set _ZN7rocprim17ROCPRIM_400000_NS6detail17trampoline_kernelINS0_14default_configENS1_38merge_sort_block_merge_config_selectorIiiEEZZNS1_27merge_sort_block_merge_implIS3_N6thrust23THRUST_200600_302600_NS6detail15normal_iteratorINS8_10device_ptrIiEEEESD_jNS1_19radix_merge_compareILb1ELb0EiNS0_19identity_decomposerEEEEE10hipError_tT0_T1_T2_jT3_P12ihipStream_tbPNSt15iterator_traitsISI_E10value_typeEPNSO_ISJ_E10value_typeEPSK_NS1_7vsmem_tEENKUlT_SI_SJ_SK_E_clIPiSD_S10_SD_EESH_SX_SI_SJ_SK_EUlSX_E0_NS1_11comp_targetILNS1_3genE2ELNS1_11target_archE906ELNS1_3gpuE6ELNS1_3repE0EEENS1_38merge_mergepath_config_static_selectorELNS0_4arch9wavefront6targetE1EEEvSJ_.has_indirect_call, 0
	.section	.AMDGPU.csdata,"",@progbits
; Kernel info:
; codeLenInByte = 0
; TotalNumSgprs: 6
; NumVgprs: 0
; NumAgprs: 0
; TotalNumVgprs: 0
; ScratchSize: 0
; MemoryBound: 0
; FloatMode: 240
; IeeeMode: 1
; LDSByteSize: 0 bytes/workgroup (compile time only)
; SGPRBlocks: 0
; VGPRBlocks: 0
; NumSGPRsForWavesPerEU: 6
; NumVGPRsForWavesPerEU: 1
; AccumOffset: 4
; Occupancy: 8
; WaveLimiterHint : 0
; COMPUTE_PGM_RSRC2:SCRATCH_EN: 0
; COMPUTE_PGM_RSRC2:USER_SGPR: 2
; COMPUTE_PGM_RSRC2:TRAP_HANDLER: 0
; COMPUTE_PGM_RSRC2:TGID_X_EN: 1
; COMPUTE_PGM_RSRC2:TGID_Y_EN: 0
; COMPUTE_PGM_RSRC2:TGID_Z_EN: 0
; COMPUTE_PGM_RSRC2:TIDIG_COMP_CNT: 0
; COMPUTE_PGM_RSRC3_GFX90A:ACCUM_OFFSET: 0
; COMPUTE_PGM_RSRC3_GFX90A:TG_SPLIT: 0
	.section	.text._ZN7rocprim17ROCPRIM_400000_NS6detail17trampoline_kernelINS0_14default_configENS1_38merge_sort_block_merge_config_selectorIiiEEZZNS1_27merge_sort_block_merge_implIS3_N6thrust23THRUST_200600_302600_NS6detail15normal_iteratorINS8_10device_ptrIiEEEESD_jNS1_19radix_merge_compareILb1ELb0EiNS0_19identity_decomposerEEEEE10hipError_tT0_T1_T2_jT3_P12ihipStream_tbPNSt15iterator_traitsISI_E10value_typeEPNSO_ISJ_E10value_typeEPSK_NS1_7vsmem_tEENKUlT_SI_SJ_SK_E_clIPiSD_S10_SD_EESH_SX_SI_SJ_SK_EUlSX_E0_NS1_11comp_targetILNS1_3genE9ELNS1_11target_archE1100ELNS1_3gpuE3ELNS1_3repE0EEENS1_38merge_mergepath_config_static_selectorELNS0_4arch9wavefront6targetE1EEEvSJ_,"axG",@progbits,_ZN7rocprim17ROCPRIM_400000_NS6detail17trampoline_kernelINS0_14default_configENS1_38merge_sort_block_merge_config_selectorIiiEEZZNS1_27merge_sort_block_merge_implIS3_N6thrust23THRUST_200600_302600_NS6detail15normal_iteratorINS8_10device_ptrIiEEEESD_jNS1_19radix_merge_compareILb1ELb0EiNS0_19identity_decomposerEEEEE10hipError_tT0_T1_T2_jT3_P12ihipStream_tbPNSt15iterator_traitsISI_E10value_typeEPNSO_ISJ_E10value_typeEPSK_NS1_7vsmem_tEENKUlT_SI_SJ_SK_E_clIPiSD_S10_SD_EESH_SX_SI_SJ_SK_EUlSX_E0_NS1_11comp_targetILNS1_3genE9ELNS1_11target_archE1100ELNS1_3gpuE3ELNS1_3repE0EEENS1_38merge_mergepath_config_static_selectorELNS0_4arch9wavefront6targetE1EEEvSJ_,comdat
	.protected	_ZN7rocprim17ROCPRIM_400000_NS6detail17trampoline_kernelINS0_14default_configENS1_38merge_sort_block_merge_config_selectorIiiEEZZNS1_27merge_sort_block_merge_implIS3_N6thrust23THRUST_200600_302600_NS6detail15normal_iteratorINS8_10device_ptrIiEEEESD_jNS1_19radix_merge_compareILb1ELb0EiNS0_19identity_decomposerEEEEE10hipError_tT0_T1_T2_jT3_P12ihipStream_tbPNSt15iterator_traitsISI_E10value_typeEPNSO_ISJ_E10value_typeEPSK_NS1_7vsmem_tEENKUlT_SI_SJ_SK_E_clIPiSD_S10_SD_EESH_SX_SI_SJ_SK_EUlSX_E0_NS1_11comp_targetILNS1_3genE9ELNS1_11target_archE1100ELNS1_3gpuE3ELNS1_3repE0EEENS1_38merge_mergepath_config_static_selectorELNS0_4arch9wavefront6targetE1EEEvSJ_ ; -- Begin function _ZN7rocprim17ROCPRIM_400000_NS6detail17trampoline_kernelINS0_14default_configENS1_38merge_sort_block_merge_config_selectorIiiEEZZNS1_27merge_sort_block_merge_implIS3_N6thrust23THRUST_200600_302600_NS6detail15normal_iteratorINS8_10device_ptrIiEEEESD_jNS1_19radix_merge_compareILb1ELb0EiNS0_19identity_decomposerEEEEE10hipError_tT0_T1_T2_jT3_P12ihipStream_tbPNSt15iterator_traitsISI_E10value_typeEPNSO_ISJ_E10value_typeEPSK_NS1_7vsmem_tEENKUlT_SI_SJ_SK_E_clIPiSD_S10_SD_EESH_SX_SI_SJ_SK_EUlSX_E0_NS1_11comp_targetILNS1_3genE9ELNS1_11target_archE1100ELNS1_3gpuE3ELNS1_3repE0EEENS1_38merge_mergepath_config_static_selectorELNS0_4arch9wavefront6targetE1EEEvSJ_
	.globl	_ZN7rocprim17ROCPRIM_400000_NS6detail17trampoline_kernelINS0_14default_configENS1_38merge_sort_block_merge_config_selectorIiiEEZZNS1_27merge_sort_block_merge_implIS3_N6thrust23THRUST_200600_302600_NS6detail15normal_iteratorINS8_10device_ptrIiEEEESD_jNS1_19radix_merge_compareILb1ELb0EiNS0_19identity_decomposerEEEEE10hipError_tT0_T1_T2_jT3_P12ihipStream_tbPNSt15iterator_traitsISI_E10value_typeEPNSO_ISJ_E10value_typeEPSK_NS1_7vsmem_tEENKUlT_SI_SJ_SK_E_clIPiSD_S10_SD_EESH_SX_SI_SJ_SK_EUlSX_E0_NS1_11comp_targetILNS1_3genE9ELNS1_11target_archE1100ELNS1_3gpuE3ELNS1_3repE0EEENS1_38merge_mergepath_config_static_selectorELNS0_4arch9wavefront6targetE1EEEvSJ_
	.p2align	8
	.type	_ZN7rocprim17ROCPRIM_400000_NS6detail17trampoline_kernelINS0_14default_configENS1_38merge_sort_block_merge_config_selectorIiiEEZZNS1_27merge_sort_block_merge_implIS3_N6thrust23THRUST_200600_302600_NS6detail15normal_iteratorINS8_10device_ptrIiEEEESD_jNS1_19radix_merge_compareILb1ELb0EiNS0_19identity_decomposerEEEEE10hipError_tT0_T1_T2_jT3_P12ihipStream_tbPNSt15iterator_traitsISI_E10value_typeEPNSO_ISJ_E10value_typeEPSK_NS1_7vsmem_tEENKUlT_SI_SJ_SK_E_clIPiSD_S10_SD_EESH_SX_SI_SJ_SK_EUlSX_E0_NS1_11comp_targetILNS1_3genE9ELNS1_11target_archE1100ELNS1_3gpuE3ELNS1_3repE0EEENS1_38merge_mergepath_config_static_selectorELNS0_4arch9wavefront6targetE1EEEvSJ_,@function
_ZN7rocprim17ROCPRIM_400000_NS6detail17trampoline_kernelINS0_14default_configENS1_38merge_sort_block_merge_config_selectorIiiEEZZNS1_27merge_sort_block_merge_implIS3_N6thrust23THRUST_200600_302600_NS6detail15normal_iteratorINS8_10device_ptrIiEEEESD_jNS1_19radix_merge_compareILb1ELb0EiNS0_19identity_decomposerEEEEE10hipError_tT0_T1_T2_jT3_P12ihipStream_tbPNSt15iterator_traitsISI_E10value_typeEPNSO_ISJ_E10value_typeEPSK_NS1_7vsmem_tEENKUlT_SI_SJ_SK_E_clIPiSD_S10_SD_EESH_SX_SI_SJ_SK_EUlSX_E0_NS1_11comp_targetILNS1_3genE9ELNS1_11target_archE1100ELNS1_3gpuE3ELNS1_3repE0EEENS1_38merge_mergepath_config_static_selectorELNS0_4arch9wavefront6targetE1EEEvSJ_: ; @_ZN7rocprim17ROCPRIM_400000_NS6detail17trampoline_kernelINS0_14default_configENS1_38merge_sort_block_merge_config_selectorIiiEEZZNS1_27merge_sort_block_merge_implIS3_N6thrust23THRUST_200600_302600_NS6detail15normal_iteratorINS8_10device_ptrIiEEEESD_jNS1_19radix_merge_compareILb1ELb0EiNS0_19identity_decomposerEEEEE10hipError_tT0_T1_T2_jT3_P12ihipStream_tbPNSt15iterator_traitsISI_E10value_typeEPNSO_ISJ_E10value_typeEPSK_NS1_7vsmem_tEENKUlT_SI_SJ_SK_E_clIPiSD_S10_SD_EESH_SX_SI_SJ_SK_EUlSX_E0_NS1_11comp_targetILNS1_3genE9ELNS1_11target_archE1100ELNS1_3gpuE3ELNS1_3repE0EEENS1_38merge_mergepath_config_static_selectorELNS0_4arch9wavefront6targetE1EEEvSJ_
; %bb.0:
	.section	.rodata,"a",@progbits
	.p2align	6, 0x0
	.amdhsa_kernel _ZN7rocprim17ROCPRIM_400000_NS6detail17trampoline_kernelINS0_14default_configENS1_38merge_sort_block_merge_config_selectorIiiEEZZNS1_27merge_sort_block_merge_implIS3_N6thrust23THRUST_200600_302600_NS6detail15normal_iteratorINS8_10device_ptrIiEEEESD_jNS1_19radix_merge_compareILb1ELb0EiNS0_19identity_decomposerEEEEE10hipError_tT0_T1_T2_jT3_P12ihipStream_tbPNSt15iterator_traitsISI_E10value_typeEPNSO_ISJ_E10value_typeEPSK_NS1_7vsmem_tEENKUlT_SI_SJ_SK_E_clIPiSD_S10_SD_EESH_SX_SI_SJ_SK_EUlSX_E0_NS1_11comp_targetILNS1_3genE9ELNS1_11target_archE1100ELNS1_3gpuE3ELNS1_3repE0EEENS1_38merge_mergepath_config_static_selectorELNS0_4arch9wavefront6targetE1EEEvSJ_
		.amdhsa_group_segment_fixed_size 0
		.amdhsa_private_segment_fixed_size 0
		.amdhsa_kernarg_size 64
		.amdhsa_user_sgpr_count 2
		.amdhsa_user_sgpr_dispatch_ptr 0
		.amdhsa_user_sgpr_queue_ptr 0
		.amdhsa_user_sgpr_kernarg_segment_ptr 1
		.amdhsa_user_sgpr_dispatch_id 0
		.amdhsa_user_sgpr_kernarg_preload_length 0
		.amdhsa_user_sgpr_kernarg_preload_offset 0
		.amdhsa_user_sgpr_private_segment_size 0
		.amdhsa_uses_dynamic_stack 0
		.amdhsa_enable_private_segment 0
		.amdhsa_system_sgpr_workgroup_id_x 1
		.amdhsa_system_sgpr_workgroup_id_y 0
		.amdhsa_system_sgpr_workgroup_id_z 0
		.amdhsa_system_sgpr_workgroup_info 0
		.amdhsa_system_vgpr_workitem_id 0
		.amdhsa_next_free_vgpr 1
		.amdhsa_next_free_sgpr 0
		.amdhsa_accum_offset 4
		.amdhsa_reserve_vcc 0
		.amdhsa_float_round_mode_32 0
		.amdhsa_float_round_mode_16_64 0
		.amdhsa_float_denorm_mode_32 3
		.amdhsa_float_denorm_mode_16_64 3
		.amdhsa_dx10_clamp 1
		.amdhsa_ieee_mode 1
		.amdhsa_fp16_overflow 0
		.amdhsa_tg_split 0
		.amdhsa_exception_fp_ieee_invalid_op 0
		.amdhsa_exception_fp_denorm_src 0
		.amdhsa_exception_fp_ieee_div_zero 0
		.amdhsa_exception_fp_ieee_overflow 0
		.amdhsa_exception_fp_ieee_underflow 0
		.amdhsa_exception_fp_ieee_inexact 0
		.amdhsa_exception_int_div_zero 0
	.end_amdhsa_kernel
	.section	.text._ZN7rocprim17ROCPRIM_400000_NS6detail17trampoline_kernelINS0_14default_configENS1_38merge_sort_block_merge_config_selectorIiiEEZZNS1_27merge_sort_block_merge_implIS3_N6thrust23THRUST_200600_302600_NS6detail15normal_iteratorINS8_10device_ptrIiEEEESD_jNS1_19radix_merge_compareILb1ELb0EiNS0_19identity_decomposerEEEEE10hipError_tT0_T1_T2_jT3_P12ihipStream_tbPNSt15iterator_traitsISI_E10value_typeEPNSO_ISJ_E10value_typeEPSK_NS1_7vsmem_tEENKUlT_SI_SJ_SK_E_clIPiSD_S10_SD_EESH_SX_SI_SJ_SK_EUlSX_E0_NS1_11comp_targetILNS1_3genE9ELNS1_11target_archE1100ELNS1_3gpuE3ELNS1_3repE0EEENS1_38merge_mergepath_config_static_selectorELNS0_4arch9wavefront6targetE1EEEvSJ_,"axG",@progbits,_ZN7rocprim17ROCPRIM_400000_NS6detail17trampoline_kernelINS0_14default_configENS1_38merge_sort_block_merge_config_selectorIiiEEZZNS1_27merge_sort_block_merge_implIS3_N6thrust23THRUST_200600_302600_NS6detail15normal_iteratorINS8_10device_ptrIiEEEESD_jNS1_19radix_merge_compareILb1ELb0EiNS0_19identity_decomposerEEEEE10hipError_tT0_T1_T2_jT3_P12ihipStream_tbPNSt15iterator_traitsISI_E10value_typeEPNSO_ISJ_E10value_typeEPSK_NS1_7vsmem_tEENKUlT_SI_SJ_SK_E_clIPiSD_S10_SD_EESH_SX_SI_SJ_SK_EUlSX_E0_NS1_11comp_targetILNS1_3genE9ELNS1_11target_archE1100ELNS1_3gpuE3ELNS1_3repE0EEENS1_38merge_mergepath_config_static_selectorELNS0_4arch9wavefront6targetE1EEEvSJ_,comdat
.Lfunc_end899:
	.size	_ZN7rocprim17ROCPRIM_400000_NS6detail17trampoline_kernelINS0_14default_configENS1_38merge_sort_block_merge_config_selectorIiiEEZZNS1_27merge_sort_block_merge_implIS3_N6thrust23THRUST_200600_302600_NS6detail15normal_iteratorINS8_10device_ptrIiEEEESD_jNS1_19radix_merge_compareILb1ELb0EiNS0_19identity_decomposerEEEEE10hipError_tT0_T1_T2_jT3_P12ihipStream_tbPNSt15iterator_traitsISI_E10value_typeEPNSO_ISJ_E10value_typeEPSK_NS1_7vsmem_tEENKUlT_SI_SJ_SK_E_clIPiSD_S10_SD_EESH_SX_SI_SJ_SK_EUlSX_E0_NS1_11comp_targetILNS1_3genE9ELNS1_11target_archE1100ELNS1_3gpuE3ELNS1_3repE0EEENS1_38merge_mergepath_config_static_selectorELNS0_4arch9wavefront6targetE1EEEvSJ_, .Lfunc_end899-_ZN7rocprim17ROCPRIM_400000_NS6detail17trampoline_kernelINS0_14default_configENS1_38merge_sort_block_merge_config_selectorIiiEEZZNS1_27merge_sort_block_merge_implIS3_N6thrust23THRUST_200600_302600_NS6detail15normal_iteratorINS8_10device_ptrIiEEEESD_jNS1_19radix_merge_compareILb1ELb0EiNS0_19identity_decomposerEEEEE10hipError_tT0_T1_T2_jT3_P12ihipStream_tbPNSt15iterator_traitsISI_E10value_typeEPNSO_ISJ_E10value_typeEPSK_NS1_7vsmem_tEENKUlT_SI_SJ_SK_E_clIPiSD_S10_SD_EESH_SX_SI_SJ_SK_EUlSX_E0_NS1_11comp_targetILNS1_3genE9ELNS1_11target_archE1100ELNS1_3gpuE3ELNS1_3repE0EEENS1_38merge_mergepath_config_static_selectorELNS0_4arch9wavefront6targetE1EEEvSJ_
                                        ; -- End function
	.set _ZN7rocprim17ROCPRIM_400000_NS6detail17trampoline_kernelINS0_14default_configENS1_38merge_sort_block_merge_config_selectorIiiEEZZNS1_27merge_sort_block_merge_implIS3_N6thrust23THRUST_200600_302600_NS6detail15normal_iteratorINS8_10device_ptrIiEEEESD_jNS1_19radix_merge_compareILb1ELb0EiNS0_19identity_decomposerEEEEE10hipError_tT0_T1_T2_jT3_P12ihipStream_tbPNSt15iterator_traitsISI_E10value_typeEPNSO_ISJ_E10value_typeEPSK_NS1_7vsmem_tEENKUlT_SI_SJ_SK_E_clIPiSD_S10_SD_EESH_SX_SI_SJ_SK_EUlSX_E0_NS1_11comp_targetILNS1_3genE9ELNS1_11target_archE1100ELNS1_3gpuE3ELNS1_3repE0EEENS1_38merge_mergepath_config_static_selectorELNS0_4arch9wavefront6targetE1EEEvSJ_.num_vgpr, 0
	.set _ZN7rocprim17ROCPRIM_400000_NS6detail17trampoline_kernelINS0_14default_configENS1_38merge_sort_block_merge_config_selectorIiiEEZZNS1_27merge_sort_block_merge_implIS3_N6thrust23THRUST_200600_302600_NS6detail15normal_iteratorINS8_10device_ptrIiEEEESD_jNS1_19radix_merge_compareILb1ELb0EiNS0_19identity_decomposerEEEEE10hipError_tT0_T1_T2_jT3_P12ihipStream_tbPNSt15iterator_traitsISI_E10value_typeEPNSO_ISJ_E10value_typeEPSK_NS1_7vsmem_tEENKUlT_SI_SJ_SK_E_clIPiSD_S10_SD_EESH_SX_SI_SJ_SK_EUlSX_E0_NS1_11comp_targetILNS1_3genE9ELNS1_11target_archE1100ELNS1_3gpuE3ELNS1_3repE0EEENS1_38merge_mergepath_config_static_selectorELNS0_4arch9wavefront6targetE1EEEvSJ_.num_agpr, 0
	.set _ZN7rocprim17ROCPRIM_400000_NS6detail17trampoline_kernelINS0_14default_configENS1_38merge_sort_block_merge_config_selectorIiiEEZZNS1_27merge_sort_block_merge_implIS3_N6thrust23THRUST_200600_302600_NS6detail15normal_iteratorINS8_10device_ptrIiEEEESD_jNS1_19radix_merge_compareILb1ELb0EiNS0_19identity_decomposerEEEEE10hipError_tT0_T1_T2_jT3_P12ihipStream_tbPNSt15iterator_traitsISI_E10value_typeEPNSO_ISJ_E10value_typeEPSK_NS1_7vsmem_tEENKUlT_SI_SJ_SK_E_clIPiSD_S10_SD_EESH_SX_SI_SJ_SK_EUlSX_E0_NS1_11comp_targetILNS1_3genE9ELNS1_11target_archE1100ELNS1_3gpuE3ELNS1_3repE0EEENS1_38merge_mergepath_config_static_selectorELNS0_4arch9wavefront6targetE1EEEvSJ_.numbered_sgpr, 0
	.set _ZN7rocprim17ROCPRIM_400000_NS6detail17trampoline_kernelINS0_14default_configENS1_38merge_sort_block_merge_config_selectorIiiEEZZNS1_27merge_sort_block_merge_implIS3_N6thrust23THRUST_200600_302600_NS6detail15normal_iteratorINS8_10device_ptrIiEEEESD_jNS1_19radix_merge_compareILb1ELb0EiNS0_19identity_decomposerEEEEE10hipError_tT0_T1_T2_jT3_P12ihipStream_tbPNSt15iterator_traitsISI_E10value_typeEPNSO_ISJ_E10value_typeEPSK_NS1_7vsmem_tEENKUlT_SI_SJ_SK_E_clIPiSD_S10_SD_EESH_SX_SI_SJ_SK_EUlSX_E0_NS1_11comp_targetILNS1_3genE9ELNS1_11target_archE1100ELNS1_3gpuE3ELNS1_3repE0EEENS1_38merge_mergepath_config_static_selectorELNS0_4arch9wavefront6targetE1EEEvSJ_.num_named_barrier, 0
	.set _ZN7rocprim17ROCPRIM_400000_NS6detail17trampoline_kernelINS0_14default_configENS1_38merge_sort_block_merge_config_selectorIiiEEZZNS1_27merge_sort_block_merge_implIS3_N6thrust23THRUST_200600_302600_NS6detail15normal_iteratorINS8_10device_ptrIiEEEESD_jNS1_19radix_merge_compareILb1ELb0EiNS0_19identity_decomposerEEEEE10hipError_tT0_T1_T2_jT3_P12ihipStream_tbPNSt15iterator_traitsISI_E10value_typeEPNSO_ISJ_E10value_typeEPSK_NS1_7vsmem_tEENKUlT_SI_SJ_SK_E_clIPiSD_S10_SD_EESH_SX_SI_SJ_SK_EUlSX_E0_NS1_11comp_targetILNS1_3genE9ELNS1_11target_archE1100ELNS1_3gpuE3ELNS1_3repE0EEENS1_38merge_mergepath_config_static_selectorELNS0_4arch9wavefront6targetE1EEEvSJ_.private_seg_size, 0
	.set _ZN7rocprim17ROCPRIM_400000_NS6detail17trampoline_kernelINS0_14default_configENS1_38merge_sort_block_merge_config_selectorIiiEEZZNS1_27merge_sort_block_merge_implIS3_N6thrust23THRUST_200600_302600_NS6detail15normal_iteratorINS8_10device_ptrIiEEEESD_jNS1_19radix_merge_compareILb1ELb0EiNS0_19identity_decomposerEEEEE10hipError_tT0_T1_T2_jT3_P12ihipStream_tbPNSt15iterator_traitsISI_E10value_typeEPNSO_ISJ_E10value_typeEPSK_NS1_7vsmem_tEENKUlT_SI_SJ_SK_E_clIPiSD_S10_SD_EESH_SX_SI_SJ_SK_EUlSX_E0_NS1_11comp_targetILNS1_3genE9ELNS1_11target_archE1100ELNS1_3gpuE3ELNS1_3repE0EEENS1_38merge_mergepath_config_static_selectorELNS0_4arch9wavefront6targetE1EEEvSJ_.uses_vcc, 0
	.set _ZN7rocprim17ROCPRIM_400000_NS6detail17trampoline_kernelINS0_14default_configENS1_38merge_sort_block_merge_config_selectorIiiEEZZNS1_27merge_sort_block_merge_implIS3_N6thrust23THRUST_200600_302600_NS6detail15normal_iteratorINS8_10device_ptrIiEEEESD_jNS1_19radix_merge_compareILb1ELb0EiNS0_19identity_decomposerEEEEE10hipError_tT0_T1_T2_jT3_P12ihipStream_tbPNSt15iterator_traitsISI_E10value_typeEPNSO_ISJ_E10value_typeEPSK_NS1_7vsmem_tEENKUlT_SI_SJ_SK_E_clIPiSD_S10_SD_EESH_SX_SI_SJ_SK_EUlSX_E0_NS1_11comp_targetILNS1_3genE9ELNS1_11target_archE1100ELNS1_3gpuE3ELNS1_3repE0EEENS1_38merge_mergepath_config_static_selectorELNS0_4arch9wavefront6targetE1EEEvSJ_.uses_flat_scratch, 0
	.set _ZN7rocprim17ROCPRIM_400000_NS6detail17trampoline_kernelINS0_14default_configENS1_38merge_sort_block_merge_config_selectorIiiEEZZNS1_27merge_sort_block_merge_implIS3_N6thrust23THRUST_200600_302600_NS6detail15normal_iteratorINS8_10device_ptrIiEEEESD_jNS1_19radix_merge_compareILb1ELb0EiNS0_19identity_decomposerEEEEE10hipError_tT0_T1_T2_jT3_P12ihipStream_tbPNSt15iterator_traitsISI_E10value_typeEPNSO_ISJ_E10value_typeEPSK_NS1_7vsmem_tEENKUlT_SI_SJ_SK_E_clIPiSD_S10_SD_EESH_SX_SI_SJ_SK_EUlSX_E0_NS1_11comp_targetILNS1_3genE9ELNS1_11target_archE1100ELNS1_3gpuE3ELNS1_3repE0EEENS1_38merge_mergepath_config_static_selectorELNS0_4arch9wavefront6targetE1EEEvSJ_.has_dyn_sized_stack, 0
	.set _ZN7rocprim17ROCPRIM_400000_NS6detail17trampoline_kernelINS0_14default_configENS1_38merge_sort_block_merge_config_selectorIiiEEZZNS1_27merge_sort_block_merge_implIS3_N6thrust23THRUST_200600_302600_NS6detail15normal_iteratorINS8_10device_ptrIiEEEESD_jNS1_19radix_merge_compareILb1ELb0EiNS0_19identity_decomposerEEEEE10hipError_tT0_T1_T2_jT3_P12ihipStream_tbPNSt15iterator_traitsISI_E10value_typeEPNSO_ISJ_E10value_typeEPSK_NS1_7vsmem_tEENKUlT_SI_SJ_SK_E_clIPiSD_S10_SD_EESH_SX_SI_SJ_SK_EUlSX_E0_NS1_11comp_targetILNS1_3genE9ELNS1_11target_archE1100ELNS1_3gpuE3ELNS1_3repE0EEENS1_38merge_mergepath_config_static_selectorELNS0_4arch9wavefront6targetE1EEEvSJ_.has_recursion, 0
	.set _ZN7rocprim17ROCPRIM_400000_NS6detail17trampoline_kernelINS0_14default_configENS1_38merge_sort_block_merge_config_selectorIiiEEZZNS1_27merge_sort_block_merge_implIS3_N6thrust23THRUST_200600_302600_NS6detail15normal_iteratorINS8_10device_ptrIiEEEESD_jNS1_19radix_merge_compareILb1ELb0EiNS0_19identity_decomposerEEEEE10hipError_tT0_T1_T2_jT3_P12ihipStream_tbPNSt15iterator_traitsISI_E10value_typeEPNSO_ISJ_E10value_typeEPSK_NS1_7vsmem_tEENKUlT_SI_SJ_SK_E_clIPiSD_S10_SD_EESH_SX_SI_SJ_SK_EUlSX_E0_NS1_11comp_targetILNS1_3genE9ELNS1_11target_archE1100ELNS1_3gpuE3ELNS1_3repE0EEENS1_38merge_mergepath_config_static_selectorELNS0_4arch9wavefront6targetE1EEEvSJ_.has_indirect_call, 0
	.section	.AMDGPU.csdata,"",@progbits
; Kernel info:
; codeLenInByte = 0
; TotalNumSgprs: 6
; NumVgprs: 0
; NumAgprs: 0
; TotalNumVgprs: 0
; ScratchSize: 0
; MemoryBound: 0
; FloatMode: 240
; IeeeMode: 1
; LDSByteSize: 0 bytes/workgroup (compile time only)
; SGPRBlocks: 0
; VGPRBlocks: 0
; NumSGPRsForWavesPerEU: 6
; NumVGPRsForWavesPerEU: 1
; AccumOffset: 4
; Occupancy: 8
; WaveLimiterHint : 0
; COMPUTE_PGM_RSRC2:SCRATCH_EN: 0
; COMPUTE_PGM_RSRC2:USER_SGPR: 2
; COMPUTE_PGM_RSRC2:TRAP_HANDLER: 0
; COMPUTE_PGM_RSRC2:TGID_X_EN: 1
; COMPUTE_PGM_RSRC2:TGID_Y_EN: 0
; COMPUTE_PGM_RSRC2:TGID_Z_EN: 0
; COMPUTE_PGM_RSRC2:TIDIG_COMP_CNT: 0
; COMPUTE_PGM_RSRC3_GFX90A:ACCUM_OFFSET: 0
; COMPUTE_PGM_RSRC3_GFX90A:TG_SPLIT: 0
	.section	.text._ZN7rocprim17ROCPRIM_400000_NS6detail17trampoline_kernelINS0_14default_configENS1_38merge_sort_block_merge_config_selectorIiiEEZZNS1_27merge_sort_block_merge_implIS3_N6thrust23THRUST_200600_302600_NS6detail15normal_iteratorINS8_10device_ptrIiEEEESD_jNS1_19radix_merge_compareILb1ELb0EiNS0_19identity_decomposerEEEEE10hipError_tT0_T1_T2_jT3_P12ihipStream_tbPNSt15iterator_traitsISI_E10value_typeEPNSO_ISJ_E10value_typeEPSK_NS1_7vsmem_tEENKUlT_SI_SJ_SK_E_clIPiSD_S10_SD_EESH_SX_SI_SJ_SK_EUlSX_E0_NS1_11comp_targetILNS1_3genE8ELNS1_11target_archE1030ELNS1_3gpuE2ELNS1_3repE0EEENS1_38merge_mergepath_config_static_selectorELNS0_4arch9wavefront6targetE1EEEvSJ_,"axG",@progbits,_ZN7rocprim17ROCPRIM_400000_NS6detail17trampoline_kernelINS0_14default_configENS1_38merge_sort_block_merge_config_selectorIiiEEZZNS1_27merge_sort_block_merge_implIS3_N6thrust23THRUST_200600_302600_NS6detail15normal_iteratorINS8_10device_ptrIiEEEESD_jNS1_19radix_merge_compareILb1ELb0EiNS0_19identity_decomposerEEEEE10hipError_tT0_T1_T2_jT3_P12ihipStream_tbPNSt15iterator_traitsISI_E10value_typeEPNSO_ISJ_E10value_typeEPSK_NS1_7vsmem_tEENKUlT_SI_SJ_SK_E_clIPiSD_S10_SD_EESH_SX_SI_SJ_SK_EUlSX_E0_NS1_11comp_targetILNS1_3genE8ELNS1_11target_archE1030ELNS1_3gpuE2ELNS1_3repE0EEENS1_38merge_mergepath_config_static_selectorELNS0_4arch9wavefront6targetE1EEEvSJ_,comdat
	.protected	_ZN7rocprim17ROCPRIM_400000_NS6detail17trampoline_kernelINS0_14default_configENS1_38merge_sort_block_merge_config_selectorIiiEEZZNS1_27merge_sort_block_merge_implIS3_N6thrust23THRUST_200600_302600_NS6detail15normal_iteratorINS8_10device_ptrIiEEEESD_jNS1_19radix_merge_compareILb1ELb0EiNS0_19identity_decomposerEEEEE10hipError_tT0_T1_T2_jT3_P12ihipStream_tbPNSt15iterator_traitsISI_E10value_typeEPNSO_ISJ_E10value_typeEPSK_NS1_7vsmem_tEENKUlT_SI_SJ_SK_E_clIPiSD_S10_SD_EESH_SX_SI_SJ_SK_EUlSX_E0_NS1_11comp_targetILNS1_3genE8ELNS1_11target_archE1030ELNS1_3gpuE2ELNS1_3repE0EEENS1_38merge_mergepath_config_static_selectorELNS0_4arch9wavefront6targetE1EEEvSJ_ ; -- Begin function _ZN7rocprim17ROCPRIM_400000_NS6detail17trampoline_kernelINS0_14default_configENS1_38merge_sort_block_merge_config_selectorIiiEEZZNS1_27merge_sort_block_merge_implIS3_N6thrust23THRUST_200600_302600_NS6detail15normal_iteratorINS8_10device_ptrIiEEEESD_jNS1_19radix_merge_compareILb1ELb0EiNS0_19identity_decomposerEEEEE10hipError_tT0_T1_T2_jT3_P12ihipStream_tbPNSt15iterator_traitsISI_E10value_typeEPNSO_ISJ_E10value_typeEPSK_NS1_7vsmem_tEENKUlT_SI_SJ_SK_E_clIPiSD_S10_SD_EESH_SX_SI_SJ_SK_EUlSX_E0_NS1_11comp_targetILNS1_3genE8ELNS1_11target_archE1030ELNS1_3gpuE2ELNS1_3repE0EEENS1_38merge_mergepath_config_static_selectorELNS0_4arch9wavefront6targetE1EEEvSJ_
	.globl	_ZN7rocprim17ROCPRIM_400000_NS6detail17trampoline_kernelINS0_14default_configENS1_38merge_sort_block_merge_config_selectorIiiEEZZNS1_27merge_sort_block_merge_implIS3_N6thrust23THRUST_200600_302600_NS6detail15normal_iteratorINS8_10device_ptrIiEEEESD_jNS1_19radix_merge_compareILb1ELb0EiNS0_19identity_decomposerEEEEE10hipError_tT0_T1_T2_jT3_P12ihipStream_tbPNSt15iterator_traitsISI_E10value_typeEPNSO_ISJ_E10value_typeEPSK_NS1_7vsmem_tEENKUlT_SI_SJ_SK_E_clIPiSD_S10_SD_EESH_SX_SI_SJ_SK_EUlSX_E0_NS1_11comp_targetILNS1_3genE8ELNS1_11target_archE1030ELNS1_3gpuE2ELNS1_3repE0EEENS1_38merge_mergepath_config_static_selectorELNS0_4arch9wavefront6targetE1EEEvSJ_
	.p2align	8
	.type	_ZN7rocprim17ROCPRIM_400000_NS6detail17trampoline_kernelINS0_14default_configENS1_38merge_sort_block_merge_config_selectorIiiEEZZNS1_27merge_sort_block_merge_implIS3_N6thrust23THRUST_200600_302600_NS6detail15normal_iteratorINS8_10device_ptrIiEEEESD_jNS1_19radix_merge_compareILb1ELb0EiNS0_19identity_decomposerEEEEE10hipError_tT0_T1_T2_jT3_P12ihipStream_tbPNSt15iterator_traitsISI_E10value_typeEPNSO_ISJ_E10value_typeEPSK_NS1_7vsmem_tEENKUlT_SI_SJ_SK_E_clIPiSD_S10_SD_EESH_SX_SI_SJ_SK_EUlSX_E0_NS1_11comp_targetILNS1_3genE8ELNS1_11target_archE1030ELNS1_3gpuE2ELNS1_3repE0EEENS1_38merge_mergepath_config_static_selectorELNS0_4arch9wavefront6targetE1EEEvSJ_,@function
_ZN7rocprim17ROCPRIM_400000_NS6detail17trampoline_kernelINS0_14default_configENS1_38merge_sort_block_merge_config_selectorIiiEEZZNS1_27merge_sort_block_merge_implIS3_N6thrust23THRUST_200600_302600_NS6detail15normal_iteratorINS8_10device_ptrIiEEEESD_jNS1_19radix_merge_compareILb1ELb0EiNS0_19identity_decomposerEEEEE10hipError_tT0_T1_T2_jT3_P12ihipStream_tbPNSt15iterator_traitsISI_E10value_typeEPNSO_ISJ_E10value_typeEPSK_NS1_7vsmem_tEENKUlT_SI_SJ_SK_E_clIPiSD_S10_SD_EESH_SX_SI_SJ_SK_EUlSX_E0_NS1_11comp_targetILNS1_3genE8ELNS1_11target_archE1030ELNS1_3gpuE2ELNS1_3repE0EEENS1_38merge_mergepath_config_static_selectorELNS0_4arch9wavefront6targetE1EEEvSJ_: ; @_ZN7rocprim17ROCPRIM_400000_NS6detail17trampoline_kernelINS0_14default_configENS1_38merge_sort_block_merge_config_selectorIiiEEZZNS1_27merge_sort_block_merge_implIS3_N6thrust23THRUST_200600_302600_NS6detail15normal_iteratorINS8_10device_ptrIiEEEESD_jNS1_19radix_merge_compareILb1ELb0EiNS0_19identity_decomposerEEEEE10hipError_tT0_T1_T2_jT3_P12ihipStream_tbPNSt15iterator_traitsISI_E10value_typeEPNSO_ISJ_E10value_typeEPSK_NS1_7vsmem_tEENKUlT_SI_SJ_SK_E_clIPiSD_S10_SD_EESH_SX_SI_SJ_SK_EUlSX_E0_NS1_11comp_targetILNS1_3genE8ELNS1_11target_archE1030ELNS1_3gpuE2ELNS1_3repE0EEENS1_38merge_mergepath_config_static_selectorELNS0_4arch9wavefront6targetE1EEEvSJ_
; %bb.0:
	.section	.rodata,"a",@progbits
	.p2align	6, 0x0
	.amdhsa_kernel _ZN7rocprim17ROCPRIM_400000_NS6detail17trampoline_kernelINS0_14default_configENS1_38merge_sort_block_merge_config_selectorIiiEEZZNS1_27merge_sort_block_merge_implIS3_N6thrust23THRUST_200600_302600_NS6detail15normal_iteratorINS8_10device_ptrIiEEEESD_jNS1_19radix_merge_compareILb1ELb0EiNS0_19identity_decomposerEEEEE10hipError_tT0_T1_T2_jT3_P12ihipStream_tbPNSt15iterator_traitsISI_E10value_typeEPNSO_ISJ_E10value_typeEPSK_NS1_7vsmem_tEENKUlT_SI_SJ_SK_E_clIPiSD_S10_SD_EESH_SX_SI_SJ_SK_EUlSX_E0_NS1_11comp_targetILNS1_3genE8ELNS1_11target_archE1030ELNS1_3gpuE2ELNS1_3repE0EEENS1_38merge_mergepath_config_static_selectorELNS0_4arch9wavefront6targetE1EEEvSJ_
		.amdhsa_group_segment_fixed_size 0
		.amdhsa_private_segment_fixed_size 0
		.amdhsa_kernarg_size 64
		.amdhsa_user_sgpr_count 2
		.amdhsa_user_sgpr_dispatch_ptr 0
		.amdhsa_user_sgpr_queue_ptr 0
		.amdhsa_user_sgpr_kernarg_segment_ptr 1
		.amdhsa_user_sgpr_dispatch_id 0
		.amdhsa_user_sgpr_kernarg_preload_length 0
		.amdhsa_user_sgpr_kernarg_preload_offset 0
		.amdhsa_user_sgpr_private_segment_size 0
		.amdhsa_uses_dynamic_stack 0
		.amdhsa_enable_private_segment 0
		.amdhsa_system_sgpr_workgroup_id_x 1
		.amdhsa_system_sgpr_workgroup_id_y 0
		.amdhsa_system_sgpr_workgroup_id_z 0
		.amdhsa_system_sgpr_workgroup_info 0
		.amdhsa_system_vgpr_workitem_id 0
		.amdhsa_next_free_vgpr 1
		.amdhsa_next_free_sgpr 0
		.amdhsa_accum_offset 4
		.amdhsa_reserve_vcc 0
		.amdhsa_float_round_mode_32 0
		.amdhsa_float_round_mode_16_64 0
		.amdhsa_float_denorm_mode_32 3
		.amdhsa_float_denorm_mode_16_64 3
		.amdhsa_dx10_clamp 1
		.amdhsa_ieee_mode 1
		.amdhsa_fp16_overflow 0
		.amdhsa_tg_split 0
		.amdhsa_exception_fp_ieee_invalid_op 0
		.amdhsa_exception_fp_denorm_src 0
		.amdhsa_exception_fp_ieee_div_zero 0
		.amdhsa_exception_fp_ieee_overflow 0
		.amdhsa_exception_fp_ieee_underflow 0
		.amdhsa_exception_fp_ieee_inexact 0
		.amdhsa_exception_int_div_zero 0
	.end_amdhsa_kernel
	.section	.text._ZN7rocprim17ROCPRIM_400000_NS6detail17trampoline_kernelINS0_14default_configENS1_38merge_sort_block_merge_config_selectorIiiEEZZNS1_27merge_sort_block_merge_implIS3_N6thrust23THRUST_200600_302600_NS6detail15normal_iteratorINS8_10device_ptrIiEEEESD_jNS1_19radix_merge_compareILb1ELb0EiNS0_19identity_decomposerEEEEE10hipError_tT0_T1_T2_jT3_P12ihipStream_tbPNSt15iterator_traitsISI_E10value_typeEPNSO_ISJ_E10value_typeEPSK_NS1_7vsmem_tEENKUlT_SI_SJ_SK_E_clIPiSD_S10_SD_EESH_SX_SI_SJ_SK_EUlSX_E0_NS1_11comp_targetILNS1_3genE8ELNS1_11target_archE1030ELNS1_3gpuE2ELNS1_3repE0EEENS1_38merge_mergepath_config_static_selectorELNS0_4arch9wavefront6targetE1EEEvSJ_,"axG",@progbits,_ZN7rocprim17ROCPRIM_400000_NS6detail17trampoline_kernelINS0_14default_configENS1_38merge_sort_block_merge_config_selectorIiiEEZZNS1_27merge_sort_block_merge_implIS3_N6thrust23THRUST_200600_302600_NS6detail15normal_iteratorINS8_10device_ptrIiEEEESD_jNS1_19radix_merge_compareILb1ELb0EiNS0_19identity_decomposerEEEEE10hipError_tT0_T1_T2_jT3_P12ihipStream_tbPNSt15iterator_traitsISI_E10value_typeEPNSO_ISJ_E10value_typeEPSK_NS1_7vsmem_tEENKUlT_SI_SJ_SK_E_clIPiSD_S10_SD_EESH_SX_SI_SJ_SK_EUlSX_E0_NS1_11comp_targetILNS1_3genE8ELNS1_11target_archE1030ELNS1_3gpuE2ELNS1_3repE0EEENS1_38merge_mergepath_config_static_selectorELNS0_4arch9wavefront6targetE1EEEvSJ_,comdat
.Lfunc_end900:
	.size	_ZN7rocprim17ROCPRIM_400000_NS6detail17trampoline_kernelINS0_14default_configENS1_38merge_sort_block_merge_config_selectorIiiEEZZNS1_27merge_sort_block_merge_implIS3_N6thrust23THRUST_200600_302600_NS6detail15normal_iteratorINS8_10device_ptrIiEEEESD_jNS1_19radix_merge_compareILb1ELb0EiNS0_19identity_decomposerEEEEE10hipError_tT0_T1_T2_jT3_P12ihipStream_tbPNSt15iterator_traitsISI_E10value_typeEPNSO_ISJ_E10value_typeEPSK_NS1_7vsmem_tEENKUlT_SI_SJ_SK_E_clIPiSD_S10_SD_EESH_SX_SI_SJ_SK_EUlSX_E0_NS1_11comp_targetILNS1_3genE8ELNS1_11target_archE1030ELNS1_3gpuE2ELNS1_3repE0EEENS1_38merge_mergepath_config_static_selectorELNS0_4arch9wavefront6targetE1EEEvSJ_, .Lfunc_end900-_ZN7rocprim17ROCPRIM_400000_NS6detail17trampoline_kernelINS0_14default_configENS1_38merge_sort_block_merge_config_selectorIiiEEZZNS1_27merge_sort_block_merge_implIS3_N6thrust23THRUST_200600_302600_NS6detail15normal_iteratorINS8_10device_ptrIiEEEESD_jNS1_19radix_merge_compareILb1ELb0EiNS0_19identity_decomposerEEEEE10hipError_tT0_T1_T2_jT3_P12ihipStream_tbPNSt15iterator_traitsISI_E10value_typeEPNSO_ISJ_E10value_typeEPSK_NS1_7vsmem_tEENKUlT_SI_SJ_SK_E_clIPiSD_S10_SD_EESH_SX_SI_SJ_SK_EUlSX_E0_NS1_11comp_targetILNS1_3genE8ELNS1_11target_archE1030ELNS1_3gpuE2ELNS1_3repE0EEENS1_38merge_mergepath_config_static_selectorELNS0_4arch9wavefront6targetE1EEEvSJ_
                                        ; -- End function
	.set _ZN7rocprim17ROCPRIM_400000_NS6detail17trampoline_kernelINS0_14default_configENS1_38merge_sort_block_merge_config_selectorIiiEEZZNS1_27merge_sort_block_merge_implIS3_N6thrust23THRUST_200600_302600_NS6detail15normal_iteratorINS8_10device_ptrIiEEEESD_jNS1_19radix_merge_compareILb1ELb0EiNS0_19identity_decomposerEEEEE10hipError_tT0_T1_T2_jT3_P12ihipStream_tbPNSt15iterator_traitsISI_E10value_typeEPNSO_ISJ_E10value_typeEPSK_NS1_7vsmem_tEENKUlT_SI_SJ_SK_E_clIPiSD_S10_SD_EESH_SX_SI_SJ_SK_EUlSX_E0_NS1_11comp_targetILNS1_3genE8ELNS1_11target_archE1030ELNS1_3gpuE2ELNS1_3repE0EEENS1_38merge_mergepath_config_static_selectorELNS0_4arch9wavefront6targetE1EEEvSJ_.num_vgpr, 0
	.set _ZN7rocprim17ROCPRIM_400000_NS6detail17trampoline_kernelINS0_14default_configENS1_38merge_sort_block_merge_config_selectorIiiEEZZNS1_27merge_sort_block_merge_implIS3_N6thrust23THRUST_200600_302600_NS6detail15normal_iteratorINS8_10device_ptrIiEEEESD_jNS1_19radix_merge_compareILb1ELb0EiNS0_19identity_decomposerEEEEE10hipError_tT0_T1_T2_jT3_P12ihipStream_tbPNSt15iterator_traitsISI_E10value_typeEPNSO_ISJ_E10value_typeEPSK_NS1_7vsmem_tEENKUlT_SI_SJ_SK_E_clIPiSD_S10_SD_EESH_SX_SI_SJ_SK_EUlSX_E0_NS1_11comp_targetILNS1_3genE8ELNS1_11target_archE1030ELNS1_3gpuE2ELNS1_3repE0EEENS1_38merge_mergepath_config_static_selectorELNS0_4arch9wavefront6targetE1EEEvSJ_.num_agpr, 0
	.set _ZN7rocprim17ROCPRIM_400000_NS6detail17trampoline_kernelINS0_14default_configENS1_38merge_sort_block_merge_config_selectorIiiEEZZNS1_27merge_sort_block_merge_implIS3_N6thrust23THRUST_200600_302600_NS6detail15normal_iteratorINS8_10device_ptrIiEEEESD_jNS1_19radix_merge_compareILb1ELb0EiNS0_19identity_decomposerEEEEE10hipError_tT0_T1_T2_jT3_P12ihipStream_tbPNSt15iterator_traitsISI_E10value_typeEPNSO_ISJ_E10value_typeEPSK_NS1_7vsmem_tEENKUlT_SI_SJ_SK_E_clIPiSD_S10_SD_EESH_SX_SI_SJ_SK_EUlSX_E0_NS1_11comp_targetILNS1_3genE8ELNS1_11target_archE1030ELNS1_3gpuE2ELNS1_3repE0EEENS1_38merge_mergepath_config_static_selectorELNS0_4arch9wavefront6targetE1EEEvSJ_.numbered_sgpr, 0
	.set _ZN7rocprim17ROCPRIM_400000_NS6detail17trampoline_kernelINS0_14default_configENS1_38merge_sort_block_merge_config_selectorIiiEEZZNS1_27merge_sort_block_merge_implIS3_N6thrust23THRUST_200600_302600_NS6detail15normal_iteratorINS8_10device_ptrIiEEEESD_jNS1_19radix_merge_compareILb1ELb0EiNS0_19identity_decomposerEEEEE10hipError_tT0_T1_T2_jT3_P12ihipStream_tbPNSt15iterator_traitsISI_E10value_typeEPNSO_ISJ_E10value_typeEPSK_NS1_7vsmem_tEENKUlT_SI_SJ_SK_E_clIPiSD_S10_SD_EESH_SX_SI_SJ_SK_EUlSX_E0_NS1_11comp_targetILNS1_3genE8ELNS1_11target_archE1030ELNS1_3gpuE2ELNS1_3repE0EEENS1_38merge_mergepath_config_static_selectorELNS0_4arch9wavefront6targetE1EEEvSJ_.num_named_barrier, 0
	.set _ZN7rocprim17ROCPRIM_400000_NS6detail17trampoline_kernelINS0_14default_configENS1_38merge_sort_block_merge_config_selectorIiiEEZZNS1_27merge_sort_block_merge_implIS3_N6thrust23THRUST_200600_302600_NS6detail15normal_iteratorINS8_10device_ptrIiEEEESD_jNS1_19radix_merge_compareILb1ELb0EiNS0_19identity_decomposerEEEEE10hipError_tT0_T1_T2_jT3_P12ihipStream_tbPNSt15iterator_traitsISI_E10value_typeEPNSO_ISJ_E10value_typeEPSK_NS1_7vsmem_tEENKUlT_SI_SJ_SK_E_clIPiSD_S10_SD_EESH_SX_SI_SJ_SK_EUlSX_E0_NS1_11comp_targetILNS1_3genE8ELNS1_11target_archE1030ELNS1_3gpuE2ELNS1_3repE0EEENS1_38merge_mergepath_config_static_selectorELNS0_4arch9wavefront6targetE1EEEvSJ_.private_seg_size, 0
	.set _ZN7rocprim17ROCPRIM_400000_NS6detail17trampoline_kernelINS0_14default_configENS1_38merge_sort_block_merge_config_selectorIiiEEZZNS1_27merge_sort_block_merge_implIS3_N6thrust23THRUST_200600_302600_NS6detail15normal_iteratorINS8_10device_ptrIiEEEESD_jNS1_19radix_merge_compareILb1ELb0EiNS0_19identity_decomposerEEEEE10hipError_tT0_T1_T2_jT3_P12ihipStream_tbPNSt15iterator_traitsISI_E10value_typeEPNSO_ISJ_E10value_typeEPSK_NS1_7vsmem_tEENKUlT_SI_SJ_SK_E_clIPiSD_S10_SD_EESH_SX_SI_SJ_SK_EUlSX_E0_NS1_11comp_targetILNS1_3genE8ELNS1_11target_archE1030ELNS1_3gpuE2ELNS1_3repE0EEENS1_38merge_mergepath_config_static_selectorELNS0_4arch9wavefront6targetE1EEEvSJ_.uses_vcc, 0
	.set _ZN7rocprim17ROCPRIM_400000_NS6detail17trampoline_kernelINS0_14default_configENS1_38merge_sort_block_merge_config_selectorIiiEEZZNS1_27merge_sort_block_merge_implIS3_N6thrust23THRUST_200600_302600_NS6detail15normal_iteratorINS8_10device_ptrIiEEEESD_jNS1_19radix_merge_compareILb1ELb0EiNS0_19identity_decomposerEEEEE10hipError_tT0_T1_T2_jT3_P12ihipStream_tbPNSt15iterator_traitsISI_E10value_typeEPNSO_ISJ_E10value_typeEPSK_NS1_7vsmem_tEENKUlT_SI_SJ_SK_E_clIPiSD_S10_SD_EESH_SX_SI_SJ_SK_EUlSX_E0_NS1_11comp_targetILNS1_3genE8ELNS1_11target_archE1030ELNS1_3gpuE2ELNS1_3repE0EEENS1_38merge_mergepath_config_static_selectorELNS0_4arch9wavefront6targetE1EEEvSJ_.uses_flat_scratch, 0
	.set _ZN7rocprim17ROCPRIM_400000_NS6detail17trampoline_kernelINS0_14default_configENS1_38merge_sort_block_merge_config_selectorIiiEEZZNS1_27merge_sort_block_merge_implIS3_N6thrust23THRUST_200600_302600_NS6detail15normal_iteratorINS8_10device_ptrIiEEEESD_jNS1_19radix_merge_compareILb1ELb0EiNS0_19identity_decomposerEEEEE10hipError_tT0_T1_T2_jT3_P12ihipStream_tbPNSt15iterator_traitsISI_E10value_typeEPNSO_ISJ_E10value_typeEPSK_NS1_7vsmem_tEENKUlT_SI_SJ_SK_E_clIPiSD_S10_SD_EESH_SX_SI_SJ_SK_EUlSX_E0_NS1_11comp_targetILNS1_3genE8ELNS1_11target_archE1030ELNS1_3gpuE2ELNS1_3repE0EEENS1_38merge_mergepath_config_static_selectorELNS0_4arch9wavefront6targetE1EEEvSJ_.has_dyn_sized_stack, 0
	.set _ZN7rocprim17ROCPRIM_400000_NS6detail17trampoline_kernelINS0_14default_configENS1_38merge_sort_block_merge_config_selectorIiiEEZZNS1_27merge_sort_block_merge_implIS3_N6thrust23THRUST_200600_302600_NS6detail15normal_iteratorINS8_10device_ptrIiEEEESD_jNS1_19radix_merge_compareILb1ELb0EiNS0_19identity_decomposerEEEEE10hipError_tT0_T1_T2_jT3_P12ihipStream_tbPNSt15iterator_traitsISI_E10value_typeEPNSO_ISJ_E10value_typeEPSK_NS1_7vsmem_tEENKUlT_SI_SJ_SK_E_clIPiSD_S10_SD_EESH_SX_SI_SJ_SK_EUlSX_E0_NS1_11comp_targetILNS1_3genE8ELNS1_11target_archE1030ELNS1_3gpuE2ELNS1_3repE0EEENS1_38merge_mergepath_config_static_selectorELNS0_4arch9wavefront6targetE1EEEvSJ_.has_recursion, 0
	.set _ZN7rocprim17ROCPRIM_400000_NS6detail17trampoline_kernelINS0_14default_configENS1_38merge_sort_block_merge_config_selectorIiiEEZZNS1_27merge_sort_block_merge_implIS3_N6thrust23THRUST_200600_302600_NS6detail15normal_iteratorINS8_10device_ptrIiEEEESD_jNS1_19radix_merge_compareILb1ELb0EiNS0_19identity_decomposerEEEEE10hipError_tT0_T1_T2_jT3_P12ihipStream_tbPNSt15iterator_traitsISI_E10value_typeEPNSO_ISJ_E10value_typeEPSK_NS1_7vsmem_tEENKUlT_SI_SJ_SK_E_clIPiSD_S10_SD_EESH_SX_SI_SJ_SK_EUlSX_E0_NS1_11comp_targetILNS1_3genE8ELNS1_11target_archE1030ELNS1_3gpuE2ELNS1_3repE0EEENS1_38merge_mergepath_config_static_selectorELNS0_4arch9wavefront6targetE1EEEvSJ_.has_indirect_call, 0
	.section	.AMDGPU.csdata,"",@progbits
; Kernel info:
; codeLenInByte = 0
; TotalNumSgprs: 6
; NumVgprs: 0
; NumAgprs: 0
; TotalNumVgprs: 0
; ScratchSize: 0
; MemoryBound: 0
; FloatMode: 240
; IeeeMode: 1
; LDSByteSize: 0 bytes/workgroup (compile time only)
; SGPRBlocks: 0
; VGPRBlocks: 0
; NumSGPRsForWavesPerEU: 6
; NumVGPRsForWavesPerEU: 1
; AccumOffset: 4
; Occupancy: 8
; WaveLimiterHint : 0
; COMPUTE_PGM_RSRC2:SCRATCH_EN: 0
; COMPUTE_PGM_RSRC2:USER_SGPR: 2
; COMPUTE_PGM_RSRC2:TRAP_HANDLER: 0
; COMPUTE_PGM_RSRC2:TGID_X_EN: 1
; COMPUTE_PGM_RSRC2:TGID_Y_EN: 0
; COMPUTE_PGM_RSRC2:TGID_Z_EN: 0
; COMPUTE_PGM_RSRC2:TIDIG_COMP_CNT: 0
; COMPUTE_PGM_RSRC3_GFX90A:ACCUM_OFFSET: 0
; COMPUTE_PGM_RSRC3_GFX90A:TG_SPLIT: 0
	.section	.text._ZN7rocprim17ROCPRIM_400000_NS6detail17trampoline_kernelINS0_14default_configENS1_38merge_sort_block_merge_config_selectorIiiEEZZNS1_27merge_sort_block_merge_implIS3_N6thrust23THRUST_200600_302600_NS6detail15normal_iteratorINS8_10device_ptrIiEEEESD_jNS1_19radix_merge_compareILb1ELb0EiNS0_19identity_decomposerEEEEE10hipError_tT0_T1_T2_jT3_P12ihipStream_tbPNSt15iterator_traitsISI_E10value_typeEPNSO_ISJ_E10value_typeEPSK_NS1_7vsmem_tEENKUlT_SI_SJ_SK_E_clIPiSD_S10_SD_EESH_SX_SI_SJ_SK_EUlSX_E1_NS1_11comp_targetILNS1_3genE0ELNS1_11target_archE4294967295ELNS1_3gpuE0ELNS1_3repE0EEENS1_36merge_oddeven_config_static_selectorELNS0_4arch9wavefront6targetE1EEEvSJ_,"axG",@progbits,_ZN7rocprim17ROCPRIM_400000_NS6detail17trampoline_kernelINS0_14default_configENS1_38merge_sort_block_merge_config_selectorIiiEEZZNS1_27merge_sort_block_merge_implIS3_N6thrust23THRUST_200600_302600_NS6detail15normal_iteratorINS8_10device_ptrIiEEEESD_jNS1_19radix_merge_compareILb1ELb0EiNS0_19identity_decomposerEEEEE10hipError_tT0_T1_T2_jT3_P12ihipStream_tbPNSt15iterator_traitsISI_E10value_typeEPNSO_ISJ_E10value_typeEPSK_NS1_7vsmem_tEENKUlT_SI_SJ_SK_E_clIPiSD_S10_SD_EESH_SX_SI_SJ_SK_EUlSX_E1_NS1_11comp_targetILNS1_3genE0ELNS1_11target_archE4294967295ELNS1_3gpuE0ELNS1_3repE0EEENS1_36merge_oddeven_config_static_selectorELNS0_4arch9wavefront6targetE1EEEvSJ_,comdat
	.protected	_ZN7rocprim17ROCPRIM_400000_NS6detail17trampoline_kernelINS0_14default_configENS1_38merge_sort_block_merge_config_selectorIiiEEZZNS1_27merge_sort_block_merge_implIS3_N6thrust23THRUST_200600_302600_NS6detail15normal_iteratorINS8_10device_ptrIiEEEESD_jNS1_19radix_merge_compareILb1ELb0EiNS0_19identity_decomposerEEEEE10hipError_tT0_T1_T2_jT3_P12ihipStream_tbPNSt15iterator_traitsISI_E10value_typeEPNSO_ISJ_E10value_typeEPSK_NS1_7vsmem_tEENKUlT_SI_SJ_SK_E_clIPiSD_S10_SD_EESH_SX_SI_SJ_SK_EUlSX_E1_NS1_11comp_targetILNS1_3genE0ELNS1_11target_archE4294967295ELNS1_3gpuE0ELNS1_3repE0EEENS1_36merge_oddeven_config_static_selectorELNS0_4arch9wavefront6targetE1EEEvSJ_ ; -- Begin function _ZN7rocprim17ROCPRIM_400000_NS6detail17trampoline_kernelINS0_14default_configENS1_38merge_sort_block_merge_config_selectorIiiEEZZNS1_27merge_sort_block_merge_implIS3_N6thrust23THRUST_200600_302600_NS6detail15normal_iteratorINS8_10device_ptrIiEEEESD_jNS1_19radix_merge_compareILb1ELb0EiNS0_19identity_decomposerEEEEE10hipError_tT0_T1_T2_jT3_P12ihipStream_tbPNSt15iterator_traitsISI_E10value_typeEPNSO_ISJ_E10value_typeEPSK_NS1_7vsmem_tEENKUlT_SI_SJ_SK_E_clIPiSD_S10_SD_EESH_SX_SI_SJ_SK_EUlSX_E1_NS1_11comp_targetILNS1_3genE0ELNS1_11target_archE4294967295ELNS1_3gpuE0ELNS1_3repE0EEENS1_36merge_oddeven_config_static_selectorELNS0_4arch9wavefront6targetE1EEEvSJ_
	.globl	_ZN7rocprim17ROCPRIM_400000_NS6detail17trampoline_kernelINS0_14default_configENS1_38merge_sort_block_merge_config_selectorIiiEEZZNS1_27merge_sort_block_merge_implIS3_N6thrust23THRUST_200600_302600_NS6detail15normal_iteratorINS8_10device_ptrIiEEEESD_jNS1_19radix_merge_compareILb1ELb0EiNS0_19identity_decomposerEEEEE10hipError_tT0_T1_T2_jT3_P12ihipStream_tbPNSt15iterator_traitsISI_E10value_typeEPNSO_ISJ_E10value_typeEPSK_NS1_7vsmem_tEENKUlT_SI_SJ_SK_E_clIPiSD_S10_SD_EESH_SX_SI_SJ_SK_EUlSX_E1_NS1_11comp_targetILNS1_3genE0ELNS1_11target_archE4294967295ELNS1_3gpuE0ELNS1_3repE0EEENS1_36merge_oddeven_config_static_selectorELNS0_4arch9wavefront6targetE1EEEvSJ_
	.p2align	8
	.type	_ZN7rocprim17ROCPRIM_400000_NS6detail17trampoline_kernelINS0_14default_configENS1_38merge_sort_block_merge_config_selectorIiiEEZZNS1_27merge_sort_block_merge_implIS3_N6thrust23THRUST_200600_302600_NS6detail15normal_iteratorINS8_10device_ptrIiEEEESD_jNS1_19radix_merge_compareILb1ELb0EiNS0_19identity_decomposerEEEEE10hipError_tT0_T1_T2_jT3_P12ihipStream_tbPNSt15iterator_traitsISI_E10value_typeEPNSO_ISJ_E10value_typeEPSK_NS1_7vsmem_tEENKUlT_SI_SJ_SK_E_clIPiSD_S10_SD_EESH_SX_SI_SJ_SK_EUlSX_E1_NS1_11comp_targetILNS1_3genE0ELNS1_11target_archE4294967295ELNS1_3gpuE0ELNS1_3repE0EEENS1_36merge_oddeven_config_static_selectorELNS0_4arch9wavefront6targetE1EEEvSJ_,@function
_ZN7rocprim17ROCPRIM_400000_NS6detail17trampoline_kernelINS0_14default_configENS1_38merge_sort_block_merge_config_selectorIiiEEZZNS1_27merge_sort_block_merge_implIS3_N6thrust23THRUST_200600_302600_NS6detail15normal_iteratorINS8_10device_ptrIiEEEESD_jNS1_19radix_merge_compareILb1ELb0EiNS0_19identity_decomposerEEEEE10hipError_tT0_T1_T2_jT3_P12ihipStream_tbPNSt15iterator_traitsISI_E10value_typeEPNSO_ISJ_E10value_typeEPSK_NS1_7vsmem_tEENKUlT_SI_SJ_SK_E_clIPiSD_S10_SD_EESH_SX_SI_SJ_SK_EUlSX_E1_NS1_11comp_targetILNS1_3genE0ELNS1_11target_archE4294967295ELNS1_3gpuE0ELNS1_3repE0EEENS1_36merge_oddeven_config_static_selectorELNS0_4arch9wavefront6targetE1EEEvSJ_: ; @_ZN7rocprim17ROCPRIM_400000_NS6detail17trampoline_kernelINS0_14default_configENS1_38merge_sort_block_merge_config_selectorIiiEEZZNS1_27merge_sort_block_merge_implIS3_N6thrust23THRUST_200600_302600_NS6detail15normal_iteratorINS8_10device_ptrIiEEEESD_jNS1_19radix_merge_compareILb1ELb0EiNS0_19identity_decomposerEEEEE10hipError_tT0_T1_T2_jT3_P12ihipStream_tbPNSt15iterator_traitsISI_E10value_typeEPNSO_ISJ_E10value_typeEPSK_NS1_7vsmem_tEENKUlT_SI_SJ_SK_E_clIPiSD_S10_SD_EESH_SX_SI_SJ_SK_EUlSX_E1_NS1_11comp_targetILNS1_3genE0ELNS1_11target_archE4294967295ELNS1_3gpuE0ELNS1_3repE0EEENS1_36merge_oddeven_config_static_selectorELNS0_4arch9wavefront6targetE1EEEvSJ_
; %bb.0:
	s_load_dword s18, s[0:1], 0x20
	s_waitcnt lgkmcnt(0)
	s_lshr_b32 s3, s18, 8
	s_cmp_eq_u32 s2, s3
	s_cselect_b64 s[6:7], -1, 0
	s_cmp_lg_u32 s2, s3
	s_cselect_b64 s[8:9], -1, 0
	s_lshl_b32 s16, s2, 8
	s_sub_i32 s3, s18, s16
	v_cmp_gt_u32_e64 s[4:5], s3, v0
	s_or_b64 s[8:9], s[8:9], s[4:5]
	s_and_saveexec_b64 s[10:11], s[8:9]
	s_cbranch_execz .LBB901_24
; %bb.1:
	s_load_dwordx8 s[8:15], s[0:1], 0x0
	s_mov_b32 s17, 0
	s_lshl_b64 s[20:21], s[16:17], 2
	v_lshlrev_b32_e32 v1, 2, v0
	s_load_dword s17, s[0:1], 0x24
	s_waitcnt lgkmcnt(0)
	s_add_u32 s22, s8, s20
	s_addc_u32 s23, s9, s21
	s_add_u32 s12, s12, s20
	s_addc_u32 s13, s13, s21
	global_load_dword v2, v1, s[12:13]
	global_load_dword v3, v1, s[22:23]
	s_lshr_b32 s0, s17, 8
	s_sub_i32 s1, 0, s0
	s_and_b32 s1, s2, s1
	s_and_b32 s0, s1, s0
	s_lshl_b32 s19, s1, 8
	s_sub_i32 s12, 0, s17
	s_cmp_eq_u32 s0, 0
	s_cselect_b64 s[0:1], -1, 0
	s_and_b64 s[2:3], s[0:1], exec
	s_cselect_b32 s12, s17, s12
	s_add_i32 s12, s12, s19
	s_mov_b64 s[2:3], -1
	s_cmp_gt_u32 s18, s12
	v_add_u32_e32 v0, s16, v0
	s_cbranch_scc1 .LBB901_9
; %bb.2:
	s_and_b64 vcc, exec, s[6:7]
	s_cbranch_vccz .LBB901_6
; %bb.3:
	v_cmp_gt_u32_e32 vcc, s18, v0
	s_and_saveexec_b64 s[2:3], vcc
	s_cbranch_execz .LBB901_5
; %bb.4:
	v_mov_b32_e32 v1, 0
	v_lshlrev_b64 v[4:5], 2, v[0:1]
	v_lshl_add_u64 v[6:7], s[10:11], 0, v[4:5]
	v_lshl_add_u64 v[4:5], s[14:15], 0, v[4:5]
	s_waitcnt vmcnt(0)
	global_store_dword v[6:7], v3, off
	global_store_dword v[4:5], v2, off
.LBB901_5:
	s_or_b64 exec, exec, s[2:3]
	s_mov_b64 s[2:3], 0
.LBB901_6:
	s_andn2_b64 vcc, exec, s[2:3]
	s_cbranch_vccnz .LBB901_8
; %bb.7:
	v_mov_b32_e32 v1, 0
	v_lshlrev_b64 v[4:5], 2, v[0:1]
	v_lshl_add_u64 v[6:7], s[10:11], 0, v[4:5]
	v_lshl_add_u64 v[4:5], s[14:15], 0, v[4:5]
	s_waitcnt vmcnt(0)
	global_store_dword v[6:7], v3, off
	global_store_dword v[4:5], v2, off
.LBB901_8:
	s_mov_b64 s[2:3], 0
.LBB901_9:
	s_andn2_b64 vcc, exec, s[2:3]
	s_cbranch_vccnz .LBB901_24
; %bb.10:
	s_min_u32 s13, s12, s18
	s_add_i32 s2, s13, s17
	s_min_u32 s16, s2, s18
	s_min_u32 s2, s19, s13
	s_add_i32 s19, s19, s13
	v_subrev_u32_e32 v0, s19, v0
	v_add_u32_e32 v4, s2, v0
	s_andn2_b64 vcc, exec, s[6:7]
	s_mov_b64 s[2:3], -1
	s_cbranch_vccnz .LBB901_18
; %bb.11:
	s_and_saveexec_b64 s[2:3], s[4:5]
	s_cbranch_execz .LBB901_17
; %bb.12:
	s_cmp_ge_u32 s12, s16
	v_mov_b32_e32 v5, s13
	s_cbranch_scc1 .LBB901_16
; %bb.13:
	s_mov_b64 s[4:5], 0
	v_mov_b32_e32 v6, s16
	v_mov_b32_e32 v5, s13
	;; [unrolled: 1-line block ×3, first 2 shown]
.LBB901_14:                             ; =>This Inner Loop Header: Depth=1
	v_add_u32_e32 v0, v5, v6
	v_lshrrev_b32_e32 v0, 1, v0
	v_lshl_add_u64 v[8:9], v[0:1], 2, s[8:9]
	global_load_dword v7, v[8:9], off
	v_add_u32_e32 v8, 1, v0
	s_waitcnt vmcnt(0)
	v_cmp_gt_i32_e32 vcc, v7, v3
	s_nop 1
	v_cndmask_b32_e64 v9, 0, 1, vcc
	v_cmp_le_i32_e32 vcc, v3, v7
	s_nop 1
	v_cndmask_b32_e64 v7, 0, 1, vcc
	v_cndmask_b32_e64 v7, v7, v9, s[0:1]
	v_and_b32_e32 v7, 1, v7
	v_cmp_eq_u32_e32 vcc, 1, v7
	s_nop 1
	v_cndmask_b32_e32 v6, v0, v6, vcc
	v_cndmask_b32_e32 v5, v5, v8, vcc
	v_cmp_ge_u32_e32 vcc, v5, v6
	s_or_b64 s[4:5], vcc, s[4:5]
	s_andn2_b64 exec, exec, s[4:5]
	s_cbranch_execnz .LBB901_14
; %bb.15:
	s_or_b64 exec, exec, s[4:5]
.LBB901_16:
	v_add_u32_e32 v0, v5, v4
	v_mov_b32_e32 v1, 0
	v_lshlrev_b64 v[0:1], 2, v[0:1]
	v_lshl_add_u64 v[6:7], s[10:11], 0, v[0:1]
	v_lshl_add_u64 v[0:1], s[14:15], 0, v[0:1]
	s_waitcnt vmcnt(0)
	global_store_dword v[6:7], v3, off
	global_store_dword v[0:1], v2, off
.LBB901_17:
	s_or_b64 exec, exec, s[2:3]
	s_mov_b64 s[2:3], 0
.LBB901_18:
	s_andn2_b64 vcc, exec, s[2:3]
	s_cbranch_vccnz .LBB901_24
; %bb.19:
	s_cmp_ge_u32 s12, s16
	v_mov_b32_e32 v5, s13
	s_cbranch_scc1 .LBB901_23
; %bb.20:
	s_mov_b64 s[2:3], 0
	v_mov_b32_e32 v6, s16
	v_mov_b32_e32 v5, s13
	;; [unrolled: 1-line block ×3, first 2 shown]
.LBB901_21:                             ; =>This Inner Loop Header: Depth=1
	v_add_u32_e32 v0, v5, v6
	v_lshrrev_b32_e32 v0, 1, v0
	v_lshl_add_u64 v[8:9], v[0:1], 2, s[8:9]
	global_load_dword v7, v[8:9], off
	v_add_u32_e32 v8, 1, v0
	s_waitcnt vmcnt(0)
	v_cmp_gt_i32_e32 vcc, v7, v3
	s_nop 1
	v_cndmask_b32_e64 v9, 0, 1, vcc
	v_cmp_le_i32_e32 vcc, v3, v7
	s_nop 1
	v_cndmask_b32_e64 v7, 0, 1, vcc
	v_cndmask_b32_e64 v7, v7, v9, s[0:1]
	v_and_b32_e32 v7, 1, v7
	v_cmp_eq_u32_e32 vcc, 1, v7
	s_nop 1
	v_cndmask_b32_e32 v6, v0, v6, vcc
	v_cndmask_b32_e32 v5, v5, v8, vcc
	v_cmp_ge_u32_e32 vcc, v5, v6
	s_or_b64 s[2:3], vcc, s[2:3]
	s_andn2_b64 exec, exec, s[2:3]
	s_cbranch_execnz .LBB901_21
; %bb.22:
	s_or_b64 exec, exec, s[2:3]
.LBB901_23:
	v_add_u32_e32 v0, v5, v4
	v_mov_b32_e32 v1, 0
	v_lshlrev_b64 v[0:1], 2, v[0:1]
	v_lshl_add_u64 v[4:5], s[10:11], 0, v[0:1]
	v_lshl_add_u64 v[0:1], s[14:15], 0, v[0:1]
	s_waitcnt vmcnt(0)
	global_store_dword v[4:5], v3, off
	global_store_dword v[0:1], v2, off
.LBB901_24:
	s_endpgm
	.section	.rodata,"a",@progbits
	.p2align	6, 0x0
	.amdhsa_kernel _ZN7rocprim17ROCPRIM_400000_NS6detail17trampoline_kernelINS0_14default_configENS1_38merge_sort_block_merge_config_selectorIiiEEZZNS1_27merge_sort_block_merge_implIS3_N6thrust23THRUST_200600_302600_NS6detail15normal_iteratorINS8_10device_ptrIiEEEESD_jNS1_19radix_merge_compareILb1ELb0EiNS0_19identity_decomposerEEEEE10hipError_tT0_T1_T2_jT3_P12ihipStream_tbPNSt15iterator_traitsISI_E10value_typeEPNSO_ISJ_E10value_typeEPSK_NS1_7vsmem_tEENKUlT_SI_SJ_SK_E_clIPiSD_S10_SD_EESH_SX_SI_SJ_SK_EUlSX_E1_NS1_11comp_targetILNS1_3genE0ELNS1_11target_archE4294967295ELNS1_3gpuE0ELNS1_3repE0EEENS1_36merge_oddeven_config_static_selectorELNS0_4arch9wavefront6targetE1EEEvSJ_
		.amdhsa_group_segment_fixed_size 0
		.amdhsa_private_segment_fixed_size 0
		.amdhsa_kernarg_size 48
		.amdhsa_user_sgpr_count 2
		.amdhsa_user_sgpr_dispatch_ptr 0
		.amdhsa_user_sgpr_queue_ptr 0
		.amdhsa_user_sgpr_kernarg_segment_ptr 1
		.amdhsa_user_sgpr_dispatch_id 0
		.amdhsa_user_sgpr_kernarg_preload_length 0
		.amdhsa_user_sgpr_kernarg_preload_offset 0
		.amdhsa_user_sgpr_private_segment_size 0
		.amdhsa_uses_dynamic_stack 0
		.amdhsa_enable_private_segment 0
		.amdhsa_system_sgpr_workgroup_id_x 1
		.amdhsa_system_sgpr_workgroup_id_y 0
		.amdhsa_system_sgpr_workgroup_id_z 0
		.amdhsa_system_sgpr_workgroup_info 0
		.amdhsa_system_vgpr_workitem_id 0
		.amdhsa_next_free_vgpr 10
		.amdhsa_next_free_sgpr 24
		.amdhsa_accum_offset 12
		.amdhsa_reserve_vcc 1
		.amdhsa_float_round_mode_32 0
		.amdhsa_float_round_mode_16_64 0
		.amdhsa_float_denorm_mode_32 3
		.amdhsa_float_denorm_mode_16_64 3
		.amdhsa_dx10_clamp 1
		.amdhsa_ieee_mode 1
		.amdhsa_fp16_overflow 0
		.amdhsa_tg_split 0
		.amdhsa_exception_fp_ieee_invalid_op 0
		.amdhsa_exception_fp_denorm_src 0
		.amdhsa_exception_fp_ieee_div_zero 0
		.amdhsa_exception_fp_ieee_overflow 0
		.amdhsa_exception_fp_ieee_underflow 0
		.amdhsa_exception_fp_ieee_inexact 0
		.amdhsa_exception_int_div_zero 0
	.end_amdhsa_kernel
	.section	.text._ZN7rocprim17ROCPRIM_400000_NS6detail17trampoline_kernelINS0_14default_configENS1_38merge_sort_block_merge_config_selectorIiiEEZZNS1_27merge_sort_block_merge_implIS3_N6thrust23THRUST_200600_302600_NS6detail15normal_iteratorINS8_10device_ptrIiEEEESD_jNS1_19radix_merge_compareILb1ELb0EiNS0_19identity_decomposerEEEEE10hipError_tT0_T1_T2_jT3_P12ihipStream_tbPNSt15iterator_traitsISI_E10value_typeEPNSO_ISJ_E10value_typeEPSK_NS1_7vsmem_tEENKUlT_SI_SJ_SK_E_clIPiSD_S10_SD_EESH_SX_SI_SJ_SK_EUlSX_E1_NS1_11comp_targetILNS1_3genE0ELNS1_11target_archE4294967295ELNS1_3gpuE0ELNS1_3repE0EEENS1_36merge_oddeven_config_static_selectorELNS0_4arch9wavefront6targetE1EEEvSJ_,"axG",@progbits,_ZN7rocprim17ROCPRIM_400000_NS6detail17trampoline_kernelINS0_14default_configENS1_38merge_sort_block_merge_config_selectorIiiEEZZNS1_27merge_sort_block_merge_implIS3_N6thrust23THRUST_200600_302600_NS6detail15normal_iteratorINS8_10device_ptrIiEEEESD_jNS1_19radix_merge_compareILb1ELb0EiNS0_19identity_decomposerEEEEE10hipError_tT0_T1_T2_jT3_P12ihipStream_tbPNSt15iterator_traitsISI_E10value_typeEPNSO_ISJ_E10value_typeEPSK_NS1_7vsmem_tEENKUlT_SI_SJ_SK_E_clIPiSD_S10_SD_EESH_SX_SI_SJ_SK_EUlSX_E1_NS1_11comp_targetILNS1_3genE0ELNS1_11target_archE4294967295ELNS1_3gpuE0ELNS1_3repE0EEENS1_36merge_oddeven_config_static_selectorELNS0_4arch9wavefront6targetE1EEEvSJ_,comdat
.Lfunc_end901:
	.size	_ZN7rocprim17ROCPRIM_400000_NS6detail17trampoline_kernelINS0_14default_configENS1_38merge_sort_block_merge_config_selectorIiiEEZZNS1_27merge_sort_block_merge_implIS3_N6thrust23THRUST_200600_302600_NS6detail15normal_iteratorINS8_10device_ptrIiEEEESD_jNS1_19radix_merge_compareILb1ELb0EiNS0_19identity_decomposerEEEEE10hipError_tT0_T1_T2_jT3_P12ihipStream_tbPNSt15iterator_traitsISI_E10value_typeEPNSO_ISJ_E10value_typeEPSK_NS1_7vsmem_tEENKUlT_SI_SJ_SK_E_clIPiSD_S10_SD_EESH_SX_SI_SJ_SK_EUlSX_E1_NS1_11comp_targetILNS1_3genE0ELNS1_11target_archE4294967295ELNS1_3gpuE0ELNS1_3repE0EEENS1_36merge_oddeven_config_static_selectorELNS0_4arch9wavefront6targetE1EEEvSJ_, .Lfunc_end901-_ZN7rocprim17ROCPRIM_400000_NS6detail17trampoline_kernelINS0_14default_configENS1_38merge_sort_block_merge_config_selectorIiiEEZZNS1_27merge_sort_block_merge_implIS3_N6thrust23THRUST_200600_302600_NS6detail15normal_iteratorINS8_10device_ptrIiEEEESD_jNS1_19radix_merge_compareILb1ELb0EiNS0_19identity_decomposerEEEEE10hipError_tT0_T1_T2_jT3_P12ihipStream_tbPNSt15iterator_traitsISI_E10value_typeEPNSO_ISJ_E10value_typeEPSK_NS1_7vsmem_tEENKUlT_SI_SJ_SK_E_clIPiSD_S10_SD_EESH_SX_SI_SJ_SK_EUlSX_E1_NS1_11comp_targetILNS1_3genE0ELNS1_11target_archE4294967295ELNS1_3gpuE0ELNS1_3repE0EEENS1_36merge_oddeven_config_static_selectorELNS0_4arch9wavefront6targetE1EEEvSJ_
                                        ; -- End function
	.set _ZN7rocprim17ROCPRIM_400000_NS6detail17trampoline_kernelINS0_14default_configENS1_38merge_sort_block_merge_config_selectorIiiEEZZNS1_27merge_sort_block_merge_implIS3_N6thrust23THRUST_200600_302600_NS6detail15normal_iteratorINS8_10device_ptrIiEEEESD_jNS1_19radix_merge_compareILb1ELb0EiNS0_19identity_decomposerEEEEE10hipError_tT0_T1_T2_jT3_P12ihipStream_tbPNSt15iterator_traitsISI_E10value_typeEPNSO_ISJ_E10value_typeEPSK_NS1_7vsmem_tEENKUlT_SI_SJ_SK_E_clIPiSD_S10_SD_EESH_SX_SI_SJ_SK_EUlSX_E1_NS1_11comp_targetILNS1_3genE0ELNS1_11target_archE4294967295ELNS1_3gpuE0ELNS1_3repE0EEENS1_36merge_oddeven_config_static_selectorELNS0_4arch9wavefront6targetE1EEEvSJ_.num_vgpr, 10
	.set _ZN7rocprim17ROCPRIM_400000_NS6detail17trampoline_kernelINS0_14default_configENS1_38merge_sort_block_merge_config_selectorIiiEEZZNS1_27merge_sort_block_merge_implIS3_N6thrust23THRUST_200600_302600_NS6detail15normal_iteratorINS8_10device_ptrIiEEEESD_jNS1_19radix_merge_compareILb1ELb0EiNS0_19identity_decomposerEEEEE10hipError_tT0_T1_T2_jT3_P12ihipStream_tbPNSt15iterator_traitsISI_E10value_typeEPNSO_ISJ_E10value_typeEPSK_NS1_7vsmem_tEENKUlT_SI_SJ_SK_E_clIPiSD_S10_SD_EESH_SX_SI_SJ_SK_EUlSX_E1_NS1_11comp_targetILNS1_3genE0ELNS1_11target_archE4294967295ELNS1_3gpuE0ELNS1_3repE0EEENS1_36merge_oddeven_config_static_selectorELNS0_4arch9wavefront6targetE1EEEvSJ_.num_agpr, 0
	.set _ZN7rocprim17ROCPRIM_400000_NS6detail17trampoline_kernelINS0_14default_configENS1_38merge_sort_block_merge_config_selectorIiiEEZZNS1_27merge_sort_block_merge_implIS3_N6thrust23THRUST_200600_302600_NS6detail15normal_iteratorINS8_10device_ptrIiEEEESD_jNS1_19radix_merge_compareILb1ELb0EiNS0_19identity_decomposerEEEEE10hipError_tT0_T1_T2_jT3_P12ihipStream_tbPNSt15iterator_traitsISI_E10value_typeEPNSO_ISJ_E10value_typeEPSK_NS1_7vsmem_tEENKUlT_SI_SJ_SK_E_clIPiSD_S10_SD_EESH_SX_SI_SJ_SK_EUlSX_E1_NS1_11comp_targetILNS1_3genE0ELNS1_11target_archE4294967295ELNS1_3gpuE0ELNS1_3repE0EEENS1_36merge_oddeven_config_static_selectorELNS0_4arch9wavefront6targetE1EEEvSJ_.numbered_sgpr, 24
	.set _ZN7rocprim17ROCPRIM_400000_NS6detail17trampoline_kernelINS0_14default_configENS1_38merge_sort_block_merge_config_selectorIiiEEZZNS1_27merge_sort_block_merge_implIS3_N6thrust23THRUST_200600_302600_NS6detail15normal_iteratorINS8_10device_ptrIiEEEESD_jNS1_19radix_merge_compareILb1ELb0EiNS0_19identity_decomposerEEEEE10hipError_tT0_T1_T2_jT3_P12ihipStream_tbPNSt15iterator_traitsISI_E10value_typeEPNSO_ISJ_E10value_typeEPSK_NS1_7vsmem_tEENKUlT_SI_SJ_SK_E_clIPiSD_S10_SD_EESH_SX_SI_SJ_SK_EUlSX_E1_NS1_11comp_targetILNS1_3genE0ELNS1_11target_archE4294967295ELNS1_3gpuE0ELNS1_3repE0EEENS1_36merge_oddeven_config_static_selectorELNS0_4arch9wavefront6targetE1EEEvSJ_.num_named_barrier, 0
	.set _ZN7rocprim17ROCPRIM_400000_NS6detail17trampoline_kernelINS0_14default_configENS1_38merge_sort_block_merge_config_selectorIiiEEZZNS1_27merge_sort_block_merge_implIS3_N6thrust23THRUST_200600_302600_NS6detail15normal_iteratorINS8_10device_ptrIiEEEESD_jNS1_19radix_merge_compareILb1ELb0EiNS0_19identity_decomposerEEEEE10hipError_tT0_T1_T2_jT3_P12ihipStream_tbPNSt15iterator_traitsISI_E10value_typeEPNSO_ISJ_E10value_typeEPSK_NS1_7vsmem_tEENKUlT_SI_SJ_SK_E_clIPiSD_S10_SD_EESH_SX_SI_SJ_SK_EUlSX_E1_NS1_11comp_targetILNS1_3genE0ELNS1_11target_archE4294967295ELNS1_3gpuE0ELNS1_3repE0EEENS1_36merge_oddeven_config_static_selectorELNS0_4arch9wavefront6targetE1EEEvSJ_.private_seg_size, 0
	.set _ZN7rocprim17ROCPRIM_400000_NS6detail17trampoline_kernelINS0_14default_configENS1_38merge_sort_block_merge_config_selectorIiiEEZZNS1_27merge_sort_block_merge_implIS3_N6thrust23THRUST_200600_302600_NS6detail15normal_iteratorINS8_10device_ptrIiEEEESD_jNS1_19radix_merge_compareILb1ELb0EiNS0_19identity_decomposerEEEEE10hipError_tT0_T1_T2_jT3_P12ihipStream_tbPNSt15iterator_traitsISI_E10value_typeEPNSO_ISJ_E10value_typeEPSK_NS1_7vsmem_tEENKUlT_SI_SJ_SK_E_clIPiSD_S10_SD_EESH_SX_SI_SJ_SK_EUlSX_E1_NS1_11comp_targetILNS1_3genE0ELNS1_11target_archE4294967295ELNS1_3gpuE0ELNS1_3repE0EEENS1_36merge_oddeven_config_static_selectorELNS0_4arch9wavefront6targetE1EEEvSJ_.uses_vcc, 1
	.set _ZN7rocprim17ROCPRIM_400000_NS6detail17trampoline_kernelINS0_14default_configENS1_38merge_sort_block_merge_config_selectorIiiEEZZNS1_27merge_sort_block_merge_implIS3_N6thrust23THRUST_200600_302600_NS6detail15normal_iteratorINS8_10device_ptrIiEEEESD_jNS1_19radix_merge_compareILb1ELb0EiNS0_19identity_decomposerEEEEE10hipError_tT0_T1_T2_jT3_P12ihipStream_tbPNSt15iterator_traitsISI_E10value_typeEPNSO_ISJ_E10value_typeEPSK_NS1_7vsmem_tEENKUlT_SI_SJ_SK_E_clIPiSD_S10_SD_EESH_SX_SI_SJ_SK_EUlSX_E1_NS1_11comp_targetILNS1_3genE0ELNS1_11target_archE4294967295ELNS1_3gpuE0ELNS1_3repE0EEENS1_36merge_oddeven_config_static_selectorELNS0_4arch9wavefront6targetE1EEEvSJ_.uses_flat_scratch, 0
	.set _ZN7rocprim17ROCPRIM_400000_NS6detail17trampoline_kernelINS0_14default_configENS1_38merge_sort_block_merge_config_selectorIiiEEZZNS1_27merge_sort_block_merge_implIS3_N6thrust23THRUST_200600_302600_NS6detail15normal_iteratorINS8_10device_ptrIiEEEESD_jNS1_19radix_merge_compareILb1ELb0EiNS0_19identity_decomposerEEEEE10hipError_tT0_T1_T2_jT3_P12ihipStream_tbPNSt15iterator_traitsISI_E10value_typeEPNSO_ISJ_E10value_typeEPSK_NS1_7vsmem_tEENKUlT_SI_SJ_SK_E_clIPiSD_S10_SD_EESH_SX_SI_SJ_SK_EUlSX_E1_NS1_11comp_targetILNS1_3genE0ELNS1_11target_archE4294967295ELNS1_3gpuE0ELNS1_3repE0EEENS1_36merge_oddeven_config_static_selectorELNS0_4arch9wavefront6targetE1EEEvSJ_.has_dyn_sized_stack, 0
	.set _ZN7rocprim17ROCPRIM_400000_NS6detail17trampoline_kernelINS0_14default_configENS1_38merge_sort_block_merge_config_selectorIiiEEZZNS1_27merge_sort_block_merge_implIS3_N6thrust23THRUST_200600_302600_NS6detail15normal_iteratorINS8_10device_ptrIiEEEESD_jNS1_19radix_merge_compareILb1ELb0EiNS0_19identity_decomposerEEEEE10hipError_tT0_T1_T2_jT3_P12ihipStream_tbPNSt15iterator_traitsISI_E10value_typeEPNSO_ISJ_E10value_typeEPSK_NS1_7vsmem_tEENKUlT_SI_SJ_SK_E_clIPiSD_S10_SD_EESH_SX_SI_SJ_SK_EUlSX_E1_NS1_11comp_targetILNS1_3genE0ELNS1_11target_archE4294967295ELNS1_3gpuE0ELNS1_3repE0EEENS1_36merge_oddeven_config_static_selectorELNS0_4arch9wavefront6targetE1EEEvSJ_.has_recursion, 0
	.set _ZN7rocprim17ROCPRIM_400000_NS6detail17trampoline_kernelINS0_14default_configENS1_38merge_sort_block_merge_config_selectorIiiEEZZNS1_27merge_sort_block_merge_implIS3_N6thrust23THRUST_200600_302600_NS6detail15normal_iteratorINS8_10device_ptrIiEEEESD_jNS1_19radix_merge_compareILb1ELb0EiNS0_19identity_decomposerEEEEE10hipError_tT0_T1_T2_jT3_P12ihipStream_tbPNSt15iterator_traitsISI_E10value_typeEPNSO_ISJ_E10value_typeEPSK_NS1_7vsmem_tEENKUlT_SI_SJ_SK_E_clIPiSD_S10_SD_EESH_SX_SI_SJ_SK_EUlSX_E1_NS1_11comp_targetILNS1_3genE0ELNS1_11target_archE4294967295ELNS1_3gpuE0ELNS1_3repE0EEENS1_36merge_oddeven_config_static_selectorELNS0_4arch9wavefront6targetE1EEEvSJ_.has_indirect_call, 0
	.section	.AMDGPU.csdata,"",@progbits
; Kernel info:
; codeLenInByte = 780
; TotalNumSgprs: 30
; NumVgprs: 10
; NumAgprs: 0
; TotalNumVgprs: 10
; ScratchSize: 0
; MemoryBound: 0
; FloatMode: 240
; IeeeMode: 1
; LDSByteSize: 0 bytes/workgroup (compile time only)
; SGPRBlocks: 3
; VGPRBlocks: 1
; NumSGPRsForWavesPerEU: 30
; NumVGPRsForWavesPerEU: 10
; AccumOffset: 12
; Occupancy: 8
; WaveLimiterHint : 0
; COMPUTE_PGM_RSRC2:SCRATCH_EN: 0
; COMPUTE_PGM_RSRC2:USER_SGPR: 2
; COMPUTE_PGM_RSRC2:TRAP_HANDLER: 0
; COMPUTE_PGM_RSRC2:TGID_X_EN: 1
; COMPUTE_PGM_RSRC2:TGID_Y_EN: 0
; COMPUTE_PGM_RSRC2:TGID_Z_EN: 0
; COMPUTE_PGM_RSRC2:TIDIG_COMP_CNT: 0
; COMPUTE_PGM_RSRC3_GFX90A:ACCUM_OFFSET: 2
; COMPUTE_PGM_RSRC3_GFX90A:TG_SPLIT: 0
	.section	.text._ZN7rocprim17ROCPRIM_400000_NS6detail17trampoline_kernelINS0_14default_configENS1_38merge_sort_block_merge_config_selectorIiiEEZZNS1_27merge_sort_block_merge_implIS3_N6thrust23THRUST_200600_302600_NS6detail15normal_iteratorINS8_10device_ptrIiEEEESD_jNS1_19radix_merge_compareILb1ELb0EiNS0_19identity_decomposerEEEEE10hipError_tT0_T1_T2_jT3_P12ihipStream_tbPNSt15iterator_traitsISI_E10value_typeEPNSO_ISJ_E10value_typeEPSK_NS1_7vsmem_tEENKUlT_SI_SJ_SK_E_clIPiSD_S10_SD_EESH_SX_SI_SJ_SK_EUlSX_E1_NS1_11comp_targetILNS1_3genE10ELNS1_11target_archE1201ELNS1_3gpuE5ELNS1_3repE0EEENS1_36merge_oddeven_config_static_selectorELNS0_4arch9wavefront6targetE1EEEvSJ_,"axG",@progbits,_ZN7rocprim17ROCPRIM_400000_NS6detail17trampoline_kernelINS0_14default_configENS1_38merge_sort_block_merge_config_selectorIiiEEZZNS1_27merge_sort_block_merge_implIS3_N6thrust23THRUST_200600_302600_NS6detail15normal_iteratorINS8_10device_ptrIiEEEESD_jNS1_19radix_merge_compareILb1ELb0EiNS0_19identity_decomposerEEEEE10hipError_tT0_T1_T2_jT3_P12ihipStream_tbPNSt15iterator_traitsISI_E10value_typeEPNSO_ISJ_E10value_typeEPSK_NS1_7vsmem_tEENKUlT_SI_SJ_SK_E_clIPiSD_S10_SD_EESH_SX_SI_SJ_SK_EUlSX_E1_NS1_11comp_targetILNS1_3genE10ELNS1_11target_archE1201ELNS1_3gpuE5ELNS1_3repE0EEENS1_36merge_oddeven_config_static_selectorELNS0_4arch9wavefront6targetE1EEEvSJ_,comdat
	.protected	_ZN7rocprim17ROCPRIM_400000_NS6detail17trampoline_kernelINS0_14default_configENS1_38merge_sort_block_merge_config_selectorIiiEEZZNS1_27merge_sort_block_merge_implIS3_N6thrust23THRUST_200600_302600_NS6detail15normal_iteratorINS8_10device_ptrIiEEEESD_jNS1_19radix_merge_compareILb1ELb0EiNS0_19identity_decomposerEEEEE10hipError_tT0_T1_T2_jT3_P12ihipStream_tbPNSt15iterator_traitsISI_E10value_typeEPNSO_ISJ_E10value_typeEPSK_NS1_7vsmem_tEENKUlT_SI_SJ_SK_E_clIPiSD_S10_SD_EESH_SX_SI_SJ_SK_EUlSX_E1_NS1_11comp_targetILNS1_3genE10ELNS1_11target_archE1201ELNS1_3gpuE5ELNS1_3repE0EEENS1_36merge_oddeven_config_static_selectorELNS0_4arch9wavefront6targetE1EEEvSJ_ ; -- Begin function _ZN7rocprim17ROCPRIM_400000_NS6detail17trampoline_kernelINS0_14default_configENS1_38merge_sort_block_merge_config_selectorIiiEEZZNS1_27merge_sort_block_merge_implIS3_N6thrust23THRUST_200600_302600_NS6detail15normal_iteratorINS8_10device_ptrIiEEEESD_jNS1_19radix_merge_compareILb1ELb0EiNS0_19identity_decomposerEEEEE10hipError_tT0_T1_T2_jT3_P12ihipStream_tbPNSt15iterator_traitsISI_E10value_typeEPNSO_ISJ_E10value_typeEPSK_NS1_7vsmem_tEENKUlT_SI_SJ_SK_E_clIPiSD_S10_SD_EESH_SX_SI_SJ_SK_EUlSX_E1_NS1_11comp_targetILNS1_3genE10ELNS1_11target_archE1201ELNS1_3gpuE5ELNS1_3repE0EEENS1_36merge_oddeven_config_static_selectorELNS0_4arch9wavefront6targetE1EEEvSJ_
	.globl	_ZN7rocprim17ROCPRIM_400000_NS6detail17trampoline_kernelINS0_14default_configENS1_38merge_sort_block_merge_config_selectorIiiEEZZNS1_27merge_sort_block_merge_implIS3_N6thrust23THRUST_200600_302600_NS6detail15normal_iteratorINS8_10device_ptrIiEEEESD_jNS1_19radix_merge_compareILb1ELb0EiNS0_19identity_decomposerEEEEE10hipError_tT0_T1_T2_jT3_P12ihipStream_tbPNSt15iterator_traitsISI_E10value_typeEPNSO_ISJ_E10value_typeEPSK_NS1_7vsmem_tEENKUlT_SI_SJ_SK_E_clIPiSD_S10_SD_EESH_SX_SI_SJ_SK_EUlSX_E1_NS1_11comp_targetILNS1_3genE10ELNS1_11target_archE1201ELNS1_3gpuE5ELNS1_3repE0EEENS1_36merge_oddeven_config_static_selectorELNS0_4arch9wavefront6targetE1EEEvSJ_
	.p2align	8
	.type	_ZN7rocprim17ROCPRIM_400000_NS6detail17trampoline_kernelINS0_14default_configENS1_38merge_sort_block_merge_config_selectorIiiEEZZNS1_27merge_sort_block_merge_implIS3_N6thrust23THRUST_200600_302600_NS6detail15normal_iteratorINS8_10device_ptrIiEEEESD_jNS1_19radix_merge_compareILb1ELb0EiNS0_19identity_decomposerEEEEE10hipError_tT0_T1_T2_jT3_P12ihipStream_tbPNSt15iterator_traitsISI_E10value_typeEPNSO_ISJ_E10value_typeEPSK_NS1_7vsmem_tEENKUlT_SI_SJ_SK_E_clIPiSD_S10_SD_EESH_SX_SI_SJ_SK_EUlSX_E1_NS1_11comp_targetILNS1_3genE10ELNS1_11target_archE1201ELNS1_3gpuE5ELNS1_3repE0EEENS1_36merge_oddeven_config_static_selectorELNS0_4arch9wavefront6targetE1EEEvSJ_,@function
_ZN7rocprim17ROCPRIM_400000_NS6detail17trampoline_kernelINS0_14default_configENS1_38merge_sort_block_merge_config_selectorIiiEEZZNS1_27merge_sort_block_merge_implIS3_N6thrust23THRUST_200600_302600_NS6detail15normal_iteratorINS8_10device_ptrIiEEEESD_jNS1_19radix_merge_compareILb1ELb0EiNS0_19identity_decomposerEEEEE10hipError_tT0_T1_T2_jT3_P12ihipStream_tbPNSt15iterator_traitsISI_E10value_typeEPNSO_ISJ_E10value_typeEPSK_NS1_7vsmem_tEENKUlT_SI_SJ_SK_E_clIPiSD_S10_SD_EESH_SX_SI_SJ_SK_EUlSX_E1_NS1_11comp_targetILNS1_3genE10ELNS1_11target_archE1201ELNS1_3gpuE5ELNS1_3repE0EEENS1_36merge_oddeven_config_static_selectorELNS0_4arch9wavefront6targetE1EEEvSJ_: ; @_ZN7rocprim17ROCPRIM_400000_NS6detail17trampoline_kernelINS0_14default_configENS1_38merge_sort_block_merge_config_selectorIiiEEZZNS1_27merge_sort_block_merge_implIS3_N6thrust23THRUST_200600_302600_NS6detail15normal_iteratorINS8_10device_ptrIiEEEESD_jNS1_19radix_merge_compareILb1ELb0EiNS0_19identity_decomposerEEEEE10hipError_tT0_T1_T2_jT3_P12ihipStream_tbPNSt15iterator_traitsISI_E10value_typeEPNSO_ISJ_E10value_typeEPSK_NS1_7vsmem_tEENKUlT_SI_SJ_SK_E_clIPiSD_S10_SD_EESH_SX_SI_SJ_SK_EUlSX_E1_NS1_11comp_targetILNS1_3genE10ELNS1_11target_archE1201ELNS1_3gpuE5ELNS1_3repE0EEENS1_36merge_oddeven_config_static_selectorELNS0_4arch9wavefront6targetE1EEEvSJ_
; %bb.0:
	.section	.rodata,"a",@progbits
	.p2align	6, 0x0
	.amdhsa_kernel _ZN7rocprim17ROCPRIM_400000_NS6detail17trampoline_kernelINS0_14default_configENS1_38merge_sort_block_merge_config_selectorIiiEEZZNS1_27merge_sort_block_merge_implIS3_N6thrust23THRUST_200600_302600_NS6detail15normal_iteratorINS8_10device_ptrIiEEEESD_jNS1_19radix_merge_compareILb1ELb0EiNS0_19identity_decomposerEEEEE10hipError_tT0_T1_T2_jT3_P12ihipStream_tbPNSt15iterator_traitsISI_E10value_typeEPNSO_ISJ_E10value_typeEPSK_NS1_7vsmem_tEENKUlT_SI_SJ_SK_E_clIPiSD_S10_SD_EESH_SX_SI_SJ_SK_EUlSX_E1_NS1_11comp_targetILNS1_3genE10ELNS1_11target_archE1201ELNS1_3gpuE5ELNS1_3repE0EEENS1_36merge_oddeven_config_static_selectorELNS0_4arch9wavefront6targetE1EEEvSJ_
		.amdhsa_group_segment_fixed_size 0
		.amdhsa_private_segment_fixed_size 0
		.amdhsa_kernarg_size 48
		.amdhsa_user_sgpr_count 2
		.amdhsa_user_sgpr_dispatch_ptr 0
		.amdhsa_user_sgpr_queue_ptr 0
		.amdhsa_user_sgpr_kernarg_segment_ptr 1
		.amdhsa_user_sgpr_dispatch_id 0
		.amdhsa_user_sgpr_kernarg_preload_length 0
		.amdhsa_user_sgpr_kernarg_preload_offset 0
		.amdhsa_user_sgpr_private_segment_size 0
		.amdhsa_uses_dynamic_stack 0
		.amdhsa_enable_private_segment 0
		.amdhsa_system_sgpr_workgroup_id_x 1
		.amdhsa_system_sgpr_workgroup_id_y 0
		.amdhsa_system_sgpr_workgroup_id_z 0
		.amdhsa_system_sgpr_workgroup_info 0
		.amdhsa_system_vgpr_workitem_id 0
		.amdhsa_next_free_vgpr 1
		.amdhsa_next_free_sgpr 0
		.amdhsa_accum_offset 4
		.amdhsa_reserve_vcc 0
		.amdhsa_float_round_mode_32 0
		.amdhsa_float_round_mode_16_64 0
		.amdhsa_float_denorm_mode_32 3
		.amdhsa_float_denorm_mode_16_64 3
		.amdhsa_dx10_clamp 1
		.amdhsa_ieee_mode 1
		.amdhsa_fp16_overflow 0
		.amdhsa_tg_split 0
		.amdhsa_exception_fp_ieee_invalid_op 0
		.amdhsa_exception_fp_denorm_src 0
		.amdhsa_exception_fp_ieee_div_zero 0
		.amdhsa_exception_fp_ieee_overflow 0
		.amdhsa_exception_fp_ieee_underflow 0
		.amdhsa_exception_fp_ieee_inexact 0
		.amdhsa_exception_int_div_zero 0
	.end_amdhsa_kernel
	.section	.text._ZN7rocprim17ROCPRIM_400000_NS6detail17trampoline_kernelINS0_14default_configENS1_38merge_sort_block_merge_config_selectorIiiEEZZNS1_27merge_sort_block_merge_implIS3_N6thrust23THRUST_200600_302600_NS6detail15normal_iteratorINS8_10device_ptrIiEEEESD_jNS1_19radix_merge_compareILb1ELb0EiNS0_19identity_decomposerEEEEE10hipError_tT0_T1_T2_jT3_P12ihipStream_tbPNSt15iterator_traitsISI_E10value_typeEPNSO_ISJ_E10value_typeEPSK_NS1_7vsmem_tEENKUlT_SI_SJ_SK_E_clIPiSD_S10_SD_EESH_SX_SI_SJ_SK_EUlSX_E1_NS1_11comp_targetILNS1_3genE10ELNS1_11target_archE1201ELNS1_3gpuE5ELNS1_3repE0EEENS1_36merge_oddeven_config_static_selectorELNS0_4arch9wavefront6targetE1EEEvSJ_,"axG",@progbits,_ZN7rocprim17ROCPRIM_400000_NS6detail17trampoline_kernelINS0_14default_configENS1_38merge_sort_block_merge_config_selectorIiiEEZZNS1_27merge_sort_block_merge_implIS3_N6thrust23THRUST_200600_302600_NS6detail15normal_iteratorINS8_10device_ptrIiEEEESD_jNS1_19radix_merge_compareILb1ELb0EiNS0_19identity_decomposerEEEEE10hipError_tT0_T1_T2_jT3_P12ihipStream_tbPNSt15iterator_traitsISI_E10value_typeEPNSO_ISJ_E10value_typeEPSK_NS1_7vsmem_tEENKUlT_SI_SJ_SK_E_clIPiSD_S10_SD_EESH_SX_SI_SJ_SK_EUlSX_E1_NS1_11comp_targetILNS1_3genE10ELNS1_11target_archE1201ELNS1_3gpuE5ELNS1_3repE0EEENS1_36merge_oddeven_config_static_selectorELNS0_4arch9wavefront6targetE1EEEvSJ_,comdat
.Lfunc_end902:
	.size	_ZN7rocprim17ROCPRIM_400000_NS6detail17trampoline_kernelINS0_14default_configENS1_38merge_sort_block_merge_config_selectorIiiEEZZNS1_27merge_sort_block_merge_implIS3_N6thrust23THRUST_200600_302600_NS6detail15normal_iteratorINS8_10device_ptrIiEEEESD_jNS1_19radix_merge_compareILb1ELb0EiNS0_19identity_decomposerEEEEE10hipError_tT0_T1_T2_jT3_P12ihipStream_tbPNSt15iterator_traitsISI_E10value_typeEPNSO_ISJ_E10value_typeEPSK_NS1_7vsmem_tEENKUlT_SI_SJ_SK_E_clIPiSD_S10_SD_EESH_SX_SI_SJ_SK_EUlSX_E1_NS1_11comp_targetILNS1_3genE10ELNS1_11target_archE1201ELNS1_3gpuE5ELNS1_3repE0EEENS1_36merge_oddeven_config_static_selectorELNS0_4arch9wavefront6targetE1EEEvSJ_, .Lfunc_end902-_ZN7rocprim17ROCPRIM_400000_NS6detail17trampoline_kernelINS0_14default_configENS1_38merge_sort_block_merge_config_selectorIiiEEZZNS1_27merge_sort_block_merge_implIS3_N6thrust23THRUST_200600_302600_NS6detail15normal_iteratorINS8_10device_ptrIiEEEESD_jNS1_19radix_merge_compareILb1ELb0EiNS0_19identity_decomposerEEEEE10hipError_tT0_T1_T2_jT3_P12ihipStream_tbPNSt15iterator_traitsISI_E10value_typeEPNSO_ISJ_E10value_typeEPSK_NS1_7vsmem_tEENKUlT_SI_SJ_SK_E_clIPiSD_S10_SD_EESH_SX_SI_SJ_SK_EUlSX_E1_NS1_11comp_targetILNS1_3genE10ELNS1_11target_archE1201ELNS1_3gpuE5ELNS1_3repE0EEENS1_36merge_oddeven_config_static_selectorELNS0_4arch9wavefront6targetE1EEEvSJ_
                                        ; -- End function
	.set _ZN7rocprim17ROCPRIM_400000_NS6detail17trampoline_kernelINS0_14default_configENS1_38merge_sort_block_merge_config_selectorIiiEEZZNS1_27merge_sort_block_merge_implIS3_N6thrust23THRUST_200600_302600_NS6detail15normal_iteratorINS8_10device_ptrIiEEEESD_jNS1_19radix_merge_compareILb1ELb0EiNS0_19identity_decomposerEEEEE10hipError_tT0_T1_T2_jT3_P12ihipStream_tbPNSt15iterator_traitsISI_E10value_typeEPNSO_ISJ_E10value_typeEPSK_NS1_7vsmem_tEENKUlT_SI_SJ_SK_E_clIPiSD_S10_SD_EESH_SX_SI_SJ_SK_EUlSX_E1_NS1_11comp_targetILNS1_3genE10ELNS1_11target_archE1201ELNS1_3gpuE5ELNS1_3repE0EEENS1_36merge_oddeven_config_static_selectorELNS0_4arch9wavefront6targetE1EEEvSJ_.num_vgpr, 0
	.set _ZN7rocprim17ROCPRIM_400000_NS6detail17trampoline_kernelINS0_14default_configENS1_38merge_sort_block_merge_config_selectorIiiEEZZNS1_27merge_sort_block_merge_implIS3_N6thrust23THRUST_200600_302600_NS6detail15normal_iteratorINS8_10device_ptrIiEEEESD_jNS1_19radix_merge_compareILb1ELb0EiNS0_19identity_decomposerEEEEE10hipError_tT0_T1_T2_jT3_P12ihipStream_tbPNSt15iterator_traitsISI_E10value_typeEPNSO_ISJ_E10value_typeEPSK_NS1_7vsmem_tEENKUlT_SI_SJ_SK_E_clIPiSD_S10_SD_EESH_SX_SI_SJ_SK_EUlSX_E1_NS1_11comp_targetILNS1_3genE10ELNS1_11target_archE1201ELNS1_3gpuE5ELNS1_3repE0EEENS1_36merge_oddeven_config_static_selectorELNS0_4arch9wavefront6targetE1EEEvSJ_.num_agpr, 0
	.set _ZN7rocprim17ROCPRIM_400000_NS6detail17trampoline_kernelINS0_14default_configENS1_38merge_sort_block_merge_config_selectorIiiEEZZNS1_27merge_sort_block_merge_implIS3_N6thrust23THRUST_200600_302600_NS6detail15normal_iteratorINS8_10device_ptrIiEEEESD_jNS1_19radix_merge_compareILb1ELb0EiNS0_19identity_decomposerEEEEE10hipError_tT0_T1_T2_jT3_P12ihipStream_tbPNSt15iterator_traitsISI_E10value_typeEPNSO_ISJ_E10value_typeEPSK_NS1_7vsmem_tEENKUlT_SI_SJ_SK_E_clIPiSD_S10_SD_EESH_SX_SI_SJ_SK_EUlSX_E1_NS1_11comp_targetILNS1_3genE10ELNS1_11target_archE1201ELNS1_3gpuE5ELNS1_3repE0EEENS1_36merge_oddeven_config_static_selectorELNS0_4arch9wavefront6targetE1EEEvSJ_.numbered_sgpr, 0
	.set _ZN7rocprim17ROCPRIM_400000_NS6detail17trampoline_kernelINS0_14default_configENS1_38merge_sort_block_merge_config_selectorIiiEEZZNS1_27merge_sort_block_merge_implIS3_N6thrust23THRUST_200600_302600_NS6detail15normal_iteratorINS8_10device_ptrIiEEEESD_jNS1_19radix_merge_compareILb1ELb0EiNS0_19identity_decomposerEEEEE10hipError_tT0_T1_T2_jT3_P12ihipStream_tbPNSt15iterator_traitsISI_E10value_typeEPNSO_ISJ_E10value_typeEPSK_NS1_7vsmem_tEENKUlT_SI_SJ_SK_E_clIPiSD_S10_SD_EESH_SX_SI_SJ_SK_EUlSX_E1_NS1_11comp_targetILNS1_3genE10ELNS1_11target_archE1201ELNS1_3gpuE5ELNS1_3repE0EEENS1_36merge_oddeven_config_static_selectorELNS0_4arch9wavefront6targetE1EEEvSJ_.num_named_barrier, 0
	.set _ZN7rocprim17ROCPRIM_400000_NS6detail17trampoline_kernelINS0_14default_configENS1_38merge_sort_block_merge_config_selectorIiiEEZZNS1_27merge_sort_block_merge_implIS3_N6thrust23THRUST_200600_302600_NS6detail15normal_iteratorINS8_10device_ptrIiEEEESD_jNS1_19radix_merge_compareILb1ELb0EiNS0_19identity_decomposerEEEEE10hipError_tT0_T1_T2_jT3_P12ihipStream_tbPNSt15iterator_traitsISI_E10value_typeEPNSO_ISJ_E10value_typeEPSK_NS1_7vsmem_tEENKUlT_SI_SJ_SK_E_clIPiSD_S10_SD_EESH_SX_SI_SJ_SK_EUlSX_E1_NS1_11comp_targetILNS1_3genE10ELNS1_11target_archE1201ELNS1_3gpuE5ELNS1_3repE0EEENS1_36merge_oddeven_config_static_selectorELNS0_4arch9wavefront6targetE1EEEvSJ_.private_seg_size, 0
	.set _ZN7rocprim17ROCPRIM_400000_NS6detail17trampoline_kernelINS0_14default_configENS1_38merge_sort_block_merge_config_selectorIiiEEZZNS1_27merge_sort_block_merge_implIS3_N6thrust23THRUST_200600_302600_NS6detail15normal_iteratorINS8_10device_ptrIiEEEESD_jNS1_19radix_merge_compareILb1ELb0EiNS0_19identity_decomposerEEEEE10hipError_tT0_T1_T2_jT3_P12ihipStream_tbPNSt15iterator_traitsISI_E10value_typeEPNSO_ISJ_E10value_typeEPSK_NS1_7vsmem_tEENKUlT_SI_SJ_SK_E_clIPiSD_S10_SD_EESH_SX_SI_SJ_SK_EUlSX_E1_NS1_11comp_targetILNS1_3genE10ELNS1_11target_archE1201ELNS1_3gpuE5ELNS1_3repE0EEENS1_36merge_oddeven_config_static_selectorELNS0_4arch9wavefront6targetE1EEEvSJ_.uses_vcc, 0
	.set _ZN7rocprim17ROCPRIM_400000_NS6detail17trampoline_kernelINS0_14default_configENS1_38merge_sort_block_merge_config_selectorIiiEEZZNS1_27merge_sort_block_merge_implIS3_N6thrust23THRUST_200600_302600_NS6detail15normal_iteratorINS8_10device_ptrIiEEEESD_jNS1_19radix_merge_compareILb1ELb0EiNS0_19identity_decomposerEEEEE10hipError_tT0_T1_T2_jT3_P12ihipStream_tbPNSt15iterator_traitsISI_E10value_typeEPNSO_ISJ_E10value_typeEPSK_NS1_7vsmem_tEENKUlT_SI_SJ_SK_E_clIPiSD_S10_SD_EESH_SX_SI_SJ_SK_EUlSX_E1_NS1_11comp_targetILNS1_3genE10ELNS1_11target_archE1201ELNS1_3gpuE5ELNS1_3repE0EEENS1_36merge_oddeven_config_static_selectorELNS0_4arch9wavefront6targetE1EEEvSJ_.uses_flat_scratch, 0
	.set _ZN7rocprim17ROCPRIM_400000_NS6detail17trampoline_kernelINS0_14default_configENS1_38merge_sort_block_merge_config_selectorIiiEEZZNS1_27merge_sort_block_merge_implIS3_N6thrust23THRUST_200600_302600_NS6detail15normal_iteratorINS8_10device_ptrIiEEEESD_jNS1_19radix_merge_compareILb1ELb0EiNS0_19identity_decomposerEEEEE10hipError_tT0_T1_T2_jT3_P12ihipStream_tbPNSt15iterator_traitsISI_E10value_typeEPNSO_ISJ_E10value_typeEPSK_NS1_7vsmem_tEENKUlT_SI_SJ_SK_E_clIPiSD_S10_SD_EESH_SX_SI_SJ_SK_EUlSX_E1_NS1_11comp_targetILNS1_3genE10ELNS1_11target_archE1201ELNS1_3gpuE5ELNS1_3repE0EEENS1_36merge_oddeven_config_static_selectorELNS0_4arch9wavefront6targetE1EEEvSJ_.has_dyn_sized_stack, 0
	.set _ZN7rocprim17ROCPRIM_400000_NS6detail17trampoline_kernelINS0_14default_configENS1_38merge_sort_block_merge_config_selectorIiiEEZZNS1_27merge_sort_block_merge_implIS3_N6thrust23THRUST_200600_302600_NS6detail15normal_iteratorINS8_10device_ptrIiEEEESD_jNS1_19radix_merge_compareILb1ELb0EiNS0_19identity_decomposerEEEEE10hipError_tT0_T1_T2_jT3_P12ihipStream_tbPNSt15iterator_traitsISI_E10value_typeEPNSO_ISJ_E10value_typeEPSK_NS1_7vsmem_tEENKUlT_SI_SJ_SK_E_clIPiSD_S10_SD_EESH_SX_SI_SJ_SK_EUlSX_E1_NS1_11comp_targetILNS1_3genE10ELNS1_11target_archE1201ELNS1_3gpuE5ELNS1_3repE0EEENS1_36merge_oddeven_config_static_selectorELNS0_4arch9wavefront6targetE1EEEvSJ_.has_recursion, 0
	.set _ZN7rocprim17ROCPRIM_400000_NS6detail17trampoline_kernelINS0_14default_configENS1_38merge_sort_block_merge_config_selectorIiiEEZZNS1_27merge_sort_block_merge_implIS3_N6thrust23THRUST_200600_302600_NS6detail15normal_iteratorINS8_10device_ptrIiEEEESD_jNS1_19radix_merge_compareILb1ELb0EiNS0_19identity_decomposerEEEEE10hipError_tT0_T1_T2_jT3_P12ihipStream_tbPNSt15iterator_traitsISI_E10value_typeEPNSO_ISJ_E10value_typeEPSK_NS1_7vsmem_tEENKUlT_SI_SJ_SK_E_clIPiSD_S10_SD_EESH_SX_SI_SJ_SK_EUlSX_E1_NS1_11comp_targetILNS1_3genE10ELNS1_11target_archE1201ELNS1_3gpuE5ELNS1_3repE0EEENS1_36merge_oddeven_config_static_selectorELNS0_4arch9wavefront6targetE1EEEvSJ_.has_indirect_call, 0
	.section	.AMDGPU.csdata,"",@progbits
; Kernel info:
; codeLenInByte = 0
; TotalNumSgprs: 6
; NumVgprs: 0
; NumAgprs: 0
; TotalNumVgprs: 0
; ScratchSize: 0
; MemoryBound: 0
; FloatMode: 240
; IeeeMode: 1
; LDSByteSize: 0 bytes/workgroup (compile time only)
; SGPRBlocks: 0
; VGPRBlocks: 0
; NumSGPRsForWavesPerEU: 6
; NumVGPRsForWavesPerEU: 1
; AccumOffset: 4
; Occupancy: 8
; WaveLimiterHint : 0
; COMPUTE_PGM_RSRC2:SCRATCH_EN: 0
; COMPUTE_PGM_RSRC2:USER_SGPR: 2
; COMPUTE_PGM_RSRC2:TRAP_HANDLER: 0
; COMPUTE_PGM_RSRC2:TGID_X_EN: 1
; COMPUTE_PGM_RSRC2:TGID_Y_EN: 0
; COMPUTE_PGM_RSRC2:TGID_Z_EN: 0
; COMPUTE_PGM_RSRC2:TIDIG_COMP_CNT: 0
; COMPUTE_PGM_RSRC3_GFX90A:ACCUM_OFFSET: 0
; COMPUTE_PGM_RSRC3_GFX90A:TG_SPLIT: 0
	.section	.text._ZN7rocprim17ROCPRIM_400000_NS6detail17trampoline_kernelINS0_14default_configENS1_38merge_sort_block_merge_config_selectorIiiEEZZNS1_27merge_sort_block_merge_implIS3_N6thrust23THRUST_200600_302600_NS6detail15normal_iteratorINS8_10device_ptrIiEEEESD_jNS1_19radix_merge_compareILb1ELb0EiNS0_19identity_decomposerEEEEE10hipError_tT0_T1_T2_jT3_P12ihipStream_tbPNSt15iterator_traitsISI_E10value_typeEPNSO_ISJ_E10value_typeEPSK_NS1_7vsmem_tEENKUlT_SI_SJ_SK_E_clIPiSD_S10_SD_EESH_SX_SI_SJ_SK_EUlSX_E1_NS1_11comp_targetILNS1_3genE5ELNS1_11target_archE942ELNS1_3gpuE9ELNS1_3repE0EEENS1_36merge_oddeven_config_static_selectorELNS0_4arch9wavefront6targetE1EEEvSJ_,"axG",@progbits,_ZN7rocprim17ROCPRIM_400000_NS6detail17trampoline_kernelINS0_14default_configENS1_38merge_sort_block_merge_config_selectorIiiEEZZNS1_27merge_sort_block_merge_implIS3_N6thrust23THRUST_200600_302600_NS6detail15normal_iteratorINS8_10device_ptrIiEEEESD_jNS1_19radix_merge_compareILb1ELb0EiNS0_19identity_decomposerEEEEE10hipError_tT0_T1_T2_jT3_P12ihipStream_tbPNSt15iterator_traitsISI_E10value_typeEPNSO_ISJ_E10value_typeEPSK_NS1_7vsmem_tEENKUlT_SI_SJ_SK_E_clIPiSD_S10_SD_EESH_SX_SI_SJ_SK_EUlSX_E1_NS1_11comp_targetILNS1_3genE5ELNS1_11target_archE942ELNS1_3gpuE9ELNS1_3repE0EEENS1_36merge_oddeven_config_static_selectorELNS0_4arch9wavefront6targetE1EEEvSJ_,comdat
	.protected	_ZN7rocprim17ROCPRIM_400000_NS6detail17trampoline_kernelINS0_14default_configENS1_38merge_sort_block_merge_config_selectorIiiEEZZNS1_27merge_sort_block_merge_implIS3_N6thrust23THRUST_200600_302600_NS6detail15normal_iteratorINS8_10device_ptrIiEEEESD_jNS1_19radix_merge_compareILb1ELb0EiNS0_19identity_decomposerEEEEE10hipError_tT0_T1_T2_jT3_P12ihipStream_tbPNSt15iterator_traitsISI_E10value_typeEPNSO_ISJ_E10value_typeEPSK_NS1_7vsmem_tEENKUlT_SI_SJ_SK_E_clIPiSD_S10_SD_EESH_SX_SI_SJ_SK_EUlSX_E1_NS1_11comp_targetILNS1_3genE5ELNS1_11target_archE942ELNS1_3gpuE9ELNS1_3repE0EEENS1_36merge_oddeven_config_static_selectorELNS0_4arch9wavefront6targetE1EEEvSJ_ ; -- Begin function _ZN7rocprim17ROCPRIM_400000_NS6detail17trampoline_kernelINS0_14default_configENS1_38merge_sort_block_merge_config_selectorIiiEEZZNS1_27merge_sort_block_merge_implIS3_N6thrust23THRUST_200600_302600_NS6detail15normal_iteratorINS8_10device_ptrIiEEEESD_jNS1_19radix_merge_compareILb1ELb0EiNS0_19identity_decomposerEEEEE10hipError_tT0_T1_T2_jT3_P12ihipStream_tbPNSt15iterator_traitsISI_E10value_typeEPNSO_ISJ_E10value_typeEPSK_NS1_7vsmem_tEENKUlT_SI_SJ_SK_E_clIPiSD_S10_SD_EESH_SX_SI_SJ_SK_EUlSX_E1_NS1_11comp_targetILNS1_3genE5ELNS1_11target_archE942ELNS1_3gpuE9ELNS1_3repE0EEENS1_36merge_oddeven_config_static_selectorELNS0_4arch9wavefront6targetE1EEEvSJ_
	.globl	_ZN7rocprim17ROCPRIM_400000_NS6detail17trampoline_kernelINS0_14default_configENS1_38merge_sort_block_merge_config_selectorIiiEEZZNS1_27merge_sort_block_merge_implIS3_N6thrust23THRUST_200600_302600_NS6detail15normal_iteratorINS8_10device_ptrIiEEEESD_jNS1_19radix_merge_compareILb1ELb0EiNS0_19identity_decomposerEEEEE10hipError_tT0_T1_T2_jT3_P12ihipStream_tbPNSt15iterator_traitsISI_E10value_typeEPNSO_ISJ_E10value_typeEPSK_NS1_7vsmem_tEENKUlT_SI_SJ_SK_E_clIPiSD_S10_SD_EESH_SX_SI_SJ_SK_EUlSX_E1_NS1_11comp_targetILNS1_3genE5ELNS1_11target_archE942ELNS1_3gpuE9ELNS1_3repE0EEENS1_36merge_oddeven_config_static_selectorELNS0_4arch9wavefront6targetE1EEEvSJ_
	.p2align	8
	.type	_ZN7rocprim17ROCPRIM_400000_NS6detail17trampoline_kernelINS0_14default_configENS1_38merge_sort_block_merge_config_selectorIiiEEZZNS1_27merge_sort_block_merge_implIS3_N6thrust23THRUST_200600_302600_NS6detail15normal_iteratorINS8_10device_ptrIiEEEESD_jNS1_19radix_merge_compareILb1ELb0EiNS0_19identity_decomposerEEEEE10hipError_tT0_T1_T2_jT3_P12ihipStream_tbPNSt15iterator_traitsISI_E10value_typeEPNSO_ISJ_E10value_typeEPSK_NS1_7vsmem_tEENKUlT_SI_SJ_SK_E_clIPiSD_S10_SD_EESH_SX_SI_SJ_SK_EUlSX_E1_NS1_11comp_targetILNS1_3genE5ELNS1_11target_archE942ELNS1_3gpuE9ELNS1_3repE0EEENS1_36merge_oddeven_config_static_selectorELNS0_4arch9wavefront6targetE1EEEvSJ_,@function
_ZN7rocprim17ROCPRIM_400000_NS6detail17trampoline_kernelINS0_14default_configENS1_38merge_sort_block_merge_config_selectorIiiEEZZNS1_27merge_sort_block_merge_implIS3_N6thrust23THRUST_200600_302600_NS6detail15normal_iteratorINS8_10device_ptrIiEEEESD_jNS1_19radix_merge_compareILb1ELb0EiNS0_19identity_decomposerEEEEE10hipError_tT0_T1_T2_jT3_P12ihipStream_tbPNSt15iterator_traitsISI_E10value_typeEPNSO_ISJ_E10value_typeEPSK_NS1_7vsmem_tEENKUlT_SI_SJ_SK_E_clIPiSD_S10_SD_EESH_SX_SI_SJ_SK_EUlSX_E1_NS1_11comp_targetILNS1_3genE5ELNS1_11target_archE942ELNS1_3gpuE9ELNS1_3repE0EEENS1_36merge_oddeven_config_static_selectorELNS0_4arch9wavefront6targetE1EEEvSJ_: ; @_ZN7rocprim17ROCPRIM_400000_NS6detail17trampoline_kernelINS0_14default_configENS1_38merge_sort_block_merge_config_selectorIiiEEZZNS1_27merge_sort_block_merge_implIS3_N6thrust23THRUST_200600_302600_NS6detail15normal_iteratorINS8_10device_ptrIiEEEESD_jNS1_19radix_merge_compareILb1ELb0EiNS0_19identity_decomposerEEEEE10hipError_tT0_T1_T2_jT3_P12ihipStream_tbPNSt15iterator_traitsISI_E10value_typeEPNSO_ISJ_E10value_typeEPSK_NS1_7vsmem_tEENKUlT_SI_SJ_SK_E_clIPiSD_S10_SD_EESH_SX_SI_SJ_SK_EUlSX_E1_NS1_11comp_targetILNS1_3genE5ELNS1_11target_archE942ELNS1_3gpuE9ELNS1_3repE0EEENS1_36merge_oddeven_config_static_selectorELNS0_4arch9wavefront6targetE1EEEvSJ_
; %bb.0:
	.section	.rodata,"a",@progbits
	.p2align	6, 0x0
	.amdhsa_kernel _ZN7rocprim17ROCPRIM_400000_NS6detail17trampoline_kernelINS0_14default_configENS1_38merge_sort_block_merge_config_selectorIiiEEZZNS1_27merge_sort_block_merge_implIS3_N6thrust23THRUST_200600_302600_NS6detail15normal_iteratorINS8_10device_ptrIiEEEESD_jNS1_19radix_merge_compareILb1ELb0EiNS0_19identity_decomposerEEEEE10hipError_tT0_T1_T2_jT3_P12ihipStream_tbPNSt15iterator_traitsISI_E10value_typeEPNSO_ISJ_E10value_typeEPSK_NS1_7vsmem_tEENKUlT_SI_SJ_SK_E_clIPiSD_S10_SD_EESH_SX_SI_SJ_SK_EUlSX_E1_NS1_11comp_targetILNS1_3genE5ELNS1_11target_archE942ELNS1_3gpuE9ELNS1_3repE0EEENS1_36merge_oddeven_config_static_selectorELNS0_4arch9wavefront6targetE1EEEvSJ_
		.amdhsa_group_segment_fixed_size 0
		.amdhsa_private_segment_fixed_size 0
		.amdhsa_kernarg_size 48
		.amdhsa_user_sgpr_count 2
		.amdhsa_user_sgpr_dispatch_ptr 0
		.amdhsa_user_sgpr_queue_ptr 0
		.amdhsa_user_sgpr_kernarg_segment_ptr 1
		.amdhsa_user_sgpr_dispatch_id 0
		.amdhsa_user_sgpr_kernarg_preload_length 0
		.amdhsa_user_sgpr_kernarg_preload_offset 0
		.amdhsa_user_sgpr_private_segment_size 0
		.amdhsa_uses_dynamic_stack 0
		.amdhsa_enable_private_segment 0
		.amdhsa_system_sgpr_workgroup_id_x 1
		.amdhsa_system_sgpr_workgroup_id_y 0
		.amdhsa_system_sgpr_workgroup_id_z 0
		.amdhsa_system_sgpr_workgroup_info 0
		.amdhsa_system_vgpr_workitem_id 0
		.amdhsa_next_free_vgpr 1
		.amdhsa_next_free_sgpr 0
		.amdhsa_accum_offset 4
		.amdhsa_reserve_vcc 0
		.amdhsa_float_round_mode_32 0
		.amdhsa_float_round_mode_16_64 0
		.amdhsa_float_denorm_mode_32 3
		.amdhsa_float_denorm_mode_16_64 3
		.amdhsa_dx10_clamp 1
		.amdhsa_ieee_mode 1
		.amdhsa_fp16_overflow 0
		.amdhsa_tg_split 0
		.amdhsa_exception_fp_ieee_invalid_op 0
		.amdhsa_exception_fp_denorm_src 0
		.amdhsa_exception_fp_ieee_div_zero 0
		.amdhsa_exception_fp_ieee_overflow 0
		.amdhsa_exception_fp_ieee_underflow 0
		.amdhsa_exception_fp_ieee_inexact 0
		.amdhsa_exception_int_div_zero 0
	.end_amdhsa_kernel
	.section	.text._ZN7rocprim17ROCPRIM_400000_NS6detail17trampoline_kernelINS0_14default_configENS1_38merge_sort_block_merge_config_selectorIiiEEZZNS1_27merge_sort_block_merge_implIS3_N6thrust23THRUST_200600_302600_NS6detail15normal_iteratorINS8_10device_ptrIiEEEESD_jNS1_19radix_merge_compareILb1ELb0EiNS0_19identity_decomposerEEEEE10hipError_tT0_T1_T2_jT3_P12ihipStream_tbPNSt15iterator_traitsISI_E10value_typeEPNSO_ISJ_E10value_typeEPSK_NS1_7vsmem_tEENKUlT_SI_SJ_SK_E_clIPiSD_S10_SD_EESH_SX_SI_SJ_SK_EUlSX_E1_NS1_11comp_targetILNS1_3genE5ELNS1_11target_archE942ELNS1_3gpuE9ELNS1_3repE0EEENS1_36merge_oddeven_config_static_selectorELNS0_4arch9wavefront6targetE1EEEvSJ_,"axG",@progbits,_ZN7rocprim17ROCPRIM_400000_NS6detail17trampoline_kernelINS0_14default_configENS1_38merge_sort_block_merge_config_selectorIiiEEZZNS1_27merge_sort_block_merge_implIS3_N6thrust23THRUST_200600_302600_NS6detail15normal_iteratorINS8_10device_ptrIiEEEESD_jNS1_19radix_merge_compareILb1ELb0EiNS0_19identity_decomposerEEEEE10hipError_tT0_T1_T2_jT3_P12ihipStream_tbPNSt15iterator_traitsISI_E10value_typeEPNSO_ISJ_E10value_typeEPSK_NS1_7vsmem_tEENKUlT_SI_SJ_SK_E_clIPiSD_S10_SD_EESH_SX_SI_SJ_SK_EUlSX_E1_NS1_11comp_targetILNS1_3genE5ELNS1_11target_archE942ELNS1_3gpuE9ELNS1_3repE0EEENS1_36merge_oddeven_config_static_selectorELNS0_4arch9wavefront6targetE1EEEvSJ_,comdat
.Lfunc_end903:
	.size	_ZN7rocprim17ROCPRIM_400000_NS6detail17trampoline_kernelINS0_14default_configENS1_38merge_sort_block_merge_config_selectorIiiEEZZNS1_27merge_sort_block_merge_implIS3_N6thrust23THRUST_200600_302600_NS6detail15normal_iteratorINS8_10device_ptrIiEEEESD_jNS1_19radix_merge_compareILb1ELb0EiNS0_19identity_decomposerEEEEE10hipError_tT0_T1_T2_jT3_P12ihipStream_tbPNSt15iterator_traitsISI_E10value_typeEPNSO_ISJ_E10value_typeEPSK_NS1_7vsmem_tEENKUlT_SI_SJ_SK_E_clIPiSD_S10_SD_EESH_SX_SI_SJ_SK_EUlSX_E1_NS1_11comp_targetILNS1_3genE5ELNS1_11target_archE942ELNS1_3gpuE9ELNS1_3repE0EEENS1_36merge_oddeven_config_static_selectorELNS0_4arch9wavefront6targetE1EEEvSJ_, .Lfunc_end903-_ZN7rocprim17ROCPRIM_400000_NS6detail17trampoline_kernelINS0_14default_configENS1_38merge_sort_block_merge_config_selectorIiiEEZZNS1_27merge_sort_block_merge_implIS3_N6thrust23THRUST_200600_302600_NS6detail15normal_iteratorINS8_10device_ptrIiEEEESD_jNS1_19radix_merge_compareILb1ELb0EiNS0_19identity_decomposerEEEEE10hipError_tT0_T1_T2_jT3_P12ihipStream_tbPNSt15iterator_traitsISI_E10value_typeEPNSO_ISJ_E10value_typeEPSK_NS1_7vsmem_tEENKUlT_SI_SJ_SK_E_clIPiSD_S10_SD_EESH_SX_SI_SJ_SK_EUlSX_E1_NS1_11comp_targetILNS1_3genE5ELNS1_11target_archE942ELNS1_3gpuE9ELNS1_3repE0EEENS1_36merge_oddeven_config_static_selectorELNS0_4arch9wavefront6targetE1EEEvSJ_
                                        ; -- End function
	.set _ZN7rocprim17ROCPRIM_400000_NS6detail17trampoline_kernelINS0_14default_configENS1_38merge_sort_block_merge_config_selectorIiiEEZZNS1_27merge_sort_block_merge_implIS3_N6thrust23THRUST_200600_302600_NS6detail15normal_iteratorINS8_10device_ptrIiEEEESD_jNS1_19radix_merge_compareILb1ELb0EiNS0_19identity_decomposerEEEEE10hipError_tT0_T1_T2_jT3_P12ihipStream_tbPNSt15iterator_traitsISI_E10value_typeEPNSO_ISJ_E10value_typeEPSK_NS1_7vsmem_tEENKUlT_SI_SJ_SK_E_clIPiSD_S10_SD_EESH_SX_SI_SJ_SK_EUlSX_E1_NS1_11comp_targetILNS1_3genE5ELNS1_11target_archE942ELNS1_3gpuE9ELNS1_3repE0EEENS1_36merge_oddeven_config_static_selectorELNS0_4arch9wavefront6targetE1EEEvSJ_.num_vgpr, 0
	.set _ZN7rocprim17ROCPRIM_400000_NS6detail17trampoline_kernelINS0_14default_configENS1_38merge_sort_block_merge_config_selectorIiiEEZZNS1_27merge_sort_block_merge_implIS3_N6thrust23THRUST_200600_302600_NS6detail15normal_iteratorINS8_10device_ptrIiEEEESD_jNS1_19radix_merge_compareILb1ELb0EiNS0_19identity_decomposerEEEEE10hipError_tT0_T1_T2_jT3_P12ihipStream_tbPNSt15iterator_traitsISI_E10value_typeEPNSO_ISJ_E10value_typeEPSK_NS1_7vsmem_tEENKUlT_SI_SJ_SK_E_clIPiSD_S10_SD_EESH_SX_SI_SJ_SK_EUlSX_E1_NS1_11comp_targetILNS1_3genE5ELNS1_11target_archE942ELNS1_3gpuE9ELNS1_3repE0EEENS1_36merge_oddeven_config_static_selectorELNS0_4arch9wavefront6targetE1EEEvSJ_.num_agpr, 0
	.set _ZN7rocprim17ROCPRIM_400000_NS6detail17trampoline_kernelINS0_14default_configENS1_38merge_sort_block_merge_config_selectorIiiEEZZNS1_27merge_sort_block_merge_implIS3_N6thrust23THRUST_200600_302600_NS6detail15normal_iteratorINS8_10device_ptrIiEEEESD_jNS1_19radix_merge_compareILb1ELb0EiNS0_19identity_decomposerEEEEE10hipError_tT0_T1_T2_jT3_P12ihipStream_tbPNSt15iterator_traitsISI_E10value_typeEPNSO_ISJ_E10value_typeEPSK_NS1_7vsmem_tEENKUlT_SI_SJ_SK_E_clIPiSD_S10_SD_EESH_SX_SI_SJ_SK_EUlSX_E1_NS1_11comp_targetILNS1_3genE5ELNS1_11target_archE942ELNS1_3gpuE9ELNS1_3repE0EEENS1_36merge_oddeven_config_static_selectorELNS0_4arch9wavefront6targetE1EEEvSJ_.numbered_sgpr, 0
	.set _ZN7rocprim17ROCPRIM_400000_NS6detail17trampoline_kernelINS0_14default_configENS1_38merge_sort_block_merge_config_selectorIiiEEZZNS1_27merge_sort_block_merge_implIS3_N6thrust23THRUST_200600_302600_NS6detail15normal_iteratorINS8_10device_ptrIiEEEESD_jNS1_19radix_merge_compareILb1ELb0EiNS0_19identity_decomposerEEEEE10hipError_tT0_T1_T2_jT3_P12ihipStream_tbPNSt15iterator_traitsISI_E10value_typeEPNSO_ISJ_E10value_typeEPSK_NS1_7vsmem_tEENKUlT_SI_SJ_SK_E_clIPiSD_S10_SD_EESH_SX_SI_SJ_SK_EUlSX_E1_NS1_11comp_targetILNS1_3genE5ELNS1_11target_archE942ELNS1_3gpuE9ELNS1_3repE0EEENS1_36merge_oddeven_config_static_selectorELNS0_4arch9wavefront6targetE1EEEvSJ_.num_named_barrier, 0
	.set _ZN7rocprim17ROCPRIM_400000_NS6detail17trampoline_kernelINS0_14default_configENS1_38merge_sort_block_merge_config_selectorIiiEEZZNS1_27merge_sort_block_merge_implIS3_N6thrust23THRUST_200600_302600_NS6detail15normal_iteratorINS8_10device_ptrIiEEEESD_jNS1_19radix_merge_compareILb1ELb0EiNS0_19identity_decomposerEEEEE10hipError_tT0_T1_T2_jT3_P12ihipStream_tbPNSt15iterator_traitsISI_E10value_typeEPNSO_ISJ_E10value_typeEPSK_NS1_7vsmem_tEENKUlT_SI_SJ_SK_E_clIPiSD_S10_SD_EESH_SX_SI_SJ_SK_EUlSX_E1_NS1_11comp_targetILNS1_3genE5ELNS1_11target_archE942ELNS1_3gpuE9ELNS1_3repE0EEENS1_36merge_oddeven_config_static_selectorELNS0_4arch9wavefront6targetE1EEEvSJ_.private_seg_size, 0
	.set _ZN7rocprim17ROCPRIM_400000_NS6detail17trampoline_kernelINS0_14default_configENS1_38merge_sort_block_merge_config_selectorIiiEEZZNS1_27merge_sort_block_merge_implIS3_N6thrust23THRUST_200600_302600_NS6detail15normal_iteratorINS8_10device_ptrIiEEEESD_jNS1_19radix_merge_compareILb1ELb0EiNS0_19identity_decomposerEEEEE10hipError_tT0_T1_T2_jT3_P12ihipStream_tbPNSt15iterator_traitsISI_E10value_typeEPNSO_ISJ_E10value_typeEPSK_NS1_7vsmem_tEENKUlT_SI_SJ_SK_E_clIPiSD_S10_SD_EESH_SX_SI_SJ_SK_EUlSX_E1_NS1_11comp_targetILNS1_3genE5ELNS1_11target_archE942ELNS1_3gpuE9ELNS1_3repE0EEENS1_36merge_oddeven_config_static_selectorELNS0_4arch9wavefront6targetE1EEEvSJ_.uses_vcc, 0
	.set _ZN7rocprim17ROCPRIM_400000_NS6detail17trampoline_kernelINS0_14default_configENS1_38merge_sort_block_merge_config_selectorIiiEEZZNS1_27merge_sort_block_merge_implIS3_N6thrust23THRUST_200600_302600_NS6detail15normal_iteratorINS8_10device_ptrIiEEEESD_jNS1_19radix_merge_compareILb1ELb0EiNS0_19identity_decomposerEEEEE10hipError_tT0_T1_T2_jT3_P12ihipStream_tbPNSt15iterator_traitsISI_E10value_typeEPNSO_ISJ_E10value_typeEPSK_NS1_7vsmem_tEENKUlT_SI_SJ_SK_E_clIPiSD_S10_SD_EESH_SX_SI_SJ_SK_EUlSX_E1_NS1_11comp_targetILNS1_3genE5ELNS1_11target_archE942ELNS1_3gpuE9ELNS1_3repE0EEENS1_36merge_oddeven_config_static_selectorELNS0_4arch9wavefront6targetE1EEEvSJ_.uses_flat_scratch, 0
	.set _ZN7rocprim17ROCPRIM_400000_NS6detail17trampoline_kernelINS0_14default_configENS1_38merge_sort_block_merge_config_selectorIiiEEZZNS1_27merge_sort_block_merge_implIS3_N6thrust23THRUST_200600_302600_NS6detail15normal_iteratorINS8_10device_ptrIiEEEESD_jNS1_19radix_merge_compareILb1ELb0EiNS0_19identity_decomposerEEEEE10hipError_tT0_T1_T2_jT3_P12ihipStream_tbPNSt15iterator_traitsISI_E10value_typeEPNSO_ISJ_E10value_typeEPSK_NS1_7vsmem_tEENKUlT_SI_SJ_SK_E_clIPiSD_S10_SD_EESH_SX_SI_SJ_SK_EUlSX_E1_NS1_11comp_targetILNS1_3genE5ELNS1_11target_archE942ELNS1_3gpuE9ELNS1_3repE0EEENS1_36merge_oddeven_config_static_selectorELNS0_4arch9wavefront6targetE1EEEvSJ_.has_dyn_sized_stack, 0
	.set _ZN7rocprim17ROCPRIM_400000_NS6detail17trampoline_kernelINS0_14default_configENS1_38merge_sort_block_merge_config_selectorIiiEEZZNS1_27merge_sort_block_merge_implIS3_N6thrust23THRUST_200600_302600_NS6detail15normal_iteratorINS8_10device_ptrIiEEEESD_jNS1_19radix_merge_compareILb1ELb0EiNS0_19identity_decomposerEEEEE10hipError_tT0_T1_T2_jT3_P12ihipStream_tbPNSt15iterator_traitsISI_E10value_typeEPNSO_ISJ_E10value_typeEPSK_NS1_7vsmem_tEENKUlT_SI_SJ_SK_E_clIPiSD_S10_SD_EESH_SX_SI_SJ_SK_EUlSX_E1_NS1_11comp_targetILNS1_3genE5ELNS1_11target_archE942ELNS1_3gpuE9ELNS1_3repE0EEENS1_36merge_oddeven_config_static_selectorELNS0_4arch9wavefront6targetE1EEEvSJ_.has_recursion, 0
	.set _ZN7rocprim17ROCPRIM_400000_NS6detail17trampoline_kernelINS0_14default_configENS1_38merge_sort_block_merge_config_selectorIiiEEZZNS1_27merge_sort_block_merge_implIS3_N6thrust23THRUST_200600_302600_NS6detail15normal_iteratorINS8_10device_ptrIiEEEESD_jNS1_19radix_merge_compareILb1ELb0EiNS0_19identity_decomposerEEEEE10hipError_tT0_T1_T2_jT3_P12ihipStream_tbPNSt15iterator_traitsISI_E10value_typeEPNSO_ISJ_E10value_typeEPSK_NS1_7vsmem_tEENKUlT_SI_SJ_SK_E_clIPiSD_S10_SD_EESH_SX_SI_SJ_SK_EUlSX_E1_NS1_11comp_targetILNS1_3genE5ELNS1_11target_archE942ELNS1_3gpuE9ELNS1_3repE0EEENS1_36merge_oddeven_config_static_selectorELNS0_4arch9wavefront6targetE1EEEvSJ_.has_indirect_call, 0
	.section	.AMDGPU.csdata,"",@progbits
; Kernel info:
; codeLenInByte = 0
; TotalNumSgprs: 6
; NumVgprs: 0
; NumAgprs: 0
; TotalNumVgprs: 0
; ScratchSize: 0
; MemoryBound: 0
; FloatMode: 240
; IeeeMode: 1
; LDSByteSize: 0 bytes/workgroup (compile time only)
; SGPRBlocks: 0
; VGPRBlocks: 0
; NumSGPRsForWavesPerEU: 6
; NumVGPRsForWavesPerEU: 1
; AccumOffset: 4
; Occupancy: 8
; WaveLimiterHint : 0
; COMPUTE_PGM_RSRC2:SCRATCH_EN: 0
; COMPUTE_PGM_RSRC2:USER_SGPR: 2
; COMPUTE_PGM_RSRC2:TRAP_HANDLER: 0
; COMPUTE_PGM_RSRC2:TGID_X_EN: 1
; COMPUTE_PGM_RSRC2:TGID_Y_EN: 0
; COMPUTE_PGM_RSRC2:TGID_Z_EN: 0
; COMPUTE_PGM_RSRC2:TIDIG_COMP_CNT: 0
; COMPUTE_PGM_RSRC3_GFX90A:ACCUM_OFFSET: 0
; COMPUTE_PGM_RSRC3_GFX90A:TG_SPLIT: 0
	.section	.text._ZN7rocprim17ROCPRIM_400000_NS6detail17trampoline_kernelINS0_14default_configENS1_38merge_sort_block_merge_config_selectorIiiEEZZNS1_27merge_sort_block_merge_implIS3_N6thrust23THRUST_200600_302600_NS6detail15normal_iteratorINS8_10device_ptrIiEEEESD_jNS1_19radix_merge_compareILb1ELb0EiNS0_19identity_decomposerEEEEE10hipError_tT0_T1_T2_jT3_P12ihipStream_tbPNSt15iterator_traitsISI_E10value_typeEPNSO_ISJ_E10value_typeEPSK_NS1_7vsmem_tEENKUlT_SI_SJ_SK_E_clIPiSD_S10_SD_EESH_SX_SI_SJ_SK_EUlSX_E1_NS1_11comp_targetILNS1_3genE4ELNS1_11target_archE910ELNS1_3gpuE8ELNS1_3repE0EEENS1_36merge_oddeven_config_static_selectorELNS0_4arch9wavefront6targetE1EEEvSJ_,"axG",@progbits,_ZN7rocprim17ROCPRIM_400000_NS6detail17trampoline_kernelINS0_14default_configENS1_38merge_sort_block_merge_config_selectorIiiEEZZNS1_27merge_sort_block_merge_implIS3_N6thrust23THRUST_200600_302600_NS6detail15normal_iteratorINS8_10device_ptrIiEEEESD_jNS1_19radix_merge_compareILb1ELb0EiNS0_19identity_decomposerEEEEE10hipError_tT0_T1_T2_jT3_P12ihipStream_tbPNSt15iterator_traitsISI_E10value_typeEPNSO_ISJ_E10value_typeEPSK_NS1_7vsmem_tEENKUlT_SI_SJ_SK_E_clIPiSD_S10_SD_EESH_SX_SI_SJ_SK_EUlSX_E1_NS1_11comp_targetILNS1_3genE4ELNS1_11target_archE910ELNS1_3gpuE8ELNS1_3repE0EEENS1_36merge_oddeven_config_static_selectorELNS0_4arch9wavefront6targetE1EEEvSJ_,comdat
	.protected	_ZN7rocprim17ROCPRIM_400000_NS6detail17trampoline_kernelINS0_14default_configENS1_38merge_sort_block_merge_config_selectorIiiEEZZNS1_27merge_sort_block_merge_implIS3_N6thrust23THRUST_200600_302600_NS6detail15normal_iteratorINS8_10device_ptrIiEEEESD_jNS1_19radix_merge_compareILb1ELb0EiNS0_19identity_decomposerEEEEE10hipError_tT0_T1_T2_jT3_P12ihipStream_tbPNSt15iterator_traitsISI_E10value_typeEPNSO_ISJ_E10value_typeEPSK_NS1_7vsmem_tEENKUlT_SI_SJ_SK_E_clIPiSD_S10_SD_EESH_SX_SI_SJ_SK_EUlSX_E1_NS1_11comp_targetILNS1_3genE4ELNS1_11target_archE910ELNS1_3gpuE8ELNS1_3repE0EEENS1_36merge_oddeven_config_static_selectorELNS0_4arch9wavefront6targetE1EEEvSJ_ ; -- Begin function _ZN7rocprim17ROCPRIM_400000_NS6detail17trampoline_kernelINS0_14default_configENS1_38merge_sort_block_merge_config_selectorIiiEEZZNS1_27merge_sort_block_merge_implIS3_N6thrust23THRUST_200600_302600_NS6detail15normal_iteratorINS8_10device_ptrIiEEEESD_jNS1_19radix_merge_compareILb1ELb0EiNS0_19identity_decomposerEEEEE10hipError_tT0_T1_T2_jT3_P12ihipStream_tbPNSt15iterator_traitsISI_E10value_typeEPNSO_ISJ_E10value_typeEPSK_NS1_7vsmem_tEENKUlT_SI_SJ_SK_E_clIPiSD_S10_SD_EESH_SX_SI_SJ_SK_EUlSX_E1_NS1_11comp_targetILNS1_3genE4ELNS1_11target_archE910ELNS1_3gpuE8ELNS1_3repE0EEENS1_36merge_oddeven_config_static_selectorELNS0_4arch9wavefront6targetE1EEEvSJ_
	.globl	_ZN7rocprim17ROCPRIM_400000_NS6detail17trampoline_kernelINS0_14default_configENS1_38merge_sort_block_merge_config_selectorIiiEEZZNS1_27merge_sort_block_merge_implIS3_N6thrust23THRUST_200600_302600_NS6detail15normal_iteratorINS8_10device_ptrIiEEEESD_jNS1_19radix_merge_compareILb1ELb0EiNS0_19identity_decomposerEEEEE10hipError_tT0_T1_T2_jT3_P12ihipStream_tbPNSt15iterator_traitsISI_E10value_typeEPNSO_ISJ_E10value_typeEPSK_NS1_7vsmem_tEENKUlT_SI_SJ_SK_E_clIPiSD_S10_SD_EESH_SX_SI_SJ_SK_EUlSX_E1_NS1_11comp_targetILNS1_3genE4ELNS1_11target_archE910ELNS1_3gpuE8ELNS1_3repE0EEENS1_36merge_oddeven_config_static_selectorELNS0_4arch9wavefront6targetE1EEEvSJ_
	.p2align	8
	.type	_ZN7rocprim17ROCPRIM_400000_NS6detail17trampoline_kernelINS0_14default_configENS1_38merge_sort_block_merge_config_selectorIiiEEZZNS1_27merge_sort_block_merge_implIS3_N6thrust23THRUST_200600_302600_NS6detail15normal_iteratorINS8_10device_ptrIiEEEESD_jNS1_19radix_merge_compareILb1ELb0EiNS0_19identity_decomposerEEEEE10hipError_tT0_T1_T2_jT3_P12ihipStream_tbPNSt15iterator_traitsISI_E10value_typeEPNSO_ISJ_E10value_typeEPSK_NS1_7vsmem_tEENKUlT_SI_SJ_SK_E_clIPiSD_S10_SD_EESH_SX_SI_SJ_SK_EUlSX_E1_NS1_11comp_targetILNS1_3genE4ELNS1_11target_archE910ELNS1_3gpuE8ELNS1_3repE0EEENS1_36merge_oddeven_config_static_selectorELNS0_4arch9wavefront6targetE1EEEvSJ_,@function
_ZN7rocprim17ROCPRIM_400000_NS6detail17trampoline_kernelINS0_14default_configENS1_38merge_sort_block_merge_config_selectorIiiEEZZNS1_27merge_sort_block_merge_implIS3_N6thrust23THRUST_200600_302600_NS6detail15normal_iteratorINS8_10device_ptrIiEEEESD_jNS1_19radix_merge_compareILb1ELb0EiNS0_19identity_decomposerEEEEE10hipError_tT0_T1_T2_jT3_P12ihipStream_tbPNSt15iterator_traitsISI_E10value_typeEPNSO_ISJ_E10value_typeEPSK_NS1_7vsmem_tEENKUlT_SI_SJ_SK_E_clIPiSD_S10_SD_EESH_SX_SI_SJ_SK_EUlSX_E1_NS1_11comp_targetILNS1_3genE4ELNS1_11target_archE910ELNS1_3gpuE8ELNS1_3repE0EEENS1_36merge_oddeven_config_static_selectorELNS0_4arch9wavefront6targetE1EEEvSJ_: ; @_ZN7rocprim17ROCPRIM_400000_NS6detail17trampoline_kernelINS0_14default_configENS1_38merge_sort_block_merge_config_selectorIiiEEZZNS1_27merge_sort_block_merge_implIS3_N6thrust23THRUST_200600_302600_NS6detail15normal_iteratorINS8_10device_ptrIiEEEESD_jNS1_19radix_merge_compareILb1ELb0EiNS0_19identity_decomposerEEEEE10hipError_tT0_T1_T2_jT3_P12ihipStream_tbPNSt15iterator_traitsISI_E10value_typeEPNSO_ISJ_E10value_typeEPSK_NS1_7vsmem_tEENKUlT_SI_SJ_SK_E_clIPiSD_S10_SD_EESH_SX_SI_SJ_SK_EUlSX_E1_NS1_11comp_targetILNS1_3genE4ELNS1_11target_archE910ELNS1_3gpuE8ELNS1_3repE0EEENS1_36merge_oddeven_config_static_selectorELNS0_4arch9wavefront6targetE1EEEvSJ_
; %bb.0:
	.section	.rodata,"a",@progbits
	.p2align	6, 0x0
	.amdhsa_kernel _ZN7rocprim17ROCPRIM_400000_NS6detail17trampoline_kernelINS0_14default_configENS1_38merge_sort_block_merge_config_selectorIiiEEZZNS1_27merge_sort_block_merge_implIS3_N6thrust23THRUST_200600_302600_NS6detail15normal_iteratorINS8_10device_ptrIiEEEESD_jNS1_19radix_merge_compareILb1ELb0EiNS0_19identity_decomposerEEEEE10hipError_tT0_T1_T2_jT3_P12ihipStream_tbPNSt15iterator_traitsISI_E10value_typeEPNSO_ISJ_E10value_typeEPSK_NS1_7vsmem_tEENKUlT_SI_SJ_SK_E_clIPiSD_S10_SD_EESH_SX_SI_SJ_SK_EUlSX_E1_NS1_11comp_targetILNS1_3genE4ELNS1_11target_archE910ELNS1_3gpuE8ELNS1_3repE0EEENS1_36merge_oddeven_config_static_selectorELNS0_4arch9wavefront6targetE1EEEvSJ_
		.amdhsa_group_segment_fixed_size 0
		.amdhsa_private_segment_fixed_size 0
		.amdhsa_kernarg_size 48
		.amdhsa_user_sgpr_count 2
		.amdhsa_user_sgpr_dispatch_ptr 0
		.amdhsa_user_sgpr_queue_ptr 0
		.amdhsa_user_sgpr_kernarg_segment_ptr 1
		.amdhsa_user_sgpr_dispatch_id 0
		.amdhsa_user_sgpr_kernarg_preload_length 0
		.amdhsa_user_sgpr_kernarg_preload_offset 0
		.amdhsa_user_sgpr_private_segment_size 0
		.amdhsa_uses_dynamic_stack 0
		.amdhsa_enable_private_segment 0
		.amdhsa_system_sgpr_workgroup_id_x 1
		.amdhsa_system_sgpr_workgroup_id_y 0
		.amdhsa_system_sgpr_workgroup_id_z 0
		.amdhsa_system_sgpr_workgroup_info 0
		.amdhsa_system_vgpr_workitem_id 0
		.amdhsa_next_free_vgpr 1
		.amdhsa_next_free_sgpr 0
		.amdhsa_accum_offset 4
		.amdhsa_reserve_vcc 0
		.amdhsa_float_round_mode_32 0
		.amdhsa_float_round_mode_16_64 0
		.amdhsa_float_denorm_mode_32 3
		.amdhsa_float_denorm_mode_16_64 3
		.amdhsa_dx10_clamp 1
		.amdhsa_ieee_mode 1
		.amdhsa_fp16_overflow 0
		.amdhsa_tg_split 0
		.amdhsa_exception_fp_ieee_invalid_op 0
		.amdhsa_exception_fp_denorm_src 0
		.amdhsa_exception_fp_ieee_div_zero 0
		.amdhsa_exception_fp_ieee_overflow 0
		.amdhsa_exception_fp_ieee_underflow 0
		.amdhsa_exception_fp_ieee_inexact 0
		.amdhsa_exception_int_div_zero 0
	.end_amdhsa_kernel
	.section	.text._ZN7rocprim17ROCPRIM_400000_NS6detail17trampoline_kernelINS0_14default_configENS1_38merge_sort_block_merge_config_selectorIiiEEZZNS1_27merge_sort_block_merge_implIS3_N6thrust23THRUST_200600_302600_NS6detail15normal_iteratorINS8_10device_ptrIiEEEESD_jNS1_19radix_merge_compareILb1ELb0EiNS0_19identity_decomposerEEEEE10hipError_tT0_T1_T2_jT3_P12ihipStream_tbPNSt15iterator_traitsISI_E10value_typeEPNSO_ISJ_E10value_typeEPSK_NS1_7vsmem_tEENKUlT_SI_SJ_SK_E_clIPiSD_S10_SD_EESH_SX_SI_SJ_SK_EUlSX_E1_NS1_11comp_targetILNS1_3genE4ELNS1_11target_archE910ELNS1_3gpuE8ELNS1_3repE0EEENS1_36merge_oddeven_config_static_selectorELNS0_4arch9wavefront6targetE1EEEvSJ_,"axG",@progbits,_ZN7rocprim17ROCPRIM_400000_NS6detail17trampoline_kernelINS0_14default_configENS1_38merge_sort_block_merge_config_selectorIiiEEZZNS1_27merge_sort_block_merge_implIS3_N6thrust23THRUST_200600_302600_NS6detail15normal_iteratorINS8_10device_ptrIiEEEESD_jNS1_19radix_merge_compareILb1ELb0EiNS0_19identity_decomposerEEEEE10hipError_tT0_T1_T2_jT3_P12ihipStream_tbPNSt15iterator_traitsISI_E10value_typeEPNSO_ISJ_E10value_typeEPSK_NS1_7vsmem_tEENKUlT_SI_SJ_SK_E_clIPiSD_S10_SD_EESH_SX_SI_SJ_SK_EUlSX_E1_NS1_11comp_targetILNS1_3genE4ELNS1_11target_archE910ELNS1_3gpuE8ELNS1_3repE0EEENS1_36merge_oddeven_config_static_selectorELNS0_4arch9wavefront6targetE1EEEvSJ_,comdat
.Lfunc_end904:
	.size	_ZN7rocprim17ROCPRIM_400000_NS6detail17trampoline_kernelINS0_14default_configENS1_38merge_sort_block_merge_config_selectorIiiEEZZNS1_27merge_sort_block_merge_implIS3_N6thrust23THRUST_200600_302600_NS6detail15normal_iteratorINS8_10device_ptrIiEEEESD_jNS1_19radix_merge_compareILb1ELb0EiNS0_19identity_decomposerEEEEE10hipError_tT0_T1_T2_jT3_P12ihipStream_tbPNSt15iterator_traitsISI_E10value_typeEPNSO_ISJ_E10value_typeEPSK_NS1_7vsmem_tEENKUlT_SI_SJ_SK_E_clIPiSD_S10_SD_EESH_SX_SI_SJ_SK_EUlSX_E1_NS1_11comp_targetILNS1_3genE4ELNS1_11target_archE910ELNS1_3gpuE8ELNS1_3repE0EEENS1_36merge_oddeven_config_static_selectorELNS0_4arch9wavefront6targetE1EEEvSJ_, .Lfunc_end904-_ZN7rocprim17ROCPRIM_400000_NS6detail17trampoline_kernelINS0_14default_configENS1_38merge_sort_block_merge_config_selectorIiiEEZZNS1_27merge_sort_block_merge_implIS3_N6thrust23THRUST_200600_302600_NS6detail15normal_iteratorINS8_10device_ptrIiEEEESD_jNS1_19radix_merge_compareILb1ELb0EiNS0_19identity_decomposerEEEEE10hipError_tT0_T1_T2_jT3_P12ihipStream_tbPNSt15iterator_traitsISI_E10value_typeEPNSO_ISJ_E10value_typeEPSK_NS1_7vsmem_tEENKUlT_SI_SJ_SK_E_clIPiSD_S10_SD_EESH_SX_SI_SJ_SK_EUlSX_E1_NS1_11comp_targetILNS1_3genE4ELNS1_11target_archE910ELNS1_3gpuE8ELNS1_3repE0EEENS1_36merge_oddeven_config_static_selectorELNS0_4arch9wavefront6targetE1EEEvSJ_
                                        ; -- End function
	.set _ZN7rocprim17ROCPRIM_400000_NS6detail17trampoline_kernelINS0_14default_configENS1_38merge_sort_block_merge_config_selectorIiiEEZZNS1_27merge_sort_block_merge_implIS3_N6thrust23THRUST_200600_302600_NS6detail15normal_iteratorINS8_10device_ptrIiEEEESD_jNS1_19radix_merge_compareILb1ELb0EiNS0_19identity_decomposerEEEEE10hipError_tT0_T1_T2_jT3_P12ihipStream_tbPNSt15iterator_traitsISI_E10value_typeEPNSO_ISJ_E10value_typeEPSK_NS1_7vsmem_tEENKUlT_SI_SJ_SK_E_clIPiSD_S10_SD_EESH_SX_SI_SJ_SK_EUlSX_E1_NS1_11comp_targetILNS1_3genE4ELNS1_11target_archE910ELNS1_3gpuE8ELNS1_3repE0EEENS1_36merge_oddeven_config_static_selectorELNS0_4arch9wavefront6targetE1EEEvSJ_.num_vgpr, 0
	.set _ZN7rocprim17ROCPRIM_400000_NS6detail17trampoline_kernelINS0_14default_configENS1_38merge_sort_block_merge_config_selectorIiiEEZZNS1_27merge_sort_block_merge_implIS3_N6thrust23THRUST_200600_302600_NS6detail15normal_iteratorINS8_10device_ptrIiEEEESD_jNS1_19radix_merge_compareILb1ELb0EiNS0_19identity_decomposerEEEEE10hipError_tT0_T1_T2_jT3_P12ihipStream_tbPNSt15iterator_traitsISI_E10value_typeEPNSO_ISJ_E10value_typeEPSK_NS1_7vsmem_tEENKUlT_SI_SJ_SK_E_clIPiSD_S10_SD_EESH_SX_SI_SJ_SK_EUlSX_E1_NS1_11comp_targetILNS1_3genE4ELNS1_11target_archE910ELNS1_3gpuE8ELNS1_3repE0EEENS1_36merge_oddeven_config_static_selectorELNS0_4arch9wavefront6targetE1EEEvSJ_.num_agpr, 0
	.set _ZN7rocprim17ROCPRIM_400000_NS6detail17trampoline_kernelINS0_14default_configENS1_38merge_sort_block_merge_config_selectorIiiEEZZNS1_27merge_sort_block_merge_implIS3_N6thrust23THRUST_200600_302600_NS6detail15normal_iteratorINS8_10device_ptrIiEEEESD_jNS1_19radix_merge_compareILb1ELb0EiNS0_19identity_decomposerEEEEE10hipError_tT0_T1_T2_jT3_P12ihipStream_tbPNSt15iterator_traitsISI_E10value_typeEPNSO_ISJ_E10value_typeEPSK_NS1_7vsmem_tEENKUlT_SI_SJ_SK_E_clIPiSD_S10_SD_EESH_SX_SI_SJ_SK_EUlSX_E1_NS1_11comp_targetILNS1_3genE4ELNS1_11target_archE910ELNS1_3gpuE8ELNS1_3repE0EEENS1_36merge_oddeven_config_static_selectorELNS0_4arch9wavefront6targetE1EEEvSJ_.numbered_sgpr, 0
	.set _ZN7rocprim17ROCPRIM_400000_NS6detail17trampoline_kernelINS0_14default_configENS1_38merge_sort_block_merge_config_selectorIiiEEZZNS1_27merge_sort_block_merge_implIS3_N6thrust23THRUST_200600_302600_NS6detail15normal_iteratorINS8_10device_ptrIiEEEESD_jNS1_19radix_merge_compareILb1ELb0EiNS0_19identity_decomposerEEEEE10hipError_tT0_T1_T2_jT3_P12ihipStream_tbPNSt15iterator_traitsISI_E10value_typeEPNSO_ISJ_E10value_typeEPSK_NS1_7vsmem_tEENKUlT_SI_SJ_SK_E_clIPiSD_S10_SD_EESH_SX_SI_SJ_SK_EUlSX_E1_NS1_11comp_targetILNS1_3genE4ELNS1_11target_archE910ELNS1_3gpuE8ELNS1_3repE0EEENS1_36merge_oddeven_config_static_selectorELNS0_4arch9wavefront6targetE1EEEvSJ_.num_named_barrier, 0
	.set _ZN7rocprim17ROCPRIM_400000_NS6detail17trampoline_kernelINS0_14default_configENS1_38merge_sort_block_merge_config_selectorIiiEEZZNS1_27merge_sort_block_merge_implIS3_N6thrust23THRUST_200600_302600_NS6detail15normal_iteratorINS8_10device_ptrIiEEEESD_jNS1_19radix_merge_compareILb1ELb0EiNS0_19identity_decomposerEEEEE10hipError_tT0_T1_T2_jT3_P12ihipStream_tbPNSt15iterator_traitsISI_E10value_typeEPNSO_ISJ_E10value_typeEPSK_NS1_7vsmem_tEENKUlT_SI_SJ_SK_E_clIPiSD_S10_SD_EESH_SX_SI_SJ_SK_EUlSX_E1_NS1_11comp_targetILNS1_3genE4ELNS1_11target_archE910ELNS1_3gpuE8ELNS1_3repE0EEENS1_36merge_oddeven_config_static_selectorELNS0_4arch9wavefront6targetE1EEEvSJ_.private_seg_size, 0
	.set _ZN7rocprim17ROCPRIM_400000_NS6detail17trampoline_kernelINS0_14default_configENS1_38merge_sort_block_merge_config_selectorIiiEEZZNS1_27merge_sort_block_merge_implIS3_N6thrust23THRUST_200600_302600_NS6detail15normal_iteratorINS8_10device_ptrIiEEEESD_jNS1_19radix_merge_compareILb1ELb0EiNS0_19identity_decomposerEEEEE10hipError_tT0_T1_T2_jT3_P12ihipStream_tbPNSt15iterator_traitsISI_E10value_typeEPNSO_ISJ_E10value_typeEPSK_NS1_7vsmem_tEENKUlT_SI_SJ_SK_E_clIPiSD_S10_SD_EESH_SX_SI_SJ_SK_EUlSX_E1_NS1_11comp_targetILNS1_3genE4ELNS1_11target_archE910ELNS1_3gpuE8ELNS1_3repE0EEENS1_36merge_oddeven_config_static_selectorELNS0_4arch9wavefront6targetE1EEEvSJ_.uses_vcc, 0
	.set _ZN7rocprim17ROCPRIM_400000_NS6detail17trampoline_kernelINS0_14default_configENS1_38merge_sort_block_merge_config_selectorIiiEEZZNS1_27merge_sort_block_merge_implIS3_N6thrust23THRUST_200600_302600_NS6detail15normal_iteratorINS8_10device_ptrIiEEEESD_jNS1_19radix_merge_compareILb1ELb0EiNS0_19identity_decomposerEEEEE10hipError_tT0_T1_T2_jT3_P12ihipStream_tbPNSt15iterator_traitsISI_E10value_typeEPNSO_ISJ_E10value_typeEPSK_NS1_7vsmem_tEENKUlT_SI_SJ_SK_E_clIPiSD_S10_SD_EESH_SX_SI_SJ_SK_EUlSX_E1_NS1_11comp_targetILNS1_3genE4ELNS1_11target_archE910ELNS1_3gpuE8ELNS1_3repE0EEENS1_36merge_oddeven_config_static_selectorELNS0_4arch9wavefront6targetE1EEEvSJ_.uses_flat_scratch, 0
	.set _ZN7rocprim17ROCPRIM_400000_NS6detail17trampoline_kernelINS0_14default_configENS1_38merge_sort_block_merge_config_selectorIiiEEZZNS1_27merge_sort_block_merge_implIS3_N6thrust23THRUST_200600_302600_NS6detail15normal_iteratorINS8_10device_ptrIiEEEESD_jNS1_19radix_merge_compareILb1ELb0EiNS0_19identity_decomposerEEEEE10hipError_tT0_T1_T2_jT3_P12ihipStream_tbPNSt15iterator_traitsISI_E10value_typeEPNSO_ISJ_E10value_typeEPSK_NS1_7vsmem_tEENKUlT_SI_SJ_SK_E_clIPiSD_S10_SD_EESH_SX_SI_SJ_SK_EUlSX_E1_NS1_11comp_targetILNS1_3genE4ELNS1_11target_archE910ELNS1_3gpuE8ELNS1_3repE0EEENS1_36merge_oddeven_config_static_selectorELNS0_4arch9wavefront6targetE1EEEvSJ_.has_dyn_sized_stack, 0
	.set _ZN7rocprim17ROCPRIM_400000_NS6detail17trampoline_kernelINS0_14default_configENS1_38merge_sort_block_merge_config_selectorIiiEEZZNS1_27merge_sort_block_merge_implIS3_N6thrust23THRUST_200600_302600_NS6detail15normal_iteratorINS8_10device_ptrIiEEEESD_jNS1_19radix_merge_compareILb1ELb0EiNS0_19identity_decomposerEEEEE10hipError_tT0_T1_T2_jT3_P12ihipStream_tbPNSt15iterator_traitsISI_E10value_typeEPNSO_ISJ_E10value_typeEPSK_NS1_7vsmem_tEENKUlT_SI_SJ_SK_E_clIPiSD_S10_SD_EESH_SX_SI_SJ_SK_EUlSX_E1_NS1_11comp_targetILNS1_3genE4ELNS1_11target_archE910ELNS1_3gpuE8ELNS1_3repE0EEENS1_36merge_oddeven_config_static_selectorELNS0_4arch9wavefront6targetE1EEEvSJ_.has_recursion, 0
	.set _ZN7rocprim17ROCPRIM_400000_NS6detail17trampoline_kernelINS0_14default_configENS1_38merge_sort_block_merge_config_selectorIiiEEZZNS1_27merge_sort_block_merge_implIS3_N6thrust23THRUST_200600_302600_NS6detail15normal_iteratorINS8_10device_ptrIiEEEESD_jNS1_19radix_merge_compareILb1ELb0EiNS0_19identity_decomposerEEEEE10hipError_tT0_T1_T2_jT3_P12ihipStream_tbPNSt15iterator_traitsISI_E10value_typeEPNSO_ISJ_E10value_typeEPSK_NS1_7vsmem_tEENKUlT_SI_SJ_SK_E_clIPiSD_S10_SD_EESH_SX_SI_SJ_SK_EUlSX_E1_NS1_11comp_targetILNS1_3genE4ELNS1_11target_archE910ELNS1_3gpuE8ELNS1_3repE0EEENS1_36merge_oddeven_config_static_selectorELNS0_4arch9wavefront6targetE1EEEvSJ_.has_indirect_call, 0
	.section	.AMDGPU.csdata,"",@progbits
; Kernel info:
; codeLenInByte = 0
; TotalNumSgprs: 6
; NumVgprs: 0
; NumAgprs: 0
; TotalNumVgprs: 0
; ScratchSize: 0
; MemoryBound: 0
; FloatMode: 240
; IeeeMode: 1
; LDSByteSize: 0 bytes/workgroup (compile time only)
; SGPRBlocks: 0
; VGPRBlocks: 0
; NumSGPRsForWavesPerEU: 6
; NumVGPRsForWavesPerEU: 1
; AccumOffset: 4
; Occupancy: 8
; WaveLimiterHint : 0
; COMPUTE_PGM_RSRC2:SCRATCH_EN: 0
; COMPUTE_PGM_RSRC2:USER_SGPR: 2
; COMPUTE_PGM_RSRC2:TRAP_HANDLER: 0
; COMPUTE_PGM_RSRC2:TGID_X_EN: 1
; COMPUTE_PGM_RSRC2:TGID_Y_EN: 0
; COMPUTE_PGM_RSRC2:TGID_Z_EN: 0
; COMPUTE_PGM_RSRC2:TIDIG_COMP_CNT: 0
; COMPUTE_PGM_RSRC3_GFX90A:ACCUM_OFFSET: 0
; COMPUTE_PGM_RSRC3_GFX90A:TG_SPLIT: 0
	.section	.text._ZN7rocprim17ROCPRIM_400000_NS6detail17trampoline_kernelINS0_14default_configENS1_38merge_sort_block_merge_config_selectorIiiEEZZNS1_27merge_sort_block_merge_implIS3_N6thrust23THRUST_200600_302600_NS6detail15normal_iteratorINS8_10device_ptrIiEEEESD_jNS1_19radix_merge_compareILb1ELb0EiNS0_19identity_decomposerEEEEE10hipError_tT0_T1_T2_jT3_P12ihipStream_tbPNSt15iterator_traitsISI_E10value_typeEPNSO_ISJ_E10value_typeEPSK_NS1_7vsmem_tEENKUlT_SI_SJ_SK_E_clIPiSD_S10_SD_EESH_SX_SI_SJ_SK_EUlSX_E1_NS1_11comp_targetILNS1_3genE3ELNS1_11target_archE908ELNS1_3gpuE7ELNS1_3repE0EEENS1_36merge_oddeven_config_static_selectorELNS0_4arch9wavefront6targetE1EEEvSJ_,"axG",@progbits,_ZN7rocprim17ROCPRIM_400000_NS6detail17trampoline_kernelINS0_14default_configENS1_38merge_sort_block_merge_config_selectorIiiEEZZNS1_27merge_sort_block_merge_implIS3_N6thrust23THRUST_200600_302600_NS6detail15normal_iteratorINS8_10device_ptrIiEEEESD_jNS1_19radix_merge_compareILb1ELb0EiNS0_19identity_decomposerEEEEE10hipError_tT0_T1_T2_jT3_P12ihipStream_tbPNSt15iterator_traitsISI_E10value_typeEPNSO_ISJ_E10value_typeEPSK_NS1_7vsmem_tEENKUlT_SI_SJ_SK_E_clIPiSD_S10_SD_EESH_SX_SI_SJ_SK_EUlSX_E1_NS1_11comp_targetILNS1_3genE3ELNS1_11target_archE908ELNS1_3gpuE7ELNS1_3repE0EEENS1_36merge_oddeven_config_static_selectorELNS0_4arch9wavefront6targetE1EEEvSJ_,comdat
	.protected	_ZN7rocprim17ROCPRIM_400000_NS6detail17trampoline_kernelINS0_14default_configENS1_38merge_sort_block_merge_config_selectorIiiEEZZNS1_27merge_sort_block_merge_implIS3_N6thrust23THRUST_200600_302600_NS6detail15normal_iteratorINS8_10device_ptrIiEEEESD_jNS1_19radix_merge_compareILb1ELb0EiNS0_19identity_decomposerEEEEE10hipError_tT0_T1_T2_jT3_P12ihipStream_tbPNSt15iterator_traitsISI_E10value_typeEPNSO_ISJ_E10value_typeEPSK_NS1_7vsmem_tEENKUlT_SI_SJ_SK_E_clIPiSD_S10_SD_EESH_SX_SI_SJ_SK_EUlSX_E1_NS1_11comp_targetILNS1_3genE3ELNS1_11target_archE908ELNS1_3gpuE7ELNS1_3repE0EEENS1_36merge_oddeven_config_static_selectorELNS0_4arch9wavefront6targetE1EEEvSJ_ ; -- Begin function _ZN7rocprim17ROCPRIM_400000_NS6detail17trampoline_kernelINS0_14default_configENS1_38merge_sort_block_merge_config_selectorIiiEEZZNS1_27merge_sort_block_merge_implIS3_N6thrust23THRUST_200600_302600_NS6detail15normal_iteratorINS8_10device_ptrIiEEEESD_jNS1_19radix_merge_compareILb1ELb0EiNS0_19identity_decomposerEEEEE10hipError_tT0_T1_T2_jT3_P12ihipStream_tbPNSt15iterator_traitsISI_E10value_typeEPNSO_ISJ_E10value_typeEPSK_NS1_7vsmem_tEENKUlT_SI_SJ_SK_E_clIPiSD_S10_SD_EESH_SX_SI_SJ_SK_EUlSX_E1_NS1_11comp_targetILNS1_3genE3ELNS1_11target_archE908ELNS1_3gpuE7ELNS1_3repE0EEENS1_36merge_oddeven_config_static_selectorELNS0_4arch9wavefront6targetE1EEEvSJ_
	.globl	_ZN7rocprim17ROCPRIM_400000_NS6detail17trampoline_kernelINS0_14default_configENS1_38merge_sort_block_merge_config_selectorIiiEEZZNS1_27merge_sort_block_merge_implIS3_N6thrust23THRUST_200600_302600_NS6detail15normal_iteratorINS8_10device_ptrIiEEEESD_jNS1_19radix_merge_compareILb1ELb0EiNS0_19identity_decomposerEEEEE10hipError_tT0_T1_T2_jT3_P12ihipStream_tbPNSt15iterator_traitsISI_E10value_typeEPNSO_ISJ_E10value_typeEPSK_NS1_7vsmem_tEENKUlT_SI_SJ_SK_E_clIPiSD_S10_SD_EESH_SX_SI_SJ_SK_EUlSX_E1_NS1_11comp_targetILNS1_3genE3ELNS1_11target_archE908ELNS1_3gpuE7ELNS1_3repE0EEENS1_36merge_oddeven_config_static_selectorELNS0_4arch9wavefront6targetE1EEEvSJ_
	.p2align	8
	.type	_ZN7rocprim17ROCPRIM_400000_NS6detail17trampoline_kernelINS0_14default_configENS1_38merge_sort_block_merge_config_selectorIiiEEZZNS1_27merge_sort_block_merge_implIS3_N6thrust23THRUST_200600_302600_NS6detail15normal_iteratorINS8_10device_ptrIiEEEESD_jNS1_19radix_merge_compareILb1ELb0EiNS0_19identity_decomposerEEEEE10hipError_tT0_T1_T2_jT3_P12ihipStream_tbPNSt15iterator_traitsISI_E10value_typeEPNSO_ISJ_E10value_typeEPSK_NS1_7vsmem_tEENKUlT_SI_SJ_SK_E_clIPiSD_S10_SD_EESH_SX_SI_SJ_SK_EUlSX_E1_NS1_11comp_targetILNS1_3genE3ELNS1_11target_archE908ELNS1_3gpuE7ELNS1_3repE0EEENS1_36merge_oddeven_config_static_selectorELNS0_4arch9wavefront6targetE1EEEvSJ_,@function
_ZN7rocprim17ROCPRIM_400000_NS6detail17trampoline_kernelINS0_14default_configENS1_38merge_sort_block_merge_config_selectorIiiEEZZNS1_27merge_sort_block_merge_implIS3_N6thrust23THRUST_200600_302600_NS6detail15normal_iteratorINS8_10device_ptrIiEEEESD_jNS1_19radix_merge_compareILb1ELb0EiNS0_19identity_decomposerEEEEE10hipError_tT0_T1_T2_jT3_P12ihipStream_tbPNSt15iterator_traitsISI_E10value_typeEPNSO_ISJ_E10value_typeEPSK_NS1_7vsmem_tEENKUlT_SI_SJ_SK_E_clIPiSD_S10_SD_EESH_SX_SI_SJ_SK_EUlSX_E1_NS1_11comp_targetILNS1_3genE3ELNS1_11target_archE908ELNS1_3gpuE7ELNS1_3repE0EEENS1_36merge_oddeven_config_static_selectorELNS0_4arch9wavefront6targetE1EEEvSJ_: ; @_ZN7rocprim17ROCPRIM_400000_NS6detail17trampoline_kernelINS0_14default_configENS1_38merge_sort_block_merge_config_selectorIiiEEZZNS1_27merge_sort_block_merge_implIS3_N6thrust23THRUST_200600_302600_NS6detail15normal_iteratorINS8_10device_ptrIiEEEESD_jNS1_19radix_merge_compareILb1ELb0EiNS0_19identity_decomposerEEEEE10hipError_tT0_T1_T2_jT3_P12ihipStream_tbPNSt15iterator_traitsISI_E10value_typeEPNSO_ISJ_E10value_typeEPSK_NS1_7vsmem_tEENKUlT_SI_SJ_SK_E_clIPiSD_S10_SD_EESH_SX_SI_SJ_SK_EUlSX_E1_NS1_11comp_targetILNS1_3genE3ELNS1_11target_archE908ELNS1_3gpuE7ELNS1_3repE0EEENS1_36merge_oddeven_config_static_selectorELNS0_4arch9wavefront6targetE1EEEvSJ_
; %bb.0:
	.section	.rodata,"a",@progbits
	.p2align	6, 0x0
	.amdhsa_kernel _ZN7rocprim17ROCPRIM_400000_NS6detail17trampoline_kernelINS0_14default_configENS1_38merge_sort_block_merge_config_selectorIiiEEZZNS1_27merge_sort_block_merge_implIS3_N6thrust23THRUST_200600_302600_NS6detail15normal_iteratorINS8_10device_ptrIiEEEESD_jNS1_19radix_merge_compareILb1ELb0EiNS0_19identity_decomposerEEEEE10hipError_tT0_T1_T2_jT3_P12ihipStream_tbPNSt15iterator_traitsISI_E10value_typeEPNSO_ISJ_E10value_typeEPSK_NS1_7vsmem_tEENKUlT_SI_SJ_SK_E_clIPiSD_S10_SD_EESH_SX_SI_SJ_SK_EUlSX_E1_NS1_11comp_targetILNS1_3genE3ELNS1_11target_archE908ELNS1_3gpuE7ELNS1_3repE0EEENS1_36merge_oddeven_config_static_selectorELNS0_4arch9wavefront6targetE1EEEvSJ_
		.amdhsa_group_segment_fixed_size 0
		.amdhsa_private_segment_fixed_size 0
		.amdhsa_kernarg_size 48
		.amdhsa_user_sgpr_count 2
		.amdhsa_user_sgpr_dispatch_ptr 0
		.amdhsa_user_sgpr_queue_ptr 0
		.amdhsa_user_sgpr_kernarg_segment_ptr 1
		.amdhsa_user_sgpr_dispatch_id 0
		.amdhsa_user_sgpr_kernarg_preload_length 0
		.amdhsa_user_sgpr_kernarg_preload_offset 0
		.amdhsa_user_sgpr_private_segment_size 0
		.amdhsa_uses_dynamic_stack 0
		.amdhsa_enable_private_segment 0
		.amdhsa_system_sgpr_workgroup_id_x 1
		.amdhsa_system_sgpr_workgroup_id_y 0
		.amdhsa_system_sgpr_workgroup_id_z 0
		.amdhsa_system_sgpr_workgroup_info 0
		.amdhsa_system_vgpr_workitem_id 0
		.amdhsa_next_free_vgpr 1
		.amdhsa_next_free_sgpr 0
		.amdhsa_accum_offset 4
		.amdhsa_reserve_vcc 0
		.amdhsa_float_round_mode_32 0
		.amdhsa_float_round_mode_16_64 0
		.amdhsa_float_denorm_mode_32 3
		.amdhsa_float_denorm_mode_16_64 3
		.amdhsa_dx10_clamp 1
		.amdhsa_ieee_mode 1
		.amdhsa_fp16_overflow 0
		.amdhsa_tg_split 0
		.amdhsa_exception_fp_ieee_invalid_op 0
		.amdhsa_exception_fp_denorm_src 0
		.amdhsa_exception_fp_ieee_div_zero 0
		.amdhsa_exception_fp_ieee_overflow 0
		.amdhsa_exception_fp_ieee_underflow 0
		.amdhsa_exception_fp_ieee_inexact 0
		.amdhsa_exception_int_div_zero 0
	.end_amdhsa_kernel
	.section	.text._ZN7rocprim17ROCPRIM_400000_NS6detail17trampoline_kernelINS0_14default_configENS1_38merge_sort_block_merge_config_selectorIiiEEZZNS1_27merge_sort_block_merge_implIS3_N6thrust23THRUST_200600_302600_NS6detail15normal_iteratorINS8_10device_ptrIiEEEESD_jNS1_19radix_merge_compareILb1ELb0EiNS0_19identity_decomposerEEEEE10hipError_tT0_T1_T2_jT3_P12ihipStream_tbPNSt15iterator_traitsISI_E10value_typeEPNSO_ISJ_E10value_typeEPSK_NS1_7vsmem_tEENKUlT_SI_SJ_SK_E_clIPiSD_S10_SD_EESH_SX_SI_SJ_SK_EUlSX_E1_NS1_11comp_targetILNS1_3genE3ELNS1_11target_archE908ELNS1_3gpuE7ELNS1_3repE0EEENS1_36merge_oddeven_config_static_selectorELNS0_4arch9wavefront6targetE1EEEvSJ_,"axG",@progbits,_ZN7rocprim17ROCPRIM_400000_NS6detail17trampoline_kernelINS0_14default_configENS1_38merge_sort_block_merge_config_selectorIiiEEZZNS1_27merge_sort_block_merge_implIS3_N6thrust23THRUST_200600_302600_NS6detail15normal_iteratorINS8_10device_ptrIiEEEESD_jNS1_19radix_merge_compareILb1ELb0EiNS0_19identity_decomposerEEEEE10hipError_tT0_T1_T2_jT3_P12ihipStream_tbPNSt15iterator_traitsISI_E10value_typeEPNSO_ISJ_E10value_typeEPSK_NS1_7vsmem_tEENKUlT_SI_SJ_SK_E_clIPiSD_S10_SD_EESH_SX_SI_SJ_SK_EUlSX_E1_NS1_11comp_targetILNS1_3genE3ELNS1_11target_archE908ELNS1_3gpuE7ELNS1_3repE0EEENS1_36merge_oddeven_config_static_selectorELNS0_4arch9wavefront6targetE1EEEvSJ_,comdat
.Lfunc_end905:
	.size	_ZN7rocprim17ROCPRIM_400000_NS6detail17trampoline_kernelINS0_14default_configENS1_38merge_sort_block_merge_config_selectorIiiEEZZNS1_27merge_sort_block_merge_implIS3_N6thrust23THRUST_200600_302600_NS6detail15normal_iteratorINS8_10device_ptrIiEEEESD_jNS1_19radix_merge_compareILb1ELb0EiNS0_19identity_decomposerEEEEE10hipError_tT0_T1_T2_jT3_P12ihipStream_tbPNSt15iterator_traitsISI_E10value_typeEPNSO_ISJ_E10value_typeEPSK_NS1_7vsmem_tEENKUlT_SI_SJ_SK_E_clIPiSD_S10_SD_EESH_SX_SI_SJ_SK_EUlSX_E1_NS1_11comp_targetILNS1_3genE3ELNS1_11target_archE908ELNS1_3gpuE7ELNS1_3repE0EEENS1_36merge_oddeven_config_static_selectorELNS0_4arch9wavefront6targetE1EEEvSJ_, .Lfunc_end905-_ZN7rocprim17ROCPRIM_400000_NS6detail17trampoline_kernelINS0_14default_configENS1_38merge_sort_block_merge_config_selectorIiiEEZZNS1_27merge_sort_block_merge_implIS3_N6thrust23THRUST_200600_302600_NS6detail15normal_iteratorINS8_10device_ptrIiEEEESD_jNS1_19radix_merge_compareILb1ELb0EiNS0_19identity_decomposerEEEEE10hipError_tT0_T1_T2_jT3_P12ihipStream_tbPNSt15iterator_traitsISI_E10value_typeEPNSO_ISJ_E10value_typeEPSK_NS1_7vsmem_tEENKUlT_SI_SJ_SK_E_clIPiSD_S10_SD_EESH_SX_SI_SJ_SK_EUlSX_E1_NS1_11comp_targetILNS1_3genE3ELNS1_11target_archE908ELNS1_3gpuE7ELNS1_3repE0EEENS1_36merge_oddeven_config_static_selectorELNS0_4arch9wavefront6targetE1EEEvSJ_
                                        ; -- End function
	.set _ZN7rocprim17ROCPRIM_400000_NS6detail17trampoline_kernelINS0_14default_configENS1_38merge_sort_block_merge_config_selectorIiiEEZZNS1_27merge_sort_block_merge_implIS3_N6thrust23THRUST_200600_302600_NS6detail15normal_iteratorINS8_10device_ptrIiEEEESD_jNS1_19radix_merge_compareILb1ELb0EiNS0_19identity_decomposerEEEEE10hipError_tT0_T1_T2_jT3_P12ihipStream_tbPNSt15iterator_traitsISI_E10value_typeEPNSO_ISJ_E10value_typeEPSK_NS1_7vsmem_tEENKUlT_SI_SJ_SK_E_clIPiSD_S10_SD_EESH_SX_SI_SJ_SK_EUlSX_E1_NS1_11comp_targetILNS1_3genE3ELNS1_11target_archE908ELNS1_3gpuE7ELNS1_3repE0EEENS1_36merge_oddeven_config_static_selectorELNS0_4arch9wavefront6targetE1EEEvSJ_.num_vgpr, 0
	.set _ZN7rocprim17ROCPRIM_400000_NS6detail17trampoline_kernelINS0_14default_configENS1_38merge_sort_block_merge_config_selectorIiiEEZZNS1_27merge_sort_block_merge_implIS3_N6thrust23THRUST_200600_302600_NS6detail15normal_iteratorINS8_10device_ptrIiEEEESD_jNS1_19radix_merge_compareILb1ELb0EiNS0_19identity_decomposerEEEEE10hipError_tT0_T1_T2_jT3_P12ihipStream_tbPNSt15iterator_traitsISI_E10value_typeEPNSO_ISJ_E10value_typeEPSK_NS1_7vsmem_tEENKUlT_SI_SJ_SK_E_clIPiSD_S10_SD_EESH_SX_SI_SJ_SK_EUlSX_E1_NS1_11comp_targetILNS1_3genE3ELNS1_11target_archE908ELNS1_3gpuE7ELNS1_3repE0EEENS1_36merge_oddeven_config_static_selectorELNS0_4arch9wavefront6targetE1EEEvSJ_.num_agpr, 0
	.set _ZN7rocprim17ROCPRIM_400000_NS6detail17trampoline_kernelINS0_14default_configENS1_38merge_sort_block_merge_config_selectorIiiEEZZNS1_27merge_sort_block_merge_implIS3_N6thrust23THRUST_200600_302600_NS6detail15normal_iteratorINS8_10device_ptrIiEEEESD_jNS1_19radix_merge_compareILb1ELb0EiNS0_19identity_decomposerEEEEE10hipError_tT0_T1_T2_jT3_P12ihipStream_tbPNSt15iterator_traitsISI_E10value_typeEPNSO_ISJ_E10value_typeEPSK_NS1_7vsmem_tEENKUlT_SI_SJ_SK_E_clIPiSD_S10_SD_EESH_SX_SI_SJ_SK_EUlSX_E1_NS1_11comp_targetILNS1_3genE3ELNS1_11target_archE908ELNS1_3gpuE7ELNS1_3repE0EEENS1_36merge_oddeven_config_static_selectorELNS0_4arch9wavefront6targetE1EEEvSJ_.numbered_sgpr, 0
	.set _ZN7rocprim17ROCPRIM_400000_NS6detail17trampoline_kernelINS0_14default_configENS1_38merge_sort_block_merge_config_selectorIiiEEZZNS1_27merge_sort_block_merge_implIS3_N6thrust23THRUST_200600_302600_NS6detail15normal_iteratorINS8_10device_ptrIiEEEESD_jNS1_19radix_merge_compareILb1ELb0EiNS0_19identity_decomposerEEEEE10hipError_tT0_T1_T2_jT3_P12ihipStream_tbPNSt15iterator_traitsISI_E10value_typeEPNSO_ISJ_E10value_typeEPSK_NS1_7vsmem_tEENKUlT_SI_SJ_SK_E_clIPiSD_S10_SD_EESH_SX_SI_SJ_SK_EUlSX_E1_NS1_11comp_targetILNS1_3genE3ELNS1_11target_archE908ELNS1_3gpuE7ELNS1_3repE0EEENS1_36merge_oddeven_config_static_selectorELNS0_4arch9wavefront6targetE1EEEvSJ_.num_named_barrier, 0
	.set _ZN7rocprim17ROCPRIM_400000_NS6detail17trampoline_kernelINS0_14default_configENS1_38merge_sort_block_merge_config_selectorIiiEEZZNS1_27merge_sort_block_merge_implIS3_N6thrust23THRUST_200600_302600_NS6detail15normal_iteratorINS8_10device_ptrIiEEEESD_jNS1_19radix_merge_compareILb1ELb0EiNS0_19identity_decomposerEEEEE10hipError_tT0_T1_T2_jT3_P12ihipStream_tbPNSt15iterator_traitsISI_E10value_typeEPNSO_ISJ_E10value_typeEPSK_NS1_7vsmem_tEENKUlT_SI_SJ_SK_E_clIPiSD_S10_SD_EESH_SX_SI_SJ_SK_EUlSX_E1_NS1_11comp_targetILNS1_3genE3ELNS1_11target_archE908ELNS1_3gpuE7ELNS1_3repE0EEENS1_36merge_oddeven_config_static_selectorELNS0_4arch9wavefront6targetE1EEEvSJ_.private_seg_size, 0
	.set _ZN7rocprim17ROCPRIM_400000_NS6detail17trampoline_kernelINS0_14default_configENS1_38merge_sort_block_merge_config_selectorIiiEEZZNS1_27merge_sort_block_merge_implIS3_N6thrust23THRUST_200600_302600_NS6detail15normal_iteratorINS8_10device_ptrIiEEEESD_jNS1_19radix_merge_compareILb1ELb0EiNS0_19identity_decomposerEEEEE10hipError_tT0_T1_T2_jT3_P12ihipStream_tbPNSt15iterator_traitsISI_E10value_typeEPNSO_ISJ_E10value_typeEPSK_NS1_7vsmem_tEENKUlT_SI_SJ_SK_E_clIPiSD_S10_SD_EESH_SX_SI_SJ_SK_EUlSX_E1_NS1_11comp_targetILNS1_3genE3ELNS1_11target_archE908ELNS1_3gpuE7ELNS1_3repE0EEENS1_36merge_oddeven_config_static_selectorELNS0_4arch9wavefront6targetE1EEEvSJ_.uses_vcc, 0
	.set _ZN7rocprim17ROCPRIM_400000_NS6detail17trampoline_kernelINS0_14default_configENS1_38merge_sort_block_merge_config_selectorIiiEEZZNS1_27merge_sort_block_merge_implIS3_N6thrust23THRUST_200600_302600_NS6detail15normal_iteratorINS8_10device_ptrIiEEEESD_jNS1_19radix_merge_compareILb1ELb0EiNS0_19identity_decomposerEEEEE10hipError_tT0_T1_T2_jT3_P12ihipStream_tbPNSt15iterator_traitsISI_E10value_typeEPNSO_ISJ_E10value_typeEPSK_NS1_7vsmem_tEENKUlT_SI_SJ_SK_E_clIPiSD_S10_SD_EESH_SX_SI_SJ_SK_EUlSX_E1_NS1_11comp_targetILNS1_3genE3ELNS1_11target_archE908ELNS1_3gpuE7ELNS1_3repE0EEENS1_36merge_oddeven_config_static_selectorELNS0_4arch9wavefront6targetE1EEEvSJ_.uses_flat_scratch, 0
	.set _ZN7rocprim17ROCPRIM_400000_NS6detail17trampoline_kernelINS0_14default_configENS1_38merge_sort_block_merge_config_selectorIiiEEZZNS1_27merge_sort_block_merge_implIS3_N6thrust23THRUST_200600_302600_NS6detail15normal_iteratorINS8_10device_ptrIiEEEESD_jNS1_19radix_merge_compareILb1ELb0EiNS0_19identity_decomposerEEEEE10hipError_tT0_T1_T2_jT3_P12ihipStream_tbPNSt15iterator_traitsISI_E10value_typeEPNSO_ISJ_E10value_typeEPSK_NS1_7vsmem_tEENKUlT_SI_SJ_SK_E_clIPiSD_S10_SD_EESH_SX_SI_SJ_SK_EUlSX_E1_NS1_11comp_targetILNS1_3genE3ELNS1_11target_archE908ELNS1_3gpuE7ELNS1_3repE0EEENS1_36merge_oddeven_config_static_selectorELNS0_4arch9wavefront6targetE1EEEvSJ_.has_dyn_sized_stack, 0
	.set _ZN7rocprim17ROCPRIM_400000_NS6detail17trampoline_kernelINS0_14default_configENS1_38merge_sort_block_merge_config_selectorIiiEEZZNS1_27merge_sort_block_merge_implIS3_N6thrust23THRUST_200600_302600_NS6detail15normal_iteratorINS8_10device_ptrIiEEEESD_jNS1_19radix_merge_compareILb1ELb0EiNS0_19identity_decomposerEEEEE10hipError_tT0_T1_T2_jT3_P12ihipStream_tbPNSt15iterator_traitsISI_E10value_typeEPNSO_ISJ_E10value_typeEPSK_NS1_7vsmem_tEENKUlT_SI_SJ_SK_E_clIPiSD_S10_SD_EESH_SX_SI_SJ_SK_EUlSX_E1_NS1_11comp_targetILNS1_3genE3ELNS1_11target_archE908ELNS1_3gpuE7ELNS1_3repE0EEENS1_36merge_oddeven_config_static_selectorELNS0_4arch9wavefront6targetE1EEEvSJ_.has_recursion, 0
	.set _ZN7rocprim17ROCPRIM_400000_NS6detail17trampoline_kernelINS0_14default_configENS1_38merge_sort_block_merge_config_selectorIiiEEZZNS1_27merge_sort_block_merge_implIS3_N6thrust23THRUST_200600_302600_NS6detail15normal_iteratorINS8_10device_ptrIiEEEESD_jNS1_19radix_merge_compareILb1ELb0EiNS0_19identity_decomposerEEEEE10hipError_tT0_T1_T2_jT3_P12ihipStream_tbPNSt15iterator_traitsISI_E10value_typeEPNSO_ISJ_E10value_typeEPSK_NS1_7vsmem_tEENKUlT_SI_SJ_SK_E_clIPiSD_S10_SD_EESH_SX_SI_SJ_SK_EUlSX_E1_NS1_11comp_targetILNS1_3genE3ELNS1_11target_archE908ELNS1_3gpuE7ELNS1_3repE0EEENS1_36merge_oddeven_config_static_selectorELNS0_4arch9wavefront6targetE1EEEvSJ_.has_indirect_call, 0
	.section	.AMDGPU.csdata,"",@progbits
; Kernel info:
; codeLenInByte = 0
; TotalNumSgprs: 6
; NumVgprs: 0
; NumAgprs: 0
; TotalNumVgprs: 0
; ScratchSize: 0
; MemoryBound: 0
; FloatMode: 240
; IeeeMode: 1
; LDSByteSize: 0 bytes/workgroup (compile time only)
; SGPRBlocks: 0
; VGPRBlocks: 0
; NumSGPRsForWavesPerEU: 6
; NumVGPRsForWavesPerEU: 1
; AccumOffset: 4
; Occupancy: 8
; WaveLimiterHint : 0
; COMPUTE_PGM_RSRC2:SCRATCH_EN: 0
; COMPUTE_PGM_RSRC2:USER_SGPR: 2
; COMPUTE_PGM_RSRC2:TRAP_HANDLER: 0
; COMPUTE_PGM_RSRC2:TGID_X_EN: 1
; COMPUTE_PGM_RSRC2:TGID_Y_EN: 0
; COMPUTE_PGM_RSRC2:TGID_Z_EN: 0
; COMPUTE_PGM_RSRC2:TIDIG_COMP_CNT: 0
; COMPUTE_PGM_RSRC3_GFX90A:ACCUM_OFFSET: 0
; COMPUTE_PGM_RSRC3_GFX90A:TG_SPLIT: 0
	.section	.text._ZN7rocprim17ROCPRIM_400000_NS6detail17trampoline_kernelINS0_14default_configENS1_38merge_sort_block_merge_config_selectorIiiEEZZNS1_27merge_sort_block_merge_implIS3_N6thrust23THRUST_200600_302600_NS6detail15normal_iteratorINS8_10device_ptrIiEEEESD_jNS1_19radix_merge_compareILb1ELb0EiNS0_19identity_decomposerEEEEE10hipError_tT0_T1_T2_jT3_P12ihipStream_tbPNSt15iterator_traitsISI_E10value_typeEPNSO_ISJ_E10value_typeEPSK_NS1_7vsmem_tEENKUlT_SI_SJ_SK_E_clIPiSD_S10_SD_EESH_SX_SI_SJ_SK_EUlSX_E1_NS1_11comp_targetILNS1_3genE2ELNS1_11target_archE906ELNS1_3gpuE6ELNS1_3repE0EEENS1_36merge_oddeven_config_static_selectorELNS0_4arch9wavefront6targetE1EEEvSJ_,"axG",@progbits,_ZN7rocprim17ROCPRIM_400000_NS6detail17trampoline_kernelINS0_14default_configENS1_38merge_sort_block_merge_config_selectorIiiEEZZNS1_27merge_sort_block_merge_implIS3_N6thrust23THRUST_200600_302600_NS6detail15normal_iteratorINS8_10device_ptrIiEEEESD_jNS1_19radix_merge_compareILb1ELb0EiNS0_19identity_decomposerEEEEE10hipError_tT0_T1_T2_jT3_P12ihipStream_tbPNSt15iterator_traitsISI_E10value_typeEPNSO_ISJ_E10value_typeEPSK_NS1_7vsmem_tEENKUlT_SI_SJ_SK_E_clIPiSD_S10_SD_EESH_SX_SI_SJ_SK_EUlSX_E1_NS1_11comp_targetILNS1_3genE2ELNS1_11target_archE906ELNS1_3gpuE6ELNS1_3repE0EEENS1_36merge_oddeven_config_static_selectorELNS0_4arch9wavefront6targetE1EEEvSJ_,comdat
	.protected	_ZN7rocprim17ROCPRIM_400000_NS6detail17trampoline_kernelINS0_14default_configENS1_38merge_sort_block_merge_config_selectorIiiEEZZNS1_27merge_sort_block_merge_implIS3_N6thrust23THRUST_200600_302600_NS6detail15normal_iteratorINS8_10device_ptrIiEEEESD_jNS1_19radix_merge_compareILb1ELb0EiNS0_19identity_decomposerEEEEE10hipError_tT0_T1_T2_jT3_P12ihipStream_tbPNSt15iterator_traitsISI_E10value_typeEPNSO_ISJ_E10value_typeEPSK_NS1_7vsmem_tEENKUlT_SI_SJ_SK_E_clIPiSD_S10_SD_EESH_SX_SI_SJ_SK_EUlSX_E1_NS1_11comp_targetILNS1_3genE2ELNS1_11target_archE906ELNS1_3gpuE6ELNS1_3repE0EEENS1_36merge_oddeven_config_static_selectorELNS0_4arch9wavefront6targetE1EEEvSJ_ ; -- Begin function _ZN7rocprim17ROCPRIM_400000_NS6detail17trampoline_kernelINS0_14default_configENS1_38merge_sort_block_merge_config_selectorIiiEEZZNS1_27merge_sort_block_merge_implIS3_N6thrust23THRUST_200600_302600_NS6detail15normal_iteratorINS8_10device_ptrIiEEEESD_jNS1_19radix_merge_compareILb1ELb0EiNS0_19identity_decomposerEEEEE10hipError_tT0_T1_T2_jT3_P12ihipStream_tbPNSt15iterator_traitsISI_E10value_typeEPNSO_ISJ_E10value_typeEPSK_NS1_7vsmem_tEENKUlT_SI_SJ_SK_E_clIPiSD_S10_SD_EESH_SX_SI_SJ_SK_EUlSX_E1_NS1_11comp_targetILNS1_3genE2ELNS1_11target_archE906ELNS1_3gpuE6ELNS1_3repE0EEENS1_36merge_oddeven_config_static_selectorELNS0_4arch9wavefront6targetE1EEEvSJ_
	.globl	_ZN7rocprim17ROCPRIM_400000_NS6detail17trampoline_kernelINS0_14default_configENS1_38merge_sort_block_merge_config_selectorIiiEEZZNS1_27merge_sort_block_merge_implIS3_N6thrust23THRUST_200600_302600_NS6detail15normal_iteratorINS8_10device_ptrIiEEEESD_jNS1_19radix_merge_compareILb1ELb0EiNS0_19identity_decomposerEEEEE10hipError_tT0_T1_T2_jT3_P12ihipStream_tbPNSt15iterator_traitsISI_E10value_typeEPNSO_ISJ_E10value_typeEPSK_NS1_7vsmem_tEENKUlT_SI_SJ_SK_E_clIPiSD_S10_SD_EESH_SX_SI_SJ_SK_EUlSX_E1_NS1_11comp_targetILNS1_3genE2ELNS1_11target_archE906ELNS1_3gpuE6ELNS1_3repE0EEENS1_36merge_oddeven_config_static_selectorELNS0_4arch9wavefront6targetE1EEEvSJ_
	.p2align	8
	.type	_ZN7rocprim17ROCPRIM_400000_NS6detail17trampoline_kernelINS0_14default_configENS1_38merge_sort_block_merge_config_selectorIiiEEZZNS1_27merge_sort_block_merge_implIS3_N6thrust23THRUST_200600_302600_NS6detail15normal_iteratorINS8_10device_ptrIiEEEESD_jNS1_19radix_merge_compareILb1ELb0EiNS0_19identity_decomposerEEEEE10hipError_tT0_T1_T2_jT3_P12ihipStream_tbPNSt15iterator_traitsISI_E10value_typeEPNSO_ISJ_E10value_typeEPSK_NS1_7vsmem_tEENKUlT_SI_SJ_SK_E_clIPiSD_S10_SD_EESH_SX_SI_SJ_SK_EUlSX_E1_NS1_11comp_targetILNS1_3genE2ELNS1_11target_archE906ELNS1_3gpuE6ELNS1_3repE0EEENS1_36merge_oddeven_config_static_selectorELNS0_4arch9wavefront6targetE1EEEvSJ_,@function
_ZN7rocprim17ROCPRIM_400000_NS6detail17trampoline_kernelINS0_14default_configENS1_38merge_sort_block_merge_config_selectorIiiEEZZNS1_27merge_sort_block_merge_implIS3_N6thrust23THRUST_200600_302600_NS6detail15normal_iteratorINS8_10device_ptrIiEEEESD_jNS1_19radix_merge_compareILb1ELb0EiNS0_19identity_decomposerEEEEE10hipError_tT0_T1_T2_jT3_P12ihipStream_tbPNSt15iterator_traitsISI_E10value_typeEPNSO_ISJ_E10value_typeEPSK_NS1_7vsmem_tEENKUlT_SI_SJ_SK_E_clIPiSD_S10_SD_EESH_SX_SI_SJ_SK_EUlSX_E1_NS1_11comp_targetILNS1_3genE2ELNS1_11target_archE906ELNS1_3gpuE6ELNS1_3repE0EEENS1_36merge_oddeven_config_static_selectorELNS0_4arch9wavefront6targetE1EEEvSJ_: ; @_ZN7rocprim17ROCPRIM_400000_NS6detail17trampoline_kernelINS0_14default_configENS1_38merge_sort_block_merge_config_selectorIiiEEZZNS1_27merge_sort_block_merge_implIS3_N6thrust23THRUST_200600_302600_NS6detail15normal_iteratorINS8_10device_ptrIiEEEESD_jNS1_19radix_merge_compareILb1ELb0EiNS0_19identity_decomposerEEEEE10hipError_tT0_T1_T2_jT3_P12ihipStream_tbPNSt15iterator_traitsISI_E10value_typeEPNSO_ISJ_E10value_typeEPSK_NS1_7vsmem_tEENKUlT_SI_SJ_SK_E_clIPiSD_S10_SD_EESH_SX_SI_SJ_SK_EUlSX_E1_NS1_11comp_targetILNS1_3genE2ELNS1_11target_archE906ELNS1_3gpuE6ELNS1_3repE0EEENS1_36merge_oddeven_config_static_selectorELNS0_4arch9wavefront6targetE1EEEvSJ_
; %bb.0:
	.section	.rodata,"a",@progbits
	.p2align	6, 0x0
	.amdhsa_kernel _ZN7rocprim17ROCPRIM_400000_NS6detail17trampoline_kernelINS0_14default_configENS1_38merge_sort_block_merge_config_selectorIiiEEZZNS1_27merge_sort_block_merge_implIS3_N6thrust23THRUST_200600_302600_NS6detail15normal_iteratorINS8_10device_ptrIiEEEESD_jNS1_19radix_merge_compareILb1ELb0EiNS0_19identity_decomposerEEEEE10hipError_tT0_T1_T2_jT3_P12ihipStream_tbPNSt15iterator_traitsISI_E10value_typeEPNSO_ISJ_E10value_typeEPSK_NS1_7vsmem_tEENKUlT_SI_SJ_SK_E_clIPiSD_S10_SD_EESH_SX_SI_SJ_SK_EUlSX_E1_NS1_11comp_targetILNS1_3genE2ELNS1_11target_archE906ELNS1_3gpuE6ELNS1_3repE0EEENS1_36merge_oddeven_config_static_selectorELNS0_4arch9wavefront6targetE1EEEvSJ_
		.amdhsa_group_segment_fixed_size 0
		.amdhsa_private_segment_fixed_size 0
		.amdhsa_kernarg_size 48
		.amdhsa_user_sgpr_count 2
		.amdhsa_user_sgpr_dispatch_ptr 0
		.amdhsa_user_sgpr_queue_ptr 0
		.amdhsa_user_sgpr_kernarg_segment_ptr 1
		.amdhsa_user_sgpr_dispatch_id 0
		.amdhsa_user_sgpr_kernarg_preload_length 0
		.amdhsa_user_sgpr_kernarg_preload_offset 0
		.amdhsa_user_sgpr_private_segment_size 0
		.amdhsa_uses_dynamic_stack 0
		.amdhsa_enable_private_segment 0
		.amdhsa_system_sgpr_workgroup_id_x 1
		.amdhsa_system_sgpr_workgroup_id_y 0
		.amdhsa_system_sgpr_workgroup_id_z 0
		.amdhsa_system_sgpr_workgroup_info 0
		.amdhsa_system_vgpr_workitem_id 0
		.amdhsa_next_free_vgpr 1
		.amdhsa_next_free_sgpr 0
		.amdhsa_accum_offset 4
		.amdhsa_reserve_vcc 0
		.amdhsa_float_round_mode_32 0
		.amdhsa_float_round_mode_16_64 0
		.amdhsa_float_denorm_mode_32 3
		.amdhsa_float_denorm_mode_16_64 3
		.amdhsa_dx10_clamp 1
		.amdhsa_ieee_mode 1
		.amdhsa_fp16_overflow 0
		.amdhsa_tg_split 0
		.amdhsa_exception_fp_ieee_invalid_op 0
		.amdhsa_exception_fp_denorm_src 0
		.amdhsa_exception_fp_ieee_div_zero 0
		.amdhsa_exception_fp_ieee_overflow 0
		.amdhsa_exception_fp_ieee_underflow 0
		.amdhsa_exception_fp_ieee_inexact 0
		.amdhsa_exception_int_div_zero 0
	.end_amdhsa_kernel
	.section	.text._ZN7rocprim17ROCPRIM_400000_NS6detail17trampoline_kernelINS0_14default_configENS1_38merge_sort_block_merge_config_selectorIiiEEZZNS1_27merge_sort_block_merge_implIS3_N6thrust23THRUST_200600_302600_NS6detail15normal_iteratorINS8_10device_ptrIiEEEESD_jNS1_19radix_merge_compareILb1ELb0EiNS0_19identity_decomposerEEEEE10hipError_tT0_T1_T2_jT3_P12ihipStream_tbPNSt15iterator_traitsISI_E10value_typeEPNSO_ISJ_E10value_typeEPSK_NS1_7vsmem_tEENKUlT_SI_SJ_SK_E_clIPiSD_S10_SD_EESH_SX_SI_SJ_SK_EUlSX_E1_NS1_11comp_targetILNS1_3genE2ELNS1_11target_archE906ELNS1_3gpuE6ELNS1_3repE0EEENS1_36merge_oddeven_config_static_selectorELNS0_4arch9wavefront6targetE1EEEvSJ_,"axG",@progbits,_ZN7rocprim17ROCPRIM_400000_NS6detail17trampoline_kernelINS0_14default_configENS1_38merge_sort_block_merge_config_selectorIiiEEZZNS1_27merge_sort_block_merge_implIS3_N6thrust23THRUST_200600_302600_NS6detail15normal_iteratorINS8_10device_ptrIiEEEESD_jNS1_19radix_merge_compareILb1ELb0EiNS0_19identity_decomposerEEEEE10hipError_tT0_T1_T2_jT3_P12ihipStream_tbPNSt15iterator_traitsISI_E10value_typeEPNSO_ISJ_E10value_typeEPSK_NS1_7vsmem_tEENKUlT_SI_SJ_SK_E_clIPiSD_S10_SD_EESH_SX_SI_SJ_SK_EUlSX_E1_NS1_11comp_targetILNS1_3genE2ELNS1_11target_archE906ELNS1_3gpuE6ELNS1_3repE0EEENS1_36merge_oddeven_config_static_selectorELNS0_4arch9wavefront6targetE1EEEvSJ_,comdat
.Lfunc_end906:
	.size	_ZN7rocprim17ROCPRIM_400000_NS6detail17trampoline_kernelINS0_14default_configENS1_38merge_sort_block_merge_config_selectorIiiEEZZNS1_27merge_sort_block_merge_implIS3_N6thrust23THRUST_200600_302600_NS6detail15normal_iteratorINS8_10device_ptrIiEEEESD_jNS1_19radix_merge_compareILb1ELb0EiNS0_19identity_decomposerEEEEE10hipError_tT0_T1_T2_jT3_P12ihipStream_tbPNSt15iterator_traitsISI_E10value_typeEPNSO_ISJ_E10value_typeEPSK_NS1_7vsmem_tEENKUlT_SI_SJ_SK_E_clIPiSD_S10_SD_EESH_SX_SI_SJ_SK_EUlSX_E1_NS1_11comp_targetILNS1_3genE2ELNS1_11target_archE906ELNS1_3gpuE6ELNS1_3repE0EEENS1_36merge_oddeven_config_static_selectorELNS0_4arch9wavefront6targetE1EEEvSJ_, .Lfunc_end906-_ZN7rocprim17ROCPRIM_400000_NS6detail17trampoline_kernelINS0_14default_configENS1_38merge_sort_block_merge_config_selectorIiiEEZZNS1_27merge_sort_block_merge_implIS3_N6thrust23THRUST_200600_302600_NS6detail15normal_iteratorINS8_10device_ptrIiEEEESD_jNS1_19radix_merge_compareILb1ELb0EiNS0_19identity_decomposerEEEEE10hipError_tT0_T1_T2_jT3_P12ihipStream_tbPNSt15iterator_traitsISI_E10value_typeEPNSO_ISJ_E10value_typeEPSK_NS1_7vsmem_tEENKUlT_SI_SJ_SK_E_clIPiSD_S10_SD_EESH_SX_SI_SJ_SK_EUlSX_E1_NS1_11comp_targetILNS1_3genE2ELNS1_11target_archE906ELNS1_3gpuE6ELNS1_3repE0EEENS1_36merge_oddeven_config_static_selectorELNS0_4arch9wavefront6targetE1EEEvSJ_
                                        ; -- End function
	.set _ZN7rocprim17ROCPRIM_400000_NS6detail17trampoline_kernelINS0_14default_configENS1_38merge_sort_block_merge_config_selectorIiiEEZZNS1_27merge_sort_block_merge_implIS3_N6thrust23THRUST_200600_302600_NS6detail15normal_iteratorINS8_10device_ptrIiEEEESD_jNS1_19radix_merge_compareILb1ELb0EiNS0_19identity_decomposerEEEEE10hipError_tT0_T1_T2_jT3_P12ihipStream_tbPNSt15iterator_traitsISI_E10value_typeEPNSO_ISJ_E10value_typeEPSK_NS1_7vsmem_tEENKUlT_SI_SJ_SK_E_clIPiSD_S10_SD_EESH_SX_SI_SJ_SK_EUlSX_E1_NS1_11comp_targetILNS1_3genE2ELNS1_11target_archE906ELNS1_3gpuE6ELNS1_3repE0EEENS1_36merge_oddeven_config_static_selectorELNS0_4arch9wavefront6targetE1EEEvSJ_.num_vgpr, 0
	.set _ZN7rocprim17ROCPRIM_400000_NS6detail17trampoline_kernelINS0_14default_configENS1_38merge_sort_block_merge_config_selectorIiiEEZZNS1_27merge_sort_block_merge_implIS3_N6thrust23THRUST_200600_302600_NS6detail15normal_iteratorINS8_10device_ptrIiEEEESD_jNS1_19radix_merge_compareILb1ELb0EiNS0_19identity_decomposerEEEEE10hipError_tT0_T1_T2_jT3_P12ihipStream_tbPNSt15iterator_traitsISI_E10value_typeEPNSO_ISJ_E10value_typeEPSK_NS1_7vsmem_tEENKUlT_SI_SJ_SK_E_clIPiSD_S10_SD_EESH_SX_SI_SJ_SK_EUlSX_E1_NS1_11comp_targetILNS1_3genE2ELNS1_11target_archE906ELNS1_3gpuE6ELNS1_3repE0EEENS1_36merge_oddeven_config_static_selectorELNS0_4arch9wavefront6targetE1EEEvSJ_.num_agpr, 0
	.set _ZN7rocprim17ROCPRIM_400000_NS6detail17trampoline_kernelINS0_14default_configENS1_38merge_sort_block_merge_config_selectorIiiEEZZNS1_27merge_sort_block_merge_implIS3_N6thrust23THRUST_200600_302600_NS6detail15normal_iteratorINS8_10device_ptrIiEEEESD_jNS1_19radix_merge_compareILb1ELb0EiNS0_19identity_decomposerEEEEE10hipError_tT0_T1_T2_jT3_P12ihipStream_tbPNSt15iterator_traitsISI_E10value_typeEPNSO_ISJ_E10value_typeEPSK_NS1_7vsmem_tEENKUlT_SI_SJ_SK_E_clIPiSD_S10_SD_EESH_SX_SI_SJ_SK_EUlSX_E1_NS1_11comp_targetILNS1_3genE2ELNS1_11target_archE906ELNS1_3gpuE6ELNS1_3repE0EEENS1_36merge_oddeven_config_static_selectorELNS0_4arch9wavefront6targetE1EEEvSJ_.numbered_sgpr, 0
	.set _ZN7rocprim17ROCPRIM_400000_NS6detail17trampoline_kernelINS0_14default_configENS1_38merge_sort_block_merge_config_selectorIiiEEZZNS1_27merge_sort_block_merge_implIS3_N6thrust23THRUST_200600_302600_NS6detail15normal_iteratorINS8_10device_ptrIiEEEESD_jNS1_19radix_merge_compareILb1ELb0EiNS0_19identity_decomposerEEEEE10hipError_tT0_T1_T2_jT3_P12ihipStream_tbPNSt15iterator_traitsISI_E10value_typeEPNSO_ISJ_E10value_typeEPSK_NS1_7vsmem_tEENKUlT_SI_SJ_SK_E_clIPiSD_S10_SD_EESH_SX_SI_SJ_SK_EUlSX_E1_NS1_11comp_targetILNS1_3genE2ELNS1_11target_archE906ELNS1_3gpuE6ELNS1_3repE0EEENS1_36merge_oddeven_config_static_selectorELNS0_4arch9wavefront6targetE1EEEvSJ_.num_named_barrier, 0
	.set _ZN7rocprim17ROCPRIM_400000_NS6detail17trampoline_kernelINS0_14default_configENS1_38merge_sort_block_merge_config_selectorIiiEEZZNS1_27merge_sort_block_merge_implIS3_N6thrust23THRUST_200600_302600_NS6detail15normal_iteratorINS8_10device_ptrIiEEEESD_jNS1_19radix_merge_compareILb1ELb0EiNS0_19identity_decomposerEEEEE10hipError_tT0_T1_T2_jT3_P12ihipStream_tbPNSt15iterator_traitsISI_E10value_typeEPNSO_ISJ_E10value_typeEPSK_NS1_7vsmem_tEENKUlT_SI_SJ_SK_E_clIPiSD_S10_SD_EESH_SX_SI_SJ_SK_EUlSX_E1_NS1_11comp_targetILNS1_3genE2ELNS1_11target_archE906ELNS1_3gpuE6ELNS1_3repE0EEENS1_36merge_oddeven_config_static_selectorELNS0_4arch9wavefront6targetE1EEEvSJ_.private_seg_size, 0
	.set _ZN7rocprim17ROCPRIM_400000_NS6detail17trampoline_kernelINS0_14default_configENS1_38merge_sort_block_merge_config_selectorIiiEEZZNS1_27merge_sort_block_merge_implIS3_N6thrust23THRUST_200600_302600_NS6detail15normal_iteratorINS8_10device_ptrIiEEEESD_jNS1_19radix_merge_compareILb1ELb0EiNS0_19identity_decomposerEEEEE10hipError_tT0_T1_T2_jT3_P12ihipStream_tbPNSt15iterator_traitsISI_E10value_typeEPNSO_ISJ_E10value_typeEPSK_NS1_7vsmem_tEENKUlT_SI_SJ_SK_E_clIPiSD_S10_SD_EESH_SX_SI_SJ_SK_EUlSX_E1_NS1_11comp_targetILNS1_3genE2ELNS1_11target_archE906ELNS1_3gpuE6ELNS1_3repE0EEENS1_36merge_oddeven_config_static_selectorELNS0_4arch9wavefront6targetE1EEEvSJ_.uses_vcc, 0
	.set _ZN7rocprim17ROCPRIM_400000_NS6detail17trampoline_kernelINS0_14default_configENS1_38merge_sort_block_merge_config_selectorIiiEEZZNS1_27merge_sort_block_merge_implIS3_N6thrust23THRUST_200600_302600_NS6detail15normal_iteratorINS8_10device_ptrIiEEEESD_jNS1_19radix_merge_compareILb1ELb0EiNS0_19identity_decomposerEEEEE10hipError_tT0_T1_T2_jT3_P12ihipStream_tbPNSt15iterator_traitsISI_E10value_typeEPNSO_ISJ_E10value_typeEPSK_NS1_7vsmem_tEENKUlT_SI_SJ_SK_E_clIPiSD_S10_SD_EESH_SX_SI_SJ_SK_EUlSX_E1_NS1_11comp_targetILNS1_3genE2ELNS1_11target_archE906ELNS1_3gpuE6ELNS1_3repE0EEENS1_36merge_oddeven_config_static_selectorELNS0_4arch9wavefront6targetE1EEEvSJ_.uses_flat_scratch, 0
	.set _ZN7rocprim17ROCPRIM_400000_NS6detail17trampoline_kernelINS0_14default_configENS1_38merge_sort_block_merge_config_selectorIiiEEZZNS1_27merge_sort_block_merge_implIS3_N6thrust23THRUST_200600_302600_NS6detail15normal_iteratorINS8_10device_ptrIiEEEESD_jNS1_19radix_merge_compareILb1ELb0EiNS0_19identity_decomposerEEEEE10hipError_tT0_T1_T2_jT3_P12ihipStream_tbPNSt15iterator_traitsISI_E10value_typeEPNSO_ISJ_E10value_typeEPSK_NS1_7vsmem_tEENKUlT_SI_SJ_SK_E_clIPiSD_S10_SD_EESH_SX_SI_SJ_SK_EUlSX_E1_NS1_11comp_targetILNS1_3genE2ELNS1_11target_archE906ELNS1_3gpuE6ELNS1_3repE0EEENS1_36merge_oddeven_config_static_selectorELNS0_4arch9wavefront6targetE1EEEvSJ_.has_dyn_sized_stack, 0
	.set _ZN7rocprim17ROCPRIM_400000_NS6detail17trampoline_kernelINS0_14default_configENS1_38merge_sort_block_merge_config_selectorIiiEEZZNS1_27merge_sort_block_merge_implIS3_N6thrust23THRUST_200600_302600_NS6detail15normal_iteratorINS8_10device_ptrIiEEEESD_jNS1_19radix_merge_compareILb1ELb0EiNS0_19identity_decomposerEEEEE10hipError_tT0_T1_T2_jT3_P12ihipStream_tbPNSt15iterator_traitsISI_E10value_typeEPNSO_ISJ_E10value_typeEPSK_NS1_7vsmem_tEENKUlT_SI_SJ_SK_E_clIPiSD_S10_SD_EESH_SX_SI_SJ_SK_EUlSX_E1_NS1_11comp_targetILNS1_3genE2ELNS1_11target_archE906ELNS1_3gpuE6ELNS1_3repE0EEENS1_36merge_oddeven_config_static_selectorELNS0_4arch9wavefront6targetE1EEEvSJ_.has_recursion, 0
	.set _ZN7rocprim17ROCPRIM_400000_NS6detail17trampoline_kernelINS0_14default_configENS1_38merge_sort_block_merge_config_selectorIiiEEZZNS1_27merge_sort_block_merge_implIS3_N6thrust23THRUST_200600_302600_NS6detail15normal_iteratorINS8_10device_ptrIiEEEESD_jNS1_19radix_merge_compareILb1ELb0EiNS0_19identity_decomposerEEEEE10hipError_tT0_T1_T2_jT3_P12ihipStream_tbPNSt15iterator_traitsISI_E10value_typeEPNSO_ISJ_E10value_typeEPSK_NS1_7vsmem_tEENKUlT_SI_SJ_SK_E_clIPiSD_S10_SD_EESH_SX_SI_SJ_SK_EUlSX_E1_NS1_11comp_targetILNS1_3genE2ELNS1_11target_archE906ELNS1_3gpuE6ELNS1_3repE0EEENS1_36merge_oddeven_config_static_selectorELNS0_4arch9wavefront6targetE1EEEvSJ_.has_indirect_call, 0
	.section	.AMDGPU.csdata,"",@progbits
; Kernel info:
; codeLenInByte = 0
; TotalNumSgprs: 6
; NumVgprs: 0
; NumAgprs: 0
; TotalNumVgprs: 0
; ScratchSize: 0
; MemoryBound: 0
; FloatMode: 240
; IeeeMode: 1
; LDSByteSize: 0 bytes/workgroup (compile time only)
; SGPRBlocks: 0
; VGPRBlocks: 0
; NumSGPRsForWavesPerEU: 6
; NumVGPRsForWavesPerEU: 1
; AccumOffset: 4
; Occupancy: 8
; WaveLimiterHint : 0
; COMPUTE_PGM_RSRC2:SCRATCH_EN: 0
; COMPUTE_PGM_RSRC2:USER_SGPR: 2
; COMPUTE_PGM_RSRC2:TRAP_HANDLER: 0
; COMPUTE_PGM_RSRC2:TGID_X_EN: 1
; COMPUTE_PGM_RSRC2:TGID_Y_EN: 0
; COMPUTE_PGM_RSRC2:TGID_Z_EN: 0
; COMPUTE_PGM_RSRC2:TIDIG_COMP_CNT: 0
; COMPUTE_PGM_RSRC3_GFX90A:ACCUM_OFFSET: 0
; COMPUTE_PGM_RSRC3_GFX90A:TG_SPLIT: 0
	.section	.text._ZN7rocprim17ROCPRIM_400000_NS6detail17trampoline_kernelINS0_14default_configENS1_38merge_sort_block_merge_config_selectorIiiEEZZNS1_27merge_sort_block_merge_implIS3_N6thrust23THRUST_200600_302600_NS6detail15normal_iteratorINS8_10device_ptrIiEEEESD_jNS1_19radix_merge_compareILb1ELb0EiNS0_19identity_decomposerEEEEE10hipError_tT0_T1_T2_jT3_P12ihipStream_tbPNSt15iterator_traitsISI_E10value_typeEPNSO_ISJ_E10value_typeEPSK_NS1_7vsmem_tEENKUlT_SI_SJ_SK_E_clIPiSD_S10_SD_EESH_SX_SI_SJ_SK_EUlSX_E1_NS1_11comp_targetILNS1_3genE9ELNS1_11target_archE1100ELNS1_3gpuE3ELNS1_3repE0EEENS1_36merge_oddeven_config_static_selectorELNS0_4arch9wavefront6targetE1EEEvSJ_,"axG",@progbits,_ZN7rocprim17ROCPRIM_400000_NS6detail17trampoline_kernelINS0_14default_configENS1_38merge_sort_block_merge_config_selectorIiiEEZZNS1_27merge_sort_block_merge_implIS3_N6thrust23THRUST_200600_302600_NS6detail15normal_iteratorINS8_10device_ptrIiEEEESD_jNS1_19radix_merge_compareILb1ELb0EiNS0_19identity_decomposerEEEEE10hipError_tT0_T1_T2_jT3_P12ihipStream_tbPNSt15iterator_traitsISI_E10value_typeEPNSO_ISJ_E10value_typeEPSK_NS1_7vsmem_tEENKUlT_SI_SJ_SK_E_clIPiSD_S10_SD_EESH_SX_SI_SJ_SK_EUlSX_E1_NS1_11comp_targetILNS1_3genE9ELNS1_11target_archE1100ELNS1_3gpuE3ELNS1_3repE0EEENS1_36merge_oddeven_config_static_selectorELNS0_4arch9wavefront6targetE1EEEvSJ_,comdat
	.protected	_ZN7rocprim17ROCPRIM_400000_NS6detail17trampoline_kernelINS0_14default_configENS1_38merge_sort_block_merge_config_selectorIiiEEZZNS1_27merge_sort_block_merge_implIS3_N6thrust23THRUST_200600_302600_NS6detail15normal_iteratorINS8_10device_ptrIiEEEESD_jNS1_19radix_merge_compareILb1ELb0EiNS0_19identity_decomposerEEEEE10hipError_tT0_T1_T2_jT3_P12ihipStream_tbPNSt15iterator_traitsISI_E10value_typeEPNSO_ISJ_E10value_typeEPSK_NS1_7vsmem_tEENKUlT_SI_SJ_SK_E_clIPiSD_S10_SD_EESH_SX_SI_SJ_SK_EUlSX_E1_NS1_11comp_targetILNS1_3genE9ELNS1_11target_archE1100ELNS1_3gpuE3ELNS1_3repE0EEENS1_36merge_oddeven_config_static_selectorELNS0_4arch9wavefront6targetE1EEEvSJ_ ; -- Begin function _ZN7rocprim17ROCPRIM_400000_NS6detail17trampoline_kernelINS0_14default_configENS1_38merge_sort_block_merge_config_selectorIiiEEZZNS1_27merge_sort_block_merge_implIS3_N6thrust23THRUST_200600_302600_NS6detail15normal_iteratorINS8_10device_ptrIiEEEESD_jNS1_19radix_merge_compareILb1ELb0EiNS0_19identity_decomposerEEEEE10hipError_tT0_T1_T2_jT3_P12ihipStream_tbPNSt15iterator_traitsISI_E10value_typeEPNSO_ISJ_E10value_typeEPSK_NS1_7vsmem_tEENKUlT_SI_SJ_SK_E_clIPiSD_S10_SD_EESH_SX_SI_SJ_SK_EUlSX_E1_NS1_11comp_targetILNS1_3genE9ELNS1_11target_archE1100ELNS1_3gpuE3ELNS1_3repE0EEENS1_36merge_oddeven_config_static_selectorELNS0_4arch9wavefront6targetE1EEEvSJ_
	.globl	_ZN7rocprim17ROCPRIM_400000_NS6detail17trampoline_kernelINS0_14default_configENS1_38merge_sort_block_merge_config_selectorIiiEEZZNS1_27merge_sort_block_merge_implIS3_N6thrust23THRUST_200600_302600_NS6detail15normal_iteratorINS8_10device_ptrIiEEEESD_jNS1_19radix_merge_compareILb1ELb0EiNS0_19identity_decomposerEEEEE10hipError_tT0_T1_T2_jT3_P12ihipStream_tbPNSt15iterator_traitsISI_E10value_typeEPNSO_ISJ_E10value_typeEPSK_NS1_7vsmem_tEENKUlT_SI_SJ_SK_E_clIPiSD_S10_SD_EESH_SX_SI_SJ_SK_EUlSX_E1_NS1_11comp_targetILNS1_3genE9ELNS1_11target_archE1100ELNS1_3gpuE3ELNS1_3repE0EEENS1_36merge_oddeven_config_static_selectorELNS0_4arch9wavefront6targetE1EEEvSJ_
	.p2align	8
	.type	_ZN7rocprim17ROCPRIM_400000_NS6detail17trampoline_kernelINS0_14default_configENS1_38merge_sort_block_merge_config_selectorIiiEEZZNS1_27merge_sort_block_merge_implIS3_N6thrust23THRUST_200600_302600_NS6detail15normal_iteratorINS8_10device_ptrIiEEEESD_jNS1_19radix_merge_compareILb1ELb0EiNS0_19identity_decomposerEEEEE10hipError_tT0_T1_T2_jT3_P12ihipStream_tbPNSt15iterator_traitsISI_E10value_typeEPNSO_ISJ_E10value_typeEPSK_NS1_7vsmem_tEENKUlT_SI_SJ_SK_E_clIPiSD_S10_SD_EESH_SX_SI_SJ_SK_EUlSX_E1_NS1_11comp_targetILNS1_3genE9ELNS1_11target_archE1100ELNS1_3gpuE3ELNS1_3repE0EEENS1_36merge_oddeven_config_static_selectorELNS0_4arch9wavefront6targetE1EEEvSJ_,@function
_ZN7rocprim17ROCPRIM_400000_NS6detail17trampoline_kernelINS0_14default_configENS1_38merge_sort_block_merge_config_selectorIiiEEZZNS1_27merge_sort_block_merge_implIS3_N6thrust23THRUST_200600_302600_NS6detail15normal_iteratorINS8_10device_ptrIiEEEESD_jNS1_19radix_merge_compareILb1ELb0EiNS0_19identity_decomposerEEEEE10hipError_tT0_T1_T2_jT3_P12ihipStream_tbPNSt15iterator_traitsISI_E10value_typeEPNSO_ISJ_E10value_typeEPSK_NS1_7vsmem_tEENKUlT_SI_SJ_SK_E_clIPiSD_S10_SD_EESH_SX_SI_SJ_SK_EUlSX_E1_NS1_11comp_targetILNS1_3genE9ELNS1_11target_archE1100ELNS1_3gpuE3ELNS1_3repE0EEENS1_36merge_oddeven_config_static_selectorELNS0_4arch9wavefront6targetE1EEEvSJ_: ; @_ZN7rocprim17ROCPRIM_400000_NS6detail17trampoline_kernelINS0_14default_configENS1_38merge_sort_block_merge_config_selectorIiiEEZZNS1_27merge_sort_block_merge_implIS3_N6thrust23THRUST_200600_302600_NS6detail15normal_iteratorINS8_10device_ptrIiEEEESD_jNS1_19radix_merge_compareILb1ELb0EiNS0_19identity_decomposerEEEEE10hipError_tT0_T1_T2_jT3_P12ihipStream_tbPNSt15iterator_traitsISI_E10value_typeEPNSO_ISJ_E10value_typeEPSK_NS1_7vsmem_tEENKUlT_SI_SJ_SK_E_clIPiSD_S10_SD_EESH_SX_SI_SJ_SK_EUlSX_E1_NS1_11comp_targetILNS1_3genE9ELNS1_11target_archE1100ELNS1_3gpuE3ELNS1_3repE0EEENS1_36merge_oddeven_config_static_selectorELNS0_4arch9wavefront6targetE1EEEvSJ_
; %bb.0:
	.section	.rodata,"a",@progbits
	.p2align	6, 0x0
	.amdhsa_kernel _ZN7rocprim17ROCPRIM_400000_NS6detail17trampoline_kernelINS0_14default_configENS1_38merge_sort_block_merge_config_selectorIiiEEZZNS1_27merge_sort_block_merge_implIS3_N6thrust23THRUST_200600_302600_NS6detail15normal_iteratorINS8_10device_ptrIiEEEESD_jNS1_19radix_merge_compareILb1ELb0EiNS0_19identity_decomposerEEEEE10hipError_tT0_T1_T2_jT3_P12ihipStream_tbPNSt15iterator_traitsISI_E10value_typeEPNSO_ISJ_E10value_typeEPSK_NS1_7vsmem_tEENKUlT_SI_SJ_SK_E_clIPiSD_S10_SD_EESH_SX_SI_SJ_SK_EUlSX_E1_NS1_11comp_targetILNS1_3genE9ELNS1_11target_archE1100ELNS1_3gpuE3ELNS1_3repE0EEENS1_36merge_oddeven_config_static_selectorELNS0_4arch9wavefront6targetE1EEEvSJ_
		.amdhsa_group_segment_fixed_size 0
		.amdhsa_private_segment_fixed_size 0
		.amdhsa_kernarg_size 48
		.amdhsa_user_sgpr_count 2
		.amdhsa_user_sgpr_dispatch_ptr 0
		.amdhsa_user_sgpr_queue_ptr 0
		.amdhsa_user_sgpr_kernarg_segment_ptr 1
		.amdhsa_user_sgpr_dispatch_id 0
		.amdhsa_user_sgpr_kernarg_preload_length 0
		.amdhsa_user_sgpr_kernarg_preload_offset 0
		.amdhsa_user_sgpr_private_segment_size 0
		.amdhsa_uses_dynamic_stack 0
		.amdhsa_enable_private_segment 0
		.amdhsa_system_sgpr_workgroup_id_x 1
		.amdhsa_system_sgpr_workgroup_id_y 0
		.amdhsa_system_sgpr_workgroup_id_z 0
		.amdhsa_system_sgpr_workgroup_info 0
		.amdhsa_system_vgpr_workitem_id 0
		.amdhsa_next_free_vgpr 1
		.amdhsa_next_free_sgpr 0
		.amdhsa_accum_offset 4
		.amdhsa_reserve_vcc 0
		.amdhsa_float_round_mode_32 0
		.amdhsa_float_round_mode_16_64 0
		.amdhsa_float_denorm_mode_32 3
		.amdhsa_float_denorm_mode_16_64 3
		.amdhsa_dx10_clamp 1
		.amdhsa_ieee_mode 1
		.amdhsa_fp16_overflow 0
		.amdhsa_tg_split 0
		.amdhsa_exception_fp_ieee_invalid_op 0
		.amdhsa_exception_fp_denorm_src 0
		.amdhsa_exception_fp_ieee_div_zero 0
		.amdhsa_exception_fp_ieee_overflow 0
		.amdhsa_exception_fp_ieee_underflow 0
		.amdhsa_exception_fp_ieee_inexact 0
		.amdhsa_exception_int_div_zero 0
	.end_amdhsa_kernel
	.section	.text._ZN7rocprim17ROCPRIM_400000_NS6detail17trampoline_kernelINS0_14default_configENS1_38merge_sort_block_merge_config_selectorIiiEEZZNS1_27merge_sort_block_merge_implIS3_N6thrust23THRUST_200600_302600_NS6detail15normal_iteratorINS8_10device_ptrIiEEEESD_jNS1_19radix_merge_compareILb1ELb0EiNS0_19identity_decomposerEEEEE10hipError_tT0_T1_T2_jT3_P12ihipStream_tbPNSt15iterator_traitsISI_E10value_typeEPNSO_ISJ_E10value_typeEPSK_NS1_7vsmem_tEENKUlT_SI_SJ_SK_E_clIPiSD_S10_SD_EESH_SX_SI_SJ_SK_EUlSX_E1_NS1_11comp_targetILNS1_3genE9ELNS1_11target_archE1100ELNS1_3gpuE3ELNS1_3repE0EEENS1_36merge_oddeven_config_static_selectorELNS0_4arch9wavefront6targetE1EEEvSJ_,"axG",@progbits,_ZN7rocprim17ROCPRIM_400000_NS6detail17trampoline_kernelINS0_14default_configENS1_38merge_sort_block_merge_config_selectorIiiEEZZNS1_27merge_sort_block_merge_implIS3_N6thrust23THRUST_200600_302600_NS6detail15normal_iteratorINS8_10device_ptrIiEEEESD_jNS1_19radix_merge_compareILb1ELb0EiNS0_19identity_decomposerEEEEE10hipError_tT0_T1_T2_jT3_P12ihipStream_tbPNSt15iterator_traitsISI_E10value_typeEPNSO_ISJ_E10value_typeEPSK_NS1_7vsmem_tEENKUlT_SI_SJ_SK_E_clIPiSD_S10_SD_EESH_SX_SI_SJ_SK_EUlSX_E1_NS1_11comp_targetILNS1_3genE9ELNS1_11target_archE1100ELNS1_3gpuE3ELNS1_3repE0EEENS1_36merge_oddeven_config_static_selectorELNS0_4arch9wavefront6targetE1EEEvSJ_,comdat
.Lfunc_end907:
	.size	_ZN7rocprim17ROCPRIM_400000_NS6detail17trampoline_kernelINS0_14default_configENS1_38merge_sort_block_merge_config_selectorIiiEEZZNS1_27merge_sort_block_merge_implIS3_N6thrust23THRUST_200600_302600_NS6detail15normal_iteratorINS8_10device_ptrIiEEEESD_jNS1_19radix_merge_compareILb1ELb0EiNS0_19identity_decomposerEEEEE10hipError_tT0_T1_T2_jT3_P12ihipStream_tbPNSt15iterator_traitsISI_E10value_typeEPNSO_ISJ_E10value_typeEPSK_NS1_7vsmem_tEENKUlT_SI_SJ_SK_E_clIPiSD_S10_SD_EESH_SX_SI_SJ_SK_EUlSX_E1_NS1_11comp_targetILNS1_3genE9ELNS1_11target_archE1100ELNS1_3gpuE3ELNS1_3repE0EEENS1_36merge_oddeven_config_static_selectorELNS0_4arch9wavefront6targetE1EEEvSJ_, .Lfunc_end907-_ZN7rocprim17ROCPRIM_400000_NS6detail17trampoline_kernelINS0_14default_configENS1_38merge_sort_block_merge_config_selectorIiiEEZZNS1_27merge_sort_block_merge_implIS3_N6thrust23THRUST_200600_302600_NS6detail15normal_iteratorINS8_10device_ptrIiEEEESD_jNS1_19radix_merge_compareILb1ELb0EiNS0_19identity_decomposerEEEEE10hipError_tT0_T1_T2_jT3_P12ihipStream_tbPNSt15iterator_traitsISI_E10value_typeEPNSO_ISJ_E10value_typeEPSK_NS1_7vsmem_tEENKUlT_SI_SJ_SK_E_clIPiSD_S10_SD_EESH_SX_SI_SJ_SK_EUlSX_E1_NS1_11comp_targetILNS1_3genE9ELNS1_11target_archE1100ELNS1_3gpuE3ELNS1_3repE0EEENS1_36merge_oddeven_config_static_selectorELNS0_4arch9wavefront6targetE1EEEvSJ_
                                        ; -- End function
	.set _ZN7rocprim17ROCPRIM_400000_NS6detail17trampoline_kernelINS0_14default_configENS1_38merge_sort_block_merge_config_selectorIiiEEZZNS1_27merge_sort_block_merge_implIS3_N6thrust23THRUST_200600_302600_NS6detail15normal_iteratorINS8_10device_ptrIiEEEESD_jNS1_19radix_merge_compareILb1ELb0EiNS0_19identity_decomposerEEEEE10hipError_tT0_T1_T2_jT3_P12ihipStream_tbPNSt15iterator_traitsISI_E10value_typeEPNSO_ISJ_E10value_typeEPSK_NS1_7vsmem_tEENKUlT_SI_SJ_SK_E_clIPiSD_S10_SD_EESH_SX_SI_SJ_SK_EUlSX_E1_NS1_11comp_targetILNS1_3genE9ELNS1_11target_archE1100ELNS1_3gpuE3ELNS1_3repE0EEENS1_36merge_oddeven_config_static_selectorELNS0_4arch9wavefront6targetE1EEEvSJ_.num_vgpr, 0
	.set _ZN7rocprim17ROCPRIM_400000_NS6detail17trampoline_kernelINS0_14default_configENS1_38merge_sort_block_merge_config_selectorIiiEEZZNS1_27merge_sort_block_merge_implIS3_N6thrust23THRUST_200600_302600_NS6detail15normal_iteratorINS8_10device_ptrIiEEEESD_jNS1_19radix_merge_compareILb1ELb0EiNS0_19identity_decomposerEEEEE10hipError_tT0_T1_T2_jT3_P12ihipStream_tbPNSt15iterator_traitsISI_E10value_typeEPNSO_ISJ_E10value_typeEPSK_NS1_7vsmem_tEENKUlT_SI_SJ_SK_E_clIPiSD_S10_SD_EESH_SX_SI_SJ_SK_EUlSX_E1_NS1_11comp_targetILNS1_3genE9ELNS1_11target_archE1100ELNS1_3gpuE3ELNS1_3repE0EEENS1_36merge_oddeven_config_static_selectorELNS0_4arch9wavefront6targetE1EEEvSJ_.num_agpr, 0
	.set _ZN7rocprim17ROCPRIM_400000_NS6detail17trampoline_kernelINS0_14default_configENS1_38merge_sort_block_merge_config_selectorIiiEEZZNS1_27merge_sort_block_merge_implIS3_N6thrust23THRUST_200600_302600_NS6detail15normal_iteratorINS8_10device_ptrIiEEEESD_jNS1_19radix_merge_compareILb1ELb0EiNS0_19identity_decomposerEEEEE10hipError_tT0_T1_T2_jT3_P12ihipStream_tbPNSt15iterator_traitsISI_E10value_typeEPNSO_ISJ_E10value_typeEPSK_NS1_7vsmem_tEENKUlT_SI_SJ_SK_E_clIPiSD_S10_SD_EESH_SX_SI_SJ_SK_EUlSX_E1_NS1_11comp_targetILNS1_3genE9ELNS1_11target_archE1100ELNS1_3gpuE3ELNS1_3repE0EEENS1_36merge_oddeven_config_static_selectorELNS0_4arch9wavefront6targetE1EEEvSJ_.numbered_sgpr, 0
	.set _ZN7rocprim17ROCPRIM_400000_NS6detail17trampoline_kernelINS0_14default_configENS1_38merge_sort_block_merge_config_selectorIiiEEZZNS1_27merge_sort_block_merge_implIS3_N6thrust23THRUST_200600_302600_NS6detail15normal_iteratorINS8_10device_ptrIiEEEESD_jNS1_19radix_merge_compareILb1ELb0EiNS0_19identity_decomposerEEEEE10hipError_tT0_T1_T2_jT3_P12ihipStream_tbPNSt15iterator_traitsISI_E10value_typeEPNSO_ISJ_E10value_typeEPSK_NS1_7vsmem_tEENKUlT_SI_SJ_SK_E_clIPiSD_S10_SD_EESH_SX_SI_SJ_SK_EUlSX_E1_NS1_11comp_targetILNS1_3genE9ELNS1_11target_archE1100ELNS1_3gpuE3ELNS1_3repE0EEENS1_36merge_oddeven_config_static_selectorELNS0_4arch9wavefront6targetE1EEEvSJ_.num_named_barrier, 0
	.set _ZN7rocprim17ROCPRIM_400000_NS6detail17trampoline_kernelINS0_14default_configENS1_38merge_sort_block_merge_config_selectorIiiEEZZNS1_27merge_sort_block_merge_implIS3_N6thrust23THRUST_200600_302600_NS6detail15normal_iteratorINS8_10device_ptrIiEEEESD_jNS1_19radix_merge_compareILb1ELb0EiNS0_19identity_decomposerEEEEE10hipError_tT0_T1_T2_jT3_P12ihipStream_tbPNSt15iterator_traitsISI_E10value_typeEPNSO_ISJ_E10value_typeEPSK_NS1_7vsmem_tEENKUlT_SI_SJ_SK_E_clIPiSD_S10_SD_EESH_SX_SI_SJ_SK_EUlSX_E1_NS1_11comp_targetILNS1_3genE9ELNS1_11target_archE1100ELNS1_3gpuE3ELNS1_3repE0EEENS1_36merge_oddeven_config_static_selectorELNS0_4arch9wavefront6targetE1EEEvSJ_.private_seg_size, 0
	.set _ZN7rocprim17ROCPRIM_400000_NS6detail17trampoline_kernelINS0_14default_configENS1_38merge_sort_block_merge_config_selectorIiiEEZZNS1_27merge_sort_block_merge_implIS3_N6thrust23THRUST_200600_302600_NS6detail15normal_iteratorINS8_10device_ptrIiEEEESD_jNS1_19radix_merge_compareILb1ELb0EiNS0_19identity_decomposerEEEEE10hipError_tT0_T1_T2_jT3_P12ihipStream_tbPNSt15iterator_traitsISI_E10value_typeEPNSO_ISJ_E10value_typeEPSK_NS1_7vsmem_tEENKUlT_SI_SJ_SK_E_clIPiSD_S10_SD_EESH_SX_SI_SJ_SK_EUlSX_E1_NS1_11comp_targetILNS1_3genE9ELNS1_11target_archE1100ELNS1_3gpuE3ELNS1_3repE0EEENS1_36merge_oddeven_config_static_selectorELNS0_4arch9wavefront6targetE1EEEvSJ_.uses_vcc, 0
	.set _ZN7rocprim17ROCPRIM_400000_NS6detail17trampoline_kernelINS0_14default_configENS1_38merge_sort_block_merge_config_selectorIiiEEZZNS1_27merge_sort_block_merge_implIS3_N6thrust23THRUST_200600_302600_NS6detail15normal_iteratorINS8_10device_ptrIiEEEESD_jNS1_19radix_merge_compareILb1ELb0EiNS0_19identity_decomposerEEEEE10hipError_tT0_T1_T2_jT3_P12ihipStream_tbPNSt15iterator_traitsISI_E10value_typeEPNSO_ISJ_E10value_typeEPSK_NS1_7vsmem_tEENKUlT_SI_SJ_SK_E_clIPiSD_S10_SD_EESH_SX_SI_SJ_SK_EUlSX_E1_NS1_11comp_targetILNS1_3genE9ELNS1_11target_archE1100ELNS1_3gpuE3ELNS1_3repE0EEENS1_36merge_oddeven_config_static_selectorELNS0_4arch9wavefront6targetE1EEEvSJ_.uses_flat_scratch, 0
	.set _ZN7rocprim17ROCPRIM_400000_NS6detail17trampoline_kernelINS0_14default_configENS1_38merge_sort_block_merge_config_selectorIiiEEZZNS1_27merge_sort_block_merge_implIS3_N6thrust23THRUST_200600_302600_NS6detail15normal_iteratorINS8_10device_ptrIiEEEESD_jNS1_19radix_merge_compareILb1ELb0EiNS0_19identity_decomposerEEEEE10hipError_tT0_T1_T2_jT3_P12ihipStream_tbPNSt15iterator_traitsISI_E10value_typeEPNSO_ISJ_E10value_typeEPSK_NS1_7vsmem_tEENKUlT_SI_SJ_SK_E_clIPiSD_S10_SD_EESH_SX_SI_SJ_SK_EUlSX_E1_NS1_11comp_targetILNS1_3genE9ELNS1_11target_archE1100ELNS1_3gpuE3ELNS1_3repE0EEENS1_36merge_oddeven_config_static_selectorELNS0_4arch9wavefront6targetE1EEEvSJ_.has_dyn_sized_stack, 0
	.set _ZN7rocprim17ROCPRIM_400000_NS6detail17trampoline_kernelINS0_14default_configENS1_38merge_sort_block_merge_config_selectorIiiEEZZNS1_27merge_sort_block_merge_implIS3_N6thrust23THRUST_200600_302600_NS6detail15normal_iteratorINS8_10device_ptrIiEEEESD_jNS1_19radix_merge_compareILb1ELb0EiNS0_19identity_decomposerEEEEE10hipError_tT0_T1_T2_jT3_P12ihipStream_tbPNSt15iterator_traitsISI_E10value_typeEPNSO_ISJ_E10value_typeEPSK_NS1_7vsmem_tEENKUlT_SI_SJ_SK_E_clIPiSD_S10_SD_EESH_SX_SI_SJ_SK_EUlSX_E1_NS1_11comp_targetILNS1_3genE9ELNS1_11target_archE1100ELNS1_3gpuE3ELNS1_3repE0EEENS1_36merge_oddeven_config_static_selectorELNS0_4arch9wavefront6targetE1EEEvSJ_.has_recursion, 0
	.set _ZN7rocprim17ROCPRIM_400000_NS6detail17trampoline_kernelINS0_14default_configENS1_38merge_sort_block_merge_config_selectorIiiEEZZNS1_27merge_sort_block_merge_implIS3_N6thrust23THRUST_200600_302600_NS6detail15normal_iteratorINS8_10device_ptrIiEEEESD_jNS1_19radix_merge_compareILb1ELb0EiNS0_19identity_decomposerEEEEE10hipError_tT0_T1_T2_jT3_P12ihipStream_tbPNSt15iterator_traitsISI_E10value_typeEPNSO_ISJ_E10value_typeEPSK_NS1_7vsmem_tEENKUlT_SI_SJ_SK_E_clIPiSD_S10_SD_EESH_SX_SI_SJ_SK_EUlSX_E1_NS1_11comp_targetILNS1_3genE9ELNS1_11target_archE1100ELNS1_3gpuE3ELNS1_3repE0EEENS1_36merge_oddeven_config_static_selectorELNS0_4arch9wavefront6targetE1EEEvSJ_.has_indirect_call, 0
	.section	.AMDGPU.csdata,"",@progbits
; Kernel info:
; codeLenInByte = 0
; TotalNumSgprs: 6
; NumVgprs: 0
; NumAgprs: 0
; TotalNumVgprs: 0
; ScratchSize: 0
; MemoryBound: 0
; FloatMode: 240
; IeeeMode: 1
; LDSByteSize: 0 bytes/workgroup (compile time only)
; SGPRBlocks: 0
; VGPRBlocks: 0
; NumSGPRsForWavesPerEU: 6
; NumVGPRsForWavesPerEU: 1
; AccumOffset: 4
; Occupancy: 8
; WaveLimiterHint : 0
; COMPUTE_PGM_RSRC2:SCRATCH_EN: 0
; COMPUTE_PGM_RSRC2:USER_SGPR: 2
; COMPUTE_PGM_RSRC2:TRAP_HANDLER: 0
; COMPUTE_PGM_RSRC2:TGID_X_EN: 1
; COMPUTE_PGM_RSRC2:TGID_Y_EN: 0
; COMPUTE_PGM_RSRC2:TGID_Z_EN: 0
; COMPUTE_PGM_RSRC2:TIDIG_COMP_CNT: 0
; COMPUTE_PGM_RSRC3_GFX90A:ACCUM_OFFSET: 0
; COMPUTE_PGM_RSRC3_GFX90A:TG_SPLIT: 0
	.section	.text._ZN7rocprim17ROCPRIM_400000_NS6detail17trampoline_kernelINS0_14default_configENS1_38merge_sort_block_merge_config_selectorIiiEEZZNS1_27merge_sort_block_merge_implIS3_N6thrust23THRUST_200600_302600_NS6detail15normal_iteratorINS8_10device_ptrIiEEEESD_jNS1_19radix_merge_compareILb1ELb0EiNS0_19identity_decomposerEEEEE10hipError_tT0_T1_T2_jT3_P12ihipStream_tbPNSt15iterator_traitsISI_E10value_typeEPNSO_ISJ_E10value_typeEPSK_NS1_7vsmem_tEENKUlT_SI_SJ_SK_E_clIPiSD_S10_SD_EESH_SX_SI_SJ_SK_EUlSX_E1_NS1_11comp_targetILNS1_3genE8ELNS1_11target_archE1030ELNS1_3gpuE2ELNS1_3repE0EEENS1_36merge_oddeven_config_static_selectorELNS0_4arch9wavefront6targetE1EEEvSJ_,"axG",@progbits,_ZN7rocprim17ROCPRIM_400000_NS6detail17trampoline_kernelINS0_14default_configENS1_38merge_sort_block_merge_config_selectorIiiEEZZNS1_27merge_sort_block_merge_implIS3_N6thrust23THRUST_200600_302600_NS6detail15normal_iteratorINS8_10device_ptrIiEEEESD_jNS1_19radix_merge_compareILb1ELb0EiNS0_19identity_decomposerEEEEE10hipError_tT0_T1_T2_jT3_P12ihipStream_tbPNSt15iterator_traitsISI_E10value_typeEPNSO_ISJ_E10value_typeEPSK_NS1_7vsmem_tEENKUlT_SI_SJ_SK_E_clIPiSD_S10_SD_EESH_SX_SI_SJ_SK_EUlSX_E1_NS1_11comp_targetILNS1_3genE8ELNS1_11target_archE1030ELNS1_3gpuE2ELNS1_3repE0EEENS1_36merge_oddeven_config_static_selectorELNS0_4arch9wavefront6targetE1EEEvSJ_,comdat
	.protected	_ZN7rocprim17ROCPRIM_400000_NS6detail17trampoline_kernelINS0_14default_configENS1_38merge_sort_block_merge_config_selectorIiiEEZZNS1_27merge_sort_block_merge_implIS3_N6thrust23THRUST_200600_302600_NS6detail15normal_iteratorINS8_10device_ptrIiEEEESD_jNS1_19radix_merge_compareILb1ELb0EiNS0_19identity_decomposerEEEEE10hipError_tT0_T1_T2_jT3_P12ihipStream_tbPNSt15iterator_traitsISI_E10value_typeEPNSO_ISJ_E10value_typeEPSK_NS1_7vsmem_tEENKUlT_SI_SJ_SK_E_clIPiSD_S10_SD_EESH_SX_SI_SJ_SK_EUlSX_E1_NS1_11comp_targetILNS1_3genE8ELNS1_11target_archE1030ELNS1_3gpuE2ELNS1_3repE0EEENS1_36merge_oddeven_config_static_selectorELNS0_4arch9wavefront6targetE1EEEvSJ_ ; -- Begin function _ZN7rocprim17ROCPRIM_400000_NS6detail17trampoline_kernelINS0_14default_configENS1_38merge_sort_block_merge_config_selectorIiiEEZZNS1_27merge_sort_block_merge_implIS3_N6thrust23THRUST_200600_302600_NS6detail15normal_iteratorINS8_10device_ptrIiEEEESD_jNS1_19radix_merge_compareILb1ELb0EiNS0_19identity_decomposerEEEEE10hipError_tT0_T1_T2_jT3_P12ihipStream_tbPNSt15iterator_traitsISI_E10value_typeEPNSO_ISJ_E10value_typeEPSK_NS1_7vsmem_tEENKUlT_SI_SJ_SK_E_clIPiSD_S10_SD_EESH_SX_SI_SJ_SK_EUlSX_E1_NS1_11comp_targetILNS1_3genE8ELNS1_11target_archE1030ELNS1_3gpuE2ELNS1_3repE0EEENS1_36merge_oddeven_config_static_selectorELNS0_4arch9wavefront6targetE1EEEvSJ_
	.globl	_ZN7rocprim17ROCPRIM_400000_NS6detail17trampoline_kernelINS0_14default_configENS1_38merge_sort_block_merge_config_selectorIiiEEZZNS1_27merge_sort_block_merge_implIS3_N6thrust23THRUST_200600_302600_NS6detail15normal_iteratorINS8_10device_ptrIiEEEESD_jNS1_19radix_merge_compareILb1ELb0EiNS0_19identity_decomposerEEEEE10hipError_tT0_T1_T2_jT3_P12ihipStream_tbPNSt15iterator_traitsISI_E10value_typeEPNSO_ISJ_E10value_typeEPSK_NS1_7vsmem_tEENKUlT_SI_SJ_SK_E_clIPiSD_S10_SD_EESH_SX_SI_SJ_SK_EUlSX_E1_NS1_11comp_targetILNS1_3genE8ELNS1_11target_archE1030ELNS1_3gpuE2ELNS1_3repE0EEENS1_36merge_oddeven_config_static_selectorELNS0_4arch9wavefront6targetE1EEEvSJ_
	.p2align	8
	.type	_ZN7rocprim17ROCPRIM_400000_NS6detail17trampoline_kernelINS0_14default_configENS1_38merge_sort_block_merge_config_selectorIiiEEZZNS1_27merge_sort_block_merge_implIS3_N6thrust23THRUST_200600_302600_NS6detail15normal_iteratorINS8_10device_ptrIiEEEESD_jNS1_19radix_merge_compareILb1ELb0EiNS0_19identity_decomposerEEEEE10hipError_tT0_T1_T2_jT3_P12ihipStream_tbPNSt15iterator_traitsISI_E10value_typeEPNSO_ISJ_E10value_typeEPSK_NS1_7vsmem_tEENKUlT_SI_SJ_SK_E_clIPiSD_S10_SD_EESH_SX_SI_SJ_SK_EUlSX_E1_NS1_11comp_targetILNS1_3genE8ELNS1_11target_archE1030ELNS1_3gpuE2ELNS1_3repE0EEENS1_36merge_oddeven_config_static_selectorELNS0_4arch9wavefront6targetE1EEEvSJ_,@function
_ZN7rocprim17ROCPRIM_400000_NS6detail17trampoline_kernelINS0_14default_configENS1_38merge_sort_block_merge_config_selectorIiiEEZZNS1_27merge_sort_block_merge_implIS3_N6thrust23THRUST_200600_302600_NS6detail15normal_iteratorINS8_10device_ptrIiEEEESD_jNS1_19radix_merge_compareILb1ELb0EiNS0_19identity_decomposerEEEEE10hipError_tT0_T1_T2_jT3_P12ihipStream_tbPNSt15iterator_traitsISI_E10value_typeEPNSO_ISJ_E10value_typeEPSK_NS1_7vsmem_tEENKUlT_SI_SJ_SK_E_clIPiSD_S10_SD_EESH_SX_SI_SJ_SK_EUlSX_E1_NS1_11comp_targetILNS1_3genE8ELNS1_11target_archE1030ELNS1_3gpuE2ELNS1_3repE0EEENS1_36merge_oddeven_config_static_selectorELNS0_4arch9wavefront6targetE1EEEvSJ_: ; @_ZN7rocprim17ROCPRIM_400000_NS6detail17trampoline_kernelINS0_14default_configENS1_38merge_sort_block_merge_config_selectorIiiEEZZNS1_27merge_sort_block_merge_implIS3_N6thrust23THRUST_200600_302600_NS6detail15normal_iteratorINS8_10device_ptrIiEEEESD_jNS1_19radix_merge_compareILb1ELb0EiNS0_19identity_decomposerEEEEE10hipError_tT0_T1_T2_jT3_P12ihipStream_tbPNSt15iterator_traitsISI_E10value_typeEPNSO_ISJ_E10value_typeEPSK_NS1_7vsmem_tEENKUlT_SI_SJ_SK_E_clIPiSD_S10_SD_EESH_SX_SI_SJ_SK_EUlSX_E1_NS1_11comp_targetILNS1_3genE8ELNS1_11target_archE1030ELNS1_3gpuE2ELNS1_3repE0EEENS1_36merge_oddeven_config_static_selectorELNS0_4arch9wavefront6targetE1EEEvSJ_
; %bb.0:
	.section	.rodata,"a",@progbits
	.p2align	6, 0x0
	.amdhsa_kernel _ZN7rocprim17ROCPRIM_400000_NS6detail17trampoline_kernelINS0_14default_configENS1_38merge_sort_block_merge_config_selectorIiiEEZZNS1_27merge_sort_block_merge_implIS3_N6thrust23THRUST_200600_302600_NS6detail15normal_iteratorINS8_10device_ptrIiEEEESD_jNS1_19radix_merge_compareILb1ELb0EiNS0_19identity_decomposerEEEEE10hipError_tT0_T1_T2_jT3_P12ihipStream_tbPNSt15iterator_traitsISI_E10value_typeEPNSO_ISJ_E10value_typeEPSK_NS1_7vsmem_tEENKUlT_SI_SJ_SK_E_clIPiSD_S10_SD_EESH_SX_SI_SJ_SK_EUlSX_E1_NS1_11comp_targetILNS1_3genE8ELNS1_11target_archE1030ELNS1_3gpuE2ELNS1_3repE0EEENS1_36merge_oddeven_config_static_selectorELNS0_4arch9wavefront6targetE1EEEvSJ_
		.amdhsa_group_segment_fixed_size 0
		.amdhsa_private_segment_fixed_size 0
		.amdhsa_kernarg_size 48
		.amdhsa_user_sgpr_count 2
		.amdhsa_user_sgpr_dispatch_ptr 0
		.amdhsa_user_sgpr_queue_ptr 0
		.amdhsa_user_sgpr_kernarg_segment_ptr 1
		.amdhsa_user_sgpr_dispatch_id 0
		.amdhsa_user_sgpr_kernarg_preload_length 0
		.amdhsa_user_sgpr_kernarg_preload_offset 0
		.amdhsa_user_sgpr_private_segment_size 0
		.amdhsa_uses_dynamic_stack 0
		.amdhsa_enable_private_segment 0
		.amdhsa_system_sgpr_workgroup_id_x 1
		.amdhsa_system_sgpr_workgroup_id_y 0
		.amdhsa_system_sgpr_workgroup_id_z 0
		.amdhsa_system_sgpr_workgroup_info 0
		.amdhsa_system_vgpr_workitem_id 0
		.amdhsa_next_free_vgpr 1
		.amdhsa_next_free_sgpr 0
		.amdhsa_accum_offset 4
		.amdhsa_reserve_vcc 0
		.amdhsa_float_round_mode_32 0
		.amdhsa_float_round_mode_16_64 0
		.amdhsa_float_denorm_mode_32 3
		.amdhsa_float_denorm_mode_16_64 3
		.amdhsa_dx10_clamp 1
		.amdhsa_ieee_mode 1
		.amdhsa_fp16_overflow 0
		.amdhsa_tg_split 0
		.amdhsa_exception_fp_ieee_invalid_op 0
		.amdhsa_exception_fp_denorm_src 0
		.amdhsa_exception_fp_ieee_div_zero 0
		.amdhsa_exception_fp_ieee_overflow 0
		.amdhsa_exception_fp_ieee_underflow 0
		.amdhsa_exception_fp_ieee_inexact 0
		.amdhsa_exception_int_div_zero 0
	.end_amdhsa_kernel
	.section	.text._ZN7rocprim17ROCPRIM_400000_NS6detail17trampoline_kernelINS0_14default_configENS1_38merge_sort_block_merge_config_selectorIiiEEZZNS1_27merge_sort_block_merge_implIS3_N6thrust23THRUST_200600_302600_NS6detail15normal_iteratorINS8_10device_ptrIiEEEESD_jNS1_19radix_merge_compareILb1ELb0EiNS0_19identity_decomposerEEEEE10hipError_tT0_T1_T2_jT3_P12ihipStream_tbPNSt15iterator_traitsISI_E10value_typeEPNSO_ISJ_E10value_typeEPSK_NS1_7vsmem_tEENKUlT_SI_SJ_SK_E_clIPiSD_S10_SD_EESH_SX_SI_SJ_SK_EUlSX_E1_NS1_11comp_targetILNS1_3genE8ELNS1_11target_archE1030ELNS1_3gpuE2ELNS1_3repE0EEENS1_36merge_oddeven_config_static_selectorELNS0_4arch9wavefront6targetE1EEEvSJ_,"axG",@progbits,_ZN7rocprim17ROCPRIM_400000_NS6detail17trampoline_kernelINS0_14default_configENS1_38merge_sort_block_merge_config_selectorIiiEEZZNS1_27merge_sort_block_merge_implIS3_N6thrust23THRUST_200600_302600_NS6detail15normal_iteratorINS8_10device_ptrIiEEEESD_jNS1_19radix_merge_compareILb1ELb0EiNS0_19identity_decomposerEEEEE10hipError_tT0_T1_T2_jT3_P12ihipStream_tbPNSt15iterator_traitsISI_E10value_typeEPNSO_ISJ_E10value_typeEPSK_NS1_7vsmem_tEENKUlT_SI_SJ_SK_E_clIPiSD_S10_SD_EESH_SX_SI_SJ_SK_EUlSX_E1_NS1_11comp_targetILNS1_3genE8ELNS1_11target_archE1030ELNS1_3gpuE2ELNS1_3repE0EEENS1_36merge_oddeven_config_static_selectorELNS0_4arch9wavefront6targetE1EEEvSJ_,comdat
.Lfunc_end908:
	.size	_ZN7rocprim17ROCPRIM_400000_NS6detail17trampoline_kernelINS0_14default_configENS1_38merge_sort_block_merge_config_selectorIiiEEZZNS1_27merge_sort_block_merge_implIS3_N6thrust23THRUST_200600_302600_NS6detail15normal_iteratorINS8_10device_ptrIiEEEESD_jNS1_19radix_merge_compareILb1ELb0EiNS0_19identity_decomposerEEEEE10hipError_tT0_T1_T2_jT3_P12ihipStream_tbPNSt15iterator_traitsISI_E10value_typeEPNSO_ISJ_E10value_typeEPSK_NS1_7vsmem_tEENKUlT_SI_SJ_SK_E_clIPiSD_S10_SD_EESH_SX_SI_SJ_SK_EUlSX_E1_NS1_11comp_targetILNS1_3genE8ELNS1_11target_archE1030ELNS1_3gpuE2ELNS1_3repE0EEENS1_36merge_oddeven_config_static_selectorELNS0_4arch9wavefront6targetE1EEEvSJ_, .Lfunc_end908-_ZN7rocprim17ROCPRIM_400000_NS6detail17trampoline_kernelINS0_14default_configENS1_38merge_sort_block_merge_config_selectorIiiEEZZNS1_27merge_sort_block_merge_implIS3_N6thrust23THRUST_200600_302600_NS6detail15normal_iteratorINS8_10device_ptrIiEEEESD_jNS1_19radix_merge_compareILb1ELb0EiNS0_19identity_decomposerEEEEE10hipError_tT0_T1_T2_jT3_P12ihipStream_tbPNSt15iterator_traitsISI_E10value_typeEPNSO_ISJ_E10value_typeEPSK_NS1_7vsmem_tEENKUlT_SI_SJ_SK_E_clIPiSD_S10_SD_EESH_SX_SI_SJ_SK_EUlSX_E1_NS1_11comp_targetILNS1_3genE8ELNS1_11target_archE1030ELNS1_3gpuE2ELNS1_3repE0EEENS1_36merge_oddeven_config_static_selectorELNS0_4arch9wavefront6targetE1EEEvSJ_
                                        ; -- End function
	.set _ZN7rocprim17ROCPRIM_400000_NS6detail17trampoline_kernelINS0_14default_configENS1_38merge_sort_block_merge_config_selectorIiiEEZZNS1_27merge_sort_block_merge_implIS3_N6thrust23THRUST_200600_302600_NS6detail15normal_iteratorINS8_10device_ptrIiEEEESD_jNS1_19radix_merge_compareILb1ELb0EiNS0_19identity_decomposerEEEEE10hipError_tT0_T1_T2_jT3_P12ihipStream_tbPNSt15iterator_traitsISI_E10value_typeEPNSO_ISJ_E10value_typeEPSK_NS1_7vsmem_tEENKUlT_SI_SJ_SK_E_clIPiSD_S10_SD_EESH_SX_SI_SJ_SK_EUlSX_E1_NS1_11comp_targetILNS1_3genE8ELNS1_11target_archE1030ELNS1_3gpuE2ELNS1_3repE0EEENS1_36merge_oddeven_config_static_selectorELNS0_4arch9wavefront6targetE1EEEvSJ_.num_vgpr, 0
	.set _ZN7rocprim17ROCPRIM_400000_NS6detail17trampoline_kernelINS0_14default_configENS1_38merge_sort_block_merge_config_selectorIiiEEZZNS1_27merge_sort_block_merge_implIS3_N6thrust23THRUST_200600_302600_NS6detail15normal_iteratorINS8_10device_ptrIiEEEESD_jNS1_19radix_merge_compareILb1ELb0EiNS0_19identity_decomposerEEEEE10hipError_tT0_T1_T2_jT3_P12ihipStream_tbPNSt15iterator_traitsISI_E10value_typeEPNSO_ISJ_E10value_typeEPSK_NS1_7vsmem_tEENKUlT_SI_SJ_SK_E_clIPiSD_S10_SD_EESH_SX_SI_SJ_SK_EUlSX_E1_NS1_11comp_targetILNS1_3genE8ELNS1_11target_archE1030ELNS1_3gpuE2ELNS1_3repE0EEENS1_36merge_oddeven_config_static_selectorELNS0_4arch9wavefront6targetE1EEEvSJ_.num_agpr, 0
	.set _ZN7rocprim17ROCPRIM_400000_NS6detail17trampoline_kernelINS0_14default_configENS1_38merge_sort_block_merge_config_selectorIiiEEZZNS1_27merge_sort_block_merge_implIS3_N6thrust23THRUST_200600_302600_NS6detail15normal_iteratorINS8_10device_ptrIiEEEESD_jNS1_19radix_merge_compareILb1ELb0EiNS0_19identity_decomposerEEEEE10hipError_tT0_T1_T2_jT3_P12ihipStream_tbPNSt15iterator_traitsISI_E10value_typeEPNSO_ISJ_E10value_typeEPSK_NS1_7vsmem_tEENKUlT_SI_SJ_SK_E_clIPiSD_S10_SD_EESH_SX_SI_SJ_SK_EUlSX_E1_NS1_11comp_targetILNS1_3genE8ELNS1_11target_archE1030ELNS1_3gpuE2ELNS1_3repE0EEENS1_36merge_oddeven_config_static_selectorELNS0_4arch9wavefront6targetE1EEEvSJ_.numbered_sgpr, 0
	.set _ZN7rocprim17ROCPRIM_400000_NS6detail17trampoline_kernelINS0_14default_configENS1_38merge_sort_block_merge_config_selectorIiiEEZZNS1_27merge_sort_block_merge_implIS3_N6thrust23THRUST_200600_302600_NS6detail15normal_iteratorINS8_10device_ptrIiEEEESD_jNS1_19radix_merge_compareILb1ELb0EiNS0_19identity_decomposerEEEEE10hipError_tT0_T1_T2_jT3_P12ihipStream_tbPNSt15iterator_traitsISI_E10value_typeEPNSO_ISJ_E10value_typeEPSK_NS1_7vsmem_tEENKUlT_SI_SJ_SK_E_clIPiSD_S10_SD_EESH_SX_SI_SJ_SK_EUlSX_E1_NS1_11comp_targetILNS1_3genE8ELNS1_11target_archE1030ELNS1_3gpuE2ELNS1_3repE0EEENS1_36merge_oddeven_config_static_selectorELNS0_4arch9wavefront6targetE1EEEvSJ_.num_named_barrier, 0
	.set _ZN7rocprim17ROCPRIM_400000_NS6detail17trampoline_kernelINS0_14default_configENS1_38merge_sort_block_merge_config_selectorIiiEEZZNS1_27merge_sort_block_merge_implIS3_N6thrust23THRUST_200600_302600_NS6detail15normal_iteratorINS8_10device_ptrIiEEEESD_jNS1_19radix_merge_compareILb1ELb0EiNS0_19identity_decomposerEEEEE10hipError_tT0_T1_T2_jT3_P12ihipStream_tbPNSt15iterator_traitsISI_E10value_typeEPNSO_ISJ_E10value_typeEPSK_NS1_7vsmem_tEENKUlT_SI_SJ_SK_E_clIPiSD_S10_SD_EESH_SX_SI_SJ_SK_EUlSX_E1_NS1_11comp_targetILNS1_3genE8ELNS1_11target_archE1030ELNS1_3gpuE2ELNS1_3repE0EEENS1_36merge_oddeven_config_static_selectorELNS0_4arch9wavefront6targetE1EEEvSJ_.private_seg_size, 0
	.set _ZN7rocprim17ROCPRIM_400000_NS6detail17trampoline_kernelINS0_14default_configENS1_38merge_sort_block_merge_config_selectorIiiEEZZNS1_27merge_sort_block_merge_implIS3_N6thrust23THRUST_200600_302600_NS6detail15normal_iteratorINS8_10device_ptrIiEEEESD_jNS1_19radix_merge_compareILb1ELb0EiNS0_19identity_decomposerEEEEE10hipError_tT0_T1_T2_jT3_P12ihipStream_tbPNSt15iterator_traitsISI_E10value_typeEPNSO_ISJ_E10value_typeEPSK_NS1_7vsmem_tEENKUlT_SI_SJ_SK_E_clIPiSD_S10_SD_EESH_SX_SI_SJ_SK_EUlSX_E1_NS1_11comp_targetILNS1_3genE8ELNS1_11target_archE1030ELNS1_3gpuE2ELNS1_3repE0EEENS1_36merge_oddeven_config_static_selectorELNS0_4arch9wavefront6targetE1EEEvSJ_.uses_vcc, 0
	.set _ZN7rocprim17ROCPRIM_400000_NS6detail17trampoline_kernelINS0_14default_configENS1_38merge_sort_block_merge_config_selectorIiiEEZZNS1_27merge_sort_block_merge_implIS3_N6thrust23THRUST_200600_302600_NS6detail15normal_iteratorINS8_10device_ptrIiEEEESD_jNS1_19radix_merge_compareILb1ELb0EiNS0_19identity_decomposerEEEEE10hipError_tT0_T1_T2_jT3_P12ihipStream_tbPNSt15iterator_traitsISI_E10value_typeEPNSO_ISJ_E10value_typeEPSK_NS1_7vsmem_tEENKUlT_SI_SJ_SK_E_clIPiSD_S10_SD_EESH_SX_SI_SJ_SK_EUlSX_E1_NS1_11comp_targetILNS1_3genE8ELNS1_11target_archE1030ELNS1_3gpuE2ELNS1_3repE0EEENS1_36merge_oddeven_config_static_selectorELNS0_4arch9wavefront6targetE1EEEvSJ_.uses_flat_scratch, 0
	.set _ZN7rocprim17ROCPRIM_400000_NS6detail17trampoline_kernelINS0_14default_configENS1_38merge_sort_block_merge_config_selectorIiiEEZZNS1_27merge_sort_block_merge_implIS3_N6thrust23THRUST_200600_302600_NS6detail15normal_iteratorINS8_10device_ptrIiEEEESD_jNS1_19radix_merge_compareILb1ELb0EiNS0_19identity_decomposerEEEEE10hipError_tT0_T1_T2_jT3_P12ihipStream_tbPNSt15iterator_traitsISI_E10value_typeEPNSO_ISJ_E10value_typeEPSK_NS1_7vsmem_tEENKUlT_SI_SJ_SK_E_clIPiSD_S10_SD_EESH_SX_SI_SJ_SK_EUlSX_E1_NS1_11comp_targetILNS1_3genE8ELNS1_11target_archE1030ELNS1_3gpuE2ELNS1_3repE0EEENS1_36merge_oddeven_config_static_selectorELNS0_4arch9wavefront6targetE1EEEvSJ_.has_dyn_sized_stack, 0
	.set _ZN7rocprim17ROCPRIM_400000_NS6detail17trampoline_kernelINS0_14default_configENS1_38merge_sort_block_merge_config_selectorIiiEEZZNS1_27merge_sort_block_merge_implIS3_N6thrust23THRUST_200600_302600_NS6detail15normal_iteratorINS8_10device_ptrIiEEEESD_jNS1_19radix_merge_compareILb1ELb0EiNS0_19identity_decomposerEEEEE10hipError_tT0_T1_T2_jT3_P12ihipStream_tbPNSt15iterator_traitsISI_E10value_typeEPNSO_ISJ_E10value_typeEPSK_NS1_7vsmem_tEENKUlT_SI_SJ_SK_E_clIPiSD_S10_SD_EESH_SX_SI_SJ_SK_EUlSX_E1_NS1_11comp_targetILNS1_3genE8ELNS1_11target_archE1030ELNS1_3gpuE2ELNS1_3repE0EEENS1_36merge_oddeven_config_static_selectorELNS0_4arch9wavefront6targetE1EEEvSJ_.has_recursion, 0
	.set _ZN7rocprim17ROCPRIM_400000_NS6detail17trampoline_kernelINS0_14default_configENS1_38merge_sort_block_merge_config_selectorIiiEEZZNS1_27merge_sort_block_merge_implIS3_N6thrust23THRUST_200600_302600_NS6detail15normal_iteratorINS8_10device_ptrIiEEEESD_jNS1_19radix_merge_compareILb1ELb0EiNS0_19identity_decomposerEEEEE10hipError_tT0_T1_T2_jT3_P12ihipStream_tbPNSt15iterator_traitsISI_E10value_typeEPNSO_ISJ_E10value_typeEPSK_NS1_7vsmem_tEENKUlT_SI_SJ_SK_E_clIPiSD_S10_SD_EESH_SX_SI_SJ_SK_EUlSX_E1_NS1_11comp_targetILNS1_3genE8ELNS1_11target_archE1030ELNS1_3gpuE2ELNS1_3repE0EEENS1_36merge_oddeven_config_static_selectorELNS0_4arch9wavefront6targetE1EEEvSJ_.has_indirect_call, 0
	.section	.AMDGPU.csdata,"",@progbits
; Kernel info:
; codeLenInByte = 0
; TotalNumSgprs: 6
; NumVgprs: 0
; NumAgprs: 0
; TotalNumVgprs: 0
; ScratchSize: 0
; MemoryBound: 0
; FloatMode: 240
; IeeeMode: 1
; LDSByteSize: 0 bytes/workgroup (compile time only)
; SGPRBlocks: 0
; VGPRBlocks: 0
; NumSGPRsForWavesPerEU: 6
; NumVGPRsForWavesPerEU: 1
; AccumOffset: 4
; Occupancy: 8
; WaveLimiterHint : 0
; COMPUTE_PGM_RSRC2:SCRATCH_EN: 0
; COMPUTE_PGM_RSRC2:USER_SGPR: 2
; COMPUTE_PGM_RSRC2:TRAP_HANDLER: 0
; COMPUTE_PGM_RSRC2:TGID_X_EN: 1
; COMPUTE_PGM_RSRC2:TGID_Y_EN: 0
; COMPUTE_PGM_RSRC2:TGID_Z_EN: 0
; COMPUTE_PGM_RSRC2:TIDIG_COMP_CNT: 0
; COMPUTE_PGM_RSRC3_GFX90A:ACCUM_OFFSET: 0
; COMPUTE_PGM_RSRC3_GFX90A:TG_SPLIT: 0
	.section	.text._ZN7rocprim17ROCPRIM_400000_NS6detail17trampoline_kernelINS0_14default_configENS1_38merge_sort_block_merge_config_selectorIiiEEZZNS1_27merge_sort_block_merge_implIS3_N6thrust23THRUST_200600_302600_NS6detail15normal_iteratorINS8_10device_ptrIiEEEESD_jNS1_19radix_merge_compareILb1ELb0EiNS0_19identity_decomposerEEEEE10hipError_tT0_T1_T2_jT3_P12ihipStream_tbPNSt15iterator_traitsISI_E10value_typeEPNSO_ISJ_E10value_typeEPSK_NS1_7vsmem_tEENKUlT_SI_SJ_SK_E_clISD_PiSD_S10_EESH_SX_SI_SJ_SK_EUlSX_E_NS1_11comp_targetILNS1_3genE0ELNS1_11target_archE4294967295ELNS1_3gpuE0ELNS1_3repE0EEENS1_48merge_mergepath_partition_config_static_selectorELNS0_4arch9wavefront6targetE1EEEvSJ_,"axG",@progbits,_ZN7rocprim17ROCPRIM_400000_NS6detail17trampoline_kernelINS0_14default_configENS1_38merge_sort_block_merge_config_selectorIiiEEZZNS1_27merge_sort_block_merge_implIS3_N6thrust23THRUST_200600_302600_NS6detail15normal_iteratorINS8_10device_ptrIiEEEESD_jNS1_19radix_merge_compareILb1ELb0EiNS0_19identity_decomposerEEEEE10hipError_tT0_T1_T2_jT3_P12ihipStream_tbPNSt15iterator_traitsISI_E10value_typeEPNSO_ISJ_E10value_typeEPSK_NS1_7vsmem_tEENKUlT_SI_SJ_SK_E_clISD_PiSD_S10_EESH_SX_SI_SJ_SK_EUlSX_E_NS1_11comp_targetILNS1_3genE0ELNS1_11target_archE4294967295ELNS1_3gpuE0ELNS1_3repE0EEENS1_48merge_mergepath_partition_config_static_selectorELNS0_4arch9wavefront6targetE1EEEvSJ_,comdat
	.protected	_ZN7rocprim17ROCPRIM_400000_NS6detail17trampoline_kernelINS0_14default_configENS1_38merge_sort_block_merge_config_selectorIiiEEZZNS1_27merge_sort_block_merge_implIS3_N6thrust23THRUST_200600_302600_NS6detail15normal_iteratorINS8_10device_ptrIiEEEESD_jNS1_19radix_merge_compareILb1ELb0EiNS0_19identity_decomposerEEEEE10hipError_tT0_T1_T2_jT3_P12ihipStream_tbPNSt15iterator_traitsISI_E10value_typeEPNSO_ISJ_E10value_typeEPSK_NS1_7vsmem_tEENKUlT_SI_SJ_SK_E_clISD_PiSD_S10_EESH_SX_SI_SJ_SK_EUlSX_E_NS1_11comp_targetILNS1_3genE0ELNS1_11target_archE4294967295ELNS1_3gpuE0ELNS1_3repE0EEENS1_48merge_mergepath_partition_config_static_selectorELNS0_4arch9wavefront6targetE1EEEvSJ_ ; -- Begin function _ZN7rocprim17ROCPRIM_400000_NS6detail17trampoline_kernelINS0_14default_configENS1_38merge_sort_block_merge_config_selectorIiiEEZZNS1_27merge_sort_block_merge_implIS3_N6thrust23THRUST_200600_302600_NS6detail15normal_iteratorINS8_10device_ptrIiEEEESD_jNS1_19radix_merge_compareILb1ELb0EiNS0_19identity_decomposerEEEEE10hipError_tT0_T1_T2_jT3_P12ihipStream_tbPNSt15iterator_traitsISI_E10value_typeEPNSO_ISJ_E10value_typeEPSK_NS1_7vsmem_tEENKUlT_SI_SJ_SK_E_clISD_PiSD_S10_EESH_SX_SI_SJ_SK_EUlSX_E_NS1_11comp_targetILNS1_3genE0ELNS1_11target_archE4294967295ELNS1_3gpuE0ELNS1_3repE0EEENS1_48merge_mergepath_partition_config_static_selectorELNS0_4arch9wavefront6targetE1EEEvSJ_
	.globl	_ZN7rocprim17ROCPRIM_400000_NS6detail17trampoline_kernelINS0_14default_configENS1_38merge_sort_block_merge_config_selectorIiiEEZZNS1_27merge_sort_block_merge_implIS3_N6thrust23THRUST_200600_302600_NS6detail15normal_iteratorINS8_10device_ptrIiEEEESD_jNS1_19radix_merge_compareILb1ELb0EiNS0_19identity_decomposerEEEEE10hipError_tT0_T1_T2_jT3_P12ihipStream_tbPNSt15iterator_traitsISI_E10value_typeEPNSO_ISJ_E10value_typeEPSK_NS1_7vsmem_tEENKUlT_SI_SJ_SK_E_clISD_PiSD_S10_EESH_SX_SI_SJ_SK_EUlSX_E_NS1_11comp_targetILNS1_3genE0ELNS1_11target_archE4294967295ELNS1_3gpuE0ELNS1_3repE0EEENS1_48merge_mergepath_partition_config_static_selectorELNS0_4arch9wavefront6targetE1EEEvSJ_
	.p2align	8
	.type	_ZN7rocprim17ROCPRIM_400000_NS6detail17trampoline_kernelINS0_14default_configENS1_38merge_sort_block_merge_config_selectorIiiEEZZNS1_27merge_sort_block_merge_implIS3_N6thrust23THRUST_200600_302600_NS6detail15normal_iteratorINS8_10device_ptrIiEEEESD_jNS1_19radix_merge_compareILb1ELb0EiNS0_19identity_decomposerEEEEE10hipError_tT0_T1_T2_jT3_P12ihipStream_tbPNSt15iterator_traitsISI_E10value_typeEPNSO_ISJ_E10value_typeEPSK_NS1_7vsmem_tEENKUlT_SI_SJ_SK_E_clISD_PiSD_S10_EESH_SX_SI_SJ_SK_EUlSX_E_NS1_11comp_targetILNS1_3genE0ELNS1_11target_archE4294967295ELNS1_3gpuE0ELNS1_3repE0EEENS1_48merge_mergepath_partition_config_static_selectorELNS0_4arch9wavefront6targetE1EEEvSJ_,@function
_ZN7rocprim17ROCPRIM_400000_NS6detail17trampoline_kernelINS0_14default_configENS1_38merge_sort_block_merge_config_selectorIiiEEZZNS1_27merge_sort_block_merge_implIS3_N6thrust23THRUST_200600_302600_NS6detail15normal_iteratorINS8_10device_ptrIiEEEESD_jNS1_19radix_merge_compareILb1ELb0EiNS0_19identity_decomposerEEEEE10hipError_tT0_T1_T2_jT3_P12ihipStream_tbPNSt15iterator_traitsISI_E10value_typeEPNSO_ISJ_E10value_typeEPSK_NS1_7vsmem_tEENKUlT_SI_SJ_SK_E_clISD_PiSD_S10_EESH_SX_SI_SJ_SK_EUlSX_E_NS1_11comp_targetILNS1_3genE0ELNS1_11target_archE4294967295ELNS1_3gpuE0ELNS1_3repE0EEENS1_48merge_mergepath_partition_config_static_selectorELNS0_4arch9wavefront6targetE1EEEvSJ_: ; @_ZN7rocprim17ROCPRIM_400000_NS6detail17trampoline_kernelINS0_14default_configENS1_38merge_sort_block_merge_config_selectorIiiEEZZNS1_27merge_sort_block_merge_implIS3_N6thrust23THRUST_200600_302600_NS6detail15normal_iteratorINS8_10device_ptrIiEEEESD_jNS1_19radix_merge_compareILb1ELb0EiNS0_19identity_decomposerEEEEE10hipError_tT0_T1_T2_jT3_P12ihipStream_tbPNSt15iterator_traitsISI_E10value_typeEPNSO_ISJ_E10value_typeEPSK_NS1_7vsmem_tEENKUlT_SI_SJ_SK_E_clISD_PiSD_S10_EESH_SX_SI_SJ_SK_EUlSX_E_NS1_11comp_targetILNS1_3genE0ELNS1_11target_archE4294967295ELNS1_3gpuE0ELNS1_3repE0EEENS1_48merge_mergepath_partition_config_static_selectorELNS0_4arch9wavefront6targetE1EEEvSJ_
; %bb.0:
	s_load_dword s3, s[0:1], 0x0
	v_lshl_or_b32 v0, s2, 7, v0
	s_waitcnt lgkmcnt(0)
	v_cmp_gt_u32_e32 vcc, s3, v0
	s_and_saveexec_b64 s[2:3], vcc
	s_cbranch_execz .LBB909_6
; %bb.1:
	s_load_dwordx2 s[4:5], s[0:1], 0x4
	s_load_dwordx2 s[2:3], s[0:1], 0x20
	s_waitcnt lgkmcnt(0)
	s_lshr_b32 s6, s4, 9
	s_and_b32 s6, s6, 0x7ffffe
	s_add_i32 s7, s6, -1
	s_sub_i32 s6, 0, s6
	v_and_b32_e32 v1, s6, v0
	v_lshlrev_b32_e32 v1, 10, v1
	v_min_u32_e32 v2, s5, v1
	v_add_u32_e32 v1, s4, v1
	v_min_u32_e32 v4, s5, v1
	v_add_u32_e32 v1, s4, v4
	v_and_b32_e32 v3, s7, v0
	v_min_u32_e32 v1, s5, v1
	v_sub_u32_e32 v5, v1, v2
	v_lshlrev_b32_e32 v3, 10, v3
	v_min_u32_e32 v10, v5, v3
	v_sub_u32_e32 v3, v4, v2
	v_sub_u32_e32 v1, v1, v4
	v_sub_u32_e64 v1, v10, v1 clamp
	v_min_u32_e32 v11, v10, v3
	v_cmp_lt_u32_e32 vcc, v1, v11
	s_and_saveexec_b64 s[4:5], vcc
	s_cbranch_execz .LBB909_5
; %bb.2:
	s_load_dwordx2 s[0:1], s[0:1], 0x10
	v_mov_b32_e32 v5, 0
	v_mov_b32_e32 v3, v5
	s_waitcnt lgkmcnt(0)
	v_lshl_add_u64 v[6:7], v[2:3], 2, s[0:1]
	v_lshl_add_u64 v[8:9], v[4:5], 2, s[0:1]
	s_mov_b64 s[0:1], 0
.LBB909_3:                              ; =>This Inner Loop Header: Depth=1
	v_add_u32_e32 v3, v11, v1
	v_lshrrev_b32_e32 v4, 1, v3
	v_mov_b32_e32 v13, v5
	v_xad_u32 v12, v4, -1, v10
	v_lshl_add_u64 v[14:15], v[4:5], 2, v[6:7]
	v_lshl_add_u64 v[12:13], v[12:13], 2, v[8:9]
	flat_load_dword v3, v[14:15]
	flat_load_dword v16, v[12:13]
	v_add_u32_e32 v12, 1, v4
	s_waitcnt vmcnt(0) lgkmcnt(0)
	v_cmp_gt_i32_e32 vcc, v16, v3
	s_nop 1
	v_cndmask_b32_e32 v11, v11, v4, vcc
	v_cndmask_b32_e32 v1, v12, v1, vcc
	v_cmp_ge_u32_e32 vcc, v1, v11
	s_or_b64 s[0:1], vcc, s[0:1]
	s_andn2_b64 exec, exec, s[0:1]
	s_cbranch_execnz .LBB909_3
; %bb.4:
	s_or_b64 exec, exec, s[0:1]
.LBB909_5:
	s_or_b64 exec, exec, s[4:5]
	v_add_u32_e32 v2, v1, v2
	v_mov_b32_e32 v1, 0
	v_lshl_add_u64 v[0:1], v[0:1], 2, s[2:3]
	global_store_dword v[0:1], v2, off
.LBB909_6:
	s_endpgm
	.section	.rodata,"a",@progbits
	.p2align	6, 0x0
	.amdhsa_kernel _ZN7rocprim17ROCPRIM_400000_NS6detail17trampoline_kernelINS0_14default_configENS1_38merge_sort_block_merge_config_selectorIiiEEZZNS1_27merge_sort_block_merge_implIS3_N6thrust23THRUST_200600_302600_NS6detail15normal_iteratorINS8_10device_ptrIiEEEESD_jNS1_19radix_merge_compareILb1ELb0EiNS0_19identity_decomposerEEEEE10hipError_tT0_T1_T2_jT3_P12ihipStream_tbPNSt15iterator_traitsISI_E10value_typeEPNSO_ISJ_E10value_typeEPSK_NS1_7vsmem_tEENKUlT_SI_SJ_SK_E_clISD_PiSD_S10_EESH_SX_SI_SJ_SK_EUlSX_E_NS1_11comp_targetILNS1_3genE0ELNS1_11target_archE4294967295ELNS1_3gpuE0ELNS1_3repE0EEENS1_48merge_mergepath_partition_config_static_selectorELNS0_4arch9wavefront6targetE1EEEvSJ_
		.amdhsa_group_segment_fixed_size 0
		.amdhsa_private_segment_fixed_size 0
		.amdhsa_kernarg_size 40
		.amdhsa_user_sgpr_count 2
		.amdhsa_user_sgpr_dispatch_ptr 0
		.amdhsa_user_sgpr_queue_ptr 0
		.amdhsa_user_sgpr_kernarg_segment_ptr 1
		.amdhsa_user_sgpr_dispatch_id 0
		.amdhsa_user_sgpr_kernarg_preload_length 0
		.amdhsa_user_sgpr_kernarg_preload_offset 0
		.amdhsa_user_sgpr_private_segment_size 0
		.amdhsa_uses_dynamic_stack 0
		.amdhsa_enable_private_segment 0
		.amdhsa_system_sgpr_workgroup_id_x 1
		.amdhsa_system_sgpr_workgroup_id_y 0
		.amdhsa_system_sgpr_workgroup_id_z 0
		.amdhsa_system_sgpr_workgroup_info 0
		.amdhsa_system_vgpr_workitem_id 0
		.amdhsa_next_free_vgpr 17
		.amdhsa_next_free_sgpr 8
		.amdhsa_accum_offset 20
		.amdhsa_reserve_vcc 1
		.amdhsa_float_round_mode_32 0
		.amdhsa_float_round_mode_16_64 0
		.amdhsa_float_denorm_mode_32 3
		.amdhsa_float_denorm_mode_16_64 3
		.amdhsa_dx10_clamp 1
		.amdhsa_ieee_mode 1
		.amdhsa_fp16_overflow 0
		.amdhsa_tg_split 0
		.amdhsa_exception_fp_ieee_invalid_op 0
		.amdhsa_exception_fp_denorm_src 0
		.amdhsa_exception_fp_ieee_div_zero 0
		.amdhsa_exception_fp_ieee_overflow 0
		.amdhsa_exception_fp_ieee_underflow 0
		.amdhsa_exception_fp_ieee_inexact 0
		.amdhsa_exception_int_div_zero 0
	.end_amdhsa_kernel
	.section	.text._ZN7rocprim17ROCPRIM_400000_NS6detail17trampoline_kernelINS0_14default_configENS1_38merge_sort_block_merge_config_selectorIiiEEZZNS1_27merge_sort_block_merge_implIS3_N6thrust23THRUST_200600_302600_NS6detail15normal_iteratorINS8_10device_ptrIiEEEESD_jNS1_19radix_merge_compareILb1ELb0EiNS0_19identity_decomposerEEEEE10hipError_tT0_T1_T2_jT3_P12ihipStream_tbPNSt15iterator_traitsISI_E10value_typeEPNSO_ISJ_E10value_typeEPSK_NS1_7vsmem_tEENKUlT_SI_SJ_SK_E_clISD_PiSD_S10_EESH_SX_SI_SJ_SK_EUlSX_E_NS1_11comp_targetILNS1_3genE0ELNS1_11target_archE4294967295ELNS1_3gpuE0ELNS1_3repE0EEENS1_48merge_mergepath_partition_config_static_selectorELNS0_4arch9wavefront6targetE1EEEvSJ_,"axG",@progbits,_ZN7rocprim17ROCPRIM_400000_NS6detail17trampoline_kernelINS0_14default_configENS1_38merge_sort_block_merge_config_selectorIiiEEZZNS1_27merge_sort_block_merge_implIS3_N6thrust23THRUST_200600_302600_NS6detail15normal_iteratorINS8_10device_ptrIiEEEESD_jNS1_19radix_merge_compareILb1ELb0EiNS0_19identity_decomposerEEEEE10hipError_tT0_T1_T2_jT3_P12ihipStream_tbPNSt15iterator_traitsISI_E10value_typeEPNSO_ISJ_E10value_typeEPSK_NS1_7vsmem_tEENKUlT_SI_SJ_SK_E_clISD_PiSD_S10_EESH_SX_SI_SJ_SK_EUlSX_E_NS1_11comp_targetILNS1_3genE0ELNS1_11target_archE4294967295ELNS1_3gpuE0ELNS1_3repE0EEENS1_48merge_mergepath_partition_config_static_selectorELNS0_4arch9wavefront6targetE1EEEvSJ_,comdat
.Lfunc_end909:
	.size	_ZN7rocprim17ROCPRIM_400000_NS6detail17trampoline_kernelINS0_14default_configENS1_38merge_sort_block_merge_config_selectorIiiEEZZNS1_27merge_sort_block_merge_implIS3_N6thrust23THRUST_200600_302600_NS6detail15normal_iteratorINS8_10device_ptrIiEEEESD_jNS1_19radix_merge_compareILb1ELb0EiNS0_19identity_decomposerEEEEE10hipError_tT0_T1_T2_jT3_P12ihipStream_tbPNSt15iterator_traitsISI_E10value_typeEPNSO_ISJ_E10value_typeEPSK_NS1_7vsmem_tEENKUlT_SI_SJ_SK_E_clISD_PiSD_S10_EESH_SX_SI_SJ_SK_EUlSX_E_NS1_11comp_targetILNS1_3genE0ELNS1_11target_archE4294967295ELNS1_3gpuE0ELNS1_3repE0EEENS1_48merge_mergepath_partition_config_static_selectorELNS0_4arch9wavefront6targetE1EEEvSJ_, .Lfunc_end909-_ZN7rocprim17ROCPRIM_400000_NS6detail17trampoline_kernelINS0_14default_configENS1_38merge_sort_block_merge_config_selectorIiiEEZZNS1_27merge_sort_block_merge_implIS3_N6thrust23THRUST_200600_302600_NS6detail15normal_iteratorINS8_10device_ptrIiEEEESD_jNS1_19radix_merge_compareILb1ELb0EiNS0_19identity_decomposerEEEEE10hipError_tT0_T1_T2_jT3_P12ihipStream_tbPNSt15iterator_traitsISI_E10value_typeEPNSO_ISJ_E10value_typeEPSK_NS1_7vsmem_tEENKUlT_SI_SJ_SK_E_clISD_PiSD_S10_EESH_SX_SI_SJ_SK_EUlSX_E_NS1_11comp_targetILNS1_3genE0ELNS1_11target_archE4294967295ELNS1_3gpuE0ELNS1_3repE0EEENS1_48merge_mergepath_partition_config_static_selectorELNS0_4arch9wavefront6targetE1EEEvSJ_
                                        ; -- End function
	.set _ZN7rocprim17ROCPRIM_400000_NS6detail17trampoline_kernelINS0_14default_configENS1_38merge_sort_block_merge_config_selectorIiiEEZZNS1_27merge_sort_block_merge_implIS3_N6thrust23THRUST_200600_302600_NS6detail15normal_iteratorINS8_10device_ptrIiEEEESD_jNS1_19radix_merge_compareILb1ELb0EiNS0_19identity_decomposerEEEEE10hipError_tT0_T1_T2_jT3_P12ihipStream_tbPNSt15iterator_traitsISI_E10value_typeEPNSO_ISJ_E10value_typeEPSK_NS1_7vsmem_tEENKUlT_SI_SJ_SK_E_clISD_PiSD_S10_EESH_SX_SI_SJ_SK_EUlSX_E_NS1_11comp_targetILNS1_3genE0ELNS1_11target_archE4294967295ELNS1_3gpuE0ELNS1_3repE0EEENS1_48merge_mergepath_partition_config_static_selectorELNS0_4arch9wavefront6targetE1EEEvSJ_.num_vgpr, 17
	.set _ZN7rocprim17ROCPRIM_400000_NS6detail17trampoline_kernelINS0_14default_configENS1_38merge_sort_block_merge_config_selectorIiiEEZZNS1_27merge_sort_block_merge_implIS3_N6thrust23THRUST_200600_302600_NS6detail15normal_iteratorINS8_10device_ptrIiEEEESD_jNS1_19radix_merge_compareILb1ELb0EiNS0_19identity_decomposerEEEEE10hipError_tT0_T1_T2_jT3_P12ihipStream_tbPNSt15iterator_traitsISI_E10value_typeEPNSO_ISJ_E10value_typeEPSK_NS1_7vsmem_tEENKUlT_SI_SJ_SK_E_clISD_PiSD_S10_EESH_SX_SI_SJ_SK_EUlSX_E_NS1_11comp_targetILNS1_3genE0ELNS1_11target_archE4294967295ELNS1_3gpuE0ELNS1_3repE0EEENS1_48merge_mergepath_partition_config_static_selectorELNS0_4arch9wavefront6targetE1EEEvSJ_.num_agpr, 0
	.set _ZN7rocprim17ROCPRIM_400000_NS6detail17trampoline_kernelINS0_14default_configENS1_38merge_sort_block_merge_config_selectorIiiEEZZNS1_27merge_sort_block_merge_implIS3_N6thrust23THRUST_200600_302600_NS6detail15normal_iteratorINS8_10device_ptrIiEEEESD_jNS1_19radix_merge_compareILb1ELb0EiNS0_19identity_decomposerEEEEE10hipError_tT0_T1_T2_jT3_P12ihipStream_tbPNSt15iterator_traitsISI_E10value_typeEPNSO_ISJ_E10value_typeEPSK_NS1_7vsmem_tEENKUlT_SI_SJ_SK_E_clISD_PiSD_S10_EESH_SX_SI_SJ_SK_EUlSX_E_NS1_11comp_targetILNS1_3genE0ELNS1_11target_archE4294967295ELNS1_3gpuE0ELNS1_3repE0EEENS1_48merge_mergepath_partition_config_static_selectorELNS0_4arch9wavefront6targetE1EEEvSJ_.numbered_sgpr, 8
	.set _ZN7rocprim17ROCPRIM_400000_NS6detail17trampoline_kernelINS0_14default_configENS1_38merge_sort_block_merge_config_selectorIiiEEZZNS1_27merge_sort_block_merge_implIS3_N6thrust23THRUST_200600_302600_NS6detail15normal_iteratorINS8_10device_ptrIiEEEESD_jNS1_19radix_merge_compareILb1ELb0EiNS0_19identity_decomposerEEEEE10hipError_tT0_T1_T2_jT3_P12ihipStream_tbPNSt15iterator_traitsISI_E10value_typeEPNSO_ISJ_E10value_typeEPSK_NS1_7vsmem_tEENKUlT_SI_SJ_SK_E_clISD_PiSD_S10_EESH_SX_SI_SJ_SK_EUlSX_E_NS1_11comp_targetILNS1_3genE0ELNS1_11target_archE4294967295ELNS1_3gpuE0ELNS1_3repE0EEENS1_48merge_mergepath_partition_config_static_selectorELNS0_4arch9wavefront6targetE1EEEvSJ_.num_named_barrier, 0
	.set _ZN7rocprim17ROCPRIM_400000_NS6detail17trampoline_kernelINS0_14default_configENS1_38merge_sort_block_merge_config_selectorIiiEEZZNS1_27merge_sort_block_merge_implIS3_N6thrust23THRUST_200600_302600_NS6detail15normal_iteratorINS8_10device_ptrIiEEEESD_jNS1_19radix_merge_compareILb1ELb0EiNS0_19identity_decomposerEEEEE10hipError_tT0_T1_T2_jT3_P12ihipStream_tbPNSt15iterator_traitsISI_E10value_typeEPNSO_ISJ_E10value_typeEPSK_NS1_7vsmem_tEENKUlT_SI_SJ_SK_E_clISD_PiSD_S10_EESH_SX_SI_SJ_SK_EUlSX_E_NS1_11comp_targetILNS1_3genE0ELNS1_11target_archE4294967295ELNS1_3gpuE0ELNS1_3repE0EEENS1_48merge_mergepath_partition_config_static_selectorELNS0_4arch9wavefront6targetE1EEEvSJ_.private_seg_size, 0
	.set _ZN7rocprim17ROCPRIM_400000_NS6detail17trampoline_kernelINS0_14default_configENS1_38merge_sort_block_merge_config_selectorIiiEEZZNS1_27merge_sort_block_merge_implIS3_N6thrust23THRUST_200600_302600_NS6detail15normal_iteratorINS8_10device_ptrIiEEEESD_jNS1_19radix_merge_compareILb1ELb0EiNS0_19identity_decomposerEEEEE10hipError_tT0_T1_T2_jT3_P12ihipStream_tbPNSt15iterator_traitsISI_E10value_typeEPNSO_ISJ_E10value_typeEPSK_NS1_7vsmem_tEENKUlT_SI_SJ_SK_E_clISD_PiSD_S10_EESH_SX_SI_SJ_SK_EUlSX_E_NS1_11comp_targetILNS1_3genE0ELNS1_11target_archE4294967295ELNS1_3gpuE0ELNS1_3repE0EEENS1_48merge_mergepath_partition_config_static_selectorELNS0_4arch9wavefront6targetE1EEEvSJ_.uses_vcc, 1
	.set _ZN7rocprim17ROCPRIM_400000_NS6detail17trampoline_kernelINS0_14default_configENS1_38merge_sort_block_merge_config_selectorIiiEEZZNS1_27merge_sort_block_merge_implIS3_N6thrust23THRUST_200600_302600_NS6detail15normal_iteratorINS8_10device_ptrIiEEEESD_jNS1_19radix_merge_compareILb1ELb0EiNS0_19identity_decomposerEEEEE10hipError_tT0_T1_T2_jT3_P12ihipStream_tbPNSt15iterator_traitsISI_E10value_typeEPNSO_ISJ_E10value_typeEPSK_NS1_7vsmem_tEENKUlT_SI_SJ_SK_E_clISD_PiSD_S10_EESH_SX_SI_SJ_SK_EUlSX_E_NS1_11comp_targetILNS1_3genE0ELNS1_11target_archE4294967295ELNS1_3gpuE0ELNS1_3repE0EEENS1_48merge_mergepath_partition_config_static_selectorELNS0_4arch9wavefront6targetE1EEEvSJ_.uses_flat_scratch, 0
	.set _ZN7rocprim17ROCPRIM_400000_NS6detail17trampoline_kernelINS0_14default_configENS1_38merge_sort_block_merge_config_selectorIiiEEZZNS1_27merge_sort_block_merge_implIS3_N6thrust23THRUST_200600_302600_NS6detail15normal_iteratorINS8_10device_ptrIiEEEESD_jNS1_19radix_merge_compareILb1ELb0EiNS0_19identity_decomposerEEEEE10hipError_tT0_T1_T2_jT3_P12ihipStream_tbPNSt15iterator_traitsISI_E10value_typeEPNSO_ISJ_E10value_typeEPSK_NS1_7vsmem_tEENKUlT_SI_SJ_SK_E_clISD_PiSD_S10_EESH_SX_SI_SJ_SK_EUlSX_E_NS1_11comp_targetILNS1_3genE0ELNS1_11target_archE4294967295ELNS1_3gpuE0ELNS1_3repE0EEENS1_48merge_mergepath_partition_config_static_selectorELNS0_4arch9wavefront6targetE1EEEvSJ_.has_dyn_sized_stack, 0
	.set _ZN7rocprim17ROCPRIM_400000_NS6detail17trampoline_kernelINS0_14default_configENS1_38merge_sort_block_merge_config_selectorIiiEEZZNS1_27merge_sort_block_merge_implIS3_N6thrust23THRUST_200600_302600_NS6detail15normal_iteratorINS8_10device_ptrIiEEEESD_jNS1_19radix_merge_compareILb1ELb0EiNS0_19identity_decomposerEEEEE10hipError_tT0_T1_T2_jT3_P12ihipStream_tbPNSt15iterator_traitsISI_E10value_typeEPNSO_ISJ_E10value_typeEPSK_NS1_7vsmem_tEENKUlT_SI_SJ_SK_E_clISD_PiSD_S10_EESH_SX_SI_SJ_SK_EUlSX_E_NS1_11comp_targetILNS1_3genE0ELNS1_11target_archE4294967295ELNS1_3gpuE0ELNS1_3repE0EEENS1_48merge_mergepath_partition_config_static_selectorELNS0_4arch9wavefront6targetE1EEEvSJ_.has_recursion, 0
	.set _ZN7rocprim17ROCPRIM_400000_NS6detail17trampoline_kernelINS0_14default_configENS1_38merge_sort_block_merge_config_selectorIiiEEZZNS1_27merge_sort_block_merge_implIS3_N6thrust23THRUST_200600_302600_NS6detail15normal_iteratorINS8_10device_ptrIiEEEESD_jNS1_19radix_merge_compareILb1ELb0EiNS0_19identity_decomposerEEEEE10hipError_tT0_T1_T2_jT3_P12ihipStream_tbPNSt15iterator_traitsISI_E10value_typeEPNSO_ISJ_E10value_typeEPSK_NS1_7vsmem_tEENKUlT_SI_SJ_SK_E_clISD_PiSD_S10_EESH_SX_SI_SJ_SK_EUlSX_E_NS1_11comp_targetILNS1_3genE0ELNS1_11target_archE4294967295ELNS1_3gpuE0ELNS1_3repE0EEENS1_48merge_mergepath_partition_config_static_selectorELNS0_4arch9wavefront6targetE1EEEvSJ_.has_indirect_call, 0
	.section	.AMDGPU.csdata,"",@progbits
; Kernel info:
; codeLenInByte = 316
; TotalNumSgprs: 14
; NumVgprs: 17
; NumAgprs: 0
; TotalNumVgprs: 17
; ScratchSize: 0
; MemoryBound: 0
; FloatMode: 240
; IeeeMode: 1
; LDSByteSize: 0 bytes/workgroup (compile time only)
; SGPRBlocks: 1
; VGPRBlocks: 2
; NumSGPRsForWavesPerEU: 14
; NumVGPRsForWavesPerEU: 17
; AccumOffset: 20
; Occupancy: 8
; WaveLimiterHint : 0
; COMPUTE_PGM_RSRC2:SCRATCH_EN: 0
; COMPUTE_PGM_RSRC2:USER_SGPR: 2
; COMPUTE_PGM_RSRC2:TRAP_HANDLER: 0
; COMPUTE_PGM_RSRC2:TGID_X_EN: 1
; COMPUTE_PGM_RSRC2:TGID_Y_EN: 0
; COMPUTE_PGM_RSRC2:TGID_Z_EN: 0
; COMPUTE_PGM_RSRC2:TIDIG_COMP_CNT: 0
; COMPUTE_PGM_RSRC3_GFX90A:ACCUM_OFFSET: 4
; COMPUTE_PGM_RSRC3_GFX90A:TG_SPLIT: 0
	.section	.text._ZN7rocprim17ROCPRIM_400000_NS6detail17trampoline_kernelINS0_14default_configENS1_38merge_sort_block_merge_config_selectorIiiEEZZNS1_27merge_sort_block_merge_implIS3_N6thrust23THRUST_200600_302600_NS6detail15normal_iteratorINS8_10device_ptrIiEEEESD_jNS1_19radix_merge_compareILb1ELb0EiNS0_19identity_decomposerEEEEE10hipError_tT0_T1_T2_jT3_P12ihipStream_tbPNSt15iterator_traitsISI_E10value_typeEPNSO_ISJ_E10value_typeEPSK_NS1_7vsmem_tEENKUlT_SI_SJ_SK_E_clISD_PiSD_S10_EESH_SX_SI_SJ_SK_EUlSX_E_NS1_11comp_targetILNS1_3genE10ELNS1_11target_archE1201ELNS1_3gpuE5ELNS1_3repE0EEENS1_48merge_mergepath_partition_config_static_selectorELNS0_4arch9wavefront6targetE1EEEvSJ_,"axG",@progbits,_ZN7rocprim17ROCPRIM_400000_NS6detail17trampoline_kernelINS0_14default_configENS1_38merge_sort_block_merge_config_selectorIiiEEZZNS1_27merge_sort_block_merge_implIS3_N6thrust23THRUST_200600_302600_NS6detail15normal_iteratorINS8_10device_ptrIiEEEESD_jNS1_19radix_merge_compareILb1ELb0EiNS0_19identity_decomposerEEEEE10hipError_tT0_T1_T2_jT3_P12ihipStream_tbPNSt15iterator_traitsISI_E10value_typeEPNSO_ISJ_E10value_typeEPSK_NS1_7vsmem_tEENKUlT_SI_SJ_SK_E_clISD_PiSD_S10_EESH_SX_SI_SJ_SK_EUlSX_E_NS1_11comp_targetILNS1_3genE10ELNS1_11target_archE1201ELNS1_3gpuE5ELNS1_3repE0EEENS1_48merge_mergepath_partition_config_static_selectorELNS0_4arch9wavefront6targetE1EEEvSJ_,comdat
	.protected	_ZN7rocprim17ROCPRIM_400000_NS6detail17trampoline_kernelINS0_14default_configENS1_38merge_sort_block_merge_config_selectorIiiEEZZNS1_27merge_sort_block_merge_implIS3_N6thrust23THRUST_200600_302600_NS6detail15normal_iteratorINS8_10device_ptrIiEEEESD_jNS1_19radix_merge_compareILb1ELb0EiNS0_19identity_decomposerEEEEE10hipError_tT0_T1_T2_jT3_P12ihipStream_tbPNSt15iterator_traitsISI_E10value_typeEPNSO_ISJ_E10value_typeEPSK_NS1_7vsmem_tEENKUlT_SI_SJ_SK_E_clISD_PiSD_S10_EESH_SX_SI_SJ_SK_EUlSX_E_NS1_11comp_targetILNS1_3genE10ELNS1_11target_archE1201ELNS1_3gpuE5ELNS1_3repE0EEENS1_48merge_mergepath_partition_config_static_selectorELNS0_4arch9wavefront6targetE1EEEvSJ_ ; -- Begin function _ZN7rocprim17ROCPRIM_400000_NS6detail17trampoline_kernelINS0_14default_configENS1_38merge_sort_block_merge_config_selectorIiiEEZZNS1_27merge_sort_block_merge_implIS3_N6thrust23THRUST_200600_302600_NS6detail15normal_iteratorINS8_10device_ptrIiEEEESD_jNS1_19radix_merge_compareILb1ELb0EiNS0_19identity_decomposerEEEEE10hipError_tT0_T1_T2_jT3_P12ihipStream_tbPNSt15iterator_traitsISI_E10value_typeEPNSO_ISJ_E10value_typeEPSK_NS1_7vsmem_tEENKUlT_SI_SJ_SK_E_clISD_PiSD_S10_EESH_SX_SI_SJ_SK_EUlSX_E_NS1_11comp_targetILNS1_3genE10ELNS1_11target_archE1201ELNS1_3gpuE5ELNS1_3repE0EEENS1_48merge_mergepath_partition_config_static_selectorELNS0_4arch9wavefront6targetE1EEEvSJ_
	.globl	_ZN7rocprim17ROCPRIM_400000_NS6detail17trampoline_kernelINS0_14default_configENS1_38merge_sort_block_merge_config_selectorIiiEEZZNS1_27merge_sort_block_merge_implIS3_N6thrust23THRUST_200600_302600_NS6detail15normal_iteratorINS8_10device_ptrIiEEEESD_jNS1_19radix_merge_compareILb1ELb0EiNS0_19identity_decomposerEEEEE10hipError_tT0_T1_T2_jT3_P12ihipStream_tbPNSt15iterator_traitsISI_E10value_typeEPNSO_ISJ_E10value_typeEPSK_NS1_7vsmem_tEENKUlT_SI_SJ_SK_E_clISD_PiSD_S10_EESH_SX_SI_SJ_SK_EUlSX_E_NS1_11comp_targetILNS1_3genE10ELNS1_11target_archE1201ELNS1_3gpuE5ELNS1_3repE0EEENS1_48merge_mergepath_partition_config_static_selectorELNS0_4arch9wavefront6targetE1EEEvSJ_
	.p2align	8
	.type	_ZN7rocprim17ROCPRIM_400000_NS6detail17trampoline_kernelINS0_14default_configENS1_38merge_sort_block_merge_config_selectorIiiEEZZNS1_27merge_sort_block_merge_implIS3_N6thrust23THRUST_200600_302600_NS6detail15normal_iteratorINS8_10device_ptrIiEEEESD_jNS1_19radix_merge_compareILb1ELb0EiNS0_19identity_decomposerEEEEE10hipError_tT0_T1_T2_jT3_P12ihipStream_tbPNSt15iterator_traitsISI_E10value_typeEPNSO_ISJ_E10value_typeEPSK_NS1_7vsmem_tEENKUlT_SI_SJ_SK_E_clISD_PiSD_S10_EESH_SX_SI_SJ_SK_EUlSX_E_NS1_11comp_targetILNS1_3genE10ELNS1_11target_archE1201ELNS1_3gpuE5ELNS1_3repE0EEENS1_48merge_mergepath_partition_config_static_selectorELNS0_4arch9wavefront6targetE1EEEvSJ_,@function
_ZN7rocprim17ROCPRIM_400000_NS6detail17trampoline_kernelINS0_14default_configENS1_38merge_sort_block_merge_config_selectorIiiEEZZNS1_27merge_sort_block_merge_implIS3_N6thrust23THRUST_200600_302600_NS6detail15normal_iteratorINS8_10device_ptrIiEEEESD_jNS1_19radix_merge_compareILb1ELb0EiNS0_19identity_decomposerEEEEE10hipError_tT0_T1_T2_jT3_P12ihipStream_tbPNSt15iterator_traitsISI_E10value_typeEPNSO_ISJ_E10value_typeEPSK_NS1_7vsmem_tEENKUlT_SI_SJ_SK_E_clISD_PiSD_S10_EESH_SX_SI_SJ_SK_EUlSX_E_NS1_11comp_targetILNS1_3genE10ELNS1_11target_archE1201ELNS1_3gpuE5ELNS1_3repE0EEENS1_48merge_mergepath_partition_config_static_selectorELNS0_4arch9wavefront6targetE1EEEvSJ_: ; @_ZN7rocprim17ROCPRIM_400000_NS6detail17trampoline_kernelINS0_14default_configENS1_38merge_sort_block_merge_config_selectorIiiEEZZNS1_27merge_sort_block_merge_implIS3_N6thrust23THRUST_200600_302600_NS6detail15normal_iteratorINS8_10device_ptrIiEEEESD_jNS1_19radix_merge_compareILb1ELb0EiNS0_19identity_decomposerEEEEE10hipError_tT0_T1_T2_jT3_P12ihipStream_tbPNSt15iterator_traitsISI_E10value_typeEPNSO_ISJ_E10value_typeEPSK_NS1_7vsmem_tEENKUlT_SI_SJ_SK_E_clISD_PiSD_S10_EESH_SX_SI_SJ_SK_EUlSX_E_NS1_11comp_targetILNS1_3genE10ELNS1_11target_archE1201ELNS1_3gpuE5ELNS1_3repE0EEENS1_48merge_mergepath_partition_config_static_selectorELNS0_4arch9wavefront6targetE1EEEvSJ_
; %bb.0:
	.section	.rodata,"a",@progbits
	.p2align	6, 0x0
	.amdhsa_kernel _ZN7rocprim17ROCPRIM_400000_NS6detail17trampoline_kernelINS0_14default_configENS1_38merge_sort_block_merge_config_selectorIiiEEZZNS1_27merge_sort_block_merge_implIS3_N6thrust23THRUST_200600_302600_NS6detail15normal_iteratorINS8_10device_ptrIiEEEESD_jNS1_19radix_merge_compareILb1ELb0EiNS0_19identity_decomposerEEEEE10hipError_tT0_T1_T2_jT3_P12ihipStream_tbPNSt15iterator_traitsISI_E10value_typeEPNSO_ISJ_E10value_typeEPSK_NS1_7vsmem_tEENKUlT_SI_SJ_SK_E_clISD_PiSD_S10_EESH_SX_SI_SJ_SK_EUlSX_E_NS1_11comp_targetILNS1_3genE10ELNS1_11target_archE1201ELNS1_3gpuE5ELNS1_3repE0EEENS1_48merge_mergepath_partition_config_static_selectorELNS0_4arch9wavefront6targetE1EEEvSJ_
		.amdhsa_group_segment_fixed_size 0
		.amdhsa_private_segment_fixed_size 0
		.amdhsa_kernarg_size 40
		.amdhsa_user_sgpr_count 2
		.amdhsa_user_sgpr_dispatch_ptr 0
		.amdhsa_user_sgpr_queue_ptr 0
		.amdhsa_user_sgpr_kernarg_segment_ptr 1
		.amdhsa_user_sgpr_dispatch_id 0
		.amdhsa_user_sgpr_kernarg_preload_length 0
		.amdhsa_user_sgpr_kernarg_preload_offset 0
		.amdhsa_user_sgpr_private_segment_size 0
		.amdhsa_uses_dynamic_stack 0
		.amdhsa_enable_private_segment 0
		.amdhsa_system_sgpr_workgroup_id_x 1
		.amdhsa_system_sgpr_workgroup_id_y 0
		.amdhsa_system_sgpr_workgroup_id_z 0
		.amdhsa_system_sgpr_workgroup_info 0
		.amdhsa_system_vgpr_workitem_id 0
		.amdhsa_next_free_vgpr 1
		.amdhsa_next_free_sgpr 0
		.amdhsa_accum_offset 4
		.amdhsa_reserve_vcc 0
		.amdhsa_float_round_mode_32 0
		.amdhsa_float_round_mode_16_64 0
		.amdhsa_float_denorm_mode_32 3
		.amdhsa_float_denorm_mode_16_64 3
		.amdhsa_dx10_clamp 1
		.amdhsa_ieee_mode 1
		.amdhsa_fp16_overflow 0
		.amdhsa_tg_split 0
		.amdhsa_exception_fp_ieee_invalid_op 0
		.amdhsa_exception_fp_denorm_src 0
		.amdhsa_exception_fp_ieee_div_zero 0
		.amdhsa_exception_fp_ieee_overflow 0
		.amdhsa_exception_fp_ieee_underflow 0
		.amdhsa_exception_fp_ieee_inexact 0
		.amdhsa_exception_int_div_zero 0
	.end_amdhsa_kernel
	.section	.text._ZN7rocprim17ROCPRIM_400000_NS6detail17trampoline_kernelINS0_14default_configENS1_38merge_sort_block_merge_config_selectorIiiEEZZNS1_27merge_sort_block_merge_implIS3_N6thrust23THRUST_200600_302600_NS6detail15normal_iteratorINS8_10device_ptrIiEEEESD_jNS1_19radix_merge_compareILb1ELb0EiNS0_19identity_decomposerEEEEE10hipError_tT0_T1_T2_jT3_P12ihipStream_tbPNSt15iterator_traitsISI_E10value_typeEPNSO_ISJ_E10value_typeEPSK_NS1_7vsmem_tEENKUlT_SI_SJ_SK_E_clISD_PiSD_S10_EESH_SX_SI_SJ_SK_EUlSX_E_NS1_11comp_targetILNS1_3genE10ELNS1_11target_archE1201ELNS1_3gpuE5ELNS1_3repE0EEENS1_48merge_mergepath_partition_config_static_selectorELNS0_4arch9wavefront6targetE1EEEvSJ_,"axG",@progbits,_ZN7rocprim17ROCPRIM_400000_NS6detail17trampoline_kernelINS0_14default_configENS1_38merge_sort_block_merge_config_selectorIiiEEZZNS1_27merge_sort_block_merge_implIS3_N6thrust23THRUST_200600_302600_NS6detail15normal_iteratorINS8_10device_ptrIiEEEESD_jNS1_19radix_merge_compareILb1ELb0EiNS0_19identity_decomposerEEEEE10hipError_tT0_T1_T2_jT3_P12ihipStream_tbPNSt15iterator_traitsISI_E10value_typeEPNSO_ISJ_E10value_typeEPSK_NS1_7vsmem_tEENKUlT_SI_SJ_SK_E_clISD_PiSD_S10_EESH_SX_SI_SJ_SK_EUlSX_E_NS1_11comp_targetILNS1_3genE10ELNS1_11target_archE1201ELNS1_3gpuE5ELNS1_3repE0EEENS1_48merge_mergepath_partition_config_static_selectorELNS0_4arch9wavefront6targetE1EEEvSJ_,comdat
.Lfunc_end910:
	.size	_ZN7rocprim17ROCPRIM_400000_NS6detail17trampoline_kernelINS0_14default_configENS1_38merge_sort_block_merge_config_selectorIiiEEZZNS1_27merge_sort_block_merge_implIS3_N6thrust23THRUST_200600_302600_NS6detail15normal_iteratorINS8_10device_ptrIiEEEESD_jNS1_19radix_merge_compareILb1ELb0EiNS0_19identity_decomposerEEEEE10hipError_tT0_T1_T2_jT3_P12ihipStream_tbPNSt15iterator_traitsISI_E10value_typeEPNSO_ISJ_E10value_typeEPSK_NS1_7vsmem_tEENKUlT_SI_SJ_SK_E_clISD_PiSD_S10_EESH_SX_SI_SJ_SK_EUlSX_E_NS1_11comp_targetILNS1_3genE10ELNS1_11target_archE1201ELNS1_3gpuE5ELNS1_3repE0EEENS1_48merge_mergepath_partition_config_static_selectorELNS0_4arch9wavefront6targetE1EEEvSJ_, .Lfunc_end910-_ZN7rocprim17ROCPRIM_400000_NS6detail17trampoline_kernelINS0_14default_configENS1_38merge_sort_block_merge_config_selectorIiiEEZZNS1_27merge_sort_block_merge_implIS3_N6thrust23THRUST_200600_302600_NS6detail15normal_iteratorINS8_10device_ptrIiEEEESD_jNS1_19radix_merge_compareILb1ELb0EiNS0_19identity_decomposerEEEEE10hipError_tT0_T1_T2_jT3_P12ihipStream_tbPNSt15iterator_traitsISI_E10value_typeEPNSO_ISJ_E10value_typeEPSK_NS1_7vsmem_tEENKUlT_SI_SJ_SK_E_clISD_PiSD_S10_EESH_SX_SI_SJ_SK_EUlSX_E_NS1_11comp_targetILNS1_3genE10ELNS1_11target_archE1201ELNS1_3gpuE5ELNS1_3repE0EEENS1_48merge_mergepath_partition_config_static_selectorELNS0_4arch9wavefront6targetE1EEEvSJ_
                                        ; -- End function
	.set _ZN7rocprim17ROCPRIM_400000_NS6detail17trampoline_kernelINS0_14default_configENS1_38merge_sort_block_merge_config_selectorIiiEEZZNS1_27merge_sort_block_merge_implIS3_N6thrust23THRUST_200600_302600_NS6detail15normal_iteratorINS8_10device_ptrIiEEEESD_jNS1_19radix_merge_compareILb1ELb0EiNS0_19identity_decomposerEEEEE10hipError_tT0_T1_T2_jT3_P12ihipStream_tbPNSt15iterator_traitsISI_E10value_typeEPNSO_ISJ_E10value_typeEPSK_NS1_7vsmem_tEENKUlT_SI_SJ_SK_E_clISD_PiSD_S10_EESH_SX_SI_SJ_SK_EUlSX_E_NS1_11comp_targetILNS1_3genE10ELNS1_11target_archE1201ELNS1_3gpuE5ELNS1_3repE0EEENS1_48merge_mergepath_partition_config_static_selectorELNS0_4arch9wavefront6targetE1EEEvSJ_.num_vgpr, 0
	.set _ZN7rocprim17ROCPRIM_400000_NS6detail17trampoline_kernelINS0_14default_configENS1_38merge_sort_block_merge_config_selectorIiiEEZZNS1_27merge_sort_block_merge_implIS3_N6thrust23THRUST_200600_302600_NS6detail15normal_iteratorINS8_10device_ptrIiEEEESD_jNS1_19radix_merge_compareILb1ELb0EiNS0_19identity_decomposerEEEEE10hipError_tT0_T1_T2_jT3_P12ihipStream_tbPNSt15iterator_traitsISI_E10value_typeEPNSO_ISJ_E10value_typeEPSK_NS1_7vsmem_tEENKUlT_SI_SJ_SK_E_clISD_PiSD_S10_EESH_SX_SI_SJ_SK_EUlSX_E_NS1_11comp_targetILNS1_3genE10ELNS1_11target_archE1201ELNS1_3gpuE5ELNS1_3repE0EEENS1_48merge_mergepath_partition_config_static_selectorELNS0_4arch9wavefront6targetE1EEEvSJ_.num_agpr, 0
	.set _ZN7rocprim17ROCPRIM_400000_NS6detail17trampoline_kernelINS0_14default_configENS1_38merge_sort_block_merge_config_selectorIiiEEZZNS1_27merge_sort_block_merge_implIS3_N6thrust23THRUST_200600_302600_NS6detail15normal_iteratorINS8_10device_ptrIiEEEESD_jNS1_19radix_merge_compareILb1ELb0EiNS0_19identity_decomposerEEEEE10hipError_tT0_T1_T2_jT3_P12ihipStream_tbPNSt15iterator_traitsISI_E10value_typeEPNSO_ISJ_E10value_typeEPSK_NS1_7vsmem_tEENKUlT_SI_SJ_SK_E_clISD_PiSD_S10_EESH_SX_SI_SJ_SK_EUlSX_E_NS1_11comp_targetILNS1_3genE10ELNS1_11target_archE1201ELNS1_3gpuE5ELNS1_3repE0EEENS1_48merge_mergepath_partition_config_static_selectorELNS0_4arch9wavefront6targetE1EEEvSJ_.numbered_sgpr, 0
	.set _ZN7rocprim17ROCPRIM_400000_NS6detail17trampoline_kernelINS0_14default_configENS1_38merge_sort_block_merge_config_selectorIiiEEZZNS1_27merge_sort_block_merge_implIS3_N6thrust23THRUST_200600_302600_NS6detail15normal_iteratorINS8_10device_ptrIiEEEESD_jNS1_19radix_merge_compareILb1ELb0EiNS0_19identity_decomposerEEEEE10hipError_tT0_T1_T2_jT3_P12ihipStream_tbPNSt15iterator_traitsISI_E10value_typeEPNSO_ISJ_E10value_typeEPSK_NS1_7vsmem_tEENKUlT_SI_SJ_SK_E_clISD_PiSD_S10_EESH_SX_SI_SJ_SK_EUlSX_E_NS1_11comp_targetILNS1_3genE10ELNS1_11target_archE1201ELNS1_3gpuE5ELNS1_3repE0EEENS1_48merge_mergepath_partition_config_static_selectorELNS0_4arch9wavefront6targetE1EEEvSJ_.num_named_barrier, 0
	.set _ZN7rocprim17ROCPRIM_400000_NS6detail17trampoline_kernelINS0_14default_configENS1_38merge_sort_block_merge_config_selectorIiiEEZZNS1_27merge_sort_block_merge_implIS3_N6thrust23THRUST_200600_302600_NS6detail15normal_iteratorINS8_10device_ptrIiEEEESD_jNS1_19radix_merge_compareILb1ELb0EiNS0_19identity_decomposerEEEEE10hipError_tT0_T1_T2_jT3_P12ihipStream_tbPNSt15iterator_traitsISI_E10value_typeEPNSO_ISJ_E10value_typeEPSK_NS1_7vsmem_tEENKUlT_SI_SJ_SK_E_clISD_PiSD_S10_EESH_SX_SI_SJ_SK_EUlSX_E_NS1_11comp_targetILNS1_3genE10ELNS1_11target_archE1201ELNS1_3gpuE5ELNS1_3repE0EEENS1_48merge_mergepath_partition_config_static_selectorELNS0_4arch9wavefront6targetE1EEEvSJ_.private_seg_size, 0
	.set _ZN7rocprim17ROCPRIM_400000_NS6detail17trampoline_kernelINS0_14default_configENS1_38merge_sort_block_merge_config_selectorIiiEEZZNS1_27merge_sort_block_merge_implIS3_N6thrust23THRUST_200600_302600_NS6detail15normal_iteratorINS8_10device_ptrIiEEEESD_jNS1_19radix_merge_compareILb1ELb0EiNS0_19identity_decomposerEEEEE10hipError_tT0_T1_T2_jT3_P12ihipStream_tbPNSt15iterator_traitsISI_E10value_typeEPNSO_ISJ_E10value_typeEPSK_NS1_7vsmem_tEENKUlT_SI_SJ_SK_E_clISD_PiSD_S10_EESH_SX_SI_SJ_SK_EUlSX_E_NS1_11comp_targetILNS1_3genE10ELNS1_11target_archE1201ELNS1_3gpuE5ELNS1_3repE0EEENS1_48merge_mergepath_partition_config_static_selectorELNS0_4arch9wavefront6targetE1EEEvSJ_.uses_vcc, 0
	.set _ZN7rocprim17ROCPRIM_400000_NS6detail17trampoline_kernelINS0_14default_configENS1_38merge_sort_block_merge_config_selectorIiiEEZZNS1_27merge_sort_block_merge_implIS3_N6thrust23THRUST_200600_302600_NS6detail15normal_iteratorINS8_10device_ptrIiEEEESD_jNS1_19radix_merge_compareILb1ELb0EiNS0_19identity_decomposerEEEEE10hipError_tT0_T1_T2_jT3_P12ihipStream_tbPNSt15iterator_traitsISI_E10value_typeEPNSO_ISJ_E10value_typeEPSK_NS1_7vsmem_tEENKUlT_SI_SJ_SK_E_clISD_PiSD_S10_EESH_SX_SI_SJ_SK_EUlSX_E_NS1_11comp_targetILNS1_3genE10ELNS1_11target_archE1201ELNS1_3gpuE5ELNS1_3repE0EEENS1_48merge_mergepath_partition_config_static_selectorELNS0_4arch9wavefront6targetE1EEEvSJ_.uses_flat_scratch, 0
	.set _ZN7rocprim17ROCPRIM_400000_NS6detail17trampoline_kernelINS0_14default_configENS1_38merge_sort_block_merge_config_selectorIiiEEZZNS1_27merge_sort_block_merge_implIS3_N6thrust23THRUST_200600_302600_NS6detail15normal_iteratorINS8_10device_ptrIiEEEESD_jNS1_19radix_merge_compareILb1ELb0EiNS0_19identity_decomposerEEEEE10hipError_tT0_T1_T2_jT3_P12ihipStream_tbPNSt15iterator_traitsISI_E10value_typeEPNSO_ISJ_E10value_typeEPSK_NS1_7vsmem_tEENKUlT_SI_SJ_SK_E_clISD_PiSD_S10_EESH_SX_SI_SJ_SK_EUlSX_E_NS1_11comp_targetILNS1_3genE10ELNS1_11target_archE1201ELNS1_3gpuE5ELNS1_3repE0EEENS1_48merge_mergepath_partition_config_static_selectorELNS0_4arch9wavefront6targetE1EEEvSJ_.has_dyn_sized_stack, 0
	.set _ZN7rocprim17ROCPRIM_400000_NS6detail17trampoline_kernelINS0_14default_configENS1_38merge_sort_block_merge_config_selectorIiiEEZZNS1_27merge_sort_block_merge_implIS3_N6thrust23THRUST_200600_302600_NS6detail15normal_iteratorINS8_10device_ptrIiEEEESD_jNS1_19radix_merge_compareILb1ELb0EiNS0_19identity_decomposerEEEEE10hipError_tT0_T1_T2_jT3_P12ihipStream_tbPNSt15iterator_traitsISI_E10value_typeEPNSO_ISJ_E10value_typeEPSK_NS1_7vsmem_tEENKUlT_SI_SJ_SK_E_clISD_PiSD_S10_EESH_SX_SI_SJ_SK_EUlSX_E_NS1_11comp_targetILNS1_3genE10ELNS1_11target_archE1201ELNS1_3gpuE5ELNS1_3repE0EEENS1_48merge_mergepath_partition_config_static_selectorELNS0_4arch9wavefront6targetE1EEEvSJ_.has_recursion, 0
	.set _ZN7rocprim17ROCPRIM_400000_NS6detail17trampoline_kernelINS0_14default_configENS1_38merge_sort_block_merge_config_selectorIiiEEZZNS1_27merge_sort_block_merge_implIS3_N6thrust23THRUST_200600_302600_NS6detail15normal_iteratorINS8_10device_ptrIiEEEESD_jNS1_19radix_merge_compareILb1ELb0EiNS0_19identity_decomposerEEEEE10hipError_tT0_T1_T2_jT3_P12ihipStream_tbPNSt15iterator_traitsISI_E10value_typeEPNSO_ISJ_E10value_typeEPSK_NS1_7vsmem_tEENKUlT_SI_SJ_SK_E_clISD_PiSD_S10_EESH_SX_SI_SJ_SK_EUlSX_E_NS1_11comp_targetILNS1_3genE10ELNS1_11target_archE1201ELNS1_3gpuE5ELNS1_3repE0EEENS1_48merge_mergepath_partition_config_static_selectorELNS0_4arch9wavefront6targetE1EEEvSJ_.has_indirect_call, 0
	.section	.AMDGPU.csdata,"",@progbits
; Kernel info:
; codeLenInByte = 0
; TotalNumSgprs: 6
; NumVgprs: 0
; NumAgprs: 0
; TotalNumVgprs: 0
; ScratchSize: 0
; MemoryBound: 0
; FloatMode: 240
; IeeeMode: 1
; LDSByteSize: 0 bytes/workgroup (compile time only)
; SGPRBlocks: 0
; VGPRBlocks: 0
; NumSGPRsForWavesPerEU: 6
; NumVGPRsForWavesPerEU: 1
; AccumOffset: 4
; Occupancy: 8
; WaveLimiterHint : 0
; COMPUTE_PGM_RSRC2:SCRATCH_EN: 0
; COMPUTE_PGM_RSRC2:USER_SGPR: 2
; COMPUTE_PGM_RSRC2:TRAP_HANDLER: 0
; COMPUTE_PGM_RSRC2:TGID_X_EN: 1
; COMPUTE_PGM_RSRC2:TGID_Y_EN: 0
; COMPUTE_PGM_RSRC2:TGID_Z_EN: 0
; COMPUTE_PGM_RSRC2:TIDIG_COMP_CNT: 0
; COMPUTE_PGM_RSRC3_GFX90A:ACCUM_OFFSET: 0
; COMPUTE_PGM_RSRC3_GFX90A:TG_SPLIT: 0
	.section	.text._ZN7rocprim17ROCPRIM_400000_NS6detail17trampoline_kernelINS0_14default_configENS1_38merge_sort_block_merge_config_selectorIiiEEZZNS1_27merge_sort_block_merge_implIS3_N6thrust23THRUST_200600_302600_NS6detail15normal_iteratorINS8_10device_ptrIiEEEESD_jNS1_19radix_merge_compareILb1ELb0EiNS0_19identity_decomposerEEEEE10hipError_tT0_T1_T2_jT3_P12ihipStream_tbPNSt15iterator_traitsISI_E10value_typeEPNSO_ISJ_E10value_typeEPSK_NS1_7vsmem_tEENKUlT_SI_SJ_SK_E_clISD_PiSD_S10_EESH_SX_SI_SJ_SK_EUlSX_E_NS1_11comp_targetILNS1_3genE5ELNS1_11target_archE942ELNS1_3gpuE9ELNS1_3repE0EEENS1_48merge_mergepath_partition_config_static_selectorELNS0_4arch9wavefront6targetE1EEEvSJ_,"axG",@progbits,_ZN7rocprim17ROCPRIM_400000_NS6detail17trampoline_kernelINS0_14default_configENS1_38merge_sort_block_merge_config_selectorIiiEEZZNS1_27merge_sort_block_merge_implIS3_N6thrust23THRUST_200600_302600_NS6detail15normal_iteratorINS8_10device_ptrIiEEEESD_jNS1_19radix_merge_compareILb1ELb0EiNS0_19identity_decomposerEEEEE10hipError_tT0_T1_T2_jT3_P12ihipStream_tbPNSt15iterator_traitsISI_E10value_typeEPNSO_ISJ_E10value_typeEPSK_NS1_7vsmem_tEENKUlT_SI_SJ_SK_E_clISD_PiSD_S10_EESH_SX_SI_SJ_SK_EUlSX_E_NS1_11comp_targetILNS1_3genE5ELNS1_11target_archE942ELNS1_3gpuE9ELNS1_3repE0EEENS1_48merge_mergepath_partition_config_static_selectorELNS0_4arch9wavefront6targetE1EEEvSJ_,comdat
	.protected	_ZN7rocprim17ROCPRIM_400000_NS6detail17trampoline_kernelINS0_14default_configENS1_38merge_sort_block_merge_config_selectorIiiEEZZNS1_27merge_sort_block_merge_implIS3_N6thrust23THRUST_200600_302600_NS6detail15normal_iteratorINS8_10device_ptrIiEEEESD_jNS1_19radix_merge_compareILb1ELb0EiNS0_19identity_decomposerEEEEE10hipError_tT0_T1_T2_jT3_P12ihipStream_tbPNSt15iterator_traitsISI_E10value_typeEPNSO_ISJ_E10value_typeEPSK_NS1_7vsmem_tEENKUlT_SI_SJ_SK_E_clISD_PiSD_S10_EESH_SX_SI_SJ_SK_EUlSX_E_NS1_11comp_targetILNS1_3genE5ELNS1_11target_archE942ELNS1_3gpuE9ELNS1_3repE0EEENS1_48merge_mergepath_partition_config_static_selectorELNS0_4arch9wavefront6targetE1EEEvSJ_ ; -- Begin function _ZN7rocprim17ROCPRIM_400000_NS6detail17trampoline_kernelINS0_14default_configENS1_38merge_sort_block_merge_config_selectorIiiEEZZNS1_27merge_sort_block_merge_implIS3_N6thrust23THRUST_200600_302600_NS6detail15normal_iteratorINS8_10device_ptrIiEEEESD_jNS1_19radix_merge_compareILb1ELb0EiNS0_19identity_decomposerEEEEE10hipError_tT0_T1_T2_jT3_P12ihipStream_tbPNSt15iterator_traitsISI_E10value_typeEPNSO_ISJ_E10value_typeEPSK_NS1_7vsmem_tEENKUlT_SI_SJ_SK_E_clISD_PiSD_S10_EESH_SX_SI_SJ_SK_EUlSX_E_NS1_11comp_targetILNS1_3genE5ELNS1_11target_archE942ELNS1_3gpuE9ELNS1_3repE0EEENS1_48merge_mergepath_partition_config_static_selectorELNS0_4arch9wavefront6targetE1EEEvSJ_
	.globl	_ZN7rocprim17ROCPRIM_400000_NS6detail17trampoline_kernelINS0_14default_configENS1_38merge_sort_block_merge_config_selectorIiiEEZZNS1_27merge_sort_block_merge_implIS3_N6thrust23THRUST_200600_302600_NS6detail15normal_iteratorINS8_10device_ptrIiEEEESD_jNS1_19radix_merge_compareILb1ELb0EiNS0_19identity_decomposerEEEEE10hipError_tT0_T1_T2_jT3_P12ihipStream_tbPNSt15iterator_traitsISI_E10value_typeEPNSO_ISJ_E10value_typeEPSK_NS1_7vsmem_tEENKUlT_SI_SJ_SK_E_clISD_PiSD_S10_EESH_SX_SI_SJ_SK_EUlSX_E_NS1_11comp_targetILNS1_3genE5ELNS1_11target_archE942ELNS1_3gpuE9ELNS1_3repE0EEENS1_48merge_mergepath_partition_config_static_selectorELNS0_4arch9wavefront6targetE1EEEvSJ_
	.p2align	8
	.type	_ZN7rocprim17ROCPRIM_400000_NS6detail17trampoline_kernelINS0_14default_configENS1_38merge_sort_block_merge_config_selectorIiiEEZZNS1_27merge_sort_block_merge_implIS3_N6thrust23THRUST_200600_302600_NS6detail15normal_iteratorINS8_10device_ptrIiEEEESD_jNS1_19radix_merge_compareILb1ELb0EiNS0_19identity_decomposerEEEEE10hipError_tT0_T1_T2_jT3_P12ihipStream_tbPNSt15iterator_traitsISI_E10value_typeEPNSO_ISJ_E10value_typeEPSK_NS1_7vsmem_tEENKUlT_SI_SJ_SK_E_clISD_PiSD_S10_EESH_SX_SI_SJ_SK_EUlSX_E_NS1_11comp_targetILNS1_3genE5ELNS1_11target_archE942ELNS1_3gpuE9ELNS1_3repE0EEENS1_48merge_mergepath_partition_config_static_selectorELNS0_4arch9wavefront6targetE1EEEvSJ_,@function
_ZN7rocprim17ROCPRIM_400000_NS6detail17trampoline_kernelINS0_14default_configENS1_38merge_sort_block_merge_config_selectorIiiEEZZNS1_27merge_sort_block_merge_implIS3_N6thrust23THRUST_200600_302600_NS6detail15normal_iteratorINS8_10device_ptrIiEEEESD_jNS1_19radix_merge_compareILb1ELb0EiNS0_19identity_decomposerEEEEE10hipError_tT0_T1_T2_jT3_P12ihipStream_tbPNSt15iterator_traitsISI_E10value_typeEPNSO_ISJ_E10value_typeEPSK_NS1_7vsmem_tEENKUlT_SI_SJ_SK_E_clISD_PiSD_S10_EESH_SX_SI_SJ_SK_EUlSX_E_NS1_11comp_targetILNS1_3genE5ELNS1_11target_archE942ELNS1_3gpuE9ELNS1_3repE0EEENS1_48merge_mergepath_partition_config_static_selectorELNS0_4arch9wavefront6targetE1EEEvSJ_: ; @_ZN7rocprim17ROCPRIM_400000_NS6detail17trampoline_kernelINS0_14default_configENS1_38merge_sort_block_merge_config_selectorIiiEEZZNS1_27merge_sort_block_merge_implIS3_N6thrust23THRUST_200600_302600_NS6detail15normal_iteratorINS8_10device_ptrIiEEEESD_jNS1_19radix_merge_compareILb1ELb0EiNS0_19identity_decomposerEEEEE10hipError_tT0_T1_T2_jT3_P12ihipStream_tbPNSt15iterator_traitsISI_E10value_typeEPNSO_ISJ_E10value_typeEPSK_NS1_7vsmem_tEENKUlT_SI_SJ_SK_E_clISD_PiSD_S10_EESH_SX_SI_SJ_SK_EUlSX_E_NS1_11comp_targetILNS1_3genE5ELNS1_11target_archE942ELNS1_3gpuE9ELNS1_3repE0EEENS1_48merge_mergepath_partition_config_static_selectorELNS0_4arch9wavefront6targetE1EEEvSJ_
; %bb.0:
	.section	.rodata,"a",@progbits
	.p2align	6, 0x0
	.amdhsa_kernel _ZN7rocprim17ROCPRIM_400000_NS6detail17trampoline_kernelINS0_14default_configENS1_38merge_sort_block_merge_config_selectorIiiEEZZNS1_27merge_sort_block_merge_implIS3_N6thrust23THRUST_200600_302600_NS6detail15normal_iteratorINS8_10device_ptrIiEEEESD_jNS1_19radix_merge_compareILb1ELb0EiNS0_19identity_decomposerEEEEE10hipError_tT0_T1_T2_jT3_P12ihipStream_tbPNSt15iterator_traitsISI_E10value_typeEPNSO_ISJ_E10value_typeEPSK_NS1_7vsmem_tEENKUlT_SI_SJ_SK_E_clISD_PiSD_S10_EESH_SX_SI_SJ_SK_EUlSX_E_NS1_11comp_targetILNS1_3genE5ELNS1_11target_archE942ELNS1_3gpuE9ELNS1_3repE0EEENS1_48merge_mergepath_partition_config_static_selectorELNS0_4arch9wavefront6targetE1EEEvSJ_
		.amdhsa_group_segment_fixed_size 0
		.amdhsa_private_segment_fixed_size 0
		.amdhsa_kernarg_size 40
		.amdhsa_user_sgpr_count 2
		.amdhsa_user_sgpr_dispatch_ptr 0
		.amdhsa_user_sgpr_queue_ptr 0
		.amdhsa_user_sgpr_kernarg_segment_ptr 1
		.amdhsa_user_sgpr_dispatch_id 0
		.amdhsa_user_sgpr_kernarg_preload_length 0
		.amdhsa_user_sgpr_kernarg_preload_offset 0
		.amdhsa_user_sgpr_private_segment_size 0
		.amdhsa_uses_dynamic_stack 0
		.amdhsa_enable_private_segment 0
		.amdhsa_system_sgpr_workgroup_id_x 1
		.amdhsa_system_sgpr_workgroup_id_y 0
		.amdhsa_system_sgpr_workgroup_id_z 0
		.amdhsa_system_sgpr_workgroup_info 0
		.amdhsa_system_vgpr_workitem_id 0
		.amdhsa_next_free_vgpr 1
		.amdhsa_next_free_sgpr 0
		.amdhsa_accum_offset 4
		.amdhsa_reserve_vcc 0
		.amdhsa_float_round_mode_32 0
		.amdhsa_float_round_mode_16_64 0
		.amdhsa_float_denorm_mode_32 3
		.amdhsa_float_denorm_mode_16_64 3
		.amdhsa_dx10_clamp 1
		.amdhsa_ieee_mode 1
		.amdhsa_fp16_overflow 0
		.amdhsa_tg_split 0
		.amdhsa_exception_fp_ieee_invalid_op 0
		.amdhsa_exception_fp_denorm_src 0
		.amdhsa_exception_fp_ieee_div_zero 0
		.amdhsa_exception_fp_ieee_overflow 0
		.amdhsa_exception_fp_ieee_underflow 0
		.amdhsa_exception_fp_ieee_inexact 0
		.amdhsa_exception_int_div_zero 0
	.end_amdhsa_kernel
	.section	.text._ZN7rocprim17ROCPRIM_400000_NS6detail17trampoline_kernelINS0_14default_configENS1_38merge_sort_block_merge_config_selectorIiiEEZZNS1_27merge_sort_block_merge_implIS3_N6thrust23THRUST_200600_302600_NS6detail15normal_iteratorINS8_10device_ptrIiEEEESD_jNS1_19radix_merge_compareILb1ELb0EiNS0_19identity_decomposerEEEEE10hipError_tT0_T1_T2_jT3_P12ihipStream_tbPNSt15iterator_traitsISI_E10value_typeEPNSO_ISJ_E10value_typeEPSK_NS1_7vsmem_tEENKUlT_SI_SJ_SK_E_clISD_PiSD_S10_EESH_SX_SI_SJ_SK_EUlSX_E_NS1_11comp_targetILNS1_3genE5ELNS1_11target_archE942ELNS1_3gpuE9ELNS1_3repE0EEENS1_48merge_mergepath_partition_config_static_selectorELNS0_4arch9wavefront6targetE1EEEvSJ_,"axG",@progbits,_ZN7rocprim17ROCPRIM_400000_NS6detail17trampoline_kernelINS0_14default_configENS1_38merge_sort_block_merge_config_selectorIiiEEZZNS1_27merge_sort_block_merge_implIS3_N6thrust23THRUST_200600_302600_NS6detail15normal_iteratorINS8_10device_ptrIiEEEESD_jNS1_19radix_merge_compareILb1ELb0EiNS0_19identity_decomposerEEEEE10hipError_tT0_T1_T2_jT3_P12ihipStream_tbPNSt15iterator_traitsISI_E10value_typeEPNSO_ISJ_E10value_typeEPSK_NS1_7vsmem_tEENKUlT_SI_SJ_SK_E_clISD_PiSD_S10_EESH_SX_SI_SJ_SK_EUlSX_E_NS1_11comp_targetILNS1_3genE5ELNS1_11target_archE942ELNS1_3gpuE9ELNS1_3repE0EEENS1_48merge_mergepath_partition_config_static_selectorELNS0_4arch9wavefront6targetE1EEEvSJ_,comdat
.Lfunc_end911:
	.size	_ZN7rocprim17ROCPRIM_400000_NS6detail17trampoline_kernelINS0_14default_configENS1_38merge_sort_block_merge_config_selectorIiiEEZZNS1_27merge_sort_block_merge_implIS3_N6thrust23THRUST_200600_302600_NS6detail15normal_iteratorINS8_10device_ptrIiEEEESD_jNS1_19radix_merge_compareILb1ELb0EiNS0_19identity_decomposerEEEEE10hipError_tT0_T1_T2_jT3_P12ihipStream_tbPNSt15iterator_traitsISI_E10value_typeEPNSO_ISJ_E10value_typeEPSK_NS1_7vsmem_tEENKUlT_SI_SJ_SK_E_clISD_PiSD_S10_EESH_SX_SI_SJ_SK_EUlSX_E_NS1_11comp_targetILNS1_3genE5ELNS1_11target_archE942ELNS1_3gpuE9ELNS1_3repE0EEENS1_48merge_mergepath_partition_config_static_selectorELNS0_4arch9wavefront6targetE1EEEvSJ_, .Lfunc_end911-_ZN7rocprim17ROCPRIM_400000_NS6detail17trampoline_kernelINS0_14default_configENS1_38merge_sort_block_merge_config_selectorIiiEEZZNS1_27merge_sort_block_merge_implIS3_N6thrust23THRUST_200600_302600_NS6detail15normal_iteratorINS8_10device_ptrIiEEEESD_jNS1_19radix_merge_compareILb1ELb0EiNS0_19identity_decomposerEEEEE10hipError_tT0_T1_T2_jT3_P12ihipStream_tbPNSt15iterator_traitsISI_E10value_typeEPNSO_ISJ_E10value_typeEPSK_NS1_7vsmem_tEENKUlT_SI_SJ_SK_E_clISD_PiSD_S10_EESH_SX_SI_SJ_SK_EUlSX_E_NS1_11comp_targetILNS1_3genE5ELNS1_11target_archE942ELNS1_3gpuE9ELNS1_3repE0EEENS1_48merge_mergepath_partition_config_static_selectorELNS0_4arch9wavefront6targetE1EEEvSJ_
                                        ; -- End function
	.set _ZN7rocprim17ROCPRIM_400000_NS6detail17trampoline_kernelINS0_14default_configENS1_38merge_sort_block_merge_config_selectorIiiEEZZNS1_27merge_sort_block_merge_implIS3_N6thrust23THRUST_200600_302600_NS6detail15normal_iteratorINS8_10device_ptrIiEEEESD_jNS1_19radix_merge_compareILb1ELb0EiNS0_19identity_decomposerEEEEE10hipError_tT0_T1_T2_jT3_P12ihipStream_tbPNSt15iterator_traitsISI_E10value_typeEPNSO_ISJ_E10value_typeEPSK_NS1_7vsmem_tEENKUlT_SI_SJ_SK_E_clISD_PiSD_S10_EESH_SX_SI_SJ_SK_EUlSX_E_NS1_11comp_targetILNS1_3genE5ELNS1_11target_archE942ELNS1_3gpuE9ELNS1_3repE0EEENS1_48merge_mergepath_partition_config_static_selectorELNS0_4arch9wavefront6targetE1EEEvSJ_.num_vgpr, 0
	.set _ZN7rocprim17ROCPRIM_400000_NS6detail17trampoline_kernelINS0_14default_configENS1_38merge_sort_block_merge_config_selectorIiiEEZZNS1_27merge_sort_block_merge_implIS3_N6thrust23THRUST_200600_302600_NS6detail15normal_iteratorINS8_10device_ptrIiEEEESD_jNS1_19radix_merge_compareILb1ELb0EiNS0_19identity_decomposerEEEEE10hipError_tT0_T1_T2_jT3_P12ihipStream_tbPNSt15iterator_traitsISI_E10value_typeEPNSO_ISJ_E10value_typeEPSK_NS1_7vsmem_tEENKUlT_SI_SJ_SK_E_clISD_PiSD_S10_EESH_SX_SI_SJ_SK_EUlSX_E_NS1_11comp_targetILNS1_3genE5ELNS1_11target_archE942ELNS1_3gpuE9ELNS1_3repE0EEENS1_48merge_mergepath_partition_config_static_selectorELNS0_4arch9wavefront6targetE1EEEvSJ_.num_agpr, 0
	.set _ZN7rocprim17ROCPRIM_400000_NS6detail17trampoline_kernelINS0_14default_configENS1_38merge_sort_block_merge_config_selectorIiiEEZZNS1_27merge_sort_block_merge_implIS3_N6thrust23THRUST_200600_302600_NS6detail15normal_iteratorINS8_10device_ptrIiEEEESD_jNS1_19radix_merge_compareILb1ELb0EiNS0_19identity_decomposerEEEEE10hipError_tT0_T1_T2_jT3_P12ihipStream_tbPNSt15iterator_traitsISI_E10value_typeEPNSO_ISJ_E10value_typeEPSK_NS1_7vsmem_tEENKUlT_SI_SJ_SK_E_clISD_PiSD_S10_EESH_SX_SI_SJ_SK_EUlSX_E_NS1_11comp_targetILNS1_3genE5ELNS1_11target_archE942ELNS1_3gpuE9ELNS1_3repE0EEENS1_48merge_mergepath_partition_config_static_selectorELNS0_4arch9wavefront6targetE1EEEvSJ_.numbered_sgpr, 0
	.set _ZN7rocprim17ROCPRIM_400000_NS6detail17trampoline_kernelINS0_14default_configENS1_38merge_sort_block_merge_config_selectorIiiEEZZNS1_27merge_sort_block_merge_implIS3_N6thrust23THRUST_200600_302600_NS6detail15normal_iteratorINS8_10device_ptrIiEEEESD_jNS1_19radix_merge_compareILb1ELb0EiNS0_19identity_decomposerEEEEE10hipError_tT0_T1_T2_jT3_P12ihipStream_tbPNSt15iterator_traitsISI_E10value_typeEPNSO_ISJ_E10value_typeEPSK_NS1_7vsmem_tEENKUlT_SI_SJ_SK_E_clISD_PiSD_S10_EESH_SX_SI_SJ_SK_EUlSX_E_NS1_11comp_targetILNS1_3genE5ELNS1_11target_archE942ELNS1_3gpuE9ELNS1_3repE0EEENS1_48merge_mergepath_partition_config_static_selectorELNS0_4arch9wavefront6targetE1EEEvSJ_.num_named_barrier, 0
	.set _ZN7rocprim17ROCPRIM_400000_NS6detail17trampoline_kernelINS0_14default_configENS1_38merge_sort_block_merge_config_selectorIiiEEZZNS1_27merge_sort_block_merge_implIS3_N6thrust23THRUST_200600_302600_NS6detail15normal_iteratorINS8_10device_ptrIiEEEESD_jNS1_19radix_merge_compareILb1ELb0EiNS0_19identity_decomposerEEEEE10hipError_tT0_T1_T2_jT3_P12ihipStream_tbPNSt15iterator_traitsISI_E10value_typeEPNSO_ISJ_E10value_typeEPSK_NS1_7vsmem_tEENKUlT_SI_SJ_SK_E_clISD_PiSD_S10_EESH_SX_SI_SJ_SK_EUlSX_E_NS1_11comp_targetILNS1_3genE5ELNS1_11target_archE942ELNS1_3gpuE9ELNS1_3repE0EEENS1_48merge_mergepath_partition_config_static_selectorELNS0_4arch9wavefront6targetE1EEEvSJ_.private_seg_size, 0
	.set _ZN7rocprim17ROCPRIM_400000_NS6detail17trampoline_kernelINS0_14default_configENS1_38merge_sort_block_merge_config_selectorIiiEEZZNS1_27merge_sort_block_merge_implIS3_N6thrust23THRUST_200600_302600_NS6detail15normal_iteratorINS8_10device_ptrIiEEEESD_jNS1_19radix_merge_compareILb1ELb0EiNS0_19identity_decomposerEEEEE10hipError_tT0_T1_T2_jT3_P12ihipStream_tbPNSt15iterator_traitsISI_E10value_typeEPNSO_ISJ_E10value_typeEPSK_NS1_7vsmem_tEENKUlT_SI_SJ_SK_E_clISD_PiSD_S10_EESH_SX_SI_SJ_SK_EUlSX_E_NS1_11comp_targetILNS1_3genE5ELNS1_11target_archE942ELNS1_3gpuE9ELNS1_3repE0EEENS1_48merge_mergepath_partition_config_static_selectorELNS0_4arch9wavefront6targetE1EEEvSJ_.uses_vcc, 0
	.set _ZN7rocprim17ROCPRIM_400000_NS6detail17trampoline_kernelINS0_14default_configENS1_38merge_sort_block_merge_config_selectorIiiEEZZNS1_27merge_sort_block_merge_implIS3_N6thrust23THRUST_200600_302600_NS6detail15normal_iteratorINS8_10device_ptrIiEEEESD_jNS1_19radix_merge_compareILb1ELb0EiNS0_19identity_decomposerEEEEE10hipError_tT0_T1_T2_jT3_P12ihipStream_tbPNSt15iterator_traitsISI_E10value_typeEPNSO_ISJ_E10value_typeEPSK_NS1_7vsmem_tEENKUlT_SI_SJ_SK_E_clISD_PiSD_S10_EESH_SX_SI_SJ_SK_EUlSX_E_NS1_11comp_targetILNS1_3genE5ELNS1_11target_archE942ELNS1_3gpuE9ELNS1_3repE0EEENS1_48merge_mergepath_partition_config_static_selectorELNS0_4arch9wavefront6targetE1EEEvSJ_.uses_flat_scratch, 0
	.set _ZN7rocprim17ROCPRIM_400000_NS6detail17trampoline_kernelINS0_14default_configENS1_38merge_sort_block_merge_config_selectorIiiEEZZNS1_27merge_sort_block_merge_implIS3_N6thrust23THRUST_200600_302600_NS6detail15normal_iteratorINS8_10device_ptrIiEEEESD_jNS1_19radix_merge_compareILb1ELb0EiNS0_19identity_decomposerEEEEE10hipError_tT0_T1_T2_jT3_P12ihipStream_tbPNSt15iterator_traitsISI_E10value_typeEPNSO_ISJ_E10value_typeEPSK_NS1_7vsmem_tEENKUlT_SI_SJ_SK_E_clISD_PiSD_S10_EESH_SX_SI_SJ_SK_EUlSX_E_NS1_11comp_targetILNS1_3genE5ELNS1_11target_archE942ELNS1_3gpuE9ELNS1_3repE0EEENS1_48merge_mergepath_partition_config_static_selectorELNS0_4arch9wavefront6targetE1EEEvSJ_.has_dyn_sized_stack, 0
	.set _ZN7rocprim17ROCPRIM_400000_NS6detail17trampoline_kernelINS0_14default_configENS1_38merge_sort_block_merge_config_selectorIiiEEZZNS1_27merge_sort_block_merge_implIS3_N6thrust23THRUST_200600_302600_NS6detail15normal_iteratorINS8_10device_ptrIiEEEESD_jNS1_19radix_merge_compareILb1ELb0EiNS0_19identity_decomposerEEEEE10hipError_tT0_T1_T2_jT3_P12ihipStream_tbPNSt15iterator_traitsISI_E10value_typeEPNSO_ISJ_E10value_typeEPSK_NS1_7vsmem_tEENKUlT_SI_SJ_SK_E_clISD_PiSD_S10_EESH_SX_SI_SJ_SK_EUlSX_E_NS1_11comp_targetILNS1_3genE5ELNS1_11target_archE942ELNS1_3gpuE9ELNS1_3repE0EEENS1_48merge_mergepath_partition_config_static_selectorELNS0_4arch9wavefront6targetE1EEEvSJ_.has_recursion, 0
	.set _ZN7rocprim17ROCPRIM_400000_NS6detail17trampoline_kernelINS0_14default_configENS1_38merge_sort_block_merge_config_selectorIiiEEZZNS1_27merge_sort_block_merge_implIS3_N6thrust23THRUST_200600_302600_NS6detail15normal_iteratorINS8_10device_ptrIiEEEESD_jNS1_19radix_merge_compareILb1ELb0EiNS0_19identity_decomposerEEEEE10hipError_tT0_T1_T2_jT3_P12ihipStream_tbPNSt15iterator_traitsISI_E10value_typeEPNSO_ISJ_E10value_typeEPSK_NS1_7vsmem_tEENKUlT_SI_SJ_SK_E_clISD_PiSD_S10_EESH_SX_SI_SJ_SK_EUlSX_E_NS1_11comp_targetILNS1_3genE5ELNS1_11target_archE942ELNS1_3gpuE9ELNS1_3repE0EEENS1_48merge_mergepath_partition_config_static_selectorELNS0_4arch9wavefront6targetE1EEEvSJ_.has_indirect_call, 0
	.section	.AMDGPU.csdata,"",@progbits
; Kernel info:
; codeLenInByte = 0
; TotalNumSgprs: 6
; NumVgprs: 0
; NumAgprs: 0
; TotalNumVgprs: 0
; ScratchSize: 0
; MemoryBound: 0
; FloatMode: 240
; IeeeMode: 1
; LDSByteSize: 0 bytes/workgroup (compile time only)
; SGPRBlocks: 0
; VGPRBlocks: 0
; NumSGPRsForWavesPerEU: 6
; NumVGPRsForWavesPerEU: 1
; AccumOffset: 4
; Occupancy: 8
; WaveLimiterHint : 0
; COMPUTE_PGM_RSRC2:SCRATCH_EN: 0
; COMPUTE_PGM_RSRC2:USER_SGPR: 2
; COMPUTE_PGM_RSRC2:TRAP_HANDLER: 0
; COMPUTE_PGM_RSRC2:TGID_X_EN: 1
; COMPUTE_PGM_RSRC2:TGID_Y_EN: 0
; COMPUTE_PGM_RSRC2:TGID_Z_EN: 0
; COMPUTE_PGM_RSRC2:TIDIG_COMP_CNT: 0
; COMPUTE_PGM_RSRC3_GFX90A:ACCUM_OFFSET: 0
; COMPUTE_PGM_RSRC3_GFX90A:TG_SPLIT: 0
	.section	.text._ZN7rocprim17ROCPRIM_400000_NS6detail17trampoline_kernelINS0_14default_configENS1_38merge_sort_block_merge_config_selectorIiiEEZZNS1_27merge_sort_block_merge_implIS3_N6thrust23THRUST_200600_302600_NS6detail15normal_iteratorINS8_10device_ptrIiEEEESD_jNS1_19radix_merge_compareILb1ELb0EiNS0_19identity_decomposerEEEEE10hipError_tT0_T1_T2_jT3_P12ihipStream_tbPNSt15iterator_traitsISI_E10value_typeEPNSO_ISJ_E10value_typeEPSK_NS1_7vsmem_tEENKUlT_SI_SJ_SK_E_clISD_PiSD_S10_EESH_SX_SI_SJ_SK_EUlSX_E_NS1_11comp_targetILNS1_3genE4ELNS1_11target_archE910ELNS1_3gpuE8ELNS1_3repE0EEENS1_48merge_mergepath_partition_config_static_selectorELNS0_4arch9wavefront6targetE1EEEvSJ_,"axG",@progbits,_ZN7rocprim17ROCPRIM_400000_NS6detail17trampoline_kernelINS0_14default_configENS1_38merge_sort_block_merge_config_selectorIiiEEZZNS1_27merge_sort_block_merge_implIS3_N6thrust23THRUST_200600_302600_NS6detail15normal_iteratorINS8_10device_ptrIiEEEESD_jNS1_19radix_merge_compareILb1ELb0EiNS0_19identity_decomposerEEEEE10hipError_tT0_T1_T2_jT3_P12ihipStream_tbPNSt15iterator_traitsISI_E10value_typeEPNSO_ISJ_E10value_typeEPSK_NS1_7vsmem_tEENKUlT_SI_SJ_SK_E_clISD_PiSD_S10_EESH_SX_SI_SJ_SK_EUlSX_E_NS1_11comp_targetILNS1_3genE4ELNS1_11target_archE910ELNS1_3gpuE8ELNS1_3repE0EEENS1_48merge_mergepath_partition_config_static_selectorELNS0_4arch9wavefront6targetE1EEEvSJ_,comdat
	.protected	_ZN7rocprim17ROCPRIM_400000_NS6detail17trampoline_kernelINS0_14default_configENS1_38merge_sort_block_merge_config_selectorIiiEEZZNS1_27merge_sort_block_merge_implIS3_N6thrust23THRUST_200600_302600_NS6detail15normal_iteratorINS8_10device_ptrIiEEEESD_jNS1_19radix_merge_compareILb1ELb0EiNS0_19identity_decomposerEEEEE10hipError_tT0_T1_T2_jT3_P12ihipStream_tbPNSt15iterator_traitsISI_E10value_typeEPNSO_ISJ_E10value_typeEPSK_NS1_7vsmem_tEENKUlT_SI_SJ_SK_E_clISD_PiSD_S10_EESH_SX_SI_SJ_SK_EUlSX_E_NS1_11comp_targetILNS1_3genE4ELNS1_11target_archE910ELNS1_3gpuE8ELNS1_3repE0EEENS1_48merge_mergepath_partition_config_static_selectorELNS0_4arch9wavefront6targetE1EEEvSJ_ ; -- Begin function _ZN7rocprim17ROCPRIM_400000_NS6detail17trampoline_kernelINS0_14default_configENS1_38merge_sort_block_merge_config_selectorIiiEEZZNS1_27merge_sort_block_merge_implIS3_N6thrust23THRUST_200600_302600_NS6detail15normal_iteratorINS8_10device_ptrIiEEEESD_jNS1_19radix_merge_compareILb1ELb0EiNS0_19identity_decomposerEEEEE10hipError_tT0_T1_T2_jT3_P12ihipStream_tbPNSt15iterator_traitsISI_E10value_typeEPNSO_ISJ_E10value_typeEPSK_NS1_7vsmem_tEENKUlT_SI_SJ_SK_E_clISD_PiSD_S10_EESH_SX_SI_SJ_SK_EUlSX_E_NS1_11comp_targetILNS1_3genE4ELNS1_11target_archE910ELNS1_3gpuE8ELNS1_3repE0EEENS1_48merge_mergepath_partition_config_static_selectorELNS0_4arch9wavefront6targetE1EEEvSJ_
	.globl	_ZN7rocprim17ROCPRIM_400000_NS6detail17trampoline_kernelINS0_14default_configENS1_38merge_sort_block_merge_config_selectorIiiEEZZNS1_27merge_sort_block_merge_implIS3_N6thrust23THRUST_200600_302600_NS6detail15normal_iteratorINS8_10device_ptrIiEEEESD_jNS1_19radix_merge_compareILb1ELb0EiNS0_19identity_decomposerEEEEE10hipError_tT0_T1_T2_jT3_P12ihipStream_tbPNSt15iterator_traitsISI_E10value_typeEPNSO_ISJ_E10value_typeEPSK_NS1_7vsmem_tEENKUlT_SI_SJ_SK_E_clISD_PiSD_S10_EESH_SX_SI_SJ_SK_EUlSX_E_NS1_11comp_targetILNS1_3genE4ELNS1_11target_archE910ELNS1_3gpuE8ELNS1_3repE0EEENS1_48merge_mergepath_partition_config_static_selectorELNS0_4arch9wavefront6targetE1EEEvSJ_
	.p2align	8
	.type	_ZN7rocprim17ROCPRIM_400000_NS6detail17trampoline_kernelINS0_14default_configENS1_38merge_sort_block_merge_config_selectorIiiEEZZNS1_27merge_sort_block_merge_implIS3_N6thrust23THRUST_200600_302600_NS6detail15normal_iteratorINS8_10device_ptrIiEEEESD_jNS1_19radix_merge_compareILb1ELb0EiNS0_19identity_decomposerEEEEE10hipError_tT0_T1_T2_jT3_P12ihipStream_tbPNSt15iterator_traitsISI_E10value_typeEPNSO_ISJ_E10value_typeEPSK_NS1_7vsmem_tEENKUlT_SI_SJ_SK_E_clISD_PiSD_S10_EESH_SX_SI_SJ_SK_EUlSX_E_NS1_11comp_targetILNS1_3genE4ELNS1_11target_archE910ELNS1_3gpuE8ELNS1_3repE0EEENS1_48merge_mergepath_partition_config_static_selectorELNS0_4arch9wavefront6targetE1EEEvSJ_,@function
_ZN7rocprim17ROCPRIM_400000_NS6detail17trampoline_kernelINS0_14default_configENS1_38merge_sort_block_merge_config_selectorIiiEEZZNS1_27merge_sort_block_merge_implIS3_N6thrust23THRUST_200600_302600_NS6detail15normal_iteratorINS8_10device_ptrIiEEEESD_jNS1_19radix_merge_compareILb1ELb0EiNS0_19identity_decomposerEEEEE10hipError_tT0_T1_T2_jT3_P12ihipStream_tbPNSt15iterator_traitsISI_E10value_typeEPNSO_ISJ_E10value_typeEPSK_NS1_7vsmem_tEENKUlT_SI_SJ_SK_E_clISD_PiSD_S10_EESH_SX_SI_SJ_SK_EUlSX_E_NS1_11comp_targetILNS1_3genE4ELNS1_11target_archE910ELNS1_3gpuE8ELNS1_3repE0EEENS1_48merge_mergepath_partition_config_static_selectorELNS0_4arch9wavefront6targetE1EEEvSJ_: ; @_ZN7rocprim17ROCPRIM_400000_NS6detail17trampoline_kernelINS0_14default_configENS1_38merge_sort_block_merge_config_selectorIiiEEZZNS1_27merge_sort_block_merge_implIS3_N6thrust23THRUST_200600_302600_NS6detail15normal_iteratorINS8_10device_ptrIiEEEESD_jNS1_19radix_merge_compareILb1ELb0EiNS0_19identity_decomposerEEEEE10hipError_tT0_T1_T2_jT3_P12ihipStream_tbPNSt15iterator_traitsISI_E10value_typeEPNSO_ISJ_E10value_typeEPSK_NS1_7vsmem_tEENKUlT_SI_SJ_SK_E_clISD_PiSD_S10_EESH_SX_SI_SJ_SK_EUlSX_E_NS1_11comp_targetILNS1_3genE4ELNS1_11target_archE910ELNS1_3gpuE8ELNS1_3repE0EEENS1_48merge_mergepath_partition_config_static_selectorELNS0_4arch9wavefront6targetE1EEEvSJ_
; %bb.0:
	.section	.rodata,"a",@progbits
	.p2align	6, 0x0
	.amdhsa_kernel _ZN7rocprim17ROCPRIM_400000_NS6detail17trampoline_kernelINS0_14default_configENS1_38merge_sort_block_merge_config_selectorIiiEEZZNS1_27merge_sort_block_merge_implIS3_N6thrust23THRUST_200600_302600_NS6detail15normal_iteratorINS8_10device_ptrIiEEEESD_jNS1_19radix_merge_compareILb1ELb0EiNS0_19identity_decomposerEEEEE10hipError_tT0_T1_T2_jT3_P12ihipStream_tbPNSt15iterator_traitsISI_E10value_typeEPNSO_ISJ_E10value_typeEPSK_NS1_7vsmem_tEENKUlT_SI_SJ_SK_E_clISD_PiSD_S10_EESH_SX_SI_SJ_SK_EUlSX_E_NS1_11comp_targetILNS1_3genE4ELNS1_11target_archE910ELNS1_3gpuE8ELNS1_3repE0EEENS1_48merge_mergepath_partition_config_static_selectorELNS0_4arch9wavefront6targetE1EEEvSJ_
		.amdhsa_group_segment_fixed_size 0
		.amdhsa_private_segment_fixed_size 0
		.amdhsa_kernarg_size 40
		.amdhsa_user_sgpr_count 2
		.amdhsa_user_sgpr_dispatch_ptr 0
		.amdhsa_user_sgpr_queue_ptr 0
		.amdhsa_user_sgpr_kernarg_segment_ptr 1
		.amdhsa_user_sgpr_dispatch_id 0
		.amdhsa_user_sgpr_kernarg_preload_length 0
		.amdhsa_user_sgpr_kernarg_preload_offset 0
		.amdhsa_user_sgpr_private_segment_size 0
		.amdhsa_uses_dynamic_stack 0
		.amdhsa_enable_private_segment 0
		.amdhsa_system_sgpr_workgroup_id_x 1
		.amdhsa_system_sgpr_workgroup_id_y 0
		.amdhsa_system_sgpr_workgroup_id_z 0
		.amdhsa_system_sgpr_workgroup_info 0
		.amdhsa_system_vgpr_workitem_id 0
		.amdhsa_next_free_vgpr 1
		.amdhsa_next_free_sgpr 0
		.amdhsa_accum_offset 4
		.amdhsa_reserve_vcc 0
		.amdhsa_float_round_mode_32 0
		.amdhsa_float_round_mode_16_64 0
		.amdhsa_float_denorm_mode_32 3
		.amdhsa_float_denorm_mode_16_64 3
		.amdhsa_dx10_clamp 1
		.amdhsa_ieee_mode 1
		.amdhsa_fp16_overflow 0
		.amdhsa_tg_split 0
		.amdhsa_exception_fp_ieee_invalid_op 0
		.amdhsa_exception_fp_denorm_src 0
		.amdhsa_exception_fp_ieee_div_zero 0
		.amdhsa_exception_fp_ieee_overflow 0
		.amdhsa_exception_fp_ieee_underflow 0
		.amdhsa_exception_fp_ieee_inexact 0
		.amdhsa_exception_int_div_zero 0
	.end_amdhsa_kernel
	.section	.text._ZN7rocprim17ROCPRIM_400000_NS6detail17trampoline_kernelINS0_14default_configENS1_38merge_sort_block_merge_config_selectorIiiEEZZNS1_27merge_sort_block_merge_implIS3_N6thrust23THRUST_200600_302600_NS6detail15normal_iteratorINS8_10device_ptrIiEEEESD_jNS1_19radix_merge_compareILb1ELb0EiNS0_19identity_decomposerEEEEE10hipError_tT0_T1_T2_jT3_P12ihipStream_tbPNSt15iterator_traitsISI_E10value_typeEPNSO_ISJ_E10value_typeEPSK_NS1_7vsmem_tEENKUlT_SI_SJ_SK_E_clISD_PiSD_S10_EESH_SX_SI_SJ_SK_EUlSX_E_NS1_11comp_targetILNS1_3genE4ELNS1_11target_archE910ELNS1_3gpuE8ELNS1_3repE0EEENS1_48merge_mergepath_partition_config_static_selectorELNS0_4arch9wavefront6targetE1EEEvSJ_,"axG",@progbits,_ZN7rocprim17ROCPRIM_400000_NS6detail17trampoline_kernelINS0_14default_configENS1_38merge_sort_block_merge_config_selectorIiiEEZZNS1_27merge_sort_block_merge_implIS3_N6thrust23THRUST_200600_302600_NS6detail15normal_iteratorINS8_10device_ptrIiEEEESD_jNS1_19radix_merge_compareILb1ELb0EiNS0_19identity_decomposerEEEEE10hipError_tT0_T1_T2_jT3_P12ihipStream_tbPNSt15iterator_traitsISI_E10value_typeEPNSO_ISJ_E10value_typeEPSK_NS1_7vsmem_tEENKUlT_SI_SJ_SK_E_clISD_PiSD_S10_EESH_SX_SI_SJ_SK_EUlSX_E_NS1_11comp_targetILNS1_3genE4ELNS1_11target_archE910ELNS1_3gpuE8ELNS1_3repE0EEENS1_48merge_mergepath_partition_config_static_selectorELNS0_4arch9wavefront6targetE1EEEvSJ_,comdat
.Lfunc_end912:
	.size	_ZN7rocprim17ROCPRIM_400000_NS6detail17trampoline_kernelINS0_14default_configENS1_38merge_sort_block_merge_config_selectorIiiEEZZNS1_27merge_sort_block_merge_implIS3_N6thrust23THRUST_200600_302600_NS6detail15normal_iteratorINS8_10device_ptrIiEEEESD_jNS1_19radix_merge_compareILb1ELb0EiNS0_19identity_decomposerEEEEE10hipError_tT0_T1_T2_jT3_P12ihipStream_tbPNSt15iterator_traitsISI_E10value_typeEPNSO_ISJ_E10value_typeEPSK_NS1_7vsmem_tEENKUlT_SI_SJ_SK_E_clISD_PiSD_S10_EESH_SX_SI_SJ_SK_EUlSX_E_NS1_11comp_targetILNS1_3genE4ELNS1_11target_archE910ELNS1_3gpuE8ELNS1_3repE0EEENS1_48merge_mergepath_partition_config_static_selectorELNS0_4arch9wavefront6targetE1EEEvSJ_, .Lfunc_end912-_ZN7rocprim17ROCPRIM_400000_NS6detail17trampoline_kernelINS0_14default_configENS1_38merge_sort_block_merge_config_selectorIiiEEZZNS1_27merge_sort_block_merge_implIS3_N6thrust23THRUST_200600_302600_NS6detail15normal_iteratorINS8_10device_ptrIiEEEESD_jNS1_19radix_merge_compareILb1ELb0EiNS0_19identity_decomposerEEEEE10hipError_tT0_T1_T2_jT3_P12ihipStream_tbPNSt15iterator_traitsISI_E10value_typeEPNSO_ISJ_E10value_typeEPSK_NS1_7vsmem_tEENKUlT_SI_SJ_SK_E_clISD_PiSD_S10_EESH_SX_SI_SJ_SK_EUlSX_E_NS1_11comp_targetILNS1_3genE4ELNS1_11target_archE910ELNS1_3gpuE8ELNS1_3repE0EEENS1_48merge_mergepath_partition_config_static_selectorELNS0_4arch9wavefront6targetE1EEEvSJ_
                                        ; -- End function
	.set _ZN7rocprim17ROCPRIM_400000_NS6detail17trampoline_kernelINS0_14default_configENS1_38merge_sort_block_merge_config_selectorIiiEEZZNS1_27merge_sort_block_merge_implIS3_N6thrust23THRUST_200600_302600_NS6detail15normal_iteratorINS8_10device_ptrIiEEEESD_jNS1_19radix_merge_compareILb1ELb0EiNS0_19identity_decomposerEEEEE10hipError_tT0_T1_T2_jT3_P12ihipStream_tbPNSt15iterator_traitsISI_E10value_typeEPNSO_ISJ_E10value_typeEPSK_NS1_7vsmem_tEENKUlT_SI_SJ_SK_E_clISD_PiSD_S10_EESH_SX_SI_SJ_SK_EUlSX_E_NS1_11comp_targetILNS1_3genE4ELNS1_11target_archE910ELNS1_3gpuE8ELNS1_3repE0EEENS1_48merge_mergepath_partition_config_static_selectorELNS0_4arch9wavefront6targetE1EEEvSJ_.num_vgpr, 0
	.set _ZN7rocprim17ROCPRIM_400000_NS6detail17trampoline_kernelINS0_14default_configENS1_38merge_sort_block_merge_config_selectorIiiEEZZNS1_27merge_sort_block_merge_implIS3_N6thrust23THRUST_200600_302600_NS6detail15normal_iteratorINS8_10device_ptrIiEEEESD_jNS1_19radix_merge_compareILb1ELb0EiNS0_19identity_decomposerEEEEE10hipError_tT0_T1_T2_jT3_P12ihipStream_tbPNSt15iterator_traitsISI_E10value_typeEPNSO_ISJ_E10value_typeEPSK_NS1_7vsmem_tEENKUlT_SI_SJ_SK_E_clISD_PiSD_S10_EESH_SX_SI_SJ_SK_EUlSX_E_NS1_11comp_targetILNS1_3genE4ELNS1_11target_archE910ELNS1_3gpuE8ELNS1_3repE0EEENS1_48merge_mergepath_partition_config_static_selectorELNS0_4arch9wavefront6targetE1EEEvSJ_.num_agpr, 0
	.set _ZN7rocprim17ROCPRIM_400000_NS6detail17trampoline_kernelINS0_14default_configENS1_38merge_sort_block_merge_config_selectorIiiEEZZNS1_27merge_sort_block_merge_implIS3_N6thrust23THRUST_200600_302600_NS6detail15normal_iteratorINS8_10device_ptrIiEEEESD_jNS1_19radix_merge_compareILb1ELb0EiNS0_19identity_decomposerEEEEE10hipError_tT0_T1_T2_jT3_P12ihipStream_tbPNSt15iterator_traitsISI_E10value_typeEPNSO_ISJ_E10value_typeEPSK_NS1_7vsmem_tEENKUlT_SI_SJ_SK_E_clISD_PiSD_S10_EESH_SX_SI_SJ_SK_EUlSX_E_NS1_11comp_targetILNS1_3genE4ELNS1_11target_archE910ELNS1_3gpuE8ELNS1_3repE0EEENS1_48merge_mergepath_partition_config_static_selectorELNS0_4arch9wavefront6targetE1EEEvSJ_.numbered_sgpr, 0
	.set _ZN7rocprim17ROCPRIM_400000_NS6detail17trampoline_kernelINS0_14default_configENS1_38merge_sort_block_merge_config_selectorIiiEEZZNS1_27merge_sort_block_merge_implIS3_N6thrust23THRUST_200600_302600_NS6detail15normal_iteratorINS8_10device_ptrIiEEEESD_jNS1_19radix_merge_compareILb1ELb0EiNS0_19identity_decomposerEEEEE10hipError_tT0_T1_T2_jT3_P12ihipStream_tbPNSt15iterator_traitsISI_E10value_typeEPNSO_ISJ_E10value_typeEPSK_NS1_7vsmem_tEENKUlT_SI_SJ_SK_E_clISD_PiSD_S10_EESH_SX_SI_SJ_SK_EUlSX_E_NS1_11comp_targetILNS1_3genE4ELNS1_11target_archE910ELNS1_3gpuE8ELNS1_3repE0EEENS1_48merge_mergepath_partition_config_static_selectorELNS0_4arch9wavefront6targetE1EEEvSJ_.num_named_barrier, 0
	.set _ZN7rocprim17ROCPRIM_400000_NS6detail17trampoline_kernelINS0_14default_configENS1_38merge_sort_block_merge_config_selectorIiiEEZZNS1_27merge_sort_block_merge_implIS3_N6thrust23THRUST_200600_302600_NS6detail15normal_iteratorINS8_10device_ptrIiEEEESD_jNS1_19radix_merge_compareILb1ELb0EiNS0_19identity_decomposerEEEEE10hipError_tT0_T1_T2_jT3_P12ihipStream_tbPNSt15iterator_traitsISI_E10value_typeEPNSO_ISJ_E10value_typeEPSK_NS1_7vsmem_tEENKUlT_SI_SJ_SK_E_clISD_PiSD_S10_EESH_SX_SI_SJ_SK_EUlSX_E_NS1_11comp_targetILNS1_3genE4ELNS1_11target_archE910ELNS1_3gpuE8ELNS1_3repE0EEENS1_48merge_mergepath_partition_config_static_selectorELNS0_4arch9wavefront6targetE1EEEvSJ_.private_seg_size, 0
	.set _ZN7rocprim17ROCPRIM_400000_NS6detail17trampoline_kernelINS0_14default_configENS1_38merge_sort_block_merge_config_selectorIiiEEZZNS1_27merge_sort_block_merge_implIS3_N6thrust23THRUST_200600_302600_NS6detail15normal_iteratorINS8_10device_ptrIiEEEESD_jNS1_19radix_merge_compareILb1ELb0EiNS0_19identity_decomposerEEEEE10hipError_tT0_T1_T2_jT3_P12ihipStream_tbPNSt15iterator_traitsISI_E10value_typeEPNSO_ISJ_E10value_typeEPSK_NS1_7vsmem_tEENKUlT_SI_SJ_SK_E_clISD_PiSD_S10_EESH_SX_SI_SJ_SK_EUlSX_E_NS1_11comp_targetILNS1_3genE4ELNS1_11target_archE910ELNS1_3gpuE8ELNS1_3repE0EEENS1_48merge_mergepath_partition_config_static_selectorELNS0_4arch9wavefront6targetE1EEEvSJ_.uses_vcc, 0
	.set _ZN7rocprim17ROCPRIM_400000_NS6detail17trampoline_kernelINS0_14default_configENS1_38merge_sort_block_merge_config_selectorIiiEEZZNS1_27merge_sort_block_merge_implIS3_N6thrust23THRUST_200600_302600_NS6detail15normal_iteratorINS8_10device_ptrIiEEEESD_jNS1_19radix_merge_compareILb1ELb0EiNS0_19identity_decomposerEEEEE10hipError_tT0_T1_T2_jT3_P12ihipStream_tbPNSt15iterator_traitsISI_E10value_typeEPNSO_ISJ_E10value_typeEPSK_NS1_7vsmem_tEENKUlT_SI_SJ_SK_E_clISD_PiSD_S10_EESH_SX_SI_SJ_SK_EUlSX_E_NS1_11comp_targetILNS1_3genE4ELNS1_11target_archE910ELNS1_3gpuE8ELNS1_3repE0EEENS1_48merge_mergepath_partition_config_static_selectorELNS0_4arch9wavefront6targetE1EEEvSJ_.uses_flat_scratch, 0
	.set _ZN7rocprim17ROCPRIM_400000_NS6detail17trampoline_kernelINS0_14default_configENS1_38merge_sort_block_merge_config_selectorIiiEEZZNS1_27merge_sort_block_merge_implIS3_N6thrust23THRUST_200600_302600_NS6detail15normal_iteratorINS8_10device_ptrIiEEEESD_jNS1_19radix_merge_compareILb1ELb0EiNS0_19identity_decomposerEEEEE10hipError_tT0_T1_T2_jT3_P12ihipStream_tbPNSt15iterator_traitsISI_E10value_typeEPNSO_ISJ_E10value_typeEPSK_NS1_7vsmem_tEENKUlT_SI_SJ_SK_E_clISD_PiSD_S10_EESH_SX_SI_SJ_SK_EUlSX_E_NS1_11comp_targetILNS1_3genE4ELNS1_11target_archE910ELNS1_3gpuE8ELNS1_3repE0EEENS1_48merge_mergepath_partition_config_static_selectorELNS0_4arch9wavefront6targetE1EEEvSJ_.has_dyn_sized_stack, 0
	.set _ZN7rocprim17ROCPRIM_400000_NS6detail17trampoline_kernelINS0_14default_configENS1_38merge_sort_block_merge_config_selectorIiiEEZZNS1_27merge_sort_block_merge_implIS3_N6thrust23THRUST_200600_302600_NS6detail15normal_iteratorINS8_10device_ptrIiEEEESD_jNS1_19radix_merge_compareILb1ELb0EiNS0_19identity_decomposerEEEEE10hipError_tT0_T1_T2_jT3_P12ihipStream_tbPNSt15iterator_traitsISI_E10value_typeEPNSO_ISJ_E10value_typeEPSK_NS1_7vsmem_tEENKUlT_SI_SJ_SK_E_clISD_PiSD_S10_EESH_SX_SI_SJ_SK_EUlSX_E_NS1_11comp_targetILNS1_3genE4ELNS1_11target_archE910ELNS1_3gpuE8ELNS1_3repE0EEENS1_48merge_mergepath_partition_config_static_selectorELNS0_4arch9wavefront6targetE1EEEvSJ_.has_recursion, 0
	.set _ZN7rocprim17ROCPRIM_400000_NS6detail17trampoline_kernelINS0_14default_configENS1_38merge_sort_block_merge_config_selectorIiiEEZZNS1_27merge_sort_block_merge_implIS3_N6thrust23THRUST_200600_302600_NS6detail15normal_iteratorINS8_10device_ptrIiEEEESD_jNS1_19radix_merge_compareILb1ELb0EiNS0_19identity_decomposerEEEEE10hipError_tT0_T1_T2_jT3_P12ihipStream_tbPNSt15iterator_traitsISI_E10value_typeEPNSO_ISJ_E10value_typeEPSK_NS1_7vsmem_tEENKUlT_SI_SJ_SK_E_clISD_PiSD_S10_EESH_SX_SI_SJ_SK_EUlSX_E_NS1_11comp_targetILNS1_3genE4ELNS1_11target_archE910ELNS1_3gpuE8ELNS1_3repE0EEENS1_48merge_mergepath_partition_config_static_selectorELNS0_4arch9wavefront6targetE1EEEvSJ_.has_indirect_call, 0
	.section	.AMDGPU.csdata,"",@progbits
; Kernel info:
; codeLenInByte = 0
; TotalNumSgprs: 6
; NumVgprs: 0
; NumAgprs: 0
; TotalNumVgprs: 0
; ScratchSize: 0
; MemoryBound: 0
; FloatMode: 240
; IeeeMode: 1
; LDSByteSize: 0 bytes/workgroup (compile time only)
; SGPRBlocks: 0
; VGPRBlocks: 0
; NumSGPRsForWavesPerEU: 6
; NumVGPRsForWavesPerEU: 1
; AccumOffset: 4
; Occupancy: 8
; WaveLimiterHint : 0
; COMPUTE_PGM_RSRC2:SCRATCH_EN: 0
; COMPUTE_PGM_RSRC2:USER_SGPR: 2
; COMPUTE_PGM_RSRC2:TRAP_HANDLER: 0
; COMPUTE_PGM_RSRC2:TGID_X_EN: 1
; COMPUTE_PGM_RSRC2:TGID_Y_EN: 0
; COMPUTE_PGM_RSRC2:TGID_Z_EN: 0
; COMPUTE_PGM_RSRC2:TIDIG_COMP_CNT: 0
; COMPUTE_PGM_RSRC3_GFX90A:ACCUM_OFFSET: 0
; COMPUTE_PGM_RSRC3_GFX90A:TG_SPLIT: 0
	.section	.text._ZN7rocprim17ROCPRIM_400000_NS6detail17trampoline_kernelINS0_14default_configENS1_38merge_sort_block_merge_config_selectorIiiEEZZNS1_27merge_sort_block_merge_implIS3_N6thrust23THRUST_200600_302600_NS6detail15normal_iteratorINS8_10device_ptrIiEEEESD_jNS1_19radix_merge_compareILb1ELb0EiNS0_19identity_decomposerEEEEE10hipError_tT0_T1_T2_jT3_P12ihipStream_tbPNSt15iterator_traitsISI_E10value_typeEPNSO_ISJ_E10value_typeEPSK_NS1_7vsmem_tEENKUlT_SI_SJ_SK_E_clISD_PiSD_S10_EESH_SX_SI_SJ_SK_EUlSX_E_NS1_11comp_targetILNS1_3genE3ELNS1_11target_archE908ELNS1_3gpuE7ELNS1_3repE0EEENS1_48merge_mergepath_partition_config_static_selectorELNS0_4arch9wavefront6targetE1EEEvSJ_,"axG",@progbits,_ZN7rocprim17ROCPRIM_400000_NS6detail17trampoline_kernelINS0_14default_configENS1_38merge_sort_block_merge_config_selectorIiiEEZZNS1_27merge_sort_block_merge_implIS3_N6thrust23THRUST_200600_302600_NS6detail15normal_iteratorINS8_10device_ptrIiEEEESD_jNS1_19radix_merge_compareILb1ELb0EiNS0_19identity_decomposerEEEEE10hipError_tT0_T1_T2_jT3_P12ihipStream_tbPNSt15iterator_traitsISI_E10value_typeEPNSO_ISJ_E10value_typeEPSK_NS1_7vsmem_tEENKUlT_SI_SJ_SK_E_clISD_PiSD_S10_EESH_SX_SI_SJ_SK_EUlSX_E_NS1_11comp_targetILNS1_3genE3ELNS1_11target_archE908ELNS1_3gpuE7ELNS1_3repE0EEENS1_48merge_mergepath_partition_config_static_selectorELNS0_4arch9wavefront6targetE1EEEvSJ_,comdat
	.protected	_ZN7rocprim17ROCPRIM_400000_NS6detail17trampoline_kernelINS0_14default_configENS1_38merge_sort_block_merge_config_selectorIiiEEZZNS1_27merge_sort_block_merge_implIS3_N6thrust23THRUST_200600_302600_NS6detail15normal_iteratorINS8_10device_ptrIiEEEESD_jNS1_19radix_merge_compareILb1ELb0EiNS0_19identity_decomposerEEEEE10hipError_tT0_T1_T2_jT3_P12ihipStream_tbPNSt15iterator_traitsISI_E10value_typeEPNSO_ISJ_E10value_typeEPSK_NS1_7vsmem_tEENKUlT_SI_SJ_SK_E_clISD_PiSD_S10_EESH_SX_SI_SJ_SK_EUlSX_E_NS1_11comp_targetILNS1_3genE3ELNS1_11target_archE908ELNS1_3gpuE7ELNS1_3repE0EEENS1_48merge_mergepath_partition_config_static_selectorELNS0_4arch9wavefront6targetE1EEEvSJ_ ; -- Begin function _ZN7rocprim17ROCPRIM_400000_NS6detail17trampoline_kernelINS0_14default_configENS1_38merge_sort_block_merge_config_selectorIiiEEZZNS1_27merge_sort_block_merge_implIS3_N6thrust23THRUST_200600_302600_NS6detail15normal_iteratorINS8_10device_ptrIiEEEESD_jNS1_19radix_merge_compareILb1ELb0EiNS0_19identity_decomposerEEEEE10hipError_tT0_T1_T2_jT3_P12ihipStream_tbPNSt15iterator_traitsISI_E10value_typeEPNSO_ISJ_E10value_typeEPSK_NS1_7vsmem_tEENKUlT_SI_SJ_SK_E_clISD_PiSD_S10_EESH_SX_SI_SJ_SK_EUlSX_E_NS1_11comp_targetILNS1_3genE3ELNS1_11target_archE908ELNS1_3gpuE7ELNS1_3repE0EEENS1_48merge_mergepath_partition_config_static_selectorELNS0_4arch9wavefront6targetE1EEEvSJ_
	.globl	_ZN7rocprim17ROCPRIM_400000_NS6detail17trampoline_kernelINS0_14default_configENS1_38merge_sort_block_merge_config_selectorIiiEEZZNS1_27merge_sort_block_merge_implIS3_N6thrust23THRUST_200600_302600_NS6detail15normal_iteratorINS8_10device_ptrIiEEEESD_jNS1_19radix_merge_compareILb1ELb0EiNS0_19identity_decomposerEEEEE10hipError_tT0_T1_T2_jT3_P12ihipStream_tbPNSt15iterator_traitsISI_E10value_typeEPNSO_ISJ_E10value_typeEPSK_NS1_7vsmem_tEENKUlT_SI_SJ_SK_E_clISD_PiSD_S10_EESH_SX_SI_SJ_SK_EUlSX_E_NS1_11comp_targetILNS1_3genE3ELNS1_11target_archE908ELNS1_3gpuE7ELNS1_3repE0EEENS1_48merge_mergepath_partition_config_static_selectorELNS0_4arch9wavefront6targetE1EEEvSJ_
	.p2align	8
	.type	_ZN7rocprim17ROCPRIM_400000_NS6detail17trampoline_kernelINS0_14default_configENS1_38merge_sort_block_merge_config_selectorIiiEEZZNS1_27merge_sort_block_merge_implIS3_N6thrust23THRUST_200600_302600_NS6detail15normal_iteratorINS8_10device_ptrIiEEEESD_jNS1_19radix_merge_compareILb1ELb0EiNS0_19identity_decomposerEEEEE10hipError_tT0_T1_T2_jT3_P12ihipStream_tbPNSt15iterator_traitsISI_E10value_typeEPNSO_ISJ_E10value_typeEPSK_NS1_7vsmem_tEENKUlT_SI_SJ_SK_E_clISD_PiSD_S10_EESH_SX_SI_SJ_SK_EUlSX_E_NS1_11comp_targetILNS1_3genE3ELNS1_11target_archE908ELNS1_3gpuE7ELNS1_3repE0EEENS1_48merge_mergepath_partition_config_static_selectorELNS0_4arch9wavefront6targetE1EEEvSJ_,@function
_ZN7rocprim17ROCPRIM_400000_NS6detail17trampoline_kernelINS0_14default_configENS1_38merge_sort_block_merge_config_selectorIiiEEZZNS1_27merge_sort_block_merge_implIS3_N6thrust23THRUST_200600_302600_NS6detail15normal_iteratorINS8_10device_ptrIiEEEESD_jNS1_19radix_merge_compareILb1ELb0EiNS0_19identity_decomposerEEEEE10hipError_tT0_T1_T2_jT3_P12ihipStream_tbPNSt15iterator_traitsISI_E10value_typeEPNSO_ISJ_E10value_typeEPSK_NS1_7vsmem_tEENKUlT_SI_SJ_SK_E_clISD_PiSD_S10_EESH_SX_SI_SJ_SK_EUlSX_E_NS1_11comp_targetILNS1_3genE3ELNS1_11target_archE908ELNS1_3gpuE7ELNS1_3repE0EEENS1_48merge_mergepath_partition_config_static_selectorELNS0_4arch9wavefront6targetE1EEEvSJ_: ; @_ZN7rocprim17ROCPRIM_400000_NS6detail17trampoline_kernelINS0_14default_configENS1_38merge_sort_block_merge_config_selectorIiiEEZZNS1_27merge_sort_block_merge_implIS3_N6thrust23THRUST_200600_302600_NS6detail15normal_iteratorINS8_10device_ptrIiEEEESD_jNS1_19radix_merge_compareILb1ELb0EiNS0_19identity_decomposerEEEEE10hipError_tT0_T1_T2_jT3_P12ihipStream_tbPNSt15iterator_traitsISI_E10value_typeEPNSO_ISJ_E10value_typeEPSK_NS1_7vsmem_tEENKUlT_SI_SJ_SK_E_clISD_PiSD_S10_EESH_SX_SI_SJ_SK_EUlSX_E_NS1_11comp_targetILNS1_3genE3ELNS1_11target_archE908ELNS1_3gpuE7ELNS1_3repE0EEENS1_48merge_mergepath_partition_config_static_selectorELNS0_4arch9wavefront6targetE1EEEvSJ_
; %bb.0:
	.section	.rodata,"a",@progbits
	.p2align	6, 0x0
	.amdhsa_kernel _ZN7rocprim17ROCPRIM_400000_NS6detail17trampoline_kernelINS0_14default_configENS1_38merge_sort_block_merge_config_selectorIiiEEZZNS1_27merge_sort_block_merge_implIS3_N6thrust23THRUST_200600_302600_NS6detail15normal_iteratorINS8_10device_ptrIiEEEESD_jNS1_19radix_merge_compareILb1ELb0EiNS0_19identity_decomposerEEEEE10hipError_tT0_T1_T2_jT3_P12ihipStream_tbPNSt15iterator_traitsISI_E10value_typeEPNSO_ISJ_E10value_typeEPSK_NS1_7vsmem_tEENKUlT_SI_SJ_SK_E_clISD_PiSD_S10_EESH_SX_SI_SJ_SK_EUlSX_E_NS1_11comp_targetILNS1_3genE3ELNS1_11target_archE908ELNS1_3gpuE7ELNS1_3repE0EEENS1_48merge_mergepath_partition_config_static_selectorELNS0_4arch9wavefront6targetE1EEEvSJ_
		.amdhsa_group_segment_fixed_size 0
		.amdhsa_private_segment_fixed_size 0
		.amdhsa_kernarg_size 40
		.amdhsa_user_sgpr_count 2
		.amdhsa_user_sgpr_dispatch_ptr 0
		.amdhsa_user_sgpr_queue_ptr 0
		.amdhsa_user_sgpr_kernarg_segment_ptr 1
		.amdhsa_user_sgpr_dispatch_id 0
		.amdhsa_user_sgpr_kernarg_preload_length 0
		.amdhsa_user_sgpr_kernarg_preload_offset 0
		.amdhsa_user_sgpr_private_segment_size 0
		.amdhsa_uses_dynamic_stack 0
		.amdhsa_enable_private_segment 0
		.amdhsa_system_sgpr_workgroup_id_x 1
		.amdhsa_system_sgpr_workgroup_id_y 0
		.amdhsa_system_sgpr_workgroup_id_z 0
		.amdhsa_system_sgpr_workgroup_info 0
		.amdhsa_system_vgpr_workitem_id 0
		.amdhsa_next_free_vgpr 1
		.amdhsa_next_free_sgpr 0
		.amdhsa_accum_offset 4
		.amdhsa_reserve_vcc 0
		.amdhsa_float_round_mode_32 0
		.amdhsa_float_round_mode_16_64 0
		.amdhsa_float_denorm_mode_32 3
		.amdhsa_float_denorm_mode_16_64 3
		.amdhsa_dx10_clamp 1
		.amdhsa_ieee_mode 1
		.amdhsa_fp16_overflow 0
		.amdhsa_tg_split 0
		.amdhsa_exception_fp_ieee_invalid_op 0
		.amdhsa_exception_fp_denorm_src 0
		.amdhsa_exception_fp_ieee_div_zero 0
		.amdhsa_exception_fp_ieee_overflow 0
		.amdhsa_exception_fp_ieee_underflow 0
		.amdhsa_exception_fp_ieee_inexact 0
		.amdhsa_exception_int_div_zero 0
	.end_amdhsa_kernel
	.section	.text._ZN7rocprim17ROCPRIM_400000_NS6detail17trampoline_kernelINS0_14default_configENS1_38merge_sort_block_merge_config_selectorIiiEEZZNS1_27merge_sort_block_merge_implIS3_N6thrust23THRUST_200600_302600_NS6detail15normal_iteratorINS8_10device_ptrIiEEEESD_jNS1_19radix_merge_compareILb1ELb0EiNS0_19identity_decomposerEEEEE10hipError_tT0_T1_T2_jT3_P12ihipStream_tbPNSt15iterator_traitsISI_E10value_typeEPNSO_ISJ_E10value_typeEPSK_NS1_7vsmem_tEENKUlT_SI_SJ_SK_E_clISD_PiSD_S10_EESH_SX_SI_SJ_SK_EUlSX_E_NS1_11comp_targetILNS1_3genE3ELNS1_11target_archE908ELNS1_3gpuE7ELNS1_3repE0EEENS1_48merge_mergepath_partition_config_static_selectorELNS0_4arch9wavefront6targetE1EEEvSJ_,"axG",@progbits,_ZN7rocprim17ROCPRIM_400000_NS6detail17trampoline_kernelINS0_14default_configENS1_38merge_sort_block_merge_config_selectorIiiEEZZNS1_27merge_sort_block_merge_implIS3_N6thrust23THRUST_200600_302600_NS6detail15normal_iteratorINS8_10device_ptrIiEEEESD_jNS1_19radix_merge_compareILb1ELb0EiNS0_19identity_decomposerEEEEE10hipError_tT0_T1_T2_jT3_P12ihipStream_tbPNSt15iterator_traitsISI_E10value_typeEPNSO_ISJ_E10value_typeEPSK_NS1_7vsmem_tEENKUlT_SI_SJ_SK_E_clISD_PiSD_S10_EESH_SX_SI_SJ_SK_EUlSX_E_NS1_11comp_targetILNS1_3genE3ELNS1_11target_archE908ELNS1_3gpuE7ELNS1_3repE0EEENS1_48merge_mergepath_partition_config_static_selectorELNS0_4arch9wavefront6targetE1EEEvSJ_,comdat
.Lfunc_end913:
	.size	_ZN7rocprim17ROCPRIM_400000_NS6detail17trampoline_kernelINS0_14default_configENS1_38merge_sort_block_merge_config_selectorIiiEEZZNS1_27merge_sort_block_merge_implIS3_N6thrust23THRUST_200600_302600_NS6detail15normal_iteratorINS8_10device_ptrIiEEEESD_jNS1_19radix_merge_compareILb1ELb0EiNS0_19identity_decomposerEEEEE10hipError_tT0_T1_T2_jT3_P12ihipStream_tbPNSt15iterator_traitsISI_E10value_typeEPNSO_ISJ_E10value_typeEPSK_NS1_7vsmem_tEENKUlT_SI_SJ_SK_E_clISD_PiSD_S10_EESH_SX_SI_SJ_SK_EUlSX_E_NS1_11comp_targetILNS1_3genE3ELNS1_11target_archE908ELNS1_3gpuE7ELNS1_3repE0EEENS1_48merge_mergepath_partition_config_static_selectorELNS0_4arch9wavefront6targetE1EEEvSJ_, .Lfunc_end913-_ZN7rocprim17ROCPRIM_400000_NS6detail17trampoline_kernelINS0_14default_configENS1_38merge_sort_block_merge_config_selectorIiiEEZZNS1_27merge_sort_block_merge_implIS3_N6thrust23THRUST_200600_302600_NS6detail15normal_iteratorINS8_10device_ptrIiEEEESD_jNS1_19radix_merge_compareILb1ELb0EiNS0_19identity_decomposerEEEEE10hipError_tT0_T1_T2_jT3_P12ihipStream_tbPNSt15iterator_traitsISI_E10value_typeEPNSO_ISJ_E10value_typeEPSK_NS1_7vsmem_tEENKUlT_SI_SJ_SK_E_clISD_PiSD_S10_EESH_SX_SI_SJ_SK_EUlSX_E_NS1_11comp_targetILNS1_3genE3ELNS1_11target_archE908ELNS1_3gpuE7ELNS1_3repE0EEENS1_48merge_mergepath_partition_config_static_selectorELNS0_4arch9wavefront6targetE1EEEvSJ_
                                        ; -- End function
	.set _ZN7rocprim17ROCPRIM_400000_NS6detail17trampoline_kernelINS0_14default_configENS1_38merge_sort_block_merge_config_selectorIiiEEZZNS1_27merge_sort_block_merge_implIS3_N6thrust23THRUST_200600_302600_NS6detail15normal_iteratorINS8_10device_ptrIiEEEESD_jNS1_19radix_merge_compareILb1ELb0EiNS0_19identity_decomposerEEEEE10hipError_tT0_T1_T2_jT3_P12ihipStream_tbPNSt15iterator_traitsISI_E10value_typeEPNSO_ISJ_E10value_typeEPSK_NS1_7vsmem_tEENKUlT_SI_SJ_SK_E_clISD_PiSD_S10_EESH_SX_SI_SJ_SK_EUlSX_E_NS1_11comp_targetILNS1_3genE3ELNS1_11target_archE908ELNS1_3gpuE7ELNS1_3repE0EEENS1_48merge_mergepath_partition_config_static_selectorELNS0_4arch9wavefront6targetE1EEEvSJ_.num_vgpr, 0
	.set _ZN7rocprim17ROCPRIM_400000_NS6detail17trampoline_kernelINS0_14default_configENS1_38merge_sort_block_merge_config_selectorIiiEEZZNS1_27merge_sort_block_merge_implIS3_N6thrust23THRUST_200600_302600_NS6detail15normal_iteratorINS8_10device_ptrIiEEEESD_jNS1_19radix_merge_compareILb1ELb0EiNS0_19identity_decomposerEEEEE10hipError_tT0_T1_T2_jT3_P12ihipStream_tbPNSt15iterator_traitsISI_E10value_typeEPNSO_ISJ_E10value_typeEPSK_NS1_7vsmem_tEENKUlT_SI_SJ_SK_E_clISD_PiSD_S10_EESH_SX_SI_SJ_SK_EUlSX_E_NS1_11comp_targetILNS1_3genE3ELNS1_11target_archE908ELNS1_3gpuE7ELNS1_3repE0EEENS1_48merge_mergepath_partition_config_static_selectorELNS0_4arch9wavefront6targetE1EEEvSJ_.num_agpr, 0
	.set _ZN7rocprim17ROCPRIM_400000_NS6detail17trampoline_kernelINS0_14default_configENS1_38merge_sort_block_merge_config_selectorIiiEEZZNS1_27merge_sort_block_merge_implIS3_N6thrust23THRUST_200600_302600_NS6detail15normal_iteratorINS8_10device_ptrIiEEEESD_jNS1_19radix_merge_compareILb1ELb0EiNS0_19identity_decomposerEEEEE10hipError_tT0_T1_T2_jT3_P12ihipStream_tbPNSt15iterator_traitsISI_E10value_typeEPNSO_ISJ_E10value_typeEPSK_NS1_7vsmem_tEENKUlT_SI_SJ_SK_E_clISD_PiSD_S10_EESH_SX_SI_SJ_SK_EUlSX_E_NS1_11comp_targetILNS1_3genE3ELNS1_11target_archE908ELNS1_3gpuE7ELNS1_3repE0EEENS1_48merge_mergepath_partition_config_static_selectorELNS0_4arch9wavefront6targetE1EEEvSJ_.numbered_sgpr, 0
	.set _ZN7rocprim17ROCPRIM_400000_NS6detail17trampoline_kernelINS0_14default_configENS1_38merge_sort_block_merge_config_selectorIiiEEZZNS1_27merge_sort_block_merge_implIS3_N6thrust23THRUST_200600_302600_NS6detail15normal_iteratorINS8_10device_ptrIiEEEESD_jNS1_19radix_merge_compareILb1ELb0EiNS0_19identity_decomposerEEEEE10hipError_tT0_T1_T2_jT3_P12ihipStream_tbPNSt15iterator_traitsISI_E10value_typeEPNSO_ISJ_E10value_typeEPSK_NS1_7vsmem_tEENKUlT_SI_SJ_SK_E_clISD_PiSD_S10_EESH_SX_SI_SJ_SK_EUlSX_E_NS1_11comp_targetILNS1_3genE3ELNS1_11target_archE908ELNS1_3gpuE7ELNS1_3repE0EEENS1_48merge_mergepath_partition_config_static_selectorELNS0_4arch9wavefront6targetE1EEEvSJ_.num_named_barrier, 0
	.set _ZN7rocprim17ROCPRIM_400000_NS6detail17trampoline_kernelINS0_14default_configENS1_38merge_sort_block_merge_config_selectorIiiEEZZNS1_27merge_sort_block_merge_implIS3_N6thrust23THRUST_200600_302600_NS6detail15normal_iteratorINS8_10device_ptrIiEEEESD_jNS1_19radix_merge_compareILb1ELb0EiNS0_19identity_decomposerEEEEE10hipError_tT0_T1_T2_jT3_P12ihipStream_tbPNSt15iterator_traitsISI_E10value_typeEPNSO_ISJ_E10value_typeEPSK_NS1_7vsmem_tEENKUlT_SI_SJ_SK_E_clISD_PiSD_S10_EESH_SX_SI_SJ_SK_EUlSX_E_NS1_11comp_targetILNS1_3genE3ELNS1_11target_archE908ELNS1_3gpuE7ELNS1_3repE0EEENS1_48merge_mergepath_partition_config_static_selectorELNS0_4arch9wavefront6targetE1EEEvSJ_.private_seg_size, 0
	.set _ZN7rocprim17ROCPRIM_400000_NS6detail17trampoline_kernelINS0_14default_configENS1_38merge_sort_block_merge_config_selectorIiiEEZZNS1_27merge_sort_block_merge_implIS3_N6thrust23THRUST_200600_302600_NS6detail15normal_iteratorINS8_10device_ptrIiEEEESD_jNS1_19radix_merge_compareILb1ELb0EiNS0_19identity_decomposerEEEEE10hipError_tT0_T1_T2_jT3_P12ihipStream_tbPNSt15iterator_traitsISI_E10value_typeEPNSO_ISJ_E10value_typeEPSK_NS1_7vsmem_tEENKUlT_SI_SJ_SK_E_clISD_PiSD_S10_EESH_SX_SI_SJ_SK_EUlSX_E_NS1_11comp_targetILNS1_3genE3ELNS1_11target_archE908ELNS1_3gpuE7ELNS1_3repE0EEENS1_48merge_mergepath_partition_config_static_selectorELNS0_4arch9wavefront6targetE1EEEvSJ_.uses_vcc, 0
	.set _ZN7rocprim17ROCPRIM_400000_NS6detail17trampoline_kernelINS0_14default_configENS1_38merge_sort_block_merge_config_selectorIiiEEZZNS1_27merge_sort_block_merge_implIS3_N6thrust23THRUST_200600_302600_NS6detail15normal_iteratorINS8_10device_ptrIiEEEESD_jNS1_19radix_merge_compareILb1ELb0EiNS0_19identity_decomposerEEEEE10hipError_tT0_T1_T2_jT3_P12ihipStream_tbPNSt15iterator_traitsISI_E10value_typeEPNSO_ISJ_E10value_typeEPSK_NS1_7vsmem_tEENKUlT_SI_SJ_SK_E_clISD_PiSD_S10_EESH_SX_SI_SJ_SK_EUlSX_E_NS1_11comp_targetILNS1_3genE3ELNS1_11target_archE908ELNS1_3gpuE7ELNS1_3repE0EEENS1_48merge_mergepath_partition_config_static_selectorELNS0_4arch9wavefront6targetE1EEEvSJ_.uses_flat_scratch, 0
	.set _ZN7rocprim17ROCPRIM_400000_NS6detail17trampoline_kernelINS0_14default_configENS1_38merge_sort_block_merge_config_selectorIiiEEZZNS1_27merge_sort_block_merge_implIS3_N6thrust23THRUST_200600_302600_NS6detail15normal_iteratorINS8_10device_ptrIiEEEESD_jNS1_19radix_merge_compareILb1ELb0EiNS0_19identity_decomposerEEEEE10hipError_tT0_T1_T2_jT3_P12ihipStream_tbPNSt15iterator_traitsISI_E10value_typeEPNSO_ISJ_E10value_typeEPSK_NS1_7vsmem_tEENKUlT_SI_SJ_SK_E_clISD_PiSD_S10_EESH_SX_SI_SJ_SK_EUlSX_E_NS1_11comp_targetILNS1_3genE3ELNS1_11target_archE908ELNS1_3gpuE7ELNS1_3repE0EEENS1_48merge_mergepath_partition_config_static_selectorELNS0_4arch9wavefront6targetE1EEEvSJ_.has_dyn_sized_stack, 0
	.set _ZN7rocprim17ROCPRIM_400000_NS6detail17trampoline_kernelINS0_14default_configENS1_38merge_sort_block_merge_config_selectorIiiEEZZNS1_27merge_sort_block_merge_implIS3_N6thrust23THRUST_200600_302600_NS6detail15normal_iteratorINS8_10device_ptrIiEEEESD_jNS1_19radix_merge_compareILb1ELb0EiNS0_19identity_decomposerEEEEE10hipError_tT0_T1_T2_jT3_P12ihipStream_tbPNSt15iterator_traitsISI_E10value_typeEPNSO_ISJ_E10value_typeEPSK_NS1_7vsmem_tEENKUlT_SI_SJ_SK_E_clISD_PiSD_S10_EESH_SX_SI_SJ_SK_EUlSX_E_NS1_11comp_targetILNS1_3genE3ELNS1_11target_archE908ELNS1_3gpuE7ELNS1_3repE0EEENS1_48merge_mergepath_partition_config_static_selectorELNS0_4arch9wavefront6targetE1EEEvSJ_.has_recursion, 0
	.set _ZN7rocprim17ROCPRIM_400000_NS6detail17trampoline_kernelINS0_14default_configENS1_38merge_sort_block_merge_config_selectorIiiEEZZNS1_27merge_sort_block_merge_implIS3_N6thrust23THRUST_200600_302600_NS6detail15normal_iteratorINS8_10device_ptrIiEEEESD_jNS1_19radix_merge_compareILb1ELb0EiNS0_19identity_decomposerEEEEE10hipError_tT0_T1_T2_jT3_P12ihipStream_tbPNSt15iterator_traitsISI_E10value_typeEPNSO_ISJ_E10value_typeEPSK_NS1_7vsmem_tEENKUlT_SI_SJ_SK_E_clISD_PiSD_S10_EESH_SX_SI_SJ_SK_EUlSX_E_NS1_11comp_targetILNS1_3genE3ELNS1_11target_archE908ELNS1_3gpuE7ELNS1_3repE0EEENS1_48merge_mergepath_partition_config_static_selectorELNS0_4arch9wavefront6targetE1EEEvSJ_.has_indirect_call, 0
	.section	.AMDGPU.csdata,"",@progbits
; Kernel info:
; codeLenInByte = 0
; TotalNumSgprs: 6
; NumVgprs: 0
; NumAgprs: 0
; TotalNumVgprs: 0
; ScratchSize: 0
; MemoryBound: 0
; FloatMode: 240
; IeeeMode: 1
; LDSByteSize: 0 bytes/workgroup (compile time only)
; SGPRBlocks: 0
; VGPRBlocks: 0
; NumSGPRsForWavesPerEU: 6
; NumVGPRsForWavesPerEU: 1
; AccumOffset: 4
; Occupancy: 8
; WaveLimiterHint : 0
; COMPUTE_PGM_RSRC2:SCRATCH_EN: 0
; COMPUTE_PGM_RSRC2:USER_SGPR: 2
; COMPUTE_PGM_RSRC2:TRAP_HANDLER: 0
; COMPUTE_PGM_RSRC2:TGID_X_EN: 1
; COMPUTE_PGM_RSRC2:TGID_Y_EN: 0
; COMPUTE_PGM_RSRC2:TGID_Z_EN: 0
; COMPUTE_PGM_RSRC2:TIDIG_COMP_CNT: 0
; COMPUTE_PGM_RSRC3_GFX90A:ACCUM_OFFSET: 0
; COMPUTE_PGM_RSRC3_GFX90A:TG_SPLIT: 0
	.section	.text._ZN7rocprim17ROCPRIM_400000_NS6detail17trampoline_kernelINS0_14default_configENS1_38merge_sort_block_merge_config_selectorIiiEEZZNS1_27merge_sort_block_merge_implIS3_N6thrust23THRUST_200600_302600_NS6detail15normal_iteratorINS8_10device_ptrIiEEEESD_jNS1_19radix_merge_compareILb1ELb0EiNS0_19identity_decomposerEEEEE10hipError_tT0_T1_T2_jT3_P12ihipStream_tbPNSt15iterator_traitsISI_E10value_typeEPNSO_ISJ_E10value_typeEPSK_NS1_7vsmem_tEENKUlT_SI_SJ_SK_E_clISD_PiSD_S10_EESH_SX_SI_SJ_SK_EUlSX_E_NS1_11comp_targetILNS1_3genE2ELNS1_11target_archE906ELNS1_3gpuE6ELNS1_3repE0EEENS1_48merge_mergepath_partition_config_static_selectorELNS0_4arch9wavefront6targetE1EEEvSJ_,"axG",@progbits,_ZN7rocprim17ROCPRIM_400000_NS6detail17trampoline_kernelINS0_14default_configENS1_38merge_sort_block_merge_config_selectorIiiEEZZNS1_27merge_sort_block_merge_implIS3_N6thrust23THRUST_200600_302600_NS6detail15normal_iteratorINS8_10device_ptrIiEEEESD_jNS1_19radix_merge_compareILb1ELb0EiNS0_19identity_decomposerEEEEE10hipError_tT0_T1_T2_jT3_P12ihipStream_tbPNSt15iterator_traitsISI_E10value_typeEPNSO_ISJ_E10value_typeEPSK_NS1_7vsmem_tEENKUlT_SI_SJ_SK_E_clISD_PiSD_S10_EESH_SX_SI_SJ_SK_EUlSX_E_NS1_11comp_targetILNS1_3genE2ELNS1_11target_archE906ELNS1_3gpuE6ELNS1_3repE0EEENS1_48merge_mergepath_partition_config_static_selectorELNS0_4arch9wavefront6targetE1EEEvSJ_,comdat
	.protected	_ZN7rocprim17ROCPRIM_400000_NS6detail17trampoline_kernelINS0_14default_configENS1_38merge_sort_block_merge_config_selectorIiiEEZZNS1_27merge_sort_block_merge_implIS3_N6thrust23THRUST_200600_302600_NS6detail15normal_iteratorINS8_10device_ptrIiEEEESD_jNS1_19radix_merge_compareILb1ELb0EiNS0_19identity_decomposerEEEEE10hipError_tT0_T1_T2_jT3_P12ihipStream_tbPNSt15iterator_traitsISI_E10value_typeEPNSO_ISJ_E10value_typeEPSK_NS1_7vsmem_tEENKUlT_SI_SJ_SK_E_clISD_PiSD_S10_EESH_SX_SI_SJ_SK_EUlSX_E_NS1_11comp_targetILNS1_3genE2ELNS1_11target_archE906ELNS1_3gpuE6ELNS1_3repE0EEENS1_48merge_mergepath_partition_config_static_selectorELNS0_4arch9wavefront6targetE1EEEvSJ_ ; -- Begin function _ZN7rocprim17ROCPRIM_400000_NS6detail17trampoline_kernelINS0_14default_configENS1_38merge_sort_block_merge_config_selectorIiiEEZZNS1_27merge_sort_block_merge_implIS3_N6thrust23THRUST_200600_302600_NS6detail15normal_iteratorINS8_10device_ptrIiEEEESD_jNS1_19radix_merge_compareILb1ELb0EiNS0_19identity_decomposerEEEEE10hipError_tT0_T1_T2_jT3_P12ihipStream_tbPNSt15iterator_traitsISI_E10value_typeEPNSO_ISJ_E10value_typeEPSK_NS1_7vsmem_tEENKUlT_SI_SJ_SK_E_clISD_PiSD_S10_EESH_SX_SI_SJ_SK_EUlSX_E_NS1_11comp_targetILNS1_3genE2ELNS1_11target_archE906ELNS1_3gpuE6ELNS1_3repE0EEENS1_48merge_mergepath_partition_config_static_selectorELNS0_4arch9wavefront6targetE1EEEvSJ_
	.globl	_ZN7rocprim17ROCPRIM_400000_NS6detail17trampoline_kernelINS0_14default_configENS1_38merge_sort_block_merge_config_selectorIiiEEZZNS1_27merge_sort_block_merge_implIS3_N6thrust23THRUST_200600_302600_NS6detail15normal_iteratorINS8_10device_ptrIiEEEESD_jNS1_19radix_merge_compareILb1ELb0EiNS0_19identity_decomposerEEEEE10hipError_tT0_T1_T2_jT3_P12ihipStream_tbPNSt15iterator_traitsISI_E10value_typeEPNSO_ISJ_E10value_typeEPSK_NS1_7vsmem_tEENKUlT_SI_SJ_SK_E_clISD_PiSD_S10_EESH_SX_SI_SJ_SK_EUlSX_E_NS1_11comp_targetILNS1_3genE2ELNS1_11target_archE906ELNS1_3gpuE6ELNS1_3repE0EEENS1_48merge_mergepath_partition_config_static_selectorELNS0_4arch9wavefront6targetE1EEEvSJ_
	.p2align	8
	.type	_ZN7rocprim17ROCPRIM_400000_NS6detail17trampoline_kernelINS0_14default_configENS1_38merge_sort_block_merge_config_selectorIiiEEZZNS1_27merge_sort_block_merge_implIS3_N6thrust23THRUST_200600_302600_NS6detail15normal_iteratorINS8_10device_ptrIiEEEESD_jNS1_19radix_merge_compareILb1ELb0EiNS0_19identity_decomposerEEEEE10hipError_tT0_T1_T2_jT3_P12ihipStream_tbPNSt15iterator_traitsISI_E10value_typeEPNSO_ISJ_E10value_typeEPSK_NS1_7vsmem_tEENKUlT_SI_SJ_SK_E_clISD_PiSD_S10_EESH_SX_SI_SJ_SK_EUlSX_E_NS1_11comp_targetILNS1_3genE2ELNS1_11target_archE906ELNS1_3gpuE6ELNS1_3repE0EEENS1_48merge_mergepath_partition_config_static_selectorELNS0_4arch9wavefront6targetE1EEEvSJ_,@function
_ZN7rocprim17ROCPRIM_400000_NS6detail17trampoline_kernelINS0_14default_configENS1_38merge_sort_block_merge_config_selectorIiiEEZZNS1_27merge_sort_block_merge_implIS3_N6thrust23THRUST_200600_302600_NS6detail15normal_iteratorINS8_10device_ptrIiEEEESD_jNS1_19radix_merge_compareILb1ELb0EiNS0_19identity_decomposerEEEEE10hipError_tT0_T1_T2_jT3_P12ihipStream_tbPNSt15iterator_traitsISI_E10value_typeEPNSO_ISJ_E10value_typeEPSK_NS1_7vsmem_tEENKUlT_SI_SJ_SK_E_clISD_PiSD_S10_EESH_SX_SI_SJ_SK_EUlSX_E_NS1_11comp_targetILNS1_3genE2ELNS1_11target_archE906ELNS1_3gpuE6ELNS1_3repE0EEENS1_48merge_mergepath_partition_config_static_selectorELNS0_4arch9wavefront6targetE1EEEvSJ_: ; @_ZN7rocprim17ROCPRIM_400000_NS6detail17trampoline_kernelINS0_14default_configENS1_38merge_sort_block_merge_config_selectorIiiEEZZNS1_27merge_sort_block_merge_implIS3_N6thrust23THRUST_200600_302600_NS6detail15normal_iteratorINS8_10device_ptrIiEEEESD_jNS1_19radix_merge_compareILb1ELb0EiNS0_19identity_decomposerEEEEE10hipError_tT0_T1_T2_jT3_P12ihipStream_tbPNSt15iterator_traitsISI_E10value_typeEPNSO_ISJ_E10value_typeEPSK_NS1_7vsmem_tEENKUlT_SI_SJ_SK_E_clISD_PiSD_S10_EESH_SX_SI_SJ_SK_EUlSX_E_NS1_11comp_targetILNS1_3genE2ELNS1_11target_archE906ELNS1_3gpuE6ELNS1_3repE0EEENS1_48merge_mergepath_partition_config_static_selectorELNS0_4arch9wavefront6targetE1EEEvSJ_
; %bb.0:
	.section	.rodata,"a",@progbits
	.p2align	6, 0x0
	.amdhsa_kernel _ZN7rocprim17ROCPRIM_400000_NS6detail17trampoline_kernelINS0_14default_configENS1_38merge_sort_block_merge_config_selectorIiiEEZZNS1_27merge_sort_block_merge_implIS3_N6thrust23THRUST_200600_302600_NS6detail15normal_iteratorINS8_10device_ptrIiEEEESD_jNS1_19radix_merge_compareILb1ELb0EiNS0_19identity_decomposerEEEEE10hipError_tT0_T1_T2_jT3_P12ihipStream_tbPNSt15iterator_traitsISI_E10value_typeEPNSO_ISJ_E10value_typeEPSK_NS1_7vsmem_tEENKUlT_SI_SJ_SK_E_clISD_PiSD_S10_EESH_SX_SI_SJ_SK_EUlSX_E_NS1_11comp_targetILNS1_3genE2ELNS1_11target_archE906ELNS1_3gpuE6ELNS1_3repE0EEENS1_48merge_mergepath_partition_config_static_selectorELNS0_4arch9wavefront6targetE1EEEvSJ_
		.amdhsa_group_segment_fixed_size 0
		.amdhsa_private_segment_fixed_size 0
		.amdhsa_kernarg_size 40
		.amdhsa_user_sgpr_count 2
		.amdhsa_user_sgpr_dispatch_ptr 0
		.amdhsa_user_sgpr_queue_ptr 0
		.amdhsa_user_sgpr_kernarg_segment_ptr 1
		.amdhsa_user_sgpr_dispatch_id 0
		.amdhsa_user_sgpr_kernarg_preload_length 0
		.amdhsa_user_sgpr_kernarg_preload_offset 0
		.amdhsa_user_sgpr_private_segment_size 0
		.amdhsa_uses_dynamic_stack 0
		.amdhsa_enable_private_segment 0
		.amdhsa_system_sgpr_workgroup_id_x 1
		.amdhsa_system_sgpr_workgroup_id_y 0
		.amdhsa_system_sgpr_workgroup_id_z 0
		.amdhsa_system_sgpr_workgroup_info 0
		.amdhsa_system_vgpr_workitem_id 0
		.amdhsa_next_free_vgpr 1
		.amdhsa_next_free_sgpr 0
		.amdhsa_accum_offset 4
		.amdhsa_reserve_vcc 0
		.amdhsa_float_round_mode_32 0
		.amdhsa_float_round_mode_16_64 0
		.amdhsa_float_denorm_mode_32 3
		.amdhsa_float_denorm_mode_16_64 3
		.amdhsa_dx10_clamp 1
		.amdhsa_ieee_mode 1
		.amdhsa_fp16_overflow 0
		.amdhsa_tg_split 0
		.amdhsa_exception_fp_ieee_invalid_op 0
		.amdhsa_exception_fp_denorm_src 0
		.amdhsa_exception_fp_ieee_div_zero 0
		.amdhsa_exception_fp_ieee_overflow 0
		.amdhsa_exception_fp_ieee_underflow 0
		.amdhsa_exception_fp_ieee_inexact 0
		.amdhsa_exception_int_div_zero 0
	.end_amdhsa_kernel
	.section	.text._ZN7rocprim17ROCPRIM_400000_NS6detail17trampoline_kernelINS0_14default_configENS1_38merge_sort_block_merge_config_selectorIiiEEZZNS1_27merge_sort_block_merge_implIS3_N6thrust23THRUST_200600_302600_NS6detail15normal_iteratorINS8_10device_ptrIiEEEESD_jNS1_19radix_merge_compareILb1ELb0EiNS0_19identity_decomposerEEEEE10hipError_tT0_T1_T2_jT3_P12ihipStream_tbPNSt15iterator_traitsISI_E10value_typeEPNSO_ISJ_E10value_typeEPSK_NS1_7vsmem_tEENKUlT_SI_SJ_SK_E_clISD_PiSD_S10_EESH_SX_SI_SJ_SK_EUlSX_E_NS1_11comp_targetILNS1_3genE2ELNS1_11target_archE906ELNS1_3gpuE6ELNS1_3repE0EEENS1_48merge_mergepath_partition_config_static_selectorELNS0_4arch9wavefront6targetE1EEEvSJ_,"axG",@progbits,_ZN7rocprim17ROCPRIM_400000_NS6detail17trampoline_kernelINS0_14default_configENS1_38merge_sort_block_merge_config_selectorIiiEEZZNS1_27merge_sort_block_merge_implIS3_N6thrust23THRUST_200600_302600_NS6detail15normal_iteratorINS8_10device_ptrIiEEEESD_jNS1_19radix_merge_compareILb1ELb0EiNS0_19identity_decomposerEEEEE10hipError_tT0_T1_T2_jT3_P12ihipStream_tbPNSt15iterator_traitsISI_E10value_typeEPNSO_ISJ_E10value_typeEPSK_NS1_7vsmem_tEENKUlT_SI_SJ_SK_E_clISD_PiSD_S10_EESH_SX_SI_SJ_SK_EUlSX_E_NS1_11comp_targetILNS1_3genE2ELNS1_11target_archE906ELNS1_3gpuE6ELNS1_3repE0EEENS1_48merge_mergepath_partition_config_static_selectorELNS0_4arch9wavefront6targetE1EEEvSJ_,comdat
.Lfunc_end914:
	.size	_ZN7rocprim17ROCPRIM_400000_NS6detail17trampoline_kernelINS0_14default_configENS1_38merge_sort_block_merge_config_selectorIiiEEZZNS1_27merge_sort_block_merge_implIS3_N6thrust23THRUST_200600_302600_NS6detail15normal_iteratorINS8_10device_ptrIiEEEESD_jNS1_19radix_merge_compareILb1ELb0EiNS0_19identity_decomposerEEEEE10hipError_tT0_T1_T2_jT3_P12ihipStream_tbPNSt15iterator_traitsISI_E10value_typeEPNSO_ISJ_E10value_typeEPSK_NS1_7vsmem_tEENKUlT_SI_SJ_SK_E_clISD_PiSD_S10_EESH_SX_SI_SJ_SK_EUlSX_E_NS1_11comp_targetILNS1_3genE2ELNS1_11target_archE906ELNS1_3gpuE6ELNS1_3repE0EEENS1_48merge_mergepath_partition_config_static_selectorELNS0_4arch9wavefront6targetE1EEEvSJ_, .Lfunc_end914-_ZN7rocprim17ROCPRIM_400000_NS6detail17trampoline_kernelINS0_14default_configENS1_38merge_sort_block_merge_config_selectorIiiEEZZNS1_27merge_sort_block_merge_implIS3_N6thrust23THRUST_200600_302600_NS6detail15normal_iteratorINS8_10device_ptrIiEEEESD_jNS1_19radix_merge_compareILb1ELb0EiNS0_19identity_decomposerEEEEE10hipError_tT0_T1_T2_jT3_P12ihipStream_tbPNSt15iterator_traitsISI_E10value_typeEPNSO_ISJ_E10value_typeEPSK_NS1_7vsmem_tEENKUlT_SI_SJ_SK_E_clISD_PiSD_S10_EESH_SX_SI_SJ_SK_EUlSX_E_NS1_11comp_targetILNS1_3genE2ELNS1_11target_archE906ELNS1_3gpuE6ELNS1_3repE0EEENS1_48merge_mergepath_partition_config_static_selectorELNS0_4arch9wavefront6targetE1EEEvSJ_
                                        ; -- End function
	.set _ZN7rocprim17ROCPRIM_400000_NS6detail17trampoline_kernelINS0_14default_configENS1_38merge_sort_block_merge_config_selectorIiiEEZZNS1_27merge_sort_block_merge_implIS3_N6thrust23THRUST_200600_302600_NS6detail15normal_iteratorINS8_10device_ptrIiEEEESD_jNS1_19radix_merge_compareILb1ELb0EiNS0_19identity_decomposerEEEEE10hipError_tT0_T1_T2_jT3_P12ihipStream_tbPNSt15iterator_traitsISI_E10value_typeEPNSO_ISJ_E10value_typeEPSK_NS1_7vsmem_tEENKUlT_SI_SJ_SK_E_clISD_PiSD_S10_EESH_SX_SI_SJ_SK_EUlSX_E_NS1_11comp_targetILNS1_3genE2ELNS1_11target_archE906ELNS1_3gpuE6ELNS1_3repE0EEENS1_48merge_mergepath_partition_config_static_selectorELNS0_4arch9wavefront6targetE1EEEvSJ_.num_vgpr, 0
	.set _ZN7rocprim17ROCPRIM_400000_NS6detail17trampoline_kernelINS0_14default_configENS1_38merge_sort_block_merge_config_selectorIiiEEZZNS1_27merge_sort_block_merge_implIS3_N6thrust23THRUST_200600_302600_NS6detail15normal_iteratorINS8_10device_ptrIiEEEESD_jNS1_19radix_merge_compareILb1ELb0EiNS0_19identity_decomposerEEEEE10hipError_tT0_T1_T2_jT3_P12ihipStream_tbPNSt15iterator_traitsISI_E10value_typeEPNSO_ISJ_E10value_typeEPSK_NS1_7vsmem_tEENKUlT_SI_SJ_SK_E_clISD_PiSD_S10_EESH_SX_SI_SJ_SK_EUlSX_E_NS1_11comp_targetILNS1_3genE2ELNS1_11target_archE906ELNS1_3gpuE6ELNS1_3repE0EEENS1_48merge_mergepath_partition_config_static_selectorELNS0_4arch9wavefront6targetE1EEEvSJ_.num_agpr, 0
	.set _ZN7rocprim17ROCPRIM_400000_NS6detail17trampoline_kernelINS0_14default_configENS1_38merge_sort_block_merge_config_selectorIiiEEZZNS1_27merge_sort_block_merge_implIS3_N6thrust23THRUST_200600_302600_NS6detail15normal_iteratorINS8_10device_ptrIiEEEESD_jNS1_19radix_merge_compareILb1ELb0EiNS0_19identity_decomposerEEEEE10hipError_tT0_T1_T2_jT3_P12ihipStream_tbPNSt15iterator_traitsISI_E10value_typeEPNSO_ISJ_E10value_typeEPSK_NS1_7vsmem_tEENKUlT_SI_SJ_SK_E_clISD_PiSD_S10_EESH_SX_SI_SJ_SK_EUlSX_E_NS1_11comp_targetILNS1_3genE2ELNS1_11target_archE906ELNS1_3gpuE6ELNS1_3repE0EEENS1_48merge_mergepath_partition_config_static_selectorELNS0_4arch9wavefront6targetE1EEEvSJ_.numbered_sgpr, 0
	.set _ZN7rocprim17ROCPRIM_400000_NS6detail17trampoline_kernelINS0_14default_configENS1_38merge_sort_block_merge_config_selectorIiiEEZZNS1_27merge_sort_block_merge_implIS3_N6thrust23THRUST_200600_302600_NS6detail15normal_iteratorINS8_10device_ptrIiEEEESD_jNS1_19radix_merge_compareILb1ELb0EiNS0_19identity_decomposerEEEEE10hipError_tT0_T1_T2_jT3_P12ihipStream_tbPNSt15iterator_traitsISI_E10value_typeEPNSO_ISJ_E10value_typeEPSK_NS1_7vsmem_tEENKUlT_SI_SJ_SK_E_clISD_PiSD_S10_EESH_SX_SI_SJ_SK_EUlSX_E_NS1_11comp_targetILNS1_3genE2ELNS1_11target_archE906ELNS1_3gpuE6ELNS1_3repE0EEENS1_48merge_mergepath_partition_config_static_selectorELNS0_4arch9wavefront6targetE1EEEvSJ_.num_named_barrier, 0
	.set _ZN7rocprim17ROCPRIM_400000_NS6detail17trampoline_kernelINS0_14default_configENS1_38merge_sort_block_merge_config_selectorIiiEEZZNS1_27merge_sort_block_merge_implIS3_N6thrust23THRUST_200600_302600_NS6detail15normal_iteratorINS8_10device_ptrIiEEEESD_jNS1_19radix_merge_compareILb1ELb0EiNS0_19identity_decomposerEEEEE10hipError_tT0_T1_T2_jT3_P12ihipStream_tbPNSt15iterator_traitsISI_E10value_typeEPNSO_ISJ_E10value_typeEPSK_NS1_7vsmem_tEENKUlT_SI_SJ_SK_E_clISD_PiSD_S10_EESH_SX_SI_SJ_SK_EUlSX_E_NS1_11comp_targetILNS1_3genE2ELNS1_11target_archE906ELNS1_3gpuE6ELNS1_3repE0EEENS1_48merge_mergepath_partition_config_static_selectorELNS0_4arch9wavefront6targetE1EEEvSJ_.private_seg_size, 0
	.set _ZN7rocprim17ROCPRIM_400000_NS6detail17trampoline_kernelINS0_14default_configENS1_38merge_sort_block_merge_config_selectorIiiEEZZNS1_27merge_sort_block_merge_implIS3_N6thrust23THRUST_200600_302600_NS6detail15normal_iteratorINS8_10device_ptrIiEEEESD_jNS1_19radix_merge_compareILb1ELb0EiNS0_19identity_decomposerEEEEE10hipError_tT0_T1_T2_jT3_P12ihipStream_tbPNSt15iterator_traitsISI_E10value_typeEPNSO_ISJ_E10value_typeEPSK_NS1_7vsmem_tEENKUlT_SI_SJ_SK_E_clISD_PiSD_S10_EESH_SX_SI_SJ_SK_EUlSX_E_NS1_11comp_targetILNS1_3genE2ELNS1_11target_archE906ELNS1_3gpuE6ELNS1_3repE0EEENS1_48merge_mergepath_partition_config_static_selectorELNS0_4arch9wavefront6targetE1EEEvSJ_.uses_vcc, 0
	.set _ZN7rocprim17ROCPRIM_400000_NS6detail17trampoline_kernelINS0_14default_configENS1_38merge_sort_block_merge_config_selectorIiiEEZZNS1_27merge_sort_block_merge_implIS3_N6thrust23THRUST_200600_302600_NS6detail15normal_iteratorINS8_10device_ptrIiEEEESD_jNS1_19radix_merge_compareILb1ELb0EiNS0_19identity_decomposerEEEEE10hipError_tT0_T1_T2_jT3_P12ihipStream_tbPNSt15iterator_traitsISI_E10value_typeEPNSO_ISJ_E10value_typeEPSK_NS1_7vsmem_tEENKUlT_SI_SJ_SK_E_clISD_PiSD_S10_EESH_SX_SI_SJ_SK_EUlSX_E_NS1_11comp_targetILNS1_3genE2ELNS1_11target_archE906ELNS1_3gpuE6ELNS1_3repE0EEENS1_48merge_mergepath_partition_config_static_selectorELNS0_4arch9wavefront6targetE1EEEvSJ_.uses_flat_scratch, 0
	.set _ZN7rocprim17ROCPRIM_400000_NS6detail17trampoline_kernelINS0_14default_configENS1_38merge_sort_block_merge_config_selectorIiiEEZZNS1_27merge_sort_block_merge_implIS3_N6thrust23THRUST_200600_302600_NS6detail15normal_iteratorINS8_10device_ptrIiEEEESD_jNS1_19radix_merge_compareILb1ELb0EiNS0_19identity_decomposerEEEEE10hipError_tT0_T1_T2_jT3_P12ihipStream_tbPNSt15iterator_traitsISI_E10value_typeEPNSO_ISJ_E10value_typeEPSK_NS1_7vsmem_tEENKUlT_SI_SJ_SK_E_clISD_PiSD_S10_EESH_SX_SI_SJ_SK_EUlSX_E_NS1_11comp_targetILNS1_3genE2ELNS1_11target_archE906ELNS1_3gpuE6ELNS1_3repE0EEENS1_48merge_mergepath_partition_config_static_selectorELNS0_4arch9wavefront6targetE1EEEvSJ_.has_dyn_sized_stack, 0
	.set _ZN7rocprim17ROCPRIM_400000_NS6detail17trampoline_kernelINS0_14default_configENS1_38merge_sort_block_merge_config_selectorIiiEEZZNS1_27merge_sort_block_merge_implIS3_N6thrust23THRUST_200600_302600_NS6detail15normal_iteratorINS8_10device_ptrIiEEEESD_jNS1_19radix_merge_compareILb1ELb0EiNS0_19identity_decomposerEEEEE10hipError_tT0_T1_T2_jT3_P12ihipStream_tbPNSt15iterator_traitsISI_E10value_typeEPNSO_ISJ_E10value_typeEPSK_NS1_7vsmem_tEENKUlT_SI_SJ_SK_E_clISD_PiSD_S10_EESH_SX_SI_SJ_SK_EUlSX_E_NS1_11comp_targetILNS1_3genE2ELNS1_11target_archE906ELNS1_3gpuE6ELNS1_3repE0EEENS1_48merge_mergepath_partition_config_static_selectorELNS0_4arch9wavefront6targetE1EEEvSJ_.has_recursion, 0
	.set _ZN7rocprim17ROCPRIM_400000_NS6detail17trampoline_kernelINS0_14default_configENS1_38merge_sort_block_merge_config_selectorIiiEEZZNS1_27merge_sort_block_merge_implIS3_N6thrust23THRUST_200600_302600_NS6detail15normal_iteratorINS8_10device_ptrIiEEEESD_jNS1_19radix_merge_compareILb1ELb0EiNS0_19identity_decomposerEEEEE10hipError_tT0_T1_T2_jT3_P12ihipStream_tbPNSt15iterator_traitsISI_E10value_typeEPNSO_ISJ_E10value_typeEPSK_NS1_7vsmem_tEENKUlT_SI_SJ_SK_E_clISD_PiSD_S10_EESH_SX_SI_SJ_SK_EUlSX_E_NS1_11comp_targetILNS1_3genE2ELNS1_11target_archE906ELNS1_3gpuE6ELNS1_3repE0EEENS1_48merge_mergepath_partition_config_static_selectorELNS0_4arch9wavefront6targetE1EEEvSJ_.has_indirect_call, 0
	.section	.AMDGPU.csdata,"",@progbits
; Kernel info:
; codeLenInByte = 0
; TotalNumSgprs: 6
; NumVgprs: 0
; NumAgprs: 0
; TotalNumVgprs: 0
; ScratchSize: 0
; MemoryBound: 0
; FloatMode: 240
; IeeeMode: 1
; LDSByteSize: 0 bytes/workgroup (compile time only)
; SGPRBlocks: 0
; VGPRBlocks: 0
; NumSGPRsForWavesPerEU: 6
; NumVGPRsForWavesPerEU: 1
; AccumOffset: 4
; Occupancy: 8
; WaveLimiterHint : 0
; COMPUTE_PGM_RSRC2:SCRATCH_EN: 0
; COMPUTE_PGM_RSRC2:USER_SGPR: 2
; COMPUTE_PGM_RSRC2:TRAP_HANDLER: 0
; COMPUTE_PGM_RSRC2:TGID_X_EN: 1
; COMPUTE_PGM_RSRC2:TGID_Y_EN: 0
; COMPUTE_PGM_RSRC2:TGID_Z_EN: 0
; COMPUTE_PGM_RSRC2:TIDIG_COMP_CNT: 0
; COMPUTE_PGM_RSRC3_GFX90A:ACCUM_OFFSET: 0
; COMPUTE_PGM_RSRC3_GFX90A:TG_SPLIT: 0
	.section	.text._ZN7rocprim17ROCPRIM_400000_NS6detail17trampoline_kernelINS0_14default_configENS1_38merge_sort_block_merge_config_selectorIiiEEZZNS1_27merge_sort_block_merge_implIS3_N6thrust23THRUST_200600_302600_NS6detail15normal_iteratorINS8_10device_ptrIiEEEESD_jNS1_19radix_merge_compareILb1ELb0EiNS0_19identity_decomposerEEEEE10hipError_tT0_T1_T2_jT3_P12ihipStream_tbPNSt15iterator_traitsISI_E10value_typeEPNSO_ISJ_E10value_typeEPSK_NS1_7vsmem_tEENKUlT_SI_SJ_SK_E_clISD_PiSD_S10_EESH_SX_SI_SJ_SK_EUlSX_E_NS1_11comp_targetILNS1_3genE9ELNS1_11target_archE1100ELNS1_3gpuE3ELNS1_3repE0EEENS1_48merge_mergepath_partition_config_static_selectorELNS0_4arch9wavefront6targetE1EEEvSJ_,"axG",@progbits,_ZN7rocprim17ROCPRIM_400000_NS6detail17trampoline_kernelINS0_14default_configENS1_38merge_sort_block_merge_config_selectorIiiEEZZNS1_27merge_sort_block_merge_implIS3_N6thrust23THRUST_200600_302600_NS6detail15normal_iteratorINS8_10device_ptrIiEEEESD_jNS1_19radix_merge_compareILb1ELb0EiNS0_19identity_decomposerEEEEE10hipError_tT0_T1_T2_jT3_P12ihipStream_tbPNSt15iterator_traitsISI_E10value_typeEPNSO_ISJ_E10value_typeEPSK_NS1_7vsmem_tEENKUlT_SI_SJ_SK_E_clISD_PiSD_S10_EESH_SX_SI_SJ_SK_EUlSX_E_NS1_11comp_targetILNS1_3genE9ELNS1_11target_archE1100ELNS1_3gpuE3ELNS1_3repE0EEENS1_48merge_mergepath_partition_config_static_selectorELNS0_4arch9wavefront6targetE1EEEvSJ_,comdat
	.protected	_ZN7rocprim17ROCPRIM_400000_NS6detail17trampoline_kernelINS0_14default_configENS1_38merge_sort_block_merge_config_selectorIiiEEZZNS1_27merge_sort_block_merge_implIS3_N6thrust23THRUST_200600_302600_NS6detail15normal_iteratorINS8_10device_ptrIiEEEESD_jNS1_19radix_merge_compareILb1ELb0EiNS0_19identity_decomposerEEEEE10hipError_tT0_T1_T2_jT3_P12ihipStream_tbPNSt15iterator_traitsISI_E10value_typeEPNSO_ISJ_E10value_typeEPSK_NS1_7vsmem_tEENKUlT_SI_SJ_SK_E_clISD_PiSD_S10_EESH_SX_SI_SJ_SK_EUlSX_E_NS1_11comp_targetILNS1_3genE9ELNS1_11target_archE1100ELNS1_3gpuE3ELNS1_3repE0EEENS1_48merge_mergepath_partition_config_static_selectorELNS0_4arch9wavefront6targetE1EEEvSJ_ ; -- Begin function _ZN7rocprim17ROCPRIM_400000_NS6detail17trampoline_kernelINS0_14default_configENS1_38merge_sort_block_merge_config_selectorIiiEEZZNS1_27merge_sort_block_merge_implIS3_N6thrust23THRUST_200600_302600_NS6detail15normal_iteratorINS8_10device_ptrIiEEEESD_jNS1_19radix_merge_compareILb1ELb0EiNS0_19identity_decomposerEEEEE10hipError_tT0_T1_T2_jT3_P12ihipStream_tbPNSt15iterator_traitsISI_E10value_typeEPNSO_ISJ_E10value_typeEPSK_NS1_7vsmem_tEENKUlT_SI_SJ_SK_E_clISD_PiSD_S10_EESH_SX_SI_SJ_SK_EUlSX_E_NS1_11comp_targetILNS1_3genE9ELNS1_11target_archE1100ELNS1_3gpuE3ELNS1_3repE0EEENS1_48merge_mergepath_partition_config_static_selectorELNS0_4arch9wavefront6targetE1EEEvSJ_
	.globl	_ZN7rocprim17ROCPRIM_400000_NS6detail17trampoline_kernelINS0_14default_configENS1_38merge_sort_block_merge_config_selectorIiiEEZZNS1_27merge_sort_block_merge_implIS3_N6thrust23THRUST_200600_302600_NS6detail15normal_iteratorINS8_10device_ptrIiEEEESD_jNS1_19radix_merge_compareILb1ELb0EiNS0_19identity_decomposerEEEEE10hipError_tT0_T1_T2_jT3_P12ihipStream_tbPNSt15iterator_traitsISI_E10value_typeEPNSO_ISJ_E10value_typeEPSK_NS1_7vsmem_tEENKUlT_SI_SJ_SK_E_clISD_PiSD_S10_EESH_SX_SI_SJ_SK_EUlSX_E_NS1_11comp_targetILNS1_3genE9ELNS1_11target_archE1100ELNS1_3gpuE3ELNS1_3repE0EEENS1_48merge_mergepath_partition_config_static_selectorELNS0_4arch9wavefront6targetE1EEEvSJ_
	.p2align	8
	.type	_ZN7rocprim17ROCPRIM_400000_NS6detail17trampoline_kernelINS0_14default_configENS1_38merge_sort_block_merge_config_selectorIiiEEZZNS1_27merge_sort_block_merge_implIS3_N6thrust23THRUST_200600_302600_NS6detail15normal_iteratorINS8_10device_ptrIiEEEESD_jNS1_19radix_merge_compareILb1ELb0EiNS0_19identity_decomposerEEEEE10hipError_tT0_T1_T2_jT3_P12ihipStream_tbPNSt15iterator_traitsISI_E10value_typeEPNSO_ISJ_E10value_typeEPSK_NS1_7vsmem_tEENKUlT_SI_SJ_SK_E_clISD_PiSD_S10_EESH_SX_SI_SJ_SK_EUlSX_E_NS1_11comp_targetILNS1_3genE9ELNS1_11target_archE1100ELNS1_3gpuE3ELNS1_3repE0EEENS1_48merge_mergepath_partition_config_static_selectorELNS0_4arch9wavefront6targetE1EEEvSJ_,@function
_ZN7rocprim17ROCPRIM_400000_NS6detail17trampoline_kernelINS0_14default_configENS1_38merge_sort_block_merge_config_selectorIiiEEZZNS1_27merge_sort_block_merge_implIS3_N6thrust23THRUST_200600_302600_NS6detail15normal_iteratorINS8_10device_ptrIiEEEESD_jNS1_19radix_merge_compareILb1ELb0EiNS0_19identity_decomposerEEEEE10hipError_tT0_T1_T2_jT3_P12ihipStream_tbPNSt15iterator_traitsISI_E10value_typeEPNSO_ISJ_E10value_typeEPSK_NS1_7vsmem_tEENKUlT_SI_SJ_SK_E_clISD_PiSD_S10_EESH_SX_SI_SJ_SK_EUlSX_E_NS1_11comp_targetILNS1_3genE9ELNS1_11target_archE1100ELNS1_3gpuE3ELNS1_3repE0EEENS1_48merge_mergepath_partition_config_static_selectorELNS0_4arch9wavefront6targetE1EEEvSJ_: ; @_ZN7rocprim17ROCPRIM_400000_NS6detail17trampoline_kernelINS0_14default_configENS1_38merge_sort_block_merge_config_selectorIiiEEZZNS1_27merge_sort_block_merge_implIS3_N6thrust23THRUST_200600_302600_NS6detail15normal_iteratorINS8_10device_ptrIiEEEESD_jNS1_19radix_merge_compareILb1ELb0EiNS0_19identity_decomposerEEEEE10hipError_tT0_T1_T2_jT3_P12ihipStream_tbPNSt15iterator_traitsISI_E10value_typeEPNSO_ISJ_E10value_typeEPSK_NS1_7vsmem_tEENKUlT_SI_SJ_SK_E_clISD_PiSD_S10_EESH_SX_SI_SJ_SK_EUlSX_E_NS1_11comp_targetILNS1_3genE9ELNS1_11target_archE1100ELNS1_3gpuE3ELNS1_3repE0EEENS1_48merge_mergepath_partition_config_static_selectorELNS0_4arch9wavefront6targetE1EEEvSJ_
; %bb.0:
	.section	.rodata,"a",@progbits
	.p2align	6, 0x0
	.amdhsa_kernel _ZN7rocprim17ROCPRIM_400000_NS6detail17trampoline_kernelINS0_14default_configENS1_38merge_sort_block_merge_config_selectorIiiEEZZNS1_27merge_sort_block_merge_implIS3_N6thrust23THRUST_200600_302600_NS6detail15normal_iteratorINS8_10device_ptrIiEEEESD_jNS1_19radix_merge_compareILb1ELb0EiNS0_19identity_decomposerEEEEE10hipError_tT0_T1_T2_jT3_P12ihipStream_tbPNSt15iterator_traitsISI_E10value_typeEPNSO_ISJ_E10value_typeEPSK_NS1_7vsmem_tEENKUlT_SI_SJ_SK_E_clISD_PiSD_S10_EESH_SX_SI_SJ_SK_EUlSX_E_NS1_11comp_targetILNS1_3genE9ELNS1_11target_archE1100ELNS1_3gpuE3ELNS1_3repE0EEENS1_48merge_mergepath_partition_config_static_selectorELNS0_4arch9wavefront6targetE1EEEvSJ_
		.amdhsa_group_segment_fixed_size 0
		.amdhsa_private_segment_fixed_size 0
		.amdhsa_kernarg_size 40
		.amdhsa_user_sgpr_count 2
		.amdhsa_user_sgpr_dispatch_ptr 0
		.amdhsa_user_sgpr_queue_ptr 0
		.amdhsa_user_sgpr_kernarg_segment_ptr 1
		.amdhsa_user_sgpr_dispatch_id 0
		.amdhsa_user_sgpr_kernarg_preload_length 0
		.amdhsa_user_sgpr_kernarg_preload_offset 0
		.amdhsa_user_sgpr_private_segment_size 0
		.amdhsa_uses_dynamic_stack 0
		.amdhsa_enable_private_segment 0
		.amdhsa_system_sgpr_workgroup_id_x 1
		.amdhsa_system_sgpr_workgroup_id_y 0
		.amdhsa_system_sgpr_workgroup_id_z 0
		.amdhsa_system_sgpr_workgroup_info 0
		.amdhsa_system_vgpr_workitem_id 0
		.amdhsa_next_free_vgpr 1
		.amdhsa_next_free_sgpr 0
		.amdhsa_accum_offset 4
		.amdhsa_reserve_vcc 0
		.amdhsa_float_round_mode_32 0
		.amdhsa_float_round_mode_16_64 0
		.amdhsa_float_denorm_mode_32 3
		.amdhsa_float_denorm_mode_16_64 3
		.amdhsa_dx10_clamp 1
		.amdhsa_ieee_mode 1
		.amdhsa_fp16_overflow 0
		.amdhsa_tg_split 0
		.amdhsa_exception_fp_ieee_invalid_op 0
		.amdhsa_exception_fp_denorm_src 0
		.amdhsa_exception_fp_ieee_div_zero 0
		.amdhsa_exception_fp_ieee_overflow 0
		.amdhsa_exception_fp_ieee_underflow 0
		.amdhsa_exception_fp_ieee_inexact 0
		.amdhsa_exception_int_div_zero 0
	.end_amdhsa_kernel
	.section	.text._ZN7rocprim17ROCPRIM_400000_NS6detail17trampoline_kernelINS0_14default_configENS1_38merge_sort_block_merge_config_selectorIiiEEZZNS1_27merge_sort_block_merge_implIS3_N6thrust23THRUST_200600_302600_NS6detail15normal_iteratorINS8_10device_ptrIiEEEESD_jNS1_19radix_merge_compareILb1ELb0EiNS0_19identity_decomposerEEEEE10hipError_tT0_T1_T2_jT3_P12ihipStream_tbPNSt15iterator_traitsISI_E10value_typeEPNSO_ISJ_E10value_typeEPSK_NS1_7vsmem_tEENKUlT_SI_SJ_SK_E_clISD_PiSD_S10_EESH_SX_SI_SJ_SK_EUlSX_E_NS1_11comp_targetILNS1_3genE9ELNS1_11target_archE1100ELNS1_3gpuE3ELNS1_3repE0EEENS1_48merge_mergepath_partition_config_static_selectorELNS0_4arch9wavefront6targetE1EEEvSJ_,"axG",@progbits,_ZN7rocprim17ROCPRIM_400000_NS6detail17trampoline_kernelINS0_14default_configENS1_38merge_sort_block_merge_config_selectorIiiEEZZNS1_27merge_sort_block_merge_implIS3_N6thrust23THRUST_200600_302600_NS6detail15normal_iteratorINS8_10device_ptrIiEEEESD_jNS1_19radix_merge_compareILb1ELb0EiNS0_19identity_decomposerEEEEE10hipError_tT0_T1_T2_jT3_P12ihipStream_tbPNSt15iterator_traitsISI_E10value_typeEPNSO_ISJ_E10value_typeEPSK_NS1_7vsmem_tEENKUlT_SI_SJ_SK_E_clISD_PiSD_S10_EESH_SX_SI_SJ_SK_EUlSX_E_NS1_11comp_targetILNS1_3genE9ELNS1_11target_archE1100ELNS1_3gpuE3ELNS1_3repE0EEENS1_48merge_mergepath_partition_config_static_selectorELNS0_4arch9wavefront6targetE1EEEvSJ_,comdat
.Lfunc_end915:
	.size	_ZN7rocprim17ROCPRIM_400000_NS6detail17trampoline_kernelINS0_14default_configENS1_38merge_sort_block_merge_config_selectorIiiEEZZNS1_27merge_sort_block_merge_implIS3_N6thrust23THRUST_200600_302600_NS6detail15normal_iteratorINS8_10device_ptrIiEEEESD_jNS1_19radix_merge_compareILb1ELb0EiNS0_19identity_decomposerEEEEE10hipError_tT0_T1_T2_jT3_P12ihipStream_tbPNSt15iterator_traitsISI_E10value_typeEPNSO_ISJ_E10value_typeEPSK_NS1_7vsmem_tEENKUlT_SI_SJ_SK_E_clISD_PiSD_S10_EESH_SX_SI_SJ_SK_EUlSX_E_NS1_11comp_targetILNS1_3genE9ELNS1_11target_archE1100ELNS1_3gpuE3ELNS1_3repE0EEENS1_48merge_mergepath_partition_config_static_selectorELNS0_4arch9wavefront6targetE1EEEvSJ_, .Lfunc_end915-_ZN7rocprim17ROCPRIM_400000_NS6detail17trampoline_kernelINS0_14default_configENS1_38merge_sort_block_merge_config_selectorIiiEEZZNS1_27merge_sort_block_merge_implIS3_N6thrust23THRUST_200600_302600_NS6detail15normal_iteratorINS8_10device_ptrIiEEEESD_jNS1_19radix_merge_compareILb1ELb0EiNS0_19identity_decomposerEEEEE10hipError_tT0_T1_T2_jT3_P12ihipStream_tbPNSt15iterator_traitsISI_E10value_typeEPNSO_ISJ_E10value_typeEPSK_NS1_7vsmem_tEENKUlT_SI_SJ_SK_E_clISD_PiSD_S10_EESH_SX_SI_SJ_SK_EUlSX_E_NS1_11comp_targetILNS1_3genE9ELNS1_11target_archE1100ELNS1_3gpuE3ELNS1_3repE0EEENS1_48merge_mergepath_partition_config_static_selectorELNS0_4arch9wavefront6targetE1EEEvSJ_
                                        ; -- End function
	.set _ZN7rocprim17ROCPRIM_400000_NS6detail17trampoline_kernelINS0_14default_configENS1_38merge_sort_block_merge_config_selectorIiiEEZZNS1_27merge_sort_block_merge_implIS3_N6thrust23THRUST_200600_302600_NS6detail15normal_iteratorINS8_10device_ptrIiEEEESD_jNS1_19radix_merge_compareILb1ELb0EiNS0_19identity_decomposerEEEEE10hipError_tT0_T1_T2_jT3_P12ihipStream_tbPNSt15iterator_traitsISI_E10value_typeEPNSO_ISJ_E10value_typeEPSK_NS1_7vsmem_tEENKUlT_SI_SJ_SK_E_clISD_PiSD_S10_EESH_SX_SI_SJ_SK_EUlSX_E_NS1_11comp_targetILNS1_3genE9ELNS1_11target_archE1100ELNS1_3gpuE3ELNS1_3repE0EEENS1_48merge_mergepath_partition_config_static_selectorELNS0_4arch9wavefront6targetE1EEEvSJ_.num_vgpr, 0
	.set _ZN7rocprim17ROCPRIM_400000_NS6detail17trampoline_kernelINS0_14default_configENS1_38merge_sort_block_merge_config_selectorIiiEEZZNS1_27merge_sort_block_merge_implIS3_N6thrust23THRUST_200600_302600_NS6detail15normal_iteratorINS8_10device_ptrIiEEEESD_jNS1_19radix_merge_compareILb1ELb0EiNS0_19identity_decomposerEEEEE10hipError_tT0_T1_T2_jT3_P12ihipStream_tbPNSt15iterator_traitsISI_E10value_typeEPNSO_ISJ_E10value_typeEPSK_NS1_7vsmem_tEENKUlT_SI_SJ_SK_E_clISD_PiSD_S10_EESH_SX_SI_SJ_SK_EUlSX_E_NS1_11comp_targetILNS1_3genE9ELNS1_11target_archE1100ELNS1_3gpuE3ELNS1_3repE0EEENS1_48merge_mergepath_partition_config_static_selectorELNS0_4arch9wavefront6targetE1EEEvSJ_.num_agpr, 0
	.set _ZN7rocprim17ROCPRIM_400000_NS6detail17trampoline_kernelINS0_14default_configENS1_38merge_sort_block_merge_config_selectorIiiEEZZNS1_27merge_sort_block_merge_implIS3_N6thrust23THRUST_200600_302600_NS6detail15normal_iteratorINS8_10device_ptrIiEEEESD_jNS1_19radix_merge_compareILb1ELb0EiNS0_19identity_decomposerEEEEE10hipError_tT0_T1_T2_jT3_P12ihipStream_tbPNSt15iterator_traitsISI_E10value_typeEPNSO_ISJ_E10value_typeEPSK_NS1_7vsmem_tEENKUlT_SI_SJ_SK_E_clISD_PiSD_S10_EESH_SX_SI_SJ_SK_EUlSX_E_NS1_11comp_targetILNS1_3genE9ELNS1_11target_archE1100ELNS1_3gpuE3ELNS1_3repE0EEENS1_48merge_mergepath_partition_config_static_selectorELNS0_4arch9wavefront6targetE1EEEvSJ_.numbered_sgpr, 0
	.set _ZN7rocprim17ROCPRIM_400000_NS6detail17trampoline_kernelINS0_14default_configENS1_38merge_sort_block_merge_config_selectorIiiEEZZNS1_27merge_sort_block_merge_implIS3_N6thrust23THRUST_200600_302600_NS6detail15normal_iteratorINS8_10device_ptrIiEEEESD_jNS1_19radix_merge_compareILb1ELb0EiNS0_19identity_decomposerEEEEE10hipError_tT0_T1_T2_jT3_P12ihipStream_tbPNSt15iterator_traitsISI_E10value_typeEPNSO_ISJ_E10value_typeEPSK_NS1_7vsmem_tEENKUlT_SI_SJ_SK_E_clISD_PiSD_S10_EESH_SX_SI_SJ_SK_EUlSX_E_NS1_11comp_targetILNS1_3genE9ELNS1_11target_archE1100ELNS1_3gpuE3ELNS1_3repE0EEENS1_48merge_mergepath_partition_config_static_selectorELNS0_4arch9wavefront6targetE1EEEvSJ_.num_named_barrier, 0
	.set _ZN7rocprim17ROCPRIM_400000_NS6detail17trampoline_kernelINS0_14default_configENS1_38merge_sort_block_merge_config_selectorIiiEEZZNS1_27merge_sort_block_merge_implIS3_N6thrust23THRUST_200600_302600_NS6detail15normal_iteratorINS8_10device_ptrIiEEEESD_jNS1_19radix_merge_compareILb1ELb0EiNS0_19identity_decomposerEEEEE10hipError_tT0_T1_T2_jT3_P12ihipStream_tbPNSt15iterator_traitsISI_E10value_typeEPNSO_ISJ_E10value_typeEPSK_NS1_7vsmem_tEENKUlT_SI_SJ_SK_E_clISD_PiSD_S10_EESH_SX_SI_SJ_SK_EUlSX_E_NS1_11comp_targetILNS1_3genE9ELNS1_11target_archE1100ELNS1_3gpuE3ELNS1_3repE0EEENS1_48merge_mergepath_partition_config_static_selectorELNS0_4arch9wavefront6targetE1EEEvSJ_.private_seg_size, 0
	.set _ZN7rocprim17ROCPRIM_400000_NS6detail17trampoline_kernelINS0_14default_configENS1_38merge_sort_block_merge_config_selectorIiiEEZZNS1_27merge_sort_block_merge_implIS3_N6thrust23THRUST_200600_302600_NS6detail15normal_iteratorINS8_10device_ptrIiEEEESD_jNS1_19radix_merge_compareILb1ELb0EiNS0_19identity_decomposerEEEEE10hipError_tT0_T1_T2_jT3_P12ihipStream_tbPNSt15iterator_traitsISI_E10value_typeEPNSO_ISJ_E10value_typeEPSK_NS1_7vsmem_tEENKUlT_SI_SJ_SK_E_clISD_PiSD_S10_EESH_SX_SI_SJ_SK_EUlSX_E_NS1_11comp_targetILNS1_3genE9ELNS1_11target_archE1100ELNS1_3gpuE3ELNS1_3repE0EEENS1_48merge_mergepath_partition_config_static_selectorELNS0_4arch9wavefront6targetE1EEEvSJ_.uses_vcc, 0
	.set _ZN7rocprim17ROCPRIM_400000_NS6detail17trampoline_kernelINS0_14default_configENS1_38merge_sort_block_merge_config_selectorIiiEEZZNS1_27merge_sort_block_merge_implIS3_N6thrust23THRUST_200600_302600_NS6detail15normal_iteratorINS8_10device_ptrIiEEEESD_jNS1_19radix_merge_compareILb1ELb0EiNS0_19identity_decomposerEEEEE10hipError_tT0_T1_T2_jT3_P12ihipStream_tbPNSt15iterator_traitsISI_E10value_typeEPNSO_ISJ_E10value_typeEPSK_NS1_7vsmem_tEENKUlT_SI_SJ_SK_E_clISD_PiSD_S10_EESH_SX_SI_SJ_SK_EUlSX_E_NS1_11comp_targetILNS1_3genE9ELNS1_11target_archE1100ELNS1_3gpuE3ELNS1_3repE0EEENS1_48merge_mergepath_partition_config_static_selectorELNS0_4arch9wavefront6targetE1EEEvSJ_.uses_flat_scratch, 0
	.set _ZN7rocprim17ROCPRIM_400000_NS6detail17trampoline_kernelINS0_14default_configENS1_38merge_sort_block_merge_config_selectorIiiEEZZNS1_27merge_sort_block_merge_implIS3_N6thrust23THRUST_200600_302600_NS6detail15normal_iteratorINS8_10device_ptrIiEEEESD_jNS1_19radix_merge_compareILb1ELb0EiNS0_19identity_decomposerEEEEE10hipError_tT0_T1_T2_jT3_P12ihipStream_tbPNSt15iterator_traitsISI_E10value_typeEPNSO_ISJ_E10value_typeEPSK_NS1_7vsmem_tEENKUlT_SI_SJ_SK_E_clISD_PiSD_S10_EESH_SX_SI_SJ_SK_EUlSX_E_NS1_11comp_targetILNS1_3genE9ELNS1_11target_archE1100ELNS1_3gpuE3ELNS1_3repE0EEENS1_48merge_mergepath_partition_config_static_selectorELNS0_4arch9wavefront6targetE1EEEvSJ_.has_dyn_sized_stack, 0
	.set _ZN7rocprim17ROCPRIM_400000_NS6detail17trampoline_kernelINS0_14default_configENS1_38merge_sort_block_merge_config_selectorIiiEEZZNS1_27merge_sort_block_merge_implIS3_N6thrust23THRUST_200600_302600_NS6detail15normal_iteratorINS8_10device_ptrIiEEEESD_jNS1_19radix_merge_compareILb1ELb0EiNS0_19identity_decomposerEEEEE10hipError_tT0_T1_T2_jT3_P12ihipStream_tbPNSt15iterator_traitsISI_E10value_typeEPNSO_ISJ_E10value_typeEPSK_NS1_7vsmem_tEENKUlT_SI_SJ_SK_E_clISD_PiSD_S10_EESH_SX_SI_SJ_SK_EUlSX_E_NS1_11comp_targetILNS1_3genE9ELNS1_11target_archE1100ELNS1_3gpuE3ELNS1_3repE0EEENS1_48merge_mergepath_partition_config_static_selectorELNS0_4arch9wavefront6targetE1EEEvSJ_.has_recursion, 0
	.set _ZN7rocprim17ROCPRIM_400000_NS6detail17trampoline_kernelINS0_14default_configENS1_38merge_sort_block_merge_config_selectorIiiEEZZNS1_27merge_sort_block_merge_implIS3_N6thrust23THRUST_200600_302600_NS6detail15normal_iteratorINS8_10device_ptrIiEEEESD_jNS1_19radix_merge_compareILb1ELb0EiNS0_19identity_decomposerEEEEE10hipError_tT0_T1_T2_jT3_P12ihipStream_tbPNSt15iterator_traitsISI_E10value_typeEPNSO_ISJ_E10value_typeEPSK_NS1_7vsmem_tEENKUlT_SI_SJ_SK_E_clISD_PiSD_S10_EESH_SX_SI_SJ_SK_EUlSX_E_NS1_11comp_targetILNS1_3genE9ELNS1_11target_archE1100ELNS1_3gpuE3ELNS1_3repE0EEENS1_48merge_mergepath_partition_config_static_selectorELNS0_4arch9wavefront6targetE1EEEvSJ_.has_indirect_call, 0
	.section	.AMDGPU.csdata,"",@progbits
; Kernel info:
; codeLenInByte = 0
; TotalNumSgprs: 6
; NumVgprs: 0
; NumAgprs: 0
; TotalNumVgprs: 0
; ScratchSize: 0
; MemoryBound: 0
; FloatMode: 240
; IeeeMode: 1
; LDSByteSize: 0 bytes/workgroup (compile time only)
; SGPRBlocks: 0
; VGPRBlocks: 0
; NumSGPRsForWavesPerEU: 6
; NumVGPRsForWavesPerEU: 1
; AccumOffset: 4
; Occupancy: 8
; WaveLimiterHint : 0
; COMPUTE_PGM_RSRC2:SCRATCH_EN: 0
; COMPUTE_PGM_RSRC2:USER_SGPR: 2
; COMPUTE_PGM_RSRC2:TRAP_HANDLER: 0
; COMPUTE_PGM_RSRC2:TGID_X_EN: 1
; COMPUTE_PGM_RSRC2:TGID_Y_EN: 0
; COMPUTE_PGM_RSRC2:TGID_Z_EN: 0
; COMPUTE_PGM_RSRC2:TIDIG_COMP_CNT: 0
; COMPUTE_PGM_RSRC3_GFX90A:ACCUM_OFFSET: 0
; COMPUTE_PGM_RSRC3_GFX90A:TG_SPLIT: 0
	.section	.text._ZN7rocprim17ROCPRIM_400000_NS6detail17trampoline_kernelINS0_14default_configENS1_38merge_sort_block_merge_config_selectorIiiEEZZNS1_27merge_sort_block_merge_implIS3_N6thrust23THRUST_200600_302600_NS6detail15normal_iteratorINS8_10device_ptrIiEEEESD_jNS1_19radix_merge_compareILb1ELb0EiNS0_19identity_decomposerEEEEE10hipError_tT0_T1_T2_jT3_P12ihipStream_tbPNSt15iterator_traitsISI_E10value_typeEPNSO_ISJ_E10value_typeEPSK_NS1_7vsmem_tEENKUlT_SI_SJ_SK_E_clISD_PiSD_S10_EESH_SX_SI_SJ_SK_EUlSX_E_NS1_11comp_targetILNS1_3genE8ELNS1_11target_archE1030ELNS1_3gpuE2ELNS1_3repE0EEENS1_48merge_mergepath_partition_config_static_selectorELNS0_4arch9wavefront6targetE1EEEvSJ_,"axG",@progbits,_ZN7rocprim17ROCPRIM_400000_NS6detail17trampoline_kernelINS0_14default_configENS1_38merge_sort_block_merge_config_selectorIiiEEZZNS1_27merge_sort_block_merge_implIS3_N6thrust23THRUST_200600_302600_NS6detail15normal_iteratorINS8_10device_ptrIiEEEESD_jNS1_19radix_merge_compareILb1ELb0EiNS0_19identity_decomposerEEEEE10hipError_tT0_T1_T2_jT3_P12ihipStream_tbPNSt15iterator_traitsISI_E10value_typeEPNSO_ISJ_E10value_typeEPSK_NS1_7vsmem_tEENKUlT_SI_SJ_SK_E_clISD_PiSD_S10_EESH_SX_SI_SJ_SK_EUlSX_E_NS1_11comp_targetILNS1_3genE8ELNS1_11target_archE1030ELNS1_3gpuE2ELNS1_3repE0EEENS1_48merge_mergepath_partition_config_static_selectorELNS0_4arch9wavefront6targetE1EEEvSJ_,comdat
	.protected	_ZN7rocprim17ROCPRIM_400000_NS6detail17trampoline_kernelINS0_14default_configENS1_38merge_sort_block_merge_config_selectorIiiEEZZNS1_27merge_sort_block_merge_implIS3_N6thrust23THRUST_200600_302600_NS6detail15normal_iteratorINS8_10device_ptrIiEEEESD_jNS1_19radix_merge_compareILb1ELb0EiNS0_19identity_decomposerEEEEE10hipError_tT0_T1_T2_jT3_P12ihipStream_tbPNSt15iterator_traitsISI_E10value_typeEPNSO_ISJ_E10value_typeEPSK_NS1_7vsmem_tEENKUlT_SI_SJ_SK_E_clISD_PiSD_S10_EESH_SX_SI_SJ_SK_EUlSX_E_NS1_11comp_targetILNS1_3genE8ELNS1_11target_archE1030ELNS1_3gpuE2ELNS1_3repE0EEENS1_48merge_mergepath_partition_config_static_selectorELNS0_4arch9wavefront6targetE1EEEvSJ_ ; -- Begin function _ZN7rocprim17ROCPRIM_400000_NS6detail17trampoline_kernelINS0_14default_configENS1_38merge_sort_block_merge_config_selectorIiiEEZZNS1_27merge_sort_block_merge_implIS3_N6thrust23THRUST_200600_302600_NS6detail15normal_iteratorINS8_10device_ptrIiEEEESD_jNS1_19radix_merge_compareILb1ELb0EiNS0_19identity_decomposerEEEEE10hipError_tT0_T1_T2_jT3_P12ihipStream_tbPNSt15iterator_traitsISI_E10value_typeEPNSO_ISJ_E10value_typeEPSK_NS1_7vsmem_tEENKUlT_SI_SJ_SK_E_clISD_PiSD_S10_EESH_SX_SI_SJ_SK_EUlSX_E_NS1_11comp_targetILNS1_3genE8ELNS1_11target_archE1030ELNS1_3gpuE2ELNS1_3repE0EEENS1_48merge_mergepath_partition_config_static_selectorELNS0_4arch9wavefront6targetE1EEEvSJ_
	.globl	_ZN7rocprim17ROCPRIM_400000_NS6detail17trampoline_kernelINS0_14default_configENS1_38merge_sort_block_merge_config_selectorIiiEEZZNS1_27merge_sort_block_merge_implIS3_N6thrust23THRUST_200600_302600_NS6detail15normal_iteratorINS8_10device_ptrIiEEEESD_jNS1_19radix_merge_compareILb1ELb0EiNS0_19identity_decomposerEEEEE10hipError_tT0_T1_T2_jT3_P12ihipStream_tbPNSt15iterator_traitsISI_E10value_typeEPNSO_ISJ_E10value_typeEPSK_NS1_7vsmem_tEENKUlT_SI_SJ_SK_E_clISD_PiSD_S10_EESH_SX_SI_SJ_SK_EUlSX_E_NS1_11comp_targetILNS1_3genE8ELNS1_11target_archE1030ELNS1_3gpuE2ELNS1_3repE0EEENS1_48merge_mergepath_partition_config_static_selectorELNS0_4arch9wavefront6targetE1EEEvSJ_
	.p2align	8
	.type	_ZN7rocprim17ROCPRIM_400000_NS6detail17trampoline_kernelINS0_14default_configENS1_38merge_sort_block_merge_config_selectorIiiEEZZNS1_27merge_sort_block_merge_implIS3_N6thrust23THRUST_200600_302600_NS6detail15normal_iteratorINS8_10device_ptrIiEEEESD_jNS1_19radix_merge_compareILb1ELb0EiNS0_19identity_decomposerEEEEE10hipError_tT0_T1_T2_jT3_P12ihipStream_tbPNSt15iterator_traitsISI_E10value_typeEPNSO_ISJ_E10value_typeEPSK_NS1_7vsmem_tEENKUlT_SI_SJ_SK_E_clISD_PiSD_S10_EESH_SX_SI_SJ_SK_EUlSX_E_NS1_11comp_targetILNS1_3genE8ELNS1_11target_archE1030ELNS1_3gpuE2ELNS1_3repE0EEENS1_48merge_mergepath_partition_config_static_selectorELNS0_4arch9wavefront6targetE1EEEvSJ_,@function
_ZN7rocprim17ROCPRIM_400000_NS6detail17trampoline_kernelINS0_14default_configENS1_38merge_sort_block_merge_config_selectorIiiEEZZNS1_27merge_sort_block_merge_implIS3_N6thrust23THRUST_200600_302600_NS6detail15normal_iteratorINS8_10device_ptrIiEEEESD_jNS1_19radix_merge_compareILb1ELb0EiNS0_19identity_decomposerEEEEE10hipError_tT0_T1_T2_jT3_P12ihipStream_tbPNSt15iterator_traitsISI_E10value_typeEPNSO_ISJ_E10value_typeEPSK_NS1_7vsmem_tEENKUlT_SI_SJ_SK_E_clISD_PiSD_S10_EESH_SX_SI_SJ_SK_EUlSX_E_NS1_11comp_targetILNS1_3genE8ELNS1_11target_archE1030ELNS1_3gpuE2ELNS1_3repE0EEENS1_48merge_mergepath_partition_config_static_selectorELNS0_4arch9wavefront6targetE1EEEvSJ_: ; @_ZN7rocprim17ROCPRIM_400000_NS6detail17trampoline_kernelINS0_14default_configENS1_38merge_sort_block_merge_config_selectorIiiEEZZNS1_27merge_sort_block_merge_implIS3_N6thrust23THRUST_200600_302600_NS6detail15normal_iteratorINS8_10device_ptrIiEEEESD_jNS1_19radix_merge_compareILb1ELb0EiNS0_19identity_decomposerEEEEE10hipError_tT0_T1_T2_jT3_P12ihipStream_tbPNSt15iterator_traitsISI_E10value_typeEPNSO_ISJ_E10value_typeEPSK_NS1_7vsmem_tEENKUlT_SI_SJ_SK_E_clISD_PiSD_S10_EESH_SX_SI_SJ_SK_EUlSX_E_NS1_11comp_targetILNS1_3genE8ELNS1_11target_archE1030ELNS1_3gpuE2ELNS1_3repE0EEENS1_48merge_mergepath_partition_config_static_selectorELNS0_4arch9wavefront6targetE1EEEvSJ_
; %bb.0:
	.section	.rodata,"a",@progbits
	.p2align	6, 0x0
	.amdhsa_kernel _ZN7rocprim17ROCPRIM_400000_NS6detail17trampoline_kernelINS0_14default_configENS1_38merge_sort_block_merge_config_selectorIiiEEZZNS1_27merge_sort_block_merge_implIS3_N6thrust23THRUST_200600_302600_NS6detail15normal_iteratorINS8_10device_ptrIiEEEESD_jNS1_19radix_merge_compareILb1ELb0EiNS0_19identity_decomposerEEEEE10hipError_tT0_T1_T2_jT3_P12ihipStream_tbPNSt15iterator_traitsISI_E10value_typeEPNSO_ISJ_E10value_typeEPSK_NS1_7vsmem_tEENKUlT_SI_SJ_SK_E_clISD_PiSD_S10_EESH_SX_SI_SJ_SK_EUlSX_E_NS1_11comp_targetILNS1_3genE8ELNS1_11target_archE1030ELNS1_3gpuE2ELNS1_3repE0EEENS1_48merge_mergepath_partition_config_static_selectorELNS0_4arch9wavefront6targetE1EEEvSJ_
		.amdhsa_group_segment_fixed_size 0
		.amdhsa_private_segment_fixed_size 0
		.amdhsa_kernarg_size 40
		.amdhsa_user_sgpr_count 2
		.amdhsa_user_sgpr_dispatch_ptr 0
		.amdhsa_user_sgpr_queue_ptr 0
		.amdhsa_user_sgpr_kernarg_segment_ptr 1
		.amdhsa_user_sgpr_dispatch_id 0
		.amdhsa_user_sgpr_kernarg_preload_length 0
		.amdhsa_user_sgpr_kernarg_preload_offset 0
		.amdhsa_user_sgpr_private_segment_size 0
		.amdhsa_uses_dynamic_stack 0
		.amdhsa_enable_private_segment 0
		.amdhsa_system_sgpr_workgroup_id_x 1
		.amdhsa_system_sgpr_workgroup_id_y 0
		.amdhsa_system_sgpr_workgroup_id_z 0
		.amdhsa_system_sgpr_workgroup_info 0
		.amdhsa_system_vgpr_workitem_id 0
		.amdhsa_next_free_vgpr 1
		.amdhsa_next_free_sgpr 0
		.amdhsa_accum_offset 4
		.amdhsa_reserve_vcc 0
		.amdhsa_float_round_mode_32 0
		.amdhsa_float_round_mode_16_64 0
		.amdhsa_float_denorm_mode_32 3
		.amdhsa_float_denorm_mode_16_64 3
		.amdhsa_dx10_clamp 1
		.amdhsa_ieee_mode 1
		.amdhsa_fp16_overflow 0
		.amdhsa_tg_split 0
		.amdhsa_exception_fp_ieee_invalid_op 0
		.amdhsa_exception_fp_denorm_src 0
		.amdhsa_exception_fp_ieee_div_zero 0
		.amdhsa_exception_fp_ieee_overflow 0
		.amdhsa_exception_fp_ieee_underflow 0
		.amdhsa_exception_fp_ieee_inexact 0
		.amdhsa_exception_int_div_zero 0
	.end_amdhsa_kernel
	.section	.text._ZN7rocprim17ROCPRIM_400000_NS6detail17trampoline_kernelINS0_14default_configENS1_38merge_sort_block_merge_config_selectorIiiEEZZNS1_27merge_sort_block_merge_implIS3_N6thrust23THRUST_200600_302600_NS6detail15normal_iteratorINS8_10device_ptrIiEEEESD_jNS1_19radix_merge_compareILb1ELb0EiNS0_19identity_decomposerEEEEE10hipError_tT0_T1_T2_jT3_P12ihipStream_tbPNSt15iterator_traitsISI_E10value_typeEPNSO_ISJ_E10value_typeEPSK_NS1_7vsmem_tEENKUlT_SI_SJ_SK_E_clISD_PiSD_S10_EESH_SX_SI_SJ_SK_EUlSX_E_NS1_11comp_targetILNS1_3genE8ELNS1_11target_archE1030ELNS1_3gpuE2ELNS1_3repE0EEENS1_48merge_mergepath_partition_config_static_selectorELNS0_4arch9wavefront6targetE1EEEvSJ_,"axG",@progbits,_ZN7rocprim17ROCPRIM_400000_NS6detail17trampoline_kernelINS0_14default_configENS1_38merge_sort_block_merge_config_selectorIiiEEZZNS1_27merge_sort_block_merge_implIS3_N6thrust23THRUST_200600_302600_NS6detail15normal_iteratorINS8_10device_ptrIiEEEESD_jNS1_19radix_merge_compareILb1ELb0EiNS0_19identity_decomposerEEEEE10hipError_tT0_T1_T2_jT3_P12ihipStream_tbPNSt15iterator_traitsISI_E10value_typeEPNSO_ISJ_E10value_typeEPSK_NS1_7vsmem_tEENKUlT_SI_SJ_SK_E_clISD_PiSD_S10_EESH_SX_SI_SJ_SK_EUlSX_E_NS1_11comp_targetILNS1_3genE8ELNS1_11target_archE1030ELNS1_3gpuE2ELNS1_3repE0EEENS1_48merge_mergepath_partition_config_static_selectorELNS0_4arch9wavefront6targetE1EEEvSJ_,comdat
.Lfunc_end916:
	.size	_ZN7rocprim17ROCPRIM_400000_NS6detail17trampoline_kernelINS0_14default_configENS1_38merge_sort_block_merge_config_selectorIiiEEZZNS1_27merge_sort_block_merge_implIS3_N6thrust23THRUST_200600_302600_NS6detail15normal_iteratorINS8_10device_ptrIiEEEESD_jNS1_19radix_merge_compareILb1ELb0EiNS0_19identity_decomposerEEEEE10hipError_tT0_T1_T2_jT3_P12ihipStream_tbPNSt15iterator_traitsISI_E10value_typeEPNSO_ISJ_E10value_typeEPSK_NS1_7vsmem_tEENKUlT_SI_SJ_SK_E_clISD_PiSD_S10_EESH_SX_SI_SJ_SK_EUlSX_E_NS1_11comp_targetILNS1_3genE8ELNS1_11target_archE1030ELNS1_3gpuE2ELNS1_3repE0EEENS1_48merge_mergepath_partition_config_static_selectorELNS0_4arch9wavefront6targetE1EEEvSJ_, .Lfunc_end916-_ZN7rocprim17ROCPRIM_400000_NS6detail17trampoline_kernelINS0_14default_configENS1_38merge_sort_block_merge_config_selectorIiiEEZZNS1_27merge_sort_block_merge_implIS3_N6thrust23THRUST_200600_302600_NS6detail15normal_iteratorINS8_10device_ptrIiEEEESD_jNS1_19radix_merge_compareILb1ELb0EiNS0_19identity_decomposerEEEEE10hipError_tT0_T1_T2_jT3_P12ihipStream_tbPNSt15iterator_traitsISI_E10value_typeEPNSO_ISJ_E10value_typeEPSK_NS1_7vsmem_tEENKUlT_SI_SJ_SK_E_clISD_PiSD_S10_EESH_SX_SI_SJ_SK_EUlSX_E_NS1_11comp_targetILNS1_3genE8ELNS1_11target_archE1030ELNS1_3gpuE2ELNS1_3repE0EEENS1_48merge_mergepath_partition_config_static_selectorELNS0_4arch9wavefront6targetE1EEEvSJ_
                                        ; -- End function
	.set _ZN7rocprim17ROCPRIM_400000_NS6detail17trampoline_kernelINS0_14default_configENS1_38merge_sort_block_merge_config_selectorIiiEEZZNS1_27merge_sort_block_merge_implIS3_N6thrust23THRUST_200600_302600_NS6detail15normal_iteratorINS8_10device_ptrIiEEEESD_jNS1_19radix_merge_compareILb1ELb0EiNS0_19identity_decomposerEEEEE10hipError_tT0_T1_T2_jT3_P12ihipStream_tbPNSt15iterator_traitsISI_E10value_typeEPNSO_ISJ_E10value_typeEPSK_NS1_7vsmem_tEENKUlT_SI_SJ_SK_E_clISD_PiSD_S10_EESH_SX_SI_SJ_SK_EUlSX_E_NS1_11comp_targetILNS1_3genE8ELNS1_11target_archE1030ELNS1_3gpuE2ELNS1_3repE0EEENS1_48merge_mergepath_partition_config_static_selectorELNS0_4arch9wavefront6targetE1EEEvSJ_.num_vgpr, 0
	.set _ZN7rocprim17ROCPRIM_400000_NS6detail17trampoline_kernelINS0_14default_configENS1_38merge_sort_block_merge_config_selectorIiiEEZZNS1_27merge_sort_block_merge_implIS3_N6thrust23THRUST_200600_302600_NS6detail15normal_iteratorINS8_10device_ptrIiEEEESD_jNS1_19radix_merge_compareILb1ELb0EiNS0_19identity_decomposerEEEEE10hipError_tT0_T1_T2_jT3_P12ihipStream_tbPNSt15iterator_traitsISI_E10value_typeEPNSO_ISJ_E10value_typeEPSK_NS1_7vsmem_tEENKUlT_SI_SJ_SK_E_clISD_PiSD_S10_EESH_SX_SI_SJ_SK_EUlSX_E_NS1_11comp_targetILNS1_3genE8ELNS1_11target_archE1030ELNS1_3gpuE2ELNS1_3repE0EEENS1_48merge_mergepath_partition_config_static_selectorELNS0_4arch9wavefront6targetE1EEEvSJ_.num_agpr, 0
	.set _ZN7rocprim17ROCPRIM_400000_NS6detail17trampoline_kernelINS0_14default_configENS1_38merge_sort_block_merge_config_selectorIiiEEZZNS1_27merge_sort_block_merge_implIS3_N6thrust23THRUST_200600_302600_NS6detail15normal_iteratorINS8_10device_ptrIiEEEESD_jNS1_19radix_merge_compareILb1ELb0EiNS0_19identity_decomposerEEEEE10hipError_tT0_T1_T2_jT3_P12ihipStream_tbPNSt15iterator_traitsISI_E10value_typeEPNSO_ISJ_E10value_typeEPSK_NS1_7vsmem_tEENKUlT_SI_SJ_SK_E_clISD_PiSD_S10_EESH_SX_SI_SJ_SK_EUlSX_E_NS1_11comp_targetILNS1_3genE8ELNS1_11target_archE1030ELNS1_3gpuE2ELNS1_3repE0EEENS1_48merge_mergepath_partition_config_static_selectorELNS0_4arch9wavefront6targetE1EEEvSJ_.numbered_sgpr, 0
	.set _ZN7rocprim17ROCPRIM_400000_NS6detail17trampoline_kernelINS0_14default_configENS1_38merge_sort_block_merge_config_selectorIiiEEZZNS1_27merge_sort_block_merge_implIS3_N6thrust23THRUST_200600_302600_NS6detail15normal_iteratorINS8_10device_ptrIiEEEESD_jNS1_19radix_merge_compareILb1ELb0EiNS0_19identity_decomposerEEEEE10hipError_tT0_T1_T2_jT3_P12ihipStream_tbPNSt15iterator_traitsISI_E10value_typeEPNSO_ISJ_E10value_typeEPSK_NS1_7vsmem_tEENKUlT_SI_SJ_SK_E_clISD_PiSD_S10_EESH_SX_SI_SJ_SK_EUlSX_E_NS1_11comp_targetILNS1_3genE8ELNS1_11target_archE1030ELNS1_3gpuE2ELNS1_3repE0EEENS1_48merge_mergepath_partition_config_static_selectorELNS0_4arch9wavefront6targetE1EEEvSJ_.num_named_barrier, 0
	.set _ZN7rocprim17ROCPRIM_400000_NS6detail17trampoline_kernelINS0_14default_configENS1_38merge_sort_block_merge_config_selectorIiiEEZZNS1_27merge_sort_block_merge_implIS3_N6thrust23THRUST_200600_302600_NS6detail15normal_iteratorINS8_10device_ptrIiEEEESD_jNS1_19radix_merge_compareILb1ELb0EiNS0_19identity_decomposerEEEEE10hipError_tT0_T1_T2_jT3_P12ihipStream_tbPNSt15iterator_traitsISI_E10value_typeEPNSO_ISJ_E10value_typeEPSK_NS1_7vsmem_tEENKUlT_SI_SJ_SK_E_clISD_PiSD_S10_EESH_SX_SI_SJ_SK_EUlSX_E_NS1_11comp_targetILNS1_3genE8ELNS1_11target_archE1030ELNS1_3gpuE2ELNS1_3repE0EEENS1_48merge_mergepath_partition_config_static_selectorELNS0_4arch9wavefront6targetE1EEEvSJ_.private_seg_size, 0
	.set _ZN7rocprim17ROCPRIM_400000_NS6detail17trampoline_kernelINS0_14default_configENS1_38merge_sort_block_merge_config_selectorIiiEEZZNS1_27merge_sort_block_merge_implIS3_N6thrust23THRUST_200600_302600_NS6detail15normal_iteratorINS8_10device_ptrIiEEEESD_jNS1_19radix_merge_compareILb1ELb0EiNS0_19identity_decomposerEEEEE10hipError_tT0_T1_T2_jT3_P12ihipStream_tbPNSt15iterator_traitsISI_E10value_typeEPNSO_ISJ_E10value_typeEPSK_NS1_7vsmem_tEENKUlT_SI_SJ_SK_E_clISD_PiSD_S10_EESH_SX_SI_SJ_SK_EUlSX_E_NS1_11comp_targetILNS1_3genE8ELNS1_11target_archE1030ELNS1_3gpuE2ELNS1_3repE0EEENS1_48merge_mergepath_partition_config_static_selectorELNS0_4arch9wavefront6targetE1EEEvSJ_.uses_vcc, 0
	.set _ZN7rocprim17ROCPRIM_400000_NS6detail17trampoline_kernelINS0_14default_configENS1_38merge_sort_block_merge_config_selectorIiiEEZZNS1_27merge_sort_block_merge_implIS3_N6thrust23THRUST_200600_302600_NS6detail15normal_iteratorINS8_10device_ptrIiEEEESD_jNS1_19radix_merge_compareILb1ELb0EiNS0_19identity_decomposerEEEEE10hipError_tT0_T1_T2_jT3_P12ihipStream_tbPNSt15iterator_traitsISI_E10value_typeEPNSO_ISJ_E10value_typeEPSK_NS1_7vsmem_tEENKUlT_SI_SJ_SK_E_clISD_PiSD_S10_EESH_SX_SI_SJ_SK_EUlSX_E_NS1_11comp_targetILNS1_3genE8ELNS1_11target_archE1030ELNS1_3gpuE2ELNS1_3repE0EEENS1_48merge_mergepath_partition_config_static_selectorELNS0_4arch9wavefront6targetE1EEEvSJ_.uses_flat_scratch, 0
	.set _ZN7rocprim17ROCPRIM_400000_NS6detail17trampoline_kernelINS0_14default_configENS1_38merge_sort_block_merge_config_selectorIiiEEZZNS1_27merge_sort_block_merge_implIS3_N6thrust23THRUST_200600_302600_NS6detail15normal_iteratorINS8_10device_ptrIiEEEESD_jNS1_19radix_merge_compareILb1ELb0EiNS0_19identity_decomposerEEEEE10hipError_tT0_T1_T2_jT3_P12ihipStream_tbPNSt15iterator_traitsISI_E10value_typeEPNSO_ISJ_E10value_typeEPSK_NS1_7vsmem_tEENKUlT_SI_SJ_SK_E_clISD_PiSD_S10_EESH_SX_SI_SJ_SK_EUlSX_E_NS1_11comp_targetILNS1_3genE8ELNS1_11target_archE1030ELNS1_3gpuE2ELNS1_3repE0EEENS1_48merge_mergepath_partition_config_static_selectorELNS0_4arch9wavefront6targetE1EEEvSJ_.has_dyn_sized_stack, 0
	.set _ZN7rocprim17ROCPRIM_400000_NS6detail17trampoline_kernelINS0_14default_configENS1_38merge_sort_block_merge_config_selectorIiiEEZZNS1_27merge_sort_block_merge_implIS3_N6thrust23THRUST_200600_302600_NS6detail15normal_iteratorINS8_10device_ptrIiEEEESD_jNS1_19radix_merge_compareILb1ELb0EiNS0_19identity_decomposerEEEEE10hipError_tT0_T1_T2_jT3_P12ihipStream_tbPNSt15iterator_traitsISI_E10value_typeEPNSO_ISJ_E10value_typeEPSK_NS1_7vsmem_tEENKUlT_SI_SJ_SK_E_clISD_PiSD_S10_EESH_SX_SI_SJ_SK_EUlSX_E_NS1_11comp_targetILNS1_3genE8ELNS1_11target_archE1030ELNS1_3gpuE2ELNS1_3repE0EEENS1_48merge_mergepath_partition_config_static_selectorELNS0_4arch9wavefront6targetE1EEEvSJ_.has_recursion, 0
	.set _ZN7rocprim17ROCPRIM_400000_NS6detail17trampoline_kernelINS0_14default_configENS1_38merge_sort_block_merge_config_selectorIiiEEZZNS1_27merge_sort_block_merge_implIS3_N6thrust23THRUST_200600_302600_NS6detail15normal_iteratorINS8_10device_ptrIiEEEESD_jNS1_19radix_merge_compareILb1ELb0EiNS0_19identity_decomposerEEEEE10hipError_tT0_T1_T2_jT3_P12ihipStream_tbPNSt15iterator_traitsISI_E10value_typeEPNSO_ISJ_E10value_typeEPSK_NS1_7vsmem_tEENKUlT_SI_SJ_SK_E_clISD_PiSD_S10_EESH_SX_SI_SJ_SK_EUlSX_E_NS1_11comp_targetILNS1_3genE8ELNS1_11target_archE1030ELNS1_3gpuE2ELNS1_3repE0EEENS1_48merge_mergepath_partition_config_static_selectorELNS0_4arch9wavefront6targetE1EEEvSJ_.has_indirect_call, 0
	.section	.AMDGPU.csdata,"",@progbits
; Kernel info:
; codeLenInByte = 0
; TotalNumSgprs: 6
; NumVgprs: 0
; NumAgprs: 0
; TotalNumVgprs: 0
; ScratchSize: 0
; MemoryBound: 0
; FloatMode: 240
; IeeeMode: 1
; LDSByteSize: 0 bytes/workgroup (compile time only)
; SGPRBlocks: 0
; VGPRBlocks: 0
; NumSGPRsForWavesPerEU: 6
; NumVGPRsForWavesPerEU: 1
; AccumOffset: 4
; Occupancy: 8
; WaveLimiterHint : 0
; COMPUTE_PGM_RSRC2:SCRATCH_EN: 0
; COMPUTE_PGM_RSRC2:USER_SGPR: 2
; COMPUTE_PGM_RSRC2:TRAP_HANDLER: 0
; COMPUTE_PGM_RSRC2:TGID_X_EN: 1
; COMPUTE_PGM_RSRC2:TGID_Y_EN: 0
; COMPUTE_PGM_RSRC2:TGID_Z_EN: 0
; COMPUTE_PGM_RSRC2:TIDIG_COMP_CNT: 0
; COMPUTE_PGM_RSRC3_GFX90A:ACCUM_OFFSET: 0
; COMPUTE_PGM_RSRC3_GFX90A:TG_SPLIT: 0
	.section	.text._ZN7rocprim17ROCPRIM_400000_NS6detail17trampoline_kernelINS0_14default_configENS1_38merge_sort_block_merge_config_selectorIiiEEZZNS1_27merge_sort_block_merge_implIS3_N6thrust23THRUST_200600_302600_NS6detail15normal_iteratorINS8_10device_ptrIiEEEESD_jNS1_19radix_merge_compareILb1ELb0EiNS0_19identity_decomposerEEEEE10hipError_tT0_T1_T2_jT3_P12ihipStream_tbPNSt15iterator_traitsISI_E10value_typeEPNSO_ISJ_E10value_typeEPSK_NS1_7vsmem_tEENKUlT_SI_SJ_SK_E_clISD_PiSD_S10_EESH_SX_SI_SJ_SK_EUlSX_E0_NS1_11comp_targetILNS1_3genE0ELNS1_11target_archE4294967295ELNS1_3gpuE0ELNS1_3repE0EEENS1_38merge_mergepath_config_static_selectorELNS0_4arch9wavefront6targetE1EEEvSJ_,"axG",@progbits,_ZN7rocprim17ROCPRIM_400000_NS6detail17trampoline_kernelINS0_14default_configENS1_38merge_sort_block_merge_config_selectorIiiEEZZNS1_27merge_sort_block_merge_implIS3_N6thrust23THRUST_200600_302600_NS6detail15normal_iteratorINS8_10device_ptrIiEEEESD_jNS1_19radix_merge_compareILb1ELb0EiNS0_19identity_decomposerEEEEE10hipError_tT0_T1_T2_jT3_P12ihipStream_tbPNSt15iterator_traitsISI_E10value_typeEPNSO_ISJ_E10value_typeEPSK_NS1_7vsmem_tEENKUlT_SI_SJ_SK_E_clISD_PiSD_S10_EESH_SX_SI_SJ_SK_EUlSX_E0_NS1_11comp_targetILNS1_3genE0ELNS1_11target_archE4294967295ELNS1_3gpuE0ELNS1_3repE0EEENS1_38merge_mergepath_config_static_selectorELNS0_4arch9wavefront6targetE1EEEvSJ_,comdat
	.protected	_ZN7rocprim17ROCPRIM_400000_NS6detail17trampoline_kernelINS0_14default_configENS1_38merge_sort_block_merge_config_selectorIiiEEZZNS1_27merge_sort_block_merge_implIS3_N6thrust23THRUST_200600_302600_NS6detail15normal_iteratorINS8_10device_ptrIiEEEESD_jNS1_19radix_merge_compareILb1ELb0EiNS0_19identity_decomposerEEEEE10hipError_tT0_T1_T2_jT3_P12ihipStream_tbPNSt15iterator_traitsISI_E10value_typeEPNSO_ISJ_E10value_typeEPSK_NS1_7vsmem_tEENKUlT_SI_SJ_SK_E_clISD_PiSD_S10_EESH_SX_SI_SJ_SK_EUlSX_E0_NS1_11comp_targetILNS1_3genE0ELNS1_11target_archE4294967295ELNS1_3gpuE0ELNS1_3repE0EEENS1_38merge_mergepath_config_static_selectorELNS0_4arch9wavefront6targetE1EEEvSJ_ ; -- Begin function _ZN7rocprim17ROCPRIM_400000_NS6detail17trampoline_kernelINS0_14default_configENS1_38merge_sort_block_merge_config_selectorIiiEEZZNS1_27merge_sort_block_merge_implIS3_N6thrust23THRUST_200600_302600_NS6detail15normal_iteratorINS8_10device_ptrIiEEEESD_jNS1_19radix_merge_compareILb1ELb0EiNS0_19identity_decomposerEEEEE10hipError_tT0_T1_T2_jT3_P12ihipStream_tbPNSt15iterator_traitsISI_E10value_typeEPNSO_ISJ_E10value_typeEPSK_NS1_7vsmem_tEENKUlT_SI_SJ_SK_E_clISD_PiSD_S10_EESH_SX_SI_SJ_SK_EUlSX_E0_NS1_11comp_targetILNS1_3genE0ELNS1_11target_archE4294967295ELNS1_3gpuE0ELNS1_3repE0EEENS1_38merge_mergepath_config_static_selectorELNS0_4arch9wavefront6targetE1EEEvSJ_
	.globl	_ZN7rocprim17ROCPRIM_400000_NS6detail17trampoline_kernelINS0_14default_configENS1_38merge_sort_block_merge_config_selectorIiiEEZZNS1_27merge_sort_block_merge_implIS3_N6thrust23THRUST_200600_302600_NS6detail15normal_iteratorINS8_10device_ptrIiEEEESD_jNS1_19radix_merge_compareILb1ELb0EiNS0_19identity_decomposerEEEEE10hipError_tT0_T1_T2_jT3_P12ihipStream_tbPNSt15iterator_traitsISI_E10value_typeEPNSO_ISJ_E10value_typeEPSK_NS1_7vsmem_tEENKUlT_SI_SJ_SK_E_clISD_PiSD_S10_EESH_SX_SI_SJ_SK_EUlSX_E0_NS1_11comp_targetILNS1_3genE0ELNS1_11target_archE4294967295ELNS1_3gpuE0ELNS1_3repE0EEENS1_38merge_mergepath_config_static_selectorELNS0_4arch9wavefront6targetE1EEEvSJ_
	.p2align	8
	.type	_ZN7rocprim17ROCPRIM_400000_NS6detail17trampoline_kernelINS0_14default_configENS1_38merge_sort_block_merge_config_selectorIiiEEZZNS1_27merge_sort_block_merge_implIS3_N6thrust23THRUST_200600_302600_NS6detail15normal_iteratorINS8_10device_ptrIiEEEESD_jNS1_19radix_merge_compareILb1ELb0EiNS0_19identity_decomposerEEEEE10hipError_tT0_T1_T2_jT3_P12ihipStream_tbPNSt15iterator_traitsISI_E10value_typeEPNSO_ISJ_E10value_typeEPSK_NS1_7vsmem_tEENKUlT_SI_SJ_SK_E_clISD_PiSD_S10_EESH_SX_SI_SJ_SK_EUlSX_E0_NS1_11comp_targetILNS1_3genE0ELNS1_11target_archE4294967295ELNS1_3gpuE0ELNS1_3repE0EEENS1_38merge_mergepath_config_static_selectorELNS0_4arch9wavefront6targetE1EEEvSJ_,@function
_ZN7rocprim17ROCPRIM_400000_NS6detail17trampoline_kernelINS0_14default_configENS1_38merge_sort_block_merge_config_selectorIiiEEZZNS1_27merge_sort_block_merge_implIS3_N6thrust23THRUST_200600_302600_NS6detail15normal_iteratorINS8_10device_ptrIiEEEESD_jNS1_19radix_merge_compareILb1ELb0EiNS0_19identity_decomposerEEEEE10hipError_tT0_T1_T2_jT3_P12ihipStream_tbPNSt15iterator_traitsISI_E10value_typeEPNSO_ISJ_E10value_typeEPSK_NS1_7vsmem_tEENKUlT_SI_SJ_SK_E_clISD_PiSD_S10_EESH_SX_SI_SJ_SK_EUlSX_E0_NS1_11comp_targetILNS1_3genE0ELNS1_11target_archE4294967295ELNS1_3gpuE0ELNS1_3repE0EEENS1_38merge_mergepath_config_static_selectorELNS0_4arch9wavefront6targetE1EEEvSJ_: ; @_ZN7rocprim17ROCPRIM_400000_NS6detail17trampoline_kernelINS0_14default_configENS1_38merge_sort_block_merge_config_selectorIiiEEZZNS1_27merge_sort_block_merge_implIS3_N6thrust23THRUST_200600_302600_NS6detail15normal_iteratorINS8_10device_ptrIiEEEESD_jNS1_19radix_merge_compareILb1ELb0EiNS0_19identity_decomposerEEEEE10hipError_tT0_T1_T2_jT3_P12ihipStream_tbPNSt15iterator_traitsISI_E10value_typeEPNSO_ISJ_E10value_typeEPSK_NS1_7vsmem_tEENKUlT_SI_SJ_SK_E_clISD_PiSD_S10_EESH_SX_SI_SJ_SK_EUlSX_E0_NS1_11comp_targetILNS1_3genE0ELNS1_11target_archE4294967295ELNS1_3gpuE0ELNS1_3repE0EEENS1_38merge_mergepath_config_static_selectorELNS0_4arch9wavefront6targetE1EEEvSJ_
; %bb.0:
	s_load_dwordx2 s[28:29], s[0:1], 0x40
	s_load_dword s5, s[0:1], 0x30
	s_add_u32 s24, s0, 64
	s_addc_u32 s25, s1, 0
	s_waitcnt lgkmcnt(0)
	s_mul_i32 s4, s29, s4
	s_add_i32 s3, s4, s3
	s_mul_i32 s3, s3, s28
	s_add_i32 s26, s3, s2
	s_cmp_ge_u32 s26, s5
	s_cbranch_scc1 .LBB917_46
; %bb.1:
	s_load_dwordx8 s[8:15], s[0:1], 0x10
	s_load_dwordx2 s[20:21], s[0:1], 0x8
	s_load_dwordx2 s[4:5], s[0:1], 0x38
	s_mov_b32 s27, 0
	s_mov_b32 s23, s27
	s_waitcnt lgkmcnt(0)
	s_lshr_b32 s29, s14, 10
	s_cmp_lg_u32 s26, s29
	s_cselect_b64 s[18:19], -1, 0
	s_lshl_b64 s[0:1], s[26:27], 2
	s_add_u32 s0, s4, s0
	s_addc_u32 s1, s5, s1
	s_load_dwordx2 s[4:5], s[0:1], 0x0
	s_lshr_b32 s0, s15, 9
	s_and_b32 s0, s0, 0x7ffffe
	s_sub_i32 s0, 0, s0
	s_and_b32 s1, s26, s0
	s_lshl_b32 s3, s1, 10
	s_lshl_b32 s16, s26, 10
	;; [unrolled: 1-line block ×3, first 2 shown]
	s_sub_i32 s6, s16, s3
	s_add_i32 s1, s1, s15
	s_add_i32 s6, s1, s6
	s_waitcnt lgkmcnt(0)
	s_sub_i32 s7, s6, s4
	s_sub_i32 s6, s6, s5
	;; [unrolled: 1-line block ×3, first 2 shown]
	s_min_u32 s22, s14, s7
	s_addk_i32 s6, 0x400
	s_or_b32 s0, s26, s0
	s_min_u32 s3, s14, s1
	s_add_i32 s1, s1, s15
	s_cmp_eq_u32 s0, -1
	s_cselect_b32 s0, s1, s6
	s_cselect_b32 s1, s3, s5
	s_mov_b32 s5, s27
	s_min_u32 s17, s0, s14
	s_sub_i32 s15, s1, s4
	s_lshl_b64 s[0:1], s[4:5], 2
	s_add_u32 s6, s20, s0
	s_addc_u32 s7, s21, s1
	s_lshl_b64 s[4:5], s[22:23], 2
	s_add_u32 s20, s20, s4
	s_addc_u32 s21, s21, s5
	s_cmp_lt_u32 s2, s28
	v_mov_b32_e32 v5, 0
	s_cselect_b32 s2, 12, 18
	global_load_dword v1, v5, s[24:25] offset:14
	s_add_u32 s2, s24, s2
	s_addc_u32 s3, s25, 0
	global_load_ushort v2, v5, s[2:3]
	s_cmp_eq_u32 s26, s29
	v_lshlrev_b32_e32 v10, 2, v0
	s_waitcnt vmcnt(1)
	v_lshrrev_b32_e32 v3, 16, v1
	v_and_b32_e32 v1, 0xffff, v1
	v_mul_lo_u32 v1, v1, v3
	s_waitcnt vmcnt(0)
	v_mul_lo_u32 v1, v1, v2
	v_add_u32_e32 v14, v1, v0
	v_add_u32_e32 v12, v14, v1
	s_cbranch_scc1 .LBB917_3
; %bb.2:
	v_mov_b32_e32 v11, v5
	v_subrev_co_u32_e32 v4, vcc, s15, v0
	v_lshl_add_u64 v[2:3], s[6:7], 0, v[10:11]
	v_lshl_add_u64 v[6:7], v[4:5], 2, s[20:21]
	v_cndmask_b32_e32 v3, v7, v3, vcc
	v_cndmask_b32_e32 v2, v6, v2, vcc
	v_mov_b32_e32 v15, v5
	v_subrev_co_u32_e32 v4, vcc, s15, v14
	v_lshl_add_u64 v[6:7], v[14:15], 2, s[6:7]
	v_lshl_add_u64 v[8:9], v[4:5], 2, s[20:21]
	v_cndmask_b32_e32 v7, v9, v7, vcc
	v_cndmask_b32_e32 v6, v8, v6, vcc
	v_mov_b32_e32 v13, v5
	v_subrev_co_u32_e32 v4, vcc, s15, v12
	global_load_dword v2, v[2:3], off
	v_lshl_add_u64 v[8:9], v[4:5], 2, s[20:21]
	global_load_dword v3, v[6:7], off
	v_lshl_add_u64 v[6:7], v[12:13], 2, s[6:7]
	v_cndmask_b32_e32 v7, v9, v7, vcc
	v_cndmask_b32_e32 v6, v8, v6, vcc
	global_load_dword v4, v[6:7], off
	v_add_u32_e32 v6, v12, v1
	s_mov_b64 s[2:3], -1
	s_sub_i32 s17, s17, s22
	s_cbranch_execz .LBB917_4
	s_branch .LBB917_9
.LBB917_3:
	s_mov_b64 s[2:3], 0
                                        ; implicit-def: $vgpr6
                                        ; implicit-def: $vgpr2_vgpr3_vgpr4_vgpr5
	s_sub_i32 s17, s17, s22
.LBB917_4:
	s_add_i32 s22, s17, s15
	s_waitcnt vmcnt(2)
	v_mov_b32_e32 v2, 0
	v_cmp_gt_u32_e32 vcc, s22, v0
	s_waitcnt vmcnt(1)
	v_mov_b32_e32 v3, v2
	s_waitcnt vmcnt(0)
	v_mov_b32_e32 v4, v2
	v_mov_b32_e32 v5, v2
	s_and_saveexec_b64 s[2:3], vcc
	s_cbranch_execnz .LBB917_47
; %bb.5:
	s_or_b64 exec, exec, s[2:3]
	v_cmp_gt_u32_e32 vcc, s22, v14
	s_and_saveexec_b64 s[2:3], vcc
	s_cbranch_execnz .LBB917_48
.LBB917_6:
	s_or_b64 exec, exec, s[2:3]
	v_cmp_gt_u32_e32 vcc, s22, v12
	s_and_saveexec_b64 s[2:3], vcc
	s_cbranch_execz .LBB917_8
.LBB917_7:
	v_mov_b32_e32 v13, 0
	v_subrev_co_u32_e32 v8, vcc, s15, v12
	v_mov_b32_e32 v9, v13
	v_lshl_add_u64 v[6:7], v[12:13], 2, s[6:7]
	v_lshl_add_u64 v[8:9], v[8:9], 2, s[20:21]
	v_cndmask_b32_e32 v7, v9, v7, vcc
	v_cndmask_b32_e32 v6, v8, v6, vcc
	global_load_dword v4, v[6:7], off
.LBB917_8:
	s_or_b64 exec, exec, s[2:3]
	v_add_u32_e32 v6, v12, v1
	v_cmp_gt_u32_e64 s[2:3], s22, v6
.LBB917_9:
	s_and_saveexec_b64 s[22:23], s[2:3]
	s_cbranch_execz .LBB917_11
; %bb.10:
	v_mov_b32_e32 v9, 0
	v_mov_b32_e32 v7, v9
	v_subrev_co_u32_e32 v8, vcc, s15, v6
	v_lshl_add_u64 v[16:17], v[6:7], 2, s[6:7]
	v_lshl_add_u64 v[6:7], v[8:9], 2, s[20:21]
	v_cndmask_b32_e32 v7, v7, v17, vcc
	v_cndmask_b32_e32 v6, v6, v16, vcc
	global_load_dword v5, v[6:7], off
.LBB917_11:
	s_or_b64 exec, exec, s[22:23]
	s_add_u32 s0, s10, s0
	s_addc_u32 s1, s11, s1
	s_add_u32 s2, s10, s4
	v_mov_b32_e32 v9, 0
	s_addc_u32 s3, s11, s5
	s_andn2_b64 vcc, exec, s[18:19]
	s_waitcnt vmcnt(0)
	ds_write2st64_b32 v10, v2, v3 offset1:4
	ds_write2st64_b32 v10, v4, v5 offset0:8 offset1:12
	s_cbranch_vccnz .LBB917_13
; %bb.12:
	v_mov_b32_e32 v11, v9
	v_subrev_co_u32_e32 v8, vcc, s15, v0
	v_lshl_add_u64 v[6:7], s[0:1], 0, v[10:11]
	v_lshl_add_u64 v[16:17], v[8:9], 2, s[2:3]
	v_cndmask_b32_e32 v7, v17, v7, vcc
	v_cndmask_b32_e32 v6, v16, v6, vcc
	v_mov_b32_e32 v15, v9
	v_subrev_co_u32_e32 v8, vcc, s15, v14
	v_lshl_add_u64 v[16:17], v[14:15], 2, s[0:1]
	v_lshl_add_u64 v[18:19], v[8:9], 2, s[2:3]
	v_cndmask_b32_e32 v17, v19, v17, vcc
	v_cndmask_b32_e32 v16, v18, v16, vcc
	v_mov_b32_e32 v13, v9
	v_subrev_co_u32_e32 v8, vcc, s15, v12
	global_load_dword v6, v[6:7], off
	v_lshl_add_u64 v[18:19], v[8:9], 2, s[2:3]
	global_load_dword v7, v[16:17], off
	v_lshl_add_u64 v[16:17], v[12:13], 2, s[0:1]
	v_cndmask_b32_e32 v17, v19, v17, vcc
	v_cndmask_b32_e32 v16, v18, v16, vcc
	global_load_dword v8, v[16:17], off
	s_add_i32 s10, s17, s15
	v_add_u32_e32 v16, v12, v1
	s_mov_b64 s[4:5], -1
	v_mov_b32_e32 v11, s10
	s_cbranch_execz .LBB917_14
	s_branch .LBB917_19
.LBB917_13:
	s_mov_b64 s[4:5], 0
                                        ; implicit-def: $vgpr16
                                        ; implicit-def: $vgpr6_vgpr7_vgpr8_vgpr9
                                        ; implicit-def: $vgpr11
.LBB917_14:
	s_add_i32 s6, s17, s15
	s_waitcnt vmcnt(2)
	v_mov_b32_e32 v6, 0
	v_cmp_gt_u32_e32 vcc, s6, v0
	s_waitcnt vmcnt(1)
	v_mov_b32_e32 v7, v6
	s_waitcnt vmcnt(0)
	v_mov_b32_e32 v8, v6
	v_mov_b32_e32 v9, v6
	s_and_saveexec_b64 s[4:5], vcc
	s_cbranch_execnz .LBB917_49
; %bb.15:
	s_or_b64 exec, exec, s[4:5]
	v_cmp_gt_u32_e32 vcc, s6, v14
	s_and_saveexec_b64 s[4:5], vcc
	s_cbranch_execnz .LBB917_50
.LBB917_16:
	s_or_b64 exec, exec, s[4:5]
	v_cmp_gt_u32_e32 vcc, s6, v12
	s_and_saveexec_b64 s[4:5], vcc
	s_cbranch_execz .LBB917_18
.LBB917_17:
	v_mov_b32_e32 v13, 0
	v_subrev_co_u32_e32 v16, vcc, s15, v12
	v_mov_b32_e32 v17, v13
	v_lshl_add_u64 v[14:15], v[12:13], 2, s[0:1]
	v_lshl_add_u64 v[16:17], v[16:17], 2, s[2:3]
	v_cndmask_b32_e32 v15, v17, v15, vcc
	v_cndmask_b32_e32 v14, v16, v14, vcc
	global_load_dword v8, v[14:15], off
.LBB917_18:
	s_or_b64 exec, exec, s[4:5]
	v_add_u32_e32 v16, v12, v1
	v_cmp_gt_u32_e64 s[4:5], s6, v16
	v_mov_b32_e32 v11, s6
.LBB917_19:
	s_and_saveexec_b64 s[6:7], s[4:5]
	s_cbranch_execz .LBB917_21
; %bb.20:
	v_mov_b32_e32 v13, 0
	v_mov_b32_e32 v17, v13
	v_subrev_co_u32_e32 v12, vcc, s15, v16
	v_lshl_add_u64 v[14:15], v[16:17], 2, s[0:1]
	v_lshl_add_u64 v[12:13], v[12:13], 2, s[2:3]
	v_cndmask_b32_e32 v13, v13, v15, vcc
	v_cndmask_b32_e32 v12, v12, v14, vcc
	global_load_dword v9, v[12:13], off
.LBB917_21:
	s_or_b64 exec, exec, s[6:7]
	v_min_u32_e32 v12, v11, v10
	v_sub_u32_e64 v1, v12, s17 clamp
	v_min_u32_e32 v13, s15, v12
	v_cmp_lt_u32_e32 vcc, v1, v13
	s_waitcnt lgkmcnt(0)
	s_barrier
	s_and_saveexec_b64 s[0:1], vcc
	s_cbranch_execz .LBB917_25
; %bb.22:
	v_lshlrev_b32_e32 v14, 2, v12
	v_lshl_add_u32 v14, s15, 2, v14
	s_mov_b64 s[2:3], 0
.LBB917_23:                             ; =>This Inner Loop Header: Depth=1
	v_add_u32_e32 v15, v13, v1
	v_lshrrev_b32_e32 v15, 1, v15
	v_not_b32_e32 v16, v15
	v_lshlrev_b32_e32 v17, 2, v15
	v_lshl_add_u32 v16, v16, 2, v14
	ds_read_b32 v17, v17
	ds_read_b32 v16, v16
	v_add_u32_e32 v18, 1, v15
	s_waitcnt lgkmcnt(0)
	v_cmp_gt_i32_e32 vcc, v16, v17
	s_nop 1
	v_cndmask_b32_e32 v13, v13, v15, vcc
	v_cndmask_b32_e32 v1, v18, v1, vcc
	v_cmp_ge_u32_e32 vcc, v1, v13
	s_or_b64 s[2:3], vcc, s[2:3]
	s_andn2_b64 exec, exec, s[2:3]
	s_cbranch_execnz .LBB917_23
; %bb.24:
	s_or_b64 exec, exec, s[2:3]
.LBB917_25:
	s_or_b64 exec, exec, s[0:1]
	v_sub_u32_e32 v12, v12, v1
	v_add_u32_e32 v15, s15, v12
	v_cmp_ge_u32_e32 vcc, s15, v1
	v_cmp_le_u32_e64 s[0:1], v15, v11
	s_or_b64 s[0:1], vcc, s[0:1]
	v_mov_b32_e32 v16, 0
	v_mov_b32_e32 v14, 0
	;; [unrolled: 1-line block ×4, first 2 shown]
	s_and_saveexec_b64 s[10:11], s[0:1]
	s_cbranch_execz .LBB917_31
; %bb.26:
	v_cmp_gt_u32_e32 vcc, s15, v1
                                        ; implicit-def: $vgpr2
	s_and_saveexec_b64 s[0:1], vcc
; %bb.27:
	v_lshlrev_b32_e32 v2, 2, v1
	ds_read_b32 v2, v2
; %bb.28:
	s_or_b64 exec, exec, s[0:1]
	v_cmp_ge_u32_e64 s[0:1], v15, v11
	v_cmp_lt_u32_e64 s[2:3], v15, v11
                                        ; implicit-def: $vgpr3
	s_and_saveexec_b64 s[4:5], s[2:3]
; %bb.29:
	v_lshlrev_b32_e32 v3, 2, v15
	ds_read_b32 v3, v3
; %bb.30:
	s_or_b64 exec, exec, s[4:5]
	s_waitcnt lgkmcnt(0)
	v_cmp_le_i32_e64 s[2:3], v3, v2
	s_and_b64 s[2:3], vcc, s[2:3]
	s_or_b64 vcc, s[0:1], s[2:3]
	v_mov_b32_e32 v4, s15
	v_cndmask_b32_e32 v12, v15, v1, vcc
	v_cndmask_b32_e32 v5, v11, v4, vcc
	v_add_u32_e32 v13, 1, v12
	v_add_u32_e32 v5, -1, v5
	v_min_u32_e32 v5, v13, v5
	v_lshlrev_b32_e32 v5, 2, v5
	ds_read_b32 v5, v5
	v_cndmask_b32_e32 v1, v1, v13, vcc
	v_cndmask_b32_e32 v14, v13, v15, vcc
	v_cmp_gt_u32_e64 s[2:3], s15, v1
	v_cmp_ge_u32_e64 s[0:1], v14, v11
	s_waitcnt lgkmcnt(0)
	v_cndmask_b32_e32 v16, v5, v3, vcc
	v_cndmask_b32_e32 v5, v2, v5, vcc
	v_cmp_le_i32_e64 s[4:5], v16, v5
	s_and_b64 s[2:3], s[2:3], s[4:5]
	s_or_b64 s[0:1], s[0:1], s[2:3]
	v_cndmask_b32_e64 v13, v14, v1, s[0:1]
	v_cndmask_b32_e64 v15, v11, v4, s[0:1]
	v_add_u32_e32 v17, 1, v13
	v_add_u32_e32 v15, -1, v15
	v_min_u32_e32 v15, v17, v15
	v_lshlrev_b32_e32 v15, 2, v15
	ds_read_b32 v15, v15
	v_cndmask_b32_e64 v1, v1, v17, s[0:1]
	v_cndmask_b32_e64 v19, v17, v14, s[0:1]
	v_cmp_gt_u32_e64 s[4:5], s15, v1
	v_cmp_ge_u32_e64 s[2:3], v19, v11
	s_waitcnt lgkmcnt(0)
	v_cndmask_b32_e64 v18, v15, v16, s[0:1]
	v_cndmask_b32_e64 v15, v5, v15, s[0:1]
	v_cmp_le_i32_e64 s[6:7], v18, v15
	s_and_b64 s[4:5], s[4:5], s[6:7]
	s_or_b64 s[2:3], s[2:3], s[4:5]
	v_cndmask_b32_e64 v14, v19, v1, s[2:3]
	v_cndmask_b32_e64 v4, v11, v4, s[2:3]
	v_add_u32_e32 v17, 1, v14
	v_add_u32_e32 v4, -1, v4
	v_min_u32_e32 v4, v17, v4
	v_lshlrev_b32_e32 v4, 2, v4
	ds_read_b32 v20, v4
	v_cndmask_b32_e32 v2, v3, v2, vcc
	v_cndmask_b32_e64 v3, v16, v5, s[0:1]
	v_cndmask_b32_e64 v4, v18, v15, s[2:3]
	;; [unrolled: 1-line block ×3, first 2 shown]
	s_waitcnt lgkmcnt(0)
	v_cndmask_b32_e64 v5, v20, v18, s[2:3]
	v_cndmask_b32_e64 v15, v15, v20, s[2:3]
	;; [unrolled: 1-line block ×3, first 2 shown]
	v_cmp_gt_u32_e64 s[0:1], s15, v1
	v_cmp_le_i32_e64 s[2:3], v5, v15
	v_cmp_ge_u32_e32 vcc, v16, v11
	s_and_b64 s[0:1], s[0:1], s[2:3]
	s_or_b64 vcc, vcc, s[0:1]
	v_cndmask_b32_e32 v16, v16, v1, vcc
	v_cndmask_b32_e32 v5, v5, v15, vcc
.LBB917_31:
	s_or_b64 exec, exec, s[10:11]
	s_barrier
	s_waitcnt vmcnt(0)
	ds_write2st64_b32 v10, v6, v7 offset1:4
	ds_write2st64_b32 v10, v8, v9 offset0:8 offset1:12
	v_lshrrev_b32_e32 v11, 3, v0
	v_lshlrev_b32_e32 v9, 2, v10
	v_lshlrev_b32_e32 v1, 2, v12
	;; [unrolled: 1-line block ×5, first 2 shown]
	v_lshl_add_u32 v9, v11, 2, v9
	s_waitcnt lgkmcnt(0)
	s_barrier
	ds_read_b32 v1, v1
	ds_read_b32 v6, v6
	;; [unrolled: 1-line block ×4, first 2 shown]
	s_waitcnt lgkmcnt(0)
	s_barrier
	s_barrier
	ds_write2_b32 v9, v2, v3 offset1:1
	ds_write2_b32 v9, v4, v5 offset0:2 offset1:3
	v_and_b32_e32 v2, 28, v11
	v_or_b32_e32 v16, 0x100, v0
	v_add_u32_e32 v4, v2, v10
	v_lshrrev_b32_e32 v2, 3, v16
	v_and_b32_e32 v2, 60, v2
	v_or_b32_e32 v15, 0x200, v0
	s_mov_b32 s17, 0
	v_add_u32_e32 v5, v2, v10
	v_lshrrev_b32_e32 v2, 3, v15
	s_lshl_b64 s[4:5], s[16:17], 2
	v_and_b32_e32 v2, 0x5c, v2
	v_or_b32_e32 v14, 0x300, v0
	s_add_u32 s0, s8, s4
	v_add_u32_e32 v12, v2, v10
	v_lshrrev_b32_e32 v2, 3, v14
	s_addc_u32 s1, s9, s5
	v_and_b32_e32 v2, 0x7c, v2
	v_mov_b32_e32 v11, 0
	v_add_u32_e32 v13, v2, v10
	v_lshl_add_u64 v[2:3], s[0:1], 0, v[10:11]
	s_and_b64 vcc, exec, s[18:19]
	s_waitcnt lgkmcnt(0)
	s_cbranch_vccz .LBB917_33
; %bb.32:
	s_barrier
	ds_read_b32 v11, v4
	ds_read_b32 v17, v5 offset:1024
	ds_read_b32 v18, v12 offset:2048
	;; [unrolled: 1-line block ×3, first 2 shown]
	s_add_u32 s0, s12, s4
	s_addc_u32 s1, s13, s5
	s_waitcnt lgkmcnt(3)
	global_store_dword v[2:3], v11, off
	s_waitcnt lgkmcnt(2)
	global_store_dword v[2:3], v17, off offset:1024
	s_waitcnt lgkmcnt(1)
	global_store_dword v[2:3], v18, off offset:2048
	;; [unrolled: 2-line block ×3, first 2 shown]
	s_barrier
	ds_write2_b32 v9, v1, v6 offset1:1
	ds_write2_b32 v9, v7, v8 offset0:2 offset1:3
	s_waitcnt lgkmcnt(0)
	s_barrier
	ds_read_b32 v11, v4
	ds_read_b32 v18, v5 offset:1024
	ds_read_b32 v19, v12 offset:2048
	;; [unrolled: 1-line block ×3, first 2 shown]
	s_waitcnt lgkmcnt(3)
	global_store_dword v10, v11, s[0:1]
	s_waitcnt lgkmcnt(2)
	global_store_dword v10, v18, s[0:1] offset:1024
	s_waitcnt lgkmcnt(1)
	global_store_dword v10, v19, s[0:1] offset:2048
	s_mov_b64 s[6:7], -1
	s_cbranch_execz .LBB917_34
	s_branch .LBB917_44
.LBB917_33:
	s_mov_b64 s[6:7], 0
                                        ; implicit-def: $vgpr17
.LBB917_34:
	s_barrier
	s_waitcnt lgkmcnt(0)
	ds_read_b32 v18, v5 offset:1024
	ds_read_b32 v17, v12 offset:2048
	;; [unrolled: 1-line block ×3, first 2 shown]
	s_sub_i32 s8, s14, s16
	v_cmp_gt_u32_e32 vcc, s8, v0
	s_and_saveexec_b64 s[0:1], vcc
	s_cbranch_execnz .LBB917_51
; %bb.35:
	s_or_b64 exec, exec, s[0:1]
	v_cmp_gt_u32_e64 s[0:1], s8, v16
	s_and_saveexec_b64 s[2:3], s[0:1]
	s_cbranch_execnz .LBB917_52
.LBB917_36:
	s_or_b64 exec, exec, s[2:3]
	v_cmp_gt_u32_e64 s[2:3], s8, v15
	s_and_saveexec_b64 s[6:7], s[2:3]
	s_cbranch_execnz .LBB917_53
.LBB917_37:
	s_or_b64 exec, exec, s[6:7]
	v_cmp_gt_u32_e64 s[6:7], s8, v14
	s_and_saveexec_b64 s[8:9], s[6:7]
	s_cbranch_execz .LBB917_39
.LBB917_38:
	s_waitcnt lgkmcnt(0)
	global_store_dword v[2:3], v11, off offset:3072
.LBB917_39:
	s_or_b64 exec, exec, s[8:9]
	s_waitcnt lgkmcnt(0)
	s_barrier
	ds_write2_b32 v9, v1, v6 offset1:1
	ds_write2_b32 v9, v7, v8 offset0:2 offset1:3
	s_waitcnt lgkmcnt(0)
	s_barrier
	ds_read_b32 v3, v5 offset:1024
	ds_read_b32 v2, v12 offset:2048
	;; [unrolled: 1-line block ×3, first 2 shown]
	s_add_u32 s8, s12, s4
	s_addc_u32 s9, s13, s5
	v_mov_b32_e32 v11, 0
	v_lshl_add_u64 v[0:1], s[8:9], 0, v[10:11]
	s_and_saveexec_b64 s[8:9], vcc
	s_cbranch_execnz .LBB917_54
; %bb.40:
	s_or_b64 exec, exec, s[8:9]
	s_and_saveexec_b64 s[8:9], s[0:1]
	s_cbranch_execnz .LBB917_55
.LBB917_41:
	s_or_b64 exec, exec, s[8:9]
	s_and_saveexec_b64 s[0:1], s[2:3]
	s_cbranch_execz .LBB917_43
.LBB917_42:
	s_waitcnt lgkmcnt(1)
	global_store_dword v[0:1], v2, off offset:2048
.LBB917_43:
	s_or_b64 exec, exec, s[0:1]
.LBB917_44:
	s_and_saveexec_b64 s[0:1], s[6:7]
	s_cbranch_execz .LBB917_46
; %bb.45:
	s_add_u32 s0, s12, s4
	s_addc_u32 s1, s13, s5
	s_waitcnt lgkmcnt(0)
	global_store_dword v10, v17, s[0:1] offset:3072
.LBB917_46:
	s_endpgm
.LBB917_47:
	v_mov_b32_e32 v11, v2
	v_subrev_co_u32_e32 v6, vcc, s15, v0
	v_mov_b32_e32 v7, v2
	v_lshl_add_u64 v[4:5], s[6:7], 0, v[10:11]
	v_lshl_add_u64 v[6:7], v[6:7], 2, s[20:21]
	v_cndmask_b32_e32 v5, v7, v5, vcc
	v_cndmask_b32_e32 v4, v6, v4, vcc
	global_load_dword v4, v[4:5], off
	v_mov_b32_e32 v5, v2
	v_mov_b32_e32 v6, v2
	;; [unrolled: 1-line block ×3, first 2 shown]
	s_waitcnt vmcnt(0)
	v_mov_b64_e32 v[2:3], v[4:5]
	v_mov_b64_e32 v[4:5], v[6:7]
	s_or_b64 exec, exec, s[2:3]
	v_cmp_gt_u32_e32 vcc, s22, v14
	s_and_saveexec_b64 s[2:3], vcc
	s_cbranch_execz .LBB917_6
.LBB917_48:
	v_mov_b32_e32 v15, 0
	v_subrev_co_u32_e32 v8, vcc, s15, v14
	v_mov_b32_e32 v9, v15
	v_lshl_add_u64 v[6:7], v[14:15], 2, s[6:7]
	v_lshl_add_u64 v[8:9], v[8:9], 2, s[20:21]
	v_cndmask_b32_e32 v7, v9, v7, vcc
	v_cndmask_b32_e32 v6, v8, v6, vcc
	global_load_dword v3, v[6:7], off
	s_or_b64 exec, exec, s[2:3]
	v_cmp_gt_u32_e32 vcc, s22, v12
	s_and_saveexec_b64 s[2:3], vcc
	s_cbranch_execnz .LBB917_7
	s_branch .LBB917_8
.LBB917_49:
	v_mov_b32_e32 v11, v6
	v_subrev_co_u32_e32 v16, vcc, s15, v0
	v_mov_b32_e32 v17, v6
	v_lshl_add_u64 v[8:9], s[0:1], 0, v[10:11]
	v_lshl_add_u64 v[16:17], v[16:17], 2, s[2:3]
	v_cndmask_b32_e32 v9, v17, v9, vcc
	v_cndmask_b32_e32 v8, v16, v8, vcc
	global_load_dword v16, v[8:9], off
	v_mov_b32_e32 v17, v6
	v_mov_b32_e32 v18, v6
	;; [unrolled: 1-line block ×3, first 2 shown]
	s_waitcnt vmcnt(0)
	v_mov_b64_e32 v[6:7], v[16:17]
	v_mov_b64_e32 v[8:9], v[18:19]
	s_or_b64 exec, exec, s[4:5]
	v_cmp_gt_u32_e32 vcc, s6, v14
	s_and_saveexec_b64 s[4:5], vcc
	s_cbranch_execz .LBB917_16
.LBB917_50:
	v_mov_b32_e32 v15, 0
	v_lshl_add_u64 v[16:17], v[14:15], 2, s[0:1]
	v_subrev_co_u32_e32 v14, vcc, s15, v14
	v_lshl_add_u64 v[14:15], v[14:15], 2, s[2:3]
	s_nop 0
	v_cndmask_b32_e32 v15, v15, v17, vcc
	v_cndmask_b32_e32 v14, v14, v16, vcc
	global_load_dword v7, v[14:15], off
	s_or_b64 exec, exec, s[4:5]
	v_cmp_gt_u32_e32 vcc, s6, v12
	s_and_saveexec_b64 s[4:5], vcc
	s_cbranch_execnz .LBB917_17
	s_branch .LBB917_18
.LBB917_51:
	ds_read_b32 v0, v4
	s_waitcnt lgkmcnt(0)
	global_store_dword v[2:3], v0, off
	s_or_b64 exec, exec, s[0:1]
	v_cmp_gt_u32_e64 s[0:1], s8, v16
	s_and_saveexec_b64 s[2:3], s[0:1]
	s_cbranch_execz .LBB917_36
.LBB917_52:
	s_waitcnt lgkmcnt(2)
	global_store_dword v[2:3], v18, off offset:1024
	s_or_b64 exec, exec, s[2:3]
	v_cmp_gt_u32_e64 s[2:3], s8, v15
	s_and_saveexec_b64 s[6:7], s[2:3]
	s_cbranch_execz .LBB917_37
.LBB917_53:
	s_waitcnt lgkmcnt(1)
	global_store_dword v[2:3], v17, off offset:2048
	s_or_b64 exec, exec, s[6:7]
	v_cmp_gt_u32_e64 s[6:7], s8, v14
	s_and_saveexec_b64 s[8:9], s[6:7]
	s_cbranch_execnz .LBB917_38
	s_branch .LBB917_39
.LBB917_54:
	ds_read_b32 v4, v4
	s_waitcnt lgkmcnt(0)
	global_store_dword v[0:1], v4, off
	s_or_b64 exec, exec, s[8:9]
	s_and_saveexec_b64 s[8:9], s[0:1]
	s_cbranch_execz .LBB917_41
.LBB917_55:
	s_waitcnt lgkmcnt(2)
	global_store_dword v[0:1], v3, off offset:1024
	s_or_b64 exec, exec, s[8:9]
	s_and_saveexec_b64 s[0:1], s[2:3]
	s_cbranch_execnz .LBB917_42
	s_branch .LBB917_43
	.section	.rodata,"a",@progbits
	.p2align	6, 0x0
	.amdhsa_kernel _ZN7rocprim17ROCPRIM_400000_NS6detail17trampoline_kernelINS0_14default_configENS1_38merge_sort_block_merge_config_selectorIiiEEZZNS1_27merge_sort_block_merge_implIS3_N6thrust23THRUST_200600_302600_NS6detail15normal_iteratorINS8_10device_ptrIiEEEESD_jNS1_19radix_merge_compareILb1ELb0EiNS0_19identity_decomposerEEEEE10hipError_tT0_T1_T2_jT3_P12ihipStream_tbPNSt15iterator_traitsISI_E10value_typeEPNSO_ISJ_E10value_typeEPSK_NS1_7vsmem_tEENKUlT_SI_SJ_SK_E_clISD_PiSD_S10_EESH_SX_SI_SJ_SK_EUlSX_E0_NS1_11comp_targetILNS1_3genE0ELNS1_11target_archE4294967295ELNS1_3gpuE0ELNS1_3repE0EEENS1_38merge_mergepath_config_static_selectorELNS0_4arch9wavefront6targetE1EEEvSJ_
		.amdhsa_group_segment_fixed_size 4224
		.amdhsa_private_segment_fixed_size 0
		.amdhsa_kernarg_size 320
		.amdhsa_user_sgpr_count 2
		.amdhsa_user_sgpr_dispatch_ptr 0
		.amdhsa_user_sgpr_queue_ptr 0
		.amdhsa_user_sgpr_kernarg_segment_ptr 1
		.amdhsa_user_sgpr_dispatch_id 0
		.amdhsa_user_sgpr_kernarg_preload_length 0
		.amdhsa_user_sgpr_kernarg_preload_offset 0
		.amdhsa_user_sgpr_private_segment_size 0
		.amdhsa_uses_dynamic_stack 0
		.amdhsa_enable_private_segment 0
		.amdhsa_system_sgpr_workgroup_id_x 1
		.amdhsa_system_sgpr_workgroup_id_y 1
		.amdhsa_system_sgpr_workgroup_id_z 1
		.amdhsa_system_sgpr_workgroup_info 0
		.amdhsa_system_vgpr_workitem_id 0
		.amdhsa_next_free_vgpr 21
		.amdhsa_next_free_sgpr 30
		.amdhsa_accum_offset 24
		.amdhsa_reserve_vcc 1
		.amdhsa_float_round_mode_32 0
		.amdhsa_float_round_mode_16_64 0
		.amdhsa_float_denorm_mode_32 3
		.amdhsa_float_denorm_mode_16_64 3
		.amdhsa_dx10_clamp 1
		.amdhsa_ieee_mode 1
		.amdhsa_fp16_overflow 0
		.amdhsa_tg_split 0
		.amdhsa_exception_fp_ieee_invalid_op 0
		.amdhsa_exception_fp_denorm_src 0
		.amdhsa_exception_fp_ieee_div_zero 0
		.amdhsa_exception_fp_ieee_overflow 0
		.amdhsa_exception_fp_ieee_underflow 0
		.amdhsa_exception_fp_ieee_inexact 0
		.amdhsa_exception_int_div_zero 0
	.end_amdhsa_kernel
	.section	.text._ZN7rocprim17ROCPRIM_400000_NS6detail17trampoline_kernelINS0_14default_configENS1_38merge_sort_block_merge_config_selectorIiiEEZZNS1_27merge_sort_block_merge_implIS3_N6thrust23THRUST_200600_302600_NS6detail15normal_iteratorINS8_10device_ptrIiEEEESD_jNS1_19radix_merge_compareILb1ELb0EiNS0_19identity_decomposerEEEEE10hipError_tT0_T1_T2_jT3_P12ihipStream_tbPNSt15iterator_traitsISI_E10value_typeEPNSO_ISJ_E10value_typeEPSK_NS1_7vsmem_tEENKUlT_SI_SJ_SK_E_clISD_PiSD_S10_EESH_SX_SI_SJ_SK_EUlSX_E0_NS1_11comp_targetILNS1_3genE0ELNS1_11target_archE4294967295ELNS1_3gpuE0ELNS1_3repE0EEENS1_38merge_mergepath_config_static_selectorELNS0_4arch9wavefront6targetE1EEEvSJ_,"axG",@progbits,_ZN7rocprim17ROCPRIM_400000_NS6detail17trampoline_kernelINS0_14default_configENS1_38merge_sort_block_merge_config_selectorIiiEEZZNS1_27merge_sort_block_merge_implIS3_N6thrust23THRUST_200600_302600_NS6detail15normal_iteratorINS8_10device_ptrIiEEEESD_jNS1_19radix_merge_compareILb1ELb0EiNS0_19identity_decomposerEEEEE10hipError_tT0_T1_T2_jT3_P12ihipStream_tbPNSt15iterator_traitsISI_E10value_typeEPNSO_ISJ_E10value_typeEPSK_NS1_7vsmem_tEENKUlT_SI_SJ_SK_E_clISD_PiSD_S10_EESH_SX_SI_SJ_SK_EUlSX_E0_NS1_11comp_targetILNS1_3genE0ELNS1_11target_archE4294967295ELNS1_3gpuE0ELNS1_3repE0EEENS1_38merge_mergepath_config_static_selectorELNS0_4arch9wavefront6targetE1EEEvSJ_,comdat
.Lfunc_end917:
	.size	_ZN7rocprim17ROCPRIM_400000_NS6detail17trampoline_kernelINS0_14default_configENS1_38merge_sort_block_merge_config_selectorIiiEEZZNS1_27merge_sort_block_merge_implIS3_N6thrust23THRUST_200600_302600_NS6detail15normal_iteratorINS8_10device_ptrIiEEEESD_jNS1_19radix_merge_compareILb1ELb0EiNS0_19identity_decomposerEEEEE10hipError_tT0_T1_T2_jT3_P12ihipStream_tbPNSt15iterator_traitsISI_E10value_typeEPNSO_ISJ_E10value_typeEPSK_NS1_7vsmem_tEENKUlT_SI_SJ_SK_E_clISD_PiSD_S10_EESH_SX_SI_SJ_SK_EUlSX_E0_NS1_11comp_targetILNS1_3genE0ELNS1_11target_archE4294967295ELNS1_3gpuE0ELNS1_3repE0EEENS1_38merge_mergepath_config_static_selectorELNS0_4arch9wavefront6targetE1EEEvSJ_, .Lfunc_end917-_ZN7rocprim17ROCPRIM_400000_NS6detail17trampoline_kernelINS0_14default_configENS1_38merge_sort_block_merge_config_selectorIiiEEZZNS1_27merge_sort_block_merge_implIS3_N6thrust23THRUST_200600_302600_NS6detail15normal_iteratorINS8_10device_ptrIiEEEESD_jNS1_19radix_merge_compareILb1ELb0EiNS0_19identity_decomposerEEEEE10hipError_tT0_T1_T2_jT3_P12ihipStream_tbPNSt15iterator_traitsISI_E10value_typeEPNSO_ISJ_E10value_typeEPSK_NS1_7vsmem_tEENKUlT_SI_SJ_SK_E_clISD_PiSD_S10_EESH_SX_SI_SJ_SK_EUlSX_E0_NS1_11comp_targetILNS1_3genE0ELNS1_11target_archE4294967295ELNS1_3gpuE0ELNS1_3repE0EEENS1_38merge_mergepath_config_static_selectorELNS0_4arch9wavefront6targetE1EEEvSJ_
                                        ; -- End function
	.set _ZN7rocprim17ROCPRIM_400000_NS6detail17trampoline_kernelINS0_14default_configENS1_38merge_sort_block_merge_config_selectorIiiEEZZNS1_27merge_sort_block_merge_implIS3_N6thrust23THRUST_200600_302600_NS6detail15normal_iteratorINS8_10device_ptrIiEEEESD_jNS1_19radix_merge_compareILb1ELb0EiNS0_19identity_decomposerEEEEE10hipError_tT0_T1_T2_jT3_P12ihipStream_tbPNSt15iterator_traitsISI_E10value_typeEPNSO_ISJ_E10value_typeEPSK_NS1_7vsmem_tEENKUlT_SI_SJ_SK_E_clISD_PiSD_S10_EESH_SX_SI_SJ_SK_EUlSX_E0_NS1_11comp_targetILNS1_3genE0ELNS1_11target_archE4294967295ELNS1_3gpuE0ELNS1_3repE0EEENS1_38merge_mergepath_config_static_selectorELNS0_4arch9wavefront6targetE1EEEvSJ_.num_vgpr, 21
	.set _ZN7rocprim17ROCPRIM_400000_NS6detail17trampoline_kernelINS0_14default_configENS1_38merge_sort_block_merge_config_selectorIiiEEZZNS1_27merge_sort_block_merge_implIS3_N6thrust23THRUST_200600_302600_NS6detail15normal_iteratorINS8_10device_ptrIiEEEESD_jNS1_19radix_merge_compareILb1ELb0EiNS0_19identity_decomposerEEEEE10hipError_tT0_T1_T2_jT3_P12ihipStream_tbPNSt15iterator_traitsISI_E10value_typeEPNSO_ISJ_E10value_typeEPSK_NS1_7vsmem_tEENKUlT_SI_SJ_SK_E_clISD_PiSD_S10_EESH_SX_SI_SJ_SK_EUlSX_E0_NS1_11comp_targetILNS1_3genE0ELNS1_11target_archE4294967295ELNS1_3gpuE0ELNS1_3repE0EEENS1_38merge_mergepath_config_static_selectorELNS0_4arch9wavefront6targetE1EEEvSJ_.num_agpr, 0
	.set _ZN7rocprim17ROCPRIM_400000_NS6detail17trampoline_kernelINS0_14default_configENS1_38merge_sort_block_merge_config_selectorIiiEEZZNS1_27merge_sort_block_merge_implIS3_N6thrust23THRUST_200600_302600_NS6detail15normal_iteratorINS8_10device_ptrIiEEEESD_jNS1_19radix_merge_compareILb1ELb0EiNS0_19identity_decomposerEEEEE10hipError_tT0_T1_T2_jT3_P12ihipStream_tbPNSt15iterator_traitsISI_E10value_typeEPNSO_ISJ_E10value_typeEPSK_NS1_7vsmem_tEENKUlT_SI_SJ_SK_E_clISD_PiSD_S10_EESH_SX_SI_SJ_SK_EUlSX_E0_NS1_11comp_targetILNS1_3genE0ELNS1_11target_archE4294967295ELNS1_3gpuE0ELNS1_3repE0EEENS1_38merge_mergepath_config_static_selectorELNS0_4arch9wavefront6targetE1EEEvSJ_.numbered_sgpr, 30
	.set _ZN7rocprim17ROCPRIM_400000_NS6detail17trampoline_kernelINS0_14default_configENS1_38merge_sort_block_merge_config_selectorIiiEEZZNS1_27merge_sort_block_merge_implIS3_N6thrust23THRUST_200600_302600_NS6detail15normal_iteratorINS8_10device_ptrIiEEEESD_jNS1_19radix_merge_compareILb1ELb0EiNS0_19identity_decomposerEEEEE10hipError_tT0_T1_T2_jT3_P12ihipStream_tbPNSt15iterator_traitsISI_E10value_typeEPNSO_ISJ_E10value_typeEPSK_NS1_7vsmem_tEENKUlT_SI_SJ_SK_E_clISD_PiSD_S10_EESH_SX_SI_SJ_SK_EUlSX_E0_NS1_11comp_targetILNS1_3genE0ELNS1_11target_archE4294967295ELNS1_3gpuE0ELNS1_3repE0EEENS1_38merge_mergepath_config_static_selectorELNS0_4arch9wavefront6targetE1EEEvSJ_.num_named_barrier, 0
	.set _ZN7rocprim17ROCPRIM_400000_NS6detail17trampoline_kernelINS0_14default_configENS1_38merge_sort_block_merge_config_selectorIiiEEZZNS1_27merge_sort_block_merge_implIS3_N6thrust23THRUST_200600_302600_NS6detail15normal_iteratorINS8_10device_ptrIiEEEESD_jNS1_19radix_merge_compareILb1ELb0EiNS0_19identity_decomposerEEEEE10hipError_tT0_T1_T2_jT3_P12ihipStream_tbPNSt15iterator_traitsISI_E10value_typeEPNSO_ISJ_E10value_typeEPSK_NS1_7vsmem_tEENKUlT_SI_SJ_SK_E_clISD_PiSD_S10_EESH_SX_SI_SJ_SK_EUlSX_E0_NS1_11comp_targetILNS1_3genE0ELNS1_11target_archE4294967295ELNS1_3gpuE0ELNS1_3repE0EEENS1_38merge_mergepath_config_static_selectorELNS0_4arch9wavefront6targetE1EEEvSJ_.private_seg_size, 0
	.set _ZN7rocprim17ROCPRIM_400000_NS6detail17trampoline_kernelINS0_14default_configENS1_38merge_sort_block_merge_config_selectorIiiEEZZNS1_27merge_sort_block_merge_implIS3_N6thrust23THRUST_200600_302600_NS6detail15normal_iteratorINS8_10device_ptrIiEEEESD_jNS1_19radix_merge_compareILb1ELb0EiNS0_19identity_decomposerEEEEE10hipError_tT0_T1_T2_jT3_P12ihipStream_tbPNSt15iterator_traitsISI_E10value_typeEPNSO_ISJ_E10value_typeEPSK_NS1_7vsmem_tEENKUlT_SI_SJ_SK_E_clISD_PiSD_S10_EESH_SX_SI_SJ_SK_EUlSX_E0_NS1_11comp_targetILNS1_3genE0ELNS1_11target_archE4294967295ELNS1_3gpuE0ELNS1_3repE0EEENS1_38merge_mergepath_config_static_selectorELNS0_4arch9wavefront6targetE1EEEvSJ_.uses_vcc, 1
	.set _ZN7rocprim17ROCPRIM_400000_NS6detail17trampoline_kernelINS0_14default_configENS1_38merge_sort_block_merge_config_selectorIiiEEZZNS1_27merge_sort_block_merge_implIS3_N6thrust23THRUST_200600_302600_NS6detail15normal_iteratorINS8_10device_ptrIiEEEESD_jNS1_19radix_merge_compareILb1ELb0EiNS0_19identity_decomposerEEEEE10hipError_tT0_T1_T2_jT3_P12ihipStream_tbPNSt15iterator_traitsISI_E10value_typeEPNSO_ISJ_E10value_typeEPSK_NS1_7vsmem_tEENKUlT_SI_SJ_SK_E_clISD_PiSD_S10_EESH_SX_SI_SJ_SK_EUlSX_E0_NS1_11comp_targetILNS1_3genE0ELNS1_11target_archE4294967295ELNS1_3gpuE0ELNS1_3repE0EEENS1_38merge_mergepath_config_static_selectorELNS0_4arch9wavefront6targetE1EEEvSJ_.uses_flat_scratch, 0
	.set _ZN7rocprim17ROCPRIM_400000_NS6detail17trampoline_kernelINS0_14default_configENS1_38merge_sort_block_merge_config_selectorIiiEEZZNS1_27merge_sort_block_merge_implIS3_N6thrust23THRUST_200600_302600_NS6detail15normal_iteratorINS8_10device_ptrIiEEEESD_jNS1_19radix_merge_compareILb1ELb0EiNS0_19identity_decomposerEEEEE10hipError_tT0_T1_T2_jT3_P12ihipStream_tbPNSt15iterator_traitsISI_E10value_typeEPNSO_ISJ_E10value_typeEPSK_NS1_7vsmem_tEENKUlT_SI_SJ_SK_E_clISD_PiSD_S10_EESH_SX_SI_SJ_SK_EUlSX_E0_NS1_11comp_targetILNS1_3genE0ELNS1_11target_archE4294967295ELNS1_3gpuE0ELNS1_3repE0EEENS1_38merge_mergepath_config_static_selectorELNS0_4arch9wavefront6targetE1EEEvSJ_.has_dyn_sized_stack, 0
	.set _ZN7rocprim17ROCPRIM_400000_NS6detail17trampoline_kernelINS0_14default_configENS1_38merge_sort_block_merge_config_selectorIiiEEZZNS1_27merge_sort_block_merge_implIS3_N6thrust23THRUST_200600_302600_NS6detail15normal_iteratorINS8_10device_ptrIiEEEESD_jNS1_19radix_merge_compareILb1ELb0EiNS0_19identity_decomposerEEEEE10hipError_tT0_T1_T2_jT3_P12ihipStream_tbPNSt15iterator_traitsISI_E10value_typeEPNSO_ISJ_E10value_typeEPSK_NS1_7vsmem_tEENKUlT_SI_SJ_SK_E_clISD_PiSD_S10_EESH_SX_SI_SJ_SK_EUlSX_E0_NS1_11comp_targetILNS1_3genE0ELNS1_11target_archE4294967295ELNS1_3gpuE0ELNS1_3repE0EEENS1_38merge_mergepath_config_static_selectorELNS0_4arch9wavefront6targetE1EEEvSJ_.has_recursion, 0
	.set _ZN7rocprim17ROCPRIM_400000_NS6detail17trampoline_kernelINS0_14default_configENS1_38merge_sort_block_merge_config_selectorIiiEEZZNS1_27merge_sort_block_merge_implIS3_N6thrust23THRUST_200600_302600_NS6detail15normal_iteratorINS8_10device_ptrIiEEEESD_jNS1_19radix_merge_compareILb1ELb0EiNS0_19identity_decomposerEEEEE10hipError_tT0_T1_T2_jT3_P12ihipStream_tbPNSt15iterator_traitsISI_E10value_typeEPNSO_ISJ_E10value_typeEPSK_NS1_7vsmem_tEENKUlT_SI_SJ_SK_E_clISD_PiSD_S10_EESH_SX_SI_SJ_SK_EUlSX_E0_NS1_11comp_targetILNS1_3genE0ELNS1_11target_archE4294967295ELNS1_3gpuE0ELNS1_3repE0EEENS1_38merge_mergepath_config_static_selectorELNS0_4arch9wavefront6targetE1EEEvSJ_.has_indirect_call, 0
	.section	.AMDGPU.csdata,"",@progbits
; Kernel info:
; codeLenInByte = 2860
; TotalNumSgprs: 36
; NumVgprs: 21
; NumAgprs: 0
; TotalNumVgprs: 21
; ScratchSize: 0
; MemoryBound: 0
; FloatMode: 240
; IeeeMode: 1
; LDSByteSize: 4224 bytes/workgroup (compile time only)
; SGPRBlocks: 4
; VGPRBlocks: 2
; NumSGPRsForWavesPerEU: 36
; NumVGPRsForWavesPerEU: 21
; AccumOffset: 24
; Occupancy: 8
; WaveLimiterHint : 1
; COMPUTE_PGM_RSRC2:SCRATCH_EN: 0
; COMPUTE_PGM_RSRC2:USER_SGPR: 2
; COMPUTE_PGM_RSRC2:TRAP_HANDLER: 0
; COMPUTE_PGM_RSRC2:TGID_X_EN: 1
; COMPUTE_PGM_RSRC2:TGID_Y_EN: 1
; COMPUTE_PGM_RSRC2:TGID_Z_EN: 1
; COMPUTE_PGM_RSRC2:TIDIG_COMP_CNT: 0
; COMPUTE_PGM_RSRC3_GFX90A:ACCUM_OFFSET: 5
; COMPUTE_PGM_RSRC3_GFX90A:TG_SPLIT: 0
	.section	.text._ZN7rocprim17ROCPRIM_400000_NS6detail17trampoline_kernelINS0_14default_configENS1_38merge_sort_block_merge_config_selectorIiiEEZZNS1_27merge_sort_block_merge_implIS3_N6thrust23THRUST_200600_302600_NS6detail15normal_iteratorINS8_10device_ptrIiEEEESD_jNS1_19radix_merge_compareILb1ELb0EiNS0_19identity_decomposerEEEEE10hipError_tT0_T1_T2_jT3_P12ihipStream_tbPNSt15iterator_traitsISI_E10value_typeEPNSO_ISJ_E10value_typeEPSK_NS1_7vsmem_tEENKUlT_SI_SJ_SK_E_clISD_PiSD_S10_EESH_SX_SI_SJ_SK_EUlSX_E0_NS1_11comp_targetILNS1_3genE10ELNS1_11target_archE1201ELNS1_3gpuE5ELNS1_3repE0EEENS1_38merge_mergepath_config_static_selectorELNS0_4arch9wavefront6targetE1EEEvSJ_,"axG",@progbits,_ZN7rocprim17ROCPRIM_400000_NS6detail17trampoline_kernelINS0_14default_configENS1_38merge_sort_block_merge_config_selectorIiiEEZZNS1_27merge_sort_block_merge_implIS3_N6thrust23THRUST_200600_302600_NS6detail15normal_iteratorINS8_10device_ptrIiEEEESD_jNS1_19radix_merge_compareILb1ELb0EiNS0_19identity_decomposerEEEEE10hipError_tT0_T1_T2_jT3_P12ihipStream_tbPNSt15iterator_traitsISI_E10value_typeEPNSO_ISJ_E10value_typeEPSK_NS1_7vsmem_tEENKUlT_SI_SJ_SK_E_clISD_PiSD_S10_EESH_SX_SI_SJ_SK_EUlSX_E0_NS1_11comp_targetILNS1_3genE10ELNS1_11target_archE1201ELNS1_3gpuE5ELNS1_3repE0EEENS1_38merge_mergepath_config_static_selectorELNS0_4arch9wavefront6targetE1EEEvSJ_,comdat
	.protected	_ZN7rocprim17ROCPRIM_400000_NS6detail17trampoline_kernelINS0_14default_configENS1_38merge_sort_block_merge_config_selectorIiiEEZZNS1_27merge_sort_block_merge_implIS3_N6thrust23THRUST_200600_302600_NS6detail15normal_iteratorINS8_10device_ptrIiEEEESD_jNS1_19radix_merge_compareILb1ELb0EiNS0_19identity_decomposerEEEEE10hipError_tT0_T1_T2_jT3_P12ihipStream_tbPNSt15iterator_traitsISI_E10value_typeEPNSO_ISJ_E10value_typeEPSK_NS1_7vsmem_tEENKUlT_SI_SJ_SK_E_clISD_PiSD_S10_EESH_SX_SI_SJ_SK_EUlSX_E0_NS1_11comp_targetILNS1_3genE10ELNS1_11target_archE1201ELNS1_3gpuE5ELNS1_3repE0EEENS1_38merge_mergepath_config_static_selectorELNS0_4arch9wavefront6targetE1EEEvSJ_ ; -- Begin function _ZN7rocprim17ROCPRIM_400000_NS6detail17trampoline_kernelINS0_14default_configENS1_38merge_sort_block_merge_config_selectorIiiEEZZNS1_27merge_sort_block_merge_implIS3_N6thrust23THRUST_200600_302600_NS6detail15normal_iteratorINS8_10device_ptrIiEEEESD_jNS1_19radix_merge_compareILb1ELb0EiNS0_19identity_decomposerEEEEE10hipError_tT0_T1_T2_jT3_P12ihipStream_tbPNSt15iterator_traitsISI_E10value_typeEPNSO_ISJ_E10value_typeEPSK_NS1_7vsmem_tEENKUlT_SI_SJ_SK_E_clISD_PiSD_S10_EESH_SX_SI_SJ_SK_EUlSX_E0_NS1_11comp_targetILNS1_3genE10ELNS1_11target_archE1201ELNS1_3gpuE5ELNS1_3repE0EEENS1_38merge_mergepath_config_static_selectorELNS0_4arch9wavefront6targetE1EEEvSJ_
	.globl	_ZN7rocprim17ROCPRIM_400000_NS6detail17trampoline_kernelINS0_14default_configENS1_38merge_sort_block_merge_config_selectorIiiEEZZNS1_27merge_sort_block_merge_implIS3_N6thrust23THRUST_200600_302600_NS6detail15normal_iteratorINS8_10device_ptrIiEEEESD_jNS1_19radix_merge_compareILb1ELb0EiNS0_19identity_decomposerEEEEE10hipError_tT0_T1_T2_jT3_P12ihipStream_tbPNSt15iterator_traitsISI_E10value_typeEPNSO_ISJ_E10value_typeEPSK_NS1_7vsmem_tEENKUlT_SI_SJ_SK_E_clISD_PiSD_S10_EESH_SX_SI_SJ_SK_EUlSX_E0_NS1_11comp_targetILNS1_3genE10ELNS1_11target_archE1201ELNS1_3gpuE5ELNS1_3repE0EEENS1_38merge_mergepath_config_static_selectorELNS0_4arch9wavefront6targetE1EEEvSJ_
	.p2align	8
	.type	_ZN7rocprim17ROCPRIM_400000_NS6detail17trampoline_kernelINS0_14default_configENS1_38merge_sort_block_merge_config_selectorIiiEEZZNS1_27merge_sort_block_merge_implIS3_N6thrust23THRUST_200600_302600_NS6detail15normal_iteratorINS8_10device_ptrIiEEEESD_jNS1_19radix_merge_compareILb1ELb0EiNS0_19identity_decomposerEEEEE10hipError_tT0_T1_T2_jT3_P12ihipStream_tbPNSt15iterator_traitsISI_E10value_typeEPNSO_ISJ_E10value_typeEPSK_NS1_7vsmem_tEENKUlT_SI_SJ_SK_E_clISD_PiSD_S10_EESH_SX_SI_SJ_SK_EUlSX_E0_NS1_11comp_targetILNS1_3genE10ELNS1_11target_archE1201ELNS1_3gpuE5ELNS1_3repE0EEENS1_38merge_mergepath_config_static_selectorELNS0_4arch9wavefront6targetE1EEEvSJ_,@function
_ZN7rocprim17ROCPRIM_400000_NS6detail17trampoline_kernelINS0_14default_configENS1_38merge_sort_block_merge_config_selectorIiiEEZZNS1_27merge_sort_block_merge_implIS3_N6thrust23THRUST_200600_302600_NS6detail15normal_iteratorINS8_10device_ptrIiEEEESD_jNS1_19radix_merge_compareILb1ELb0EiNS0_19identity_decomposerEEEEE10hipError_tT0_T1_T2_jT3_P12ihipStream_tbPNSt15iterator_traitsISI_E10value_typeEPNSO_ISJ_E10value_typeEPSK_NS1_7vsmem_tEENKUlT_SI_SJ_SK_E_clISD_PiSD_S10_EESH_SX_SI_SJ_SK_EUlSX_E0_NS1_11comp_targetILNS1_3genE10ELNS1_11target_archE1201ELNS1_3gpuE5ELNS1_3repE0EEENS1_38merge_mergepath_config_static_selectorELNS0_4arch9wavefront6targetE1EEEvSJ_: ; @_ZN7rocprim17ROCPRIM_400000_NS6detail17trampoline_kernelINS0_14default_configENS1_38merge_sort_block_merge_config_selectorIiiEEZZNS1_27merge_sort_block_merge_implIS3_N6thrust23THRUST_200600_302600_NS6detail15normal_iteratorINS8_10device_ptrIiEEEESD_jNS1_19radix_merge_compareILb1ELb0EiNS0_19identity_decomposerEEEEE10hipError_tT0_T1_T2_jT3_P12ihipStream_tbPNSt15iterator_traitsISI_E10value_typeEPNSO_ISJ_E10value_typeEPSK_NS1_7vsmem_tEENKUlT_SI_SJ_SK_E_clISD_PiSD_S10_EESH_SX_SI_SJ_SK_EUlSX_E0_NS1_11comp_targetILNS1_3genE10ELNS1_11target_archE1201ELNS1_3gpuE5ELNS1_3repE0EEENS1_38merge_mergepath_config_static_selectorELNS0_4arch9wavefront6targetE1EEEvSJ_
; %bb.0:
	.section	.rodata,"a",@progbits
	.p2align	6, 0x0
	.amdhsa_kernel _ZN7rocprim17ROCPRIM_400000_NS6detail17trampoline_kernelINS0_14default_configENS1_38merge_sort_block_merge_config_selectorIiiEEZZNS1_27merge_sort_block_merge_implIS3_N6thrust23THRUST_200600_302600_NS6detail15normal_iteratorINS8_10device_ptrIiEEEESD_jNS1_19radix_merge_compareILb1ELb0EiNS0_19identity_decomposerEEEEE10hipError_tT0_T1_T2_jT3_P12ihipStream_tbPNSt15iterator_traitsISI_E10value_typeEPNSO_ISJ_E10value_typeEPSK_NS1_7vsmem_tEENKUlT_SI_SJ_SK_E_clISD_PiSD_S10_EESH_SX_SI_SJ_SK_EUlSX_E0_NS1_11comp_targetILNS1_3genE10ELNS1_11target_archE1201ELNS1_3gpuE5ELNS1_3repE0EEENS1_38merge_mergepath_config_static_selectorELNS0_4arch9wavefront6targetE1EEEvSJ_
		.amdhsa_group_segment_fixed_size 0
		.amdhsa_private_segment_fixed_size 0
		.amdhsa_kernarg_size 64
		.amdhsa_user_sgpr_count 2
		.amdhsa_user_sgpr_dispatch_ptr 0
		.amdhsa_user_sgpr_queue_ptr 0
		.amdhsa_user_sgpr_kernarg_segment_ptr 1
		.amdhsa_user_sgpr_dispatch_id 0
		.amdhsa_user_sgpr_kernarg_preload_length 0
		.amdhsa_user_sgpr_kernarg_preload_offset 0
		.amdhsa_user_sgpr_private_segment_size 0
		.amdhsa_uses_dynamic_stack 0
		.amdhsa_enable_private_segment 0
		.amdhsa_system_sgpr_workgroup_id_x 1
		.amdhsa_system_sgpr_workgroup_id_y 0
		.amdhsa_system_sgpr_workgroup_id_z 0
		.amdhsa_system_sgpr_workgroup_info 0
		.amdhsa_system_vgpr_workitem_id 0
		.amdhsa_next_free_vgpr 1
		.amdhsa_next_free_sgpr 0
		.amdhsa_accum_offset 4
		.amdhsa_reserve_vcc 0
		.amdhsa_float_round_mode_32 0
		.amdhsa_float_round_mode_16_64 0
		.amdhsa_float_denorm_mode_32 3
		.amdhsa_float_denorm_mode_16_64 3
		.amdhsa_dx10_clamp 1
		.amdhsa_ieee_mode 1
		.amdhsa_fp16_overflow 0
		.amdhsa_tg_split 0
		.amdhsa_exception_fp_ieee_invalid_op 0
		.amdhsa_exception_fp_denorm_src 0
		.amdhsa_exception_fp_ieee_div_zero 0
		.amdhsa_exception_fp_ieee_overflow 0
		.amdhsa_exception_fp_ieee_underflow 0
		.amdhsa_exception_fp_ieee_inexact 0
		.amdhsa_exception_int_div_zero 0
	.end_amdhsa_kernel
	.section	.text._ZN7rocprim17ROCPRIM_400000_NS6detail17trampoline_kernelINS0_14default_configENS1_38merge_sort_block_merge_config_selectorIiiEEZZNS1_27merge_sort_block_merge_implIS3_N6thrust23THRUST_200600_302600_NS6detail15normal_iteratorINS8_10device_ptrIiEEEESD_jNS1_19radix_merge_compareILb1ELb0EiNS0_19identity_decomposerEEEEE10hipError_tT0_T1_T2_jT3_P12ihipStream_tbPNSt15iterator_traitsISI_E10value_typeEPNSO_ISJ_E10value_typeEPSK_NS1_7vsmem_tEENKUlT_SI_SJ_SK_E_clISD_PiSD_S10_EESH_SX_SI_SJ_SK_EUlSX_E0_NS1_11comp_targetILNS1_3genE10ELNS1_11target_archE1201ELNS1_3gpuE5ELNS1_3repE0EEENS1_38merge_mergepath_config_static_selectorELNS0_4arch9wavefront6targetE1EEEvSJ_,"axG",@progbits,_ZN7rocprim17ROCPRIM_400000_NS6detail17trampoline_kernelINS0_14default_configENS1_38merge_sort_block_merge_config_selectorIiiEEZZNS1_27merge_sort_block_merge_implIS3_N6thrust23THRUST_200600_302600_NS6detail15normal_iteratorINS8_10device_ptrIiEEEESD_jNS1_19radix_merge_compareILb1ELb0EiNS0_19identity_decomposerEEEEE10hipError_tT0_T1_T2_jT3_P12ihipStream_tbPNSt15iterator_traitsISI_E10value_typeEPNSO_ISJ_E10value_typeEPSK_NS1_7vsmem_tEENKUlT_SI_SJ_SK_E_clISD_PiSD_S10_EESH_SX_SI_SJ_SK_EUlSX_E0_NS1_11comp_targetILNS1_3genE10ELNS1_11target_archE1201ELNS1_3gpuE5ELNS1_3repE0EEENS1_38merge_mergepath_config_static_selectorELNS0_4arch9wavefront6targetE1EEEvSJ_,comdat
.Lfunc_end918:
	.size	_ZN7rocprim17ROCPRIM_400000_NS6detail17trampoline_kernelINS0_14default_configENS1_38merge_sort_block_merge_config_selectorIiiEEZZNS1_27merge_sort_block_merge_implIS3_N6thrust23THRUST_200600_302600_NS6detail15normal_iteratorINS8_10device_ptrIiEEEESD_jNS1_19radix_merge_compareILb1ELb0EiNS0_19identity_decomposerEEEEE10hipError_tT0_T1_T2_jT3_P12ihipStream_tbPNSt15iterator_traitsISI_E10value_typeEPNSO_ISJ_E10value_typeEPSK_NS1_7vsmem_tEENKUlT_SI_SJ_SK_E_clISD_PiSD_S10_EESH_SX_SI_SJ_SK_EUlSX_E0_NS1_11comp_targetILNS1_3genE10ELNS1_11target_archE1201ELNS1_3gpuE5ELNS1_3repE0EEENS1_38merge_mergepath_config_static_selectorELNS0_4arch9wavefront6targetE1EEEvSJ_, .Lfunc_end918-_ZN7rocprim17ROCPRIM_400000_NS6detail17trampoline_kernelINS0_14default_configENS1_38merge_sort_block_merge_config_selectorIiiEEZZNS1_27merge_sort_block_merge_implIS3_N6thrust23THRUST_200600_302600_NS6detail15normal_iteratorINS8_10device_ptrIiEEEESD_jNS1_19radix_merge_compareILb1ELb0EiNS0_19identity_decomposerEEEEE10hipError_tT0_T1_T2_jT3_P12ihipStream_tbPNSt15iterator_traitsISI_E10value_typeEPNSO_ISJ_E10value_typeEPSK_NS1_7vsmem_tEENKUlT_SI_SJ_SK_E_clISD_PiSD_S10_EESH_SX_SI_SJ_SK_EUlSX_E0_NS1_11comp_targetILNS1_3genE10ELNS1_11target_archE1201ELNS1_3gpuE5ELNS1_3repE0EEENS1_38merge_mergepath_config_static_selectorELNS0_4arch9wavefront6targetE1EEEvSJ_
                                        ; -- End function
	.set _ZN7rocprim17ROCPRIM_400000_NS6detail17trampoline_kernelINS0_14default_configENS1_38merge_sort_block_merge_config_selectorIiiEEZZNS1_27merge_sort_block_merge_implIS3_N6thrust23THRUST_200600_302600_NS6detail15normal_iteratorINS8_10device_ptrIiEEEESD_jNS1_19radix_merge_compareILb1ELb0EiNS0_19identity_decomposerEEEEE10hipError_tT0_T1_T2_jT3_P12ihipStream_tbPNSt15iterator_traitsISI_E10value_typeEPNSO_ISJ_E10value_typeEPSK_NS1_7vsmem_tEENKUlT_SI_SJ_SK_E_clISD_PiSD_S10_EESH_SX_SI_SJ_SK_EUlSX_E0_NS1_11comp_targetILNS1_3genE10ELNS1_11target_archE1201ELNS1_3gpuE5ELNS1_3repE0EEENS1_38merge_mergepath_config_static_selectorELNS0_4arch9wavefront6targetE1EEEvSJ_.num_vgpr, 0
	.set _ZN7rocprim17ROCPRIM_400000_NS6detail17trampoline_kernelINS0_14default_configENS1_38merge_sort_block_merge_config_selectorIiiEEZZNS1_27merge_sort_block_merge_implIS3_N6thrust23THRUST_200600_302600_NS6detail15normal_iteratorINS8_10device_ptrIiEEEESD_jNS1_19radix_merge_compareILb1ELb0EiNS0_19identity_decomposerEEEEE10hipError_tT0_T1_T2_jT3_P12ihipStream_tbPNSt15iterator_traitsISI_E10value_typeEPNSO_ISJ_E10value_typeEPSK_NS1_7vsmem_tEENKUlT_SI_SJ_SK_E_clISD_PiSD_S10_EESH_SX_SI_SJ_SK_EUlSX_E0_NS1_11comp_targetILNS1_3genE10ELNS1_11target_archE1201ELNS1_3gpuE5ELNS1_3repE0EEENS1_38merge_mergepath_config_static_selectorELNS0_4arch9wavefront6targetE1EEEvSJ_.num_agpr, 0
	.set _ZN7rocprim17ROCPRIM_400000_NS6detail17trampoline_kernelINS0_14default_configENS1_38merge_sort_block_merge_config_selectorIiiEEZZNS1_27merge_sort_block_merge_implIS3_N6thrust23THRUST_200600_302600_NS6detail15normal_iteratorINS8_10device_ptrIiEEEESD_jNS1_19radix_merge_compareILb1ELb0EiNS0_19identity_decomposerEEEEE10hipError_tT0_T1_T2_jT3_P12ihipStream_tbPNSt15iterator_traitsISI_E10value_typeEPNSO_ISJ_E10value_typeEPSK_NS1_7vsmem_tEENKUlT_SI_SJ_SK_E_clISD_PiSD_S10_EESH_SX_SI_SJ_SK_EUlSX_E0_NS1_11comp_targetILNS1_3genE10ELNS1_11target_archE1201ELNS1_3gpuE5ELNS1_3repE0EEENS1_38merge_mergepath_config_static_selectorELNS0_4arch9wavefront6targetE1EEEvSJ_.numbered_sgpr, 0
	.set _ZN7rocprim17ROCPRIM_400000_NS6detail17trampoline_kernelINS0_14default_configENS1_38merge_sort_block_merge_config_selectorIiiEEZZNS1_27merge_sort_block_merge_implIS3_N6thrust23THRUST_200600_302600_NS6detail15normal_iteratorINS8_10device_ptrIiEEEESD_jNS1_19radix_merge_compareILb1ELb0EiNS0_19identity_decomposerEEEEE10hipError_tT0_T1_T2_jT3_P12ihipStream_tbPNSt15iterator_traitsISI_E10value_typeEPNSO_ISJ_E10value_typeEPSK_NS1_7vsmem_tEENKUlT_SI_SJ_SK_E_clISD_PiSD_S10_EESH_SX_SI_SJ_SK_EUlSX_E0_NS1_11comp_targetILNS1_3genE10ELNS1_11target_archE1201ELNS1_3gpuE5ELNS1_3repE0EEENS1_38merge_mergepath_config_static_selectorELNS0_4arch9wavefront6targetE1EEEvSJ_.num_named_barrier, 0
	.set _ZN7rocprim17ROCPRIM_400000_NS6detail17trampoline_kernelINS0_14default_configENS1_38merge_sort_block_merge_config_selectorIiiEEZZNS1_27merge_sort_block_merge_implIS3_N6thrust23THRUST_200600_302600_NS6detail15normal_iteratorINS8_10device_ptrIiEEEESD_jNS1_19radix_merge_compareILb1ELb0EiNS0_19identity_decomposerEEEEE10hipError_tT0_T1_T2_jT3_P12ihipStream_tbPNSt15iterator_traitsISI_E10value_typeEPNSO_ISJ_E10value_typeEPSK_NS1_7vsmem_tEENKUlT_SI_SJ_SK_E_clISD_PiSD_S10_EESH_SX_SI_SJ_SK_EUlSX_E0_NS1_11comp_targetILNS1_3genE10ELNS1_11target_archE1201ELNS1_3gpuE5ELNS1_3repE0EEENS1_38merge_mergepath_config_static_selectorELNS0_4arch9wavefront6targetE1EEEvSJ_.private_seg_size, 0
	.set _ZN7rocprim17ROCPRIM_400000_NS6detail17trampoline_kernelINS0_14default_configENS1_38merge_sort_block_merge_config_selectorIiiEEZZNS1_27merge_sort_block_merge_implIS3_N6thrust23THRUST_200600_302600_NS6detail15normal_iteratorINS8_10device_ptrIiEEEESD_jNS1_19radix_merge_compareILb1ELb0EiNS0_19identity_decomposerEEEEE10hipError_tT0_T1_T2_jT3_P12ihipStream_tbPNSt15iterator_traitsISI_E10value_typeEPNSO_ISJ_E10value_typeEPSK_NS1_7vsmem_tEENKUlT_SI_SJ_SK_E_clISD_PiSD_S10_EESH_SX_SI_SJ_SK_EUlSX_E0_NS1_11comp_targetILNS1_3genE10ELNS1_11target_archE1201ELNS1_3gpuE5ELNS1_3repE0EEENS1_38merge_mergepath_config_static_selectorELNS0_4arch9wavefront6targetE1EEEvSJ_.uses_vcc, 0
	.set _ZN7rocprim17ROCPRIM_400000_NS6detail17trampoline_kernelINS0_14default_configENS1_38merge_sort_block_merge_config_selectorIiiEEZZNS1_27merge_sort_block_merge_implIS3_N6thrust23THRUST_200600_302600_NS6detail15normal_iteratorINS8_10device_ptrIiEEEESD_jNS1_19radix_merge_compareILb1ELb0EiNS0_19identity_decomposerEEEEE10hipError_tT0_T1_T2_jT3_P12ihipStream_tbPNSt15iterator_traitsISI_E10value_typeEPNSO_ISJ_E10value_typeEPSK_NS1_7vsmem_tEENKUlT_SI_SJ_SK_E_clISD_PiSD_S10_EESH_SX_SI_SJ_SK_EUlSX_E0_NS1_11comp_targetILNS1_3genE10ELNS1_11target_archE1201ELNS1_3gpuE5ELNS1_3repE0EEENS1_38merge_mergepath_config_static_selectorELNS0_4arch9wavefront6targetE1EEEvSJ_.uses_flat_scratch, 0
	.set _ZN7rocprim17ROCPRIM_400000_NS6detail17trampoline_kernelINS0_14default_configENS1_38merge_sort_block_merge_config_selectorIiiEEZZNS1_27merge_sort_block_merge_implIS3_N6thrust23THRUST_200600_302600_NS6detail15normal_iteratorINS8_10device_ptrIiEEEESD_jNS1_19radix_merge_compareILb1ELb0EiNS0_19identity_decomposerEEEEE10hipError_tT0_T1_T2_jT3_P12ihipStream_tbPNSt15iterator_traitsISI_E10value_typeEPNSO_ISJ_E10value_typeEPSK_NS1_7vsmem_tEENKUlT_SI_SJ_SK_E_clISD_PiSD_S10_EESH_SX_SI_SJ_SK_EUlSX_E0_NS1_11comp_targetILNS1_3genE10ELNS1_11target_archE1201ELNS1_3gpuE5ELNS1_3repE0EEENS1_38merge_mergepath_config_static_selectorELNS0_4arch9wavefront6targetE1EEEvSJ_.has_dyn_sized_stack, 0
	.set _ZN7rocprim17ROCPRIM_400000_NS6detail17trampoline_kernelINS0_14default_configENS1_38merge_sort_block_merge_config_selectorIiiEEZZNS1_27merge_sort_block_merge_implIS3_N6thrust23THRUST_200600_302600_NS6detail15normal_iteratorINS8_10device_ptrIiEEEESD_jNS1_19radix_merge_compareILb1ELb0EiNS0_19identity_decomposerEEEEE10hipError_tT0_T1_T2_jT3_P12ihipStream_tbPNSt15iterator_traitsISI_E10value_typeEPNSO_ISJ_E10value_typeEPSK_NS1_7vsmem_tEENKUlT_SI_SJ_SK_E_clISD_PiSD_S10_EESH_SX_SI_SJ_SK_EUlSX_E0_NS1_11comp_targetILNS1_3genE10ELNS1_11target_archE1201ELNS1_3gpuE5ELNS1_3repE0EEENS1_38merge_mergepath_config_static_selectorELNS0_4arch9wavefront6targetE1EEEvSJ_.has_recursion, 0
	.set _ZN7rocprim17ROCPRIM_400000_NS6detail17trampoline_kernelINS0_14default_configENS1_38merge_sort_block_merge_config_selectorIiiEEZZNS1_27merge_sort_block_merge_implIS3_N6thrust23THRUST_200600_302600_NS6detail15normal_iteratorINS8_10device_ptrIiEEEESD_jNS1_19radix_merge_compareILb1ELb0EiNS0_19identity_decomposerEEEEE10hipError_tT0_T1_T2_jT3_P12ihipStream_tbPNSt15iterator_traitsISI_E10value_typeEPNSO_ISJ_E10value_typeEPSK_NS1_7vsmem_tEENKUlT_SI_SJ_SK_E_clISD_PiSD_S10_EESH_SX_SI_SJ_SK_EUlSX_E0_NS1_11comp_targetILNS1_3genE10ELNS1_11target_archE1201ELNS1_3gpuE5ELNS1_3repE0EEENS1_38merge_mergepath_config_static_selectorELNS0_4arch9wavefront6targetE1EEEvSJ_.has_indirect_call, 0
	.section	.AMDGPU.csdata,"",@progbits
; Kernel info:
; codeLenInByte = 0
; TotalNumSgprs: 6
; NumVgprs: 0
; NumAgprs: 0
; TotalNumVgprs: 0
; ScratchSize: 0
; MemoryBound: 0
; FloatMode: 240
; IeeeMode: 1
; LDSByteSize: 0 bytes/workgroup (compile time only)
; SGPRBlocks: 0
; VGPRBlocks: 0
; NumSGPRsForWavesPerEU: 6
; NumVGPRsForWavesPerEU: 1
; AccumOffset: 4
; Occupancy: 8
; WaveLimiterHint : 0
; COMPUTE_PGM_RSRC2:SCRATCH_EN: 0
; COMPUTE_PGM_RSRC2:USER_SGPR: 2
; COMPUTE_PGM_RSRC2:TRAP_HANDLER: 0
; COMPUTE_PGM_RSRC2:TGID_X_EN: 1
; COMPUTE_PGM_RSRC2:TGID_Y_EN: 0
; COMPUTE_PGM_RSRC2:TGID_Z_EN: 0
; COMPUTE_PGM_RSRC2:TIDIG_COMP_CNT: 0
; COMPUTE_PGM_RSRC3_GFX90A:ACCUM_OFFSET: 0
; COMPUTE_PGM_RSRC3_GFX90A:TG_SPLIT: 0
	.section	.text._ZN7rocprim17ROCPRIM_400000_NS6detail17trampoline_kernelINS0_14default_configENS1_38merge_sort_block_merge_config_selectorIiiEEZZNS1_27merge_sort_block_merge_implIS3_N6thrust23THRUST_200600_302600_NS6detail15normal_iteratorINS8_10device_ptrIiEEEESD_jNS1_19radix_merge_compareILb1ELb0EiNS0_19identity_decomposerEEEEE10hipError_tT0_T1_T2_jT3_P12ihipStream_tbPNSt15iterator_traitsISI_E10value_typeEPNSO_ISJ_E10value_typeEPSK_NS1_7vsmem_tEENKUlT_SI_SJ_SK_E_clISD_PiSD_S10_EESH_SX_SI_SJ_SK_EUlSX_E0_NS1_11comp_targetILNS1_3genE5ELNS1_11target_archE942ELNS1_3gpuE9ELNS1_3repE0EEENS1_38merge_mergepath_config_static_selectorELNS0_4arch9wavefront6targetE1EEEvSJ_,"axG",@progbits,_ZN7rocprim17ROCPRIM_400000_NS6detail17trampoline_kernelINS0_14default_configENS1_38merge_sort_block_merge_config_selectorIiiEEZZNS1_27merge_sort_block_merge_implIS3_N6thrust23THRUST_200600_302600_NS6detail15normal_iteratorINS8_10device_ptrIiEEEESD_jNS1_19radix_merge_compareILb1ELb0EiNS0_19identity_decomposerEEEEE10hipError_tT0_T1_T2_jT3_P12ihipStream_tbPNSt15iterator_traitsISI_E10value_typeEPNSO_ISJ_E10value_typeEPSK_NS1_7vsmem_tEENKUlT_SI_SJ_SK_E_clISD_PiSD_S10_EESH_SX_SI_SJ_SK_EUlSX_E0_NS1_11comp_targetILNS1_3genE5ELNS1_11target_archE942ELNS1_3gpuE9ELNS1_3repE0EEENS1_38merge_mergepath_config_static_selectorELNS0_4arch9wavefront6targetE1EEEvSJ_,comdat
	.protected	_ZN7rocprim17ROCPRIM_400000_NS6detail17trampoline_kernelINS0_14default_configENS1_38merge_sort_block_merge_config_selectorIiiEEZZNS1_27merge_sort_block_merge_implIS3_N6thrust23THRUST_200600_302600_NS6detail15normal_iteratorINS8_10device_ptrIiEEEESD_jNS1_19radix_merge_compareILb1ELb0EiNS0_19identity_decomposerEEEEE10hipError_tT0_T1_T2_jT3_P12ihipStream_tbPNSt15iterator_traitsISI_E10value_typeEPNSO_ISJ_E10value_typeEPSK_NS1_7vsmem_tEENKUlT_SI_SJ_SK_E_clISD_PiSD_S10_EESH_SX_SI_SJ_SK_EUlSX_E0_NS1_11comp_targetILNS1_3genE5ELNS1_11target_archE942ELNS1_3gpuE9ELNS1_3repE0EEENS1_38merge_mergepath_config_static_selectorELNS0_4arch9wavefront6targetE1EEEvSJ_ ; -- Begin function _ZN7rocprim17ROCPRIM_400000_NS6detail17trampoline_kernelINS0_14default_configENS1_38merge_sort_block_merge_config_selectorIiiEEZZNS1_27merge_sort_block_merge_implIS3_N6thrust23THRUST_200600_302600_NS6detail15normal_iteratorINS8_10device_ptrIiEEEESD_jNS1_19radix_merge_compareILb1ELb0EiNS0_19identity_decomposerEEEEE10hipError_tT0_T1_T2_jT3_P12ihipStream_tbPNSt15iterator_traitsISI_E10value_typeEPNSO_ISJ_E10value_typeEPSK_NS1_7vsmem_tEENKUlT_SI_SJ_SK_E_clISD_PiSD_S10_EESH_SX_SI_SJ_SK_EUlSX_E0_NS1_11comp_targetILNS1_3genE5ELNS1_11target_archE942ELNS1_3gpuE9ELNS1_3repE0EEENS1_38merge_mergepath_config_static_selectorELNS0_4arch9wavefront6targetE1EEEvSJ_
	.globl	_ZN7rocprim17ROCPRIM_400000_NS6detail17trampoline_kernelINS0_14default_configENS1_38merge_sort_block_merge_config_selectorIiiEEZZNS1_27merge_sort_block_merge_implIS3_N6thrust23THRUST_200600_302600_NS6detail15normal_iteratorINS8_10device_ptrIiEEEESD_jNS1_19radix_merge_compareILb1ELb0EiNS0_19identity_decomposerEEEEE10hipError_tT0_T1_T2_jT3_P12ihipStream_tbPNSt15iterator_traitsISI_E10value_typeEPNSO_ISJ_E10value_typeEPSK_NS1_7vsmem_tEENKUlT_SI_SJ_SK_E_clISD_PiSD_S10_EESH_SX_SI_SJ_SK_EUlSX_E0_NS1_11comp_targetILNS1_3genE5ELNS1_11target_archE942ELNS1_3gpuE9ELNS1_3repE0EEENS1_38merge_mergepath_config_static_selectorELNS0_4arch9wavefront6targetE1EEEvSJ_
	.p2align	8
	.type	_ZN7rocprim17ROCPRIM_400000_NS6detail17trampoline_kernelINS0_14default_configENS1_38merge_sort_block_merge_config_selectorIiiEEZZNS1_27merge_sort_block_merge_implIS3_N6thrust23THRUST_200600_302600_NS6detail15normal_iteratorINS8_10device_ptrIiEEEESD_jNS1_19radix_merge_compareILb1ELb0EiNS0_19identity_decomposerEEEEE10hipError_tT0_T1_T2_jT3_P12ihipStream_tbPNSt15iterator_traitsISI_E10value_typeEPNSO_ISJ_E10value_typeEPSK_NS1_7vsmem_tEENKUlT_SI_SJ_SK_E_clISD_PiSD_S10_EESH_SX_SI_SJ_SK_EUlSX_E0_NS1_11comp_targetILNS1_3genE5ELNS1_11target_archE942ELNS1_3gpuE9ELNS1_3repE0EEENS1_38merge_mergepath_config_static_selectorELNS0_4arch9wavefront6targetE1EEEvSJ_,@function
_ZN7rocprim17ROCPRIM_400000_NS6detail17trampoline_kernelINS0_14default_configENS1_38merge_sort_block_merge_config_selectorIiiEEZZNS1_27merge_sort_block_merge_implIS3_N6thrust23THRUST_200600_302600_NS6detail15normal_iteratorINS8_10device_ptrIiEEEESD_jNS1_19radix_merge_compareILb1ELb0EiNS0_19identity_decomposerEEEEE10hipError_tT0_T1_T2_jT3_P12ihipStream_tbPNSt15iterator_traitsISI_E10value_typeEPNSO_ISJ_E10value_typeEPSK_NS1_7vsmem_tEENKUlT_SI_SJ_SK_E_clISD_PiSD_S10_EESH_SX_SI_SJ_SK_EUlSX_E0_NS1_11comp_targetILNS1_3genE5ELNS1_11target_archE942ELNS1_3gpuE9ELNS1_3repE0EEENS1_38merge_mergepath_config_static_selectorELNS0_4arch9wavefront6targetE1EEEvSJ_: ; @_ZN7rocprim17ROCPRIM_400000_NS6detail17trampoline_kernelINS0_14default_configENS1_38merge_sort_block_merge_config_selectorIiiEEZZNS1_27merge_sort_block_merge_implIS3_N6thrust23THRUST_200600_302600_NS6detail15normal_iteratorINS8_10device_ptrIiEEEESD_jNS1_19radix_merge_compareILb1ELb0EiNS0_19identity_decomposerEEEEE10hipError_tT0_T1_T2_jT3_P12ihipStream_tbPNSt15iterator_traitsISI_E10value_typeEPNSO_ISJ_E10value_typeEPSK_NS1_7vsmem_tEENKUlT_SI_SJ_SK_E_clISD_PiSD_S10_EESH_SX_SI_SJ_SK_EUlSX_E0_NS1_11comp_targetILNS1_3genE5ELNS1_11target_archE942ELNS1_3gpuE9ELNS1_3repE0EEENS1_38merge_mergepath_config_static_selectorELNS0_4arch9wavefront6targetE1EEEvSJ_
; %bb.0:
	.section	.rodata,"a",@progbits
	.p2align	6, 0x0
	.amdhsa_kernel _ZN7rocprim17ROCPRIM_400000_NS6detail17trampoline_kernelINS0_14default_configENS1_38merge_sort_block_merge_config_selectorIiiEEZZNS1_27merge_sort_block_merge_implIS3_N6thrust23THRUST_200600_302600_NS6detail15normal_iteratorINS8_10device_ptrIiEEEESD_jNS1_19radix_merge_compareILb1ELb0EiNS0_19identity_decomposerEEEEE10hipError_tT0_T1_T2_jT3_P12ihipStream_tbPNSt15iterator_traitsISI_E10value_typeEPNSO_ISJ_E10value_typeEPSK_NS1_7vsmem_tEENKUlT_SI_SJ_SK_E_clISD_PiSD_S10_EESH_SX_SI_SJ_SK_EUlSX_E0_NS1_11comp_targetILNS1_3genE5ELNS1_11target_archE942ELNS1_3gpuE9ELNS1_3repE0EEENS1_38merge_mergepath_config_static_selectorELNS0_4arch9wavefront6targetE1EEEvSJ_
		.amdhsa_group_segment_fixed_size 0
		.amdhsa_private_segment_fixed_size 0
		.amdhsa_kernarg_size 64
		.amdhsa_user_sgpr_count 2
		.amdhsa_user_sgpr_dispatch_ptr 0
		.amdhsa_user_sgpr_queue_ptr 0
		.amdhsa_user_sgpr_kernarg_segment_ptr 1
		.amdhsa_user_sgpr_dispatch_id 0
		.amdhsa_user_sgpr_kernarg_preload_length 0
		.amdhsa_user_sgpr_kernarg_preload_offset 0
		.amdhsa_user_sgpr_private_segment_size 0
		.amdhsa_uses_dynamic_stack 0
		.amdhsa_enable_private_segment 0
		.amdhsa_system_sgpr_workgroup_id_x 1
		.amdhsa_system_sgpr_workgroup_id_y 0
		.amdhsa_system_sgpr_workgroup_id_z 0
		.amdhsa_system_sgpr_workgroup_info 0
		.amdhsa_system_vgpr_workitem_id 0
		.amdhsa_next_free_vgpr 1
		.amdhsa_next_free_sgpr 0
		.amdhsa_accum_offset 4
		.amdhsa_reserve_vcc 0
		.amdhsa_float_round_mode_32 0
		.amdhsa_float_round_mode_16_64 0
		.amdhsa_float_denorm_mode_32 3
		.amdhsa_float_denorm_mode_16_64 3
		.amdhsa_dx10_clamp 1
		.amdhsa_ieee_mode 1
		.amdhsa_fp16_overflow 0
		.amdhsa_tg_split 0
		.amdhsa_exception_fp_ieee_invalid_op 0
		.amdhsa_exception_fp_denorm_src 0
		.amdhsa_exception_fp_ieee_div_zero 0
		.amdhsa_exception_fp_ieee_overflow 0
		.amdhsa_exception_fp_ieee_underflow 0
		.amdhsa_exception_fp_ieee_inexact 0
		.amdhsa_exception_int_div_zero 0
	.end_amdhsa_kernel
	.section	.text._ZN7rocprim17ROCPRIM_400000_NS6detail17trampoline_kernelINS0_14default_configENS1_38merge_sort_block_merge_config_selectorIiiEEZZNS1_27merge_sort_block_merge_implIS3_N6thrust23THRUST_200600_302600_NS6detail15normal_iteratorINS8_10device_ptrIiEEEESD_jNS1_19radix_merge_compareILb1ELb0EiNS0_19identity_decomposerEEEEE10hipError_tT0_T1_T2_jT3_P12ihipStream_tbPNSt15iterator_traitsISI_E10value_typeEPNSO_ISJ_E10value_typeEPSK_NS1_7vsmem_tEENKUlT_SI_SJ_SK_E_clISD_PiSD_S10_EESH_SX_SI_SJ_SK_EUlSX_E0_NS1_11comp_targetILNS1_3genE5ELNS1_11target_archE942ELNS1_3gpuE9ELNS1_3repE0EEENS1_38merge_mergepath_config_static_selectorELNS0_4arch9wavefront6targetE1EEEvSJ_,"axG",@progbits,_ZN7rocprim17ROCPRIM_400000_NS6detail17trampoline_kernelINS0_14default_configENS1_38merge_sort_block_merge_config_selectorIiiEEZZNS1_27merge_sort_block_merge_implIS3_N6thrust23THRUST_200600_302600_NS6detail15normal_iteratorINS8_10device_ptrIiEEEESD_jNS1_19radix_merge_compareILb1ELb0EiNS0_19identity_decomposerEEEEE10hipError_tT0_T1_T2_jT3_P12ihipStream_tbPNSt15iterator_traitsISI_E10value_typeEPNSO_ISJ_E10value_typeEPSK_NS1_7vsmem_tEENKUlT_SI_SJ_SK_E_clISD_PiSD_S10_EESH_SX_SI_SJ_SK_EUlSX_E0_NS1_11comp_targetILNS1_3genE5ELNS1_11target_archE942ELNS1_3gpuE9ELNS1_3repE0EEENS1_38merge_mergepath_config_static_selectorELNS0_4arch9wavefront6targetE1EEEvSJ_,comdat
.Lfunc_end919:
	.size	_ZN7rocprim17ROCPRIM_400000_NS6detail17trampoline_kernelINS0_14default_configENS1_38merge_sort_block_merge_config_selectorIiiEEZZNS1_27merge_sort_block_merge_implIS3_N6thrust23THRUST_200600_302600_NS6detail15normal_iteratorINS8_10device_ptrIiEEEESD_jNS1_19radix_merge_compareILb1ELb0EiNS0_19identity_decomposerEEEEE10hipError_tT0_T1_T2_jT3_P12ihipStream_tbPNSt15iterator_traitsISI_E10value_typeEPNSO_ISJ_E10value_typeEPSK_NS1_7vsmem_tEENKUlT_SI_SJ_SK_E_clISD_PiSD_S10_EESH_SX_SI_SJ_SK_EUlSX_E0_NS1_11comp_targetILNS1_3genE5ELNS1_11target_archE942ELNS1_3gpuE9ELNS1_3repE0EEENS1_38merge_mergepath_config_static_selectorELNS0_4arch9wavefront6targetE1EEEvSJ_, .Lfunc_end919-_ZN7rocprim17ROCPRIM_400000_NS6detail17trampoline_kernelINS0_14default_configENS1_38merge_sort_block_merge_config_selectorIiiEEZZNS1_27merge_sort_block_merge_implIS3_N6thrust23THRUST_200600_302600_NS6detail15normal_iteratorINS8_10device_ptrIiEEEESD_jNS1_19radix_merge_compareILb1ELb0EiNS0_19identity_decomposerEEEEE10hipError_tT0_T1_T2_jT3_P12ihipStream_tbPNSt15iterator_traitsISI_E10value_typeEPNSO_ISJ_E10value_typeEPSK_NS1_7vsmem_tEENKUlT_SI_SJ_SK_E_clISD_PiSD_S10_EESH_SX_SI_SJ_SK_EUlSX_E0_NS1_11comp_targetILNS1_3genE5ELNS1_11target_archE942ELNS1_3gpuE9ELNS1_3repE0EEENS1_38merge_mergepath_config_static_selectorELNS0_4arch9wavefront6targetE1EEEvSJ_
                                        ; -- End function
	.set _ZN7rocprim17ROCPRIM_400000_NS6detail17trampoline_kernelINS0_14default_configENS1_38merge_sort_block_merge_config_selectorIiiEEZZNS1_27merge_sort_block_merge_implIS3_N6thrust23THRUST_200600_302600_NS6detail15normal_iteratorINS8_10device_ptrIiEEEESD_jNS1_19radix_merge_compareILb1ELb0EiNS0_19identity_decomposerEEEEE10hipError_tT0_T1_T2_jT3_P12ihipStream_tbPNSt15iterator_traitsISI_E10value_typeEPNSO_ISJ_E10value_typeEPSK_NS1_7vsmem_tEENKUlT_SI_SJ_SK_E_clISD_PiSD_S10_EESH_SX_SI_SJ_SK_EUlSX_E0_NS1_11comp_targetILNS1_3genE5ELNS1_11target_archE942ELNS1_3gpuE9ELNS1_3repE0EEENS1_38merge_mergepath_config_static_selectorELNS0_4arch9wavefront6targetE1EEEvSJ_.num_vgpr, 0
	.set _ZN7rocprim17ROCPRIM_400000_NS6detail17trampoline_kernelINS0_14default_configENS1_38merge_sort_block_merge_config_selectorIiiEEZZNS1_27merge_sort_block_merge_implIS3_N6thrust23THRUST_200600_302600_NS6detail15normal_iteratorINS8_10device_ptrIiEEEESD_jNS1_19radix_merge_compareILb1ELb0EiNS0_19identity_decomposerEEEEE10hipError_tT0_T1_T2_jT3_P12ihipStream_tbPNSt15iterator_traitsISI_E10value_typeEPNSO_ISJ_E10value_typeEPSK_NS1_7vsmem_tEENKUlT_SI_SJ_SK_E_clISD_PiSD_S10_EESH_SX_SI_SJ_SK_EUlSX_E0_NS1_11comp_targetILNS1_3genE5ELNS1_11target_archE942ELNS1_3gpuE9ELNS1_3repE0EEENS1_38merge_mergepath_config_static_selectorELNS0_4arch9wavefront6targetE1EEEvSJ_.num_agpr, 0
	.set _ZN7rocprim17ROCPRIM_400000_NS6detail17trampoline_kernelINS0_14default_configENS1_38merge_sort_block_merge_config_selectorIiiEEZZNS1_27merge_sort_block_merge_implIS3_N6thrust23THRUST_200600_302600_NS6detail15normal_iteratorINS8_10device_ptrIiEEEESD_jNS1_19radix_merge_compareILb1ELb0EiNS0_19identity_decomposerEEEEE10hipError_tT0_T1_T2_jT3_P12ihipStream_tbPNSt15iterator_traitsISI_E10value_typeEPNSO_ISJ_E10value_typeEPSK_NS1_7vsmem_tEENKUlT_SI_SJ_SK_E_clISD_PiSD_S10_EESH_SX_SI_SJ_SK_EUlSX_E0_NS1_11comp_targetILNS1_3genE5ELNS1_11target_archE942ELNS1_3gpuE9ELNS1_3repE0EEENS1_38merge_mergepath_config_static_selectorELNS0_4arch9wavefront6targetE1EEEvSJ_.numbered_sgpr, 0
	.set _ZN7rocprim17ROCPRIM_400000_NS6detail17trampoline_kernelINS0_14default_configENS1_38merge_sort_block_merge_config_selectorIiiEEZZNS1_27merge_sort_block_merge_implIS3_N6thrust23THRUST_200600_302600_NS6detail15normal_iteratorINS8_10device_ptrIiEEEESD_jNS1_19radix_merge_compareILb1ELb0EiNS0_19identity_decomposerEEEEE10hipError_tT0_T1_T2_jT3_P12ihipStream_tbPNSt15iterator_traitsISI_E10value_typeEPNSO_ISJ_E10value_typeEPSK_NS1_7vsmem_tEENKUlT_SI_SJ_SK_E_clISD_PiSD_S10_EESH_SX_SI_SJ_SK_EUlSX_E0_NS1_11comp_targetILNS1_3genE5ELNS1_11target_archE942ELNS1_3gpuE9ELNS1_3repE0EEENS1_38merge_mergepath_config_static_selectorELNS0_4arch9wavefront6targetE1EEEvSJ_.num_named_barrier, 0
	.set _ZN7rocprim17ROCPRIM_400000_NS6detail17trampoline_kernelINS0_14default_configENS1_38merge_sort_block_merge_config_selectorIiiEEZZNS1_27merge_sort_block_merge_implIS3_N6thrust23THRUST_200600_302600_NS6detail15normal_iteratorINS8_10device_ptrIiEEEESD_jNS1_19radix_merge_compareILb1ELb0EiNS0_19identity_decomposerEEEEE10hipError_tT0_T1_T2_jT3_P12ihipStream_tbPNSt15iterator_traitsISI_E10value_typeEPNSO_ISJ_E10value_typeEPSK_NS1_7vsmem_tEENKUlT_SI_SJ_SK_E_clISD_PiSD_S10_EESH_SX_SI_SJ_SK_EUlSX_E0_NS1_11comp_targetILNS1_3genE5ELNS1_11target_archE942ELNS1_3gpuE9ELNS1_3repE0EEENS1_38merge_mergepath_config_static_selectorELNS0_4arch9wavefront6targetE1EEEvSJ_.private_seg_size, 0
	.set _ZN7rocprim17ROCPRIM_400000_NS6detail17trampoline_kernelINS0_14default_configENS1_38merge_sort_block_merge_config_selectorIiiEEZZNS1_27merge_sort_block_merge_implIS3_N6thrust23THRUST_200600_302600_NS6detail15normal_iteratorINS8_10device_ptrIiEEEESD_jNS1_19radix_merge_compareILb1ELb0EiNS0_19identity_decomposerEEEEE10hipError_tT0_T1_T2_jT3_P12ihipStream_tbPNSt15iterator_traitsISI_E10value_typeEPNSO_ISJ_E10value_typeEPSK_NS1_7vsmem_tEENKUlT_SI_SJ_SK_E_clISD_PiSD_S10_EESH_SX_SI_SJ_SK_EUlSX_E0_NS1_11comp_targetILNS1_3genE5ELNS1_11target_archE942ELNS1_3gpuE9ELNS1_3repE0EEENS1_38merge_mergepath_config_static_selectorELNS0_4arch9wavefront6targetE1EEEvSJ_.uses_vcc, 0
	.set _ZN7rocprim17ROCPRIM_400000_NS6detail17trampoline_kernelINS0_14default_configENS1_38merge_sort_block_merge_config_selectorIiiEEZZNS1_27merge_sort_block_merge_implIS3_N6thrust23THRUST_200600_302600_NS6detail15normal_iteratorINS8_10device_ptrIiEEEESD_jNS1_19radix_merge_compareILb1ELb0EiNS0_19identity_decomposerEEEEE10hipError_tT0_T1_T2_jT3_P12ihipStream_tbPNSt15iterator_traitsISI_E10value_typeEPNSO_ISJ_E10value_typeEPSK_NS1_7vsmem_tEENKUlT_SI_SJ_SK_E_clISD_PiSD_S10_EESH_SX_SI_SJ_SK_EUlSX_E0_NS1_11comp_targetILNS1_3genE5ELNS1_11target_archE942ELNS1_3gpuE9ELNS1_3repE0EEENS1_38merge_mergepath_config_static_selectorELNS0_4arch9wavefront6targetE1EEEvSJ_.uses_flat_scratch, 0
	.set _ZN7rocprim17ROCPRIM_400000_NS6detail17trampoline_kernelINS0_14default_configENS1_38merge_sort_block_merge_config_selectorIiiEEZZNS1_27merge_sort_block_merge_implIS3_N6thrust23THRUST_200600_302600_NS6detail15normal_iteratorINS8_10device_ptrIiEEEESD_jNS1_19radix_merge_compareILb1ELb0EiNS0_19identity_decomposerEEEEE10hipError_tT0_T1_T2_jT3_P12ihipStream_tbPNSt15iterator_traitsISI_E10value_typeEPNSO_ISJ_E10value_typeEPSK_NS1_7vsmem_tEENKUlT_SI_SJ_SK_E_clISD_PiSD_S10_EESH_SX_SI_SJ_SK_EUlSX_E0_NS1_11comp_targetILNS1_3genE5ELNS1_11target_archE942ELNS1_3gpuE9ELNS1_3repE0EEENS1_38merge_mergepath_config_static_selectorELNS0_4arch9wavefront6targetE1EEEvSJ_.has_dyn_sized_stack, 0
	.set _ZN7rocprim17ROCPRIM_400000_NS6detail17trampoline_kernelINS0_14default_configENS1_38merge_sort_block_merge_config_selectorIiiEEZZNS1_27merge_sort_block_merge_implIS3_N6thrust23THRUST_200600_302600_NS6detail15normal_iteratorINS8_10device_ptrIiEEEESD_jNS1_19radix_merge_compareILb1ELb0EiNS0_19identity_decomposerEEEEE10hipError_tT0_T1_T2_jT3_P12ihipStream_tbPNSt15iterator_traitsISI_E10value_typeEPNSO_ISJ_E10value_typeEPSK_NS1_7vsmem_tEENKUlT_SI_SJ_SK_E_clISD_PiSD_S10_EESH_SX_SI_SJ_SK_EUlSX_E0_NS1_11comp_targetILNS1_3genE5ELNS1_11target_archE942ELNS1_3gpuE9ELNS1_3repE0EEENS1_38merge_mergepath_config_static_selectorELNS0_4arch9wavefront6targetE1EEEvSJ_.has_recursion, 0
	.set _ZN7rocprim17ROCPRIM_400000_NS6detail17trampoline_kernelINS0_14default_configENS1_38merge_sort_block_merge_config_selectorIiiEEZZNS1_27merge_sort_block_merge_implIS3_N6thrust23THRUST_200600_302600_NS6detail15normal_iteratorINS8_10device_ptrIiEEEESD_jNS1_19radix_merge_compareILb1ELb0EiNS0_19identity_decomposerEEEEE10hipError_tT0_T1_T2_jT3_P12ihipStream_tbPNSt15iterator_traitsISI_E10value_typeEPNSO_ISJ_E10value_typeEPSK_NS1_7vsmem_tEENKUlT_SI_SJ_SK_E_clISD_PiSD_S10_EESH_SX_SI_SJ_SK_EUlSX_E0_NS1_11comp_targetILNS1_3genE5ELNS1_11target_archE942ELNS1_3gpuE9ELNS1_3repE0EEENS1_38merge_mergepath_config_static_selectorELNS0_4arch9wavefront6targetE1EEEvSJ_.has_indirect_call, 0
	.section	.AMDGPU.csdata,"",@progbits
; Kernel info:
; codeLenInByte = 0
; TotalNumSgprs: 6
; NumVgprs: 0
; NumAgprs: 0
; TotalNumVgprs: 0
; ScratchSize: 0
; MemoryBound: 0
; FloatMode: 240
; IeeeMode: 1
; LDSByteSize: 0 bytes/workgroup (compile time only)
; SGPRBlocks: 0
; VGPRBlocks: 0
; NumSGPRsForWavesPerEU: 6
; NumVGPRsForWavesPerEU: 1
; AccumOffset: 4
; Occupancy: 8
; WaveLimiterHint : 0
; COMPUTE_PGM_RSRC2:SCRATCH_EN: 0
; COMPUTE_PGM_RSRC2:USER_SGPR: 2
; COMPUTE_PGM_RSRC2:TRAP_HANDLER: 0
; COMPUTE_PGM_RSRC2:TGID_X_EN: 1
; COMPUTE_PGM_RSRC2:TGID_Y_EN: 0
; COMPUTE_PGM_RSRC2:TGID_Z_EN: 0
; COMPUTE_PGM_RSRC2:TIDIG_COMP_CNT: 0
; COMPUTE_PGM_RSRC3_GFX90A:ACCUM_OFFSET: 0
; COMPUTE_PGM_RSRC3_GFX90A:TG_SPLIT: 0
	.section	.text._ZN7rocprim17ROCPRIM_400000_NS6detail17trampoline_kernelINS0_14default_configENS1_38merge_sort_block_merge_config_selectorIiiEEZZNS1_27merge_sort_block_merge_implIS3_N6thrust23THRUST_200600_302600_NS6detail15normal_iteratorINS8_10device_ptrIiEEEESD_jNS1_19radix_merge_compareILb1ELb0EiNS0_19identity_decomposerEEEEE10hipError_tT0_T1_T2_jT3_P12ihipStream_tbPNSt15iterator_traitsISI_E10value_typeEPNSO_ISJ_E10value_typeEPSK_NS1_7vsmem_tEENKUlT_SI_SJ_SK_E_clISD_PiSD_S10_EESH_SX_SI_SJ_SK_EUlSX_E0_NS1_11comp_targetILNS1_3genE4ELNS1_11target_archE910ELNS1_3gpuE8ELNS1_3repE0EEENS1_38merge_mergepath_config_static_selectorELNS0_4arch9wavefront6targetE1EEEvSJ_,"axG",@progbits,_ZN7rocprim17ROCPRIM_400000_NS6detail17trampoline_kernelINS0_14default_configENS1_38merge_sort_block_merge_config_selectorIiiEEZZNS1_27merge_sort_block_merge_implIS3_N6thrust23THRUST_200600_302600_NS6detail15normal_iteratorINS8_10device_ptrIiEEEESD_jNS1_19radix_merge_compareILb1ELb0EiNS0_19identity_decomposerEEEEE10hipError_tT0_T1_T2_jT3_P12ihipStream_tbPNSt15iterator_traitsISI_E10value_typeEPNSO_ISJ_E10value_typeEPSK_NS1_7vsmem_tEENKUlT_SI_SJ_SK_E_clISD_PiSD_S10_EESH_SX_SI_SJ_SK_EUlSX_E0_NS1_11comp_targetILNS1_3genE4ELNS1_11target_archE910ELNS1_3gpuE8ELNS1_3repE0EEENS1_38merge_mergepath_config_static_selectorELNS0_4arch9wavefront6targetE1EEEvSJ_,comdat
	.protected	_ZN7rocprim17ROCPRIM_400000_NS6detail17trampoline_kernelINS0_14default_configENS1_38merge_sort_block_merge_config_selectorIiiEEZZNS1_27merge_sort_block_merge_implIS3_N6thrust23THRUST_200600_302600_NS6detail15normal_iteratorINS8_10device_ptrIiEEEESD_jNS1_19radix_merge_compareILb1ELb0EiNS0_19identity_decomposerEEEEE10hipError_tT0_T1_T2_jT3_P12ihipStream_tbPNSt15iterator_traitsISI_E10value_typeEPNSO_ISJ_E10value_typeEPSK_NS1_7vsmem_tEENKUlT_SI_SJ_SK_E_clISD_PiSD_S10_EESH_SX_SI_SJ_SK_EUlSX_E0_NS1_11comp_targetILNS1_3genE4ELNS1_11target_archE910ELNS1_3gpuE8ELNS1_3repE0EEENS1_38merge_mergepath_config_static_selectorELNS0_4arch9wavefront6targetE1EEEvSJ_ ; -- Begin function _ZN7rocprim17ROCPRIM_400000_NS6detail17trampoline_kernelINS0_14default_configENS1_38merge_sort_block_merge_config_selectorIiiEEZZNS1_27merge_sort_block_merge_implIS3_N6thrust23THRUST_200600_302600_NS6detail15normal_iteratorINS8_10device_ptrIiEEEESD_jNS1_19radix_merge_compareILb1ELb0EiNS0_19identity_decomposerEEEEE10hipError_tT0_T1_T2_jT3_P12ihipStream_tbPNSt15iterator_traitsISI_E10value_typeEPNSO_ISJ_E10value_typeEPSK_NS1_7vsmem_tEENKUlT_SI_SJ_SK_E_clISD_PiSD_S10_EESH_SX_SI_SJ_SK_EUlSX_E0_NS1_11comp_targetILNS1_3genE4ELNS1_11target_archE910ELNS1_3gpuE8ELNS1_3repE0EEENS1_38merge_mergepath_config_static_selectorELNS0_4arch9wavefront6targetE1EEEvSJ_
	.globl	_ZN7rocprim17ROCPRIM_400000_NS6detail17trampoline_kernelINS0_14default_configENS1_38merge_sort_block_merge_config_selectorIiiEEZZNS1_27merge_sort_block_merge_implIS3_N6thrust23THRUST_200600_302600_NS6detail15normal_iteratorINS8_10device_ptrIiEEEESD_jNS1_19radix_merge_compareILb1ELb0EiNS0_19identity_decomposerEEEEE10hipError_tT0_T1_T2_jT3_P12ihipStream_tbPNSt15iterator_traitsISI_E10value_typeEPNSO_ISJ_E10value_typeEPSK_NS1_7vsmem_tEENKUlT_SI_SJ_SK_E_clISD_PiSD_S10_EESH_SX_SI_SJ_SK_EUlSX_E0_NS1_11comp_targetILNS1_3genE4ELNS1_11target_archE910ELNS1_3gpuE8ELNS1_3repE0EEENS1_38merge_mergepath_config_static_selectorELNS0_4arch9wavefront6targetE1EEEvSJ_
	.p2align	8
	.type	_ZN7rocprim17ROCPRIM_400000_NS6detail17trampoline_kernelINS0_14default_configENS1_38merge_sort_block_merge_config_selectorIiiEEZZNS1_27merge_sort_block_merge_implIS3_N6thrust23THRUST_200600_302600_NS6detail15normal_iteratorINS8_10device_ptrIiEEEESD_jNS1_19radix_merge_compareILb1ELb0EiNS0_19identity_decomposerEEEEE10hipError_tT0_T1_T2_jT3_P12ihipStream_tbPNSt15iterator_traitsISI_E10value_typeEPNSO_ISJ_E10value_typeEPSK_NS1_7vsmem_tEENKUlT_SI_SJ_SK_E_clISD_PiSD_S10_EESH_SX_SI_SJ_SK_EUlSX_E0_NS1_11comp_targetILNS1_3genE4ELNS1_11target_archE910ELNS1_3gpuE8ELNS1_3repE0EEENS1_38merge_mergepath_config_static_selectorELNS0_4arch9wavefront6targetE1EEEvSJ_,@function
_ZN7rocprim17ROCPRIM_400000_NS6detail17trampoline_kernelINS0_14default_configENS1_38merge_sort_block_merge_config_selectorIiiEEZZNS1_27merge_sort_block_merge_implIS3_N6thrust23THRUST_200600_302600_NS6detail15normal_iteratorINS8_10device_ptrIiEEEESD_jNS1_19radix_merge_compareILb1ELb0EiNS0_19identity_decomposerEEEEE10hipError_tT0_T1_T2_jT3_P12ihipStream_tbPNSt15iterator_traitsISI_E10value_typeEPNSO_ISJ_E10value_typeEPSK_NS1_7vsmem_tEENKUlT_SI_SJ_SK_E_clISD_PiSD_S10_EESH_SX_SI_SJ_SK_EUlSX_E0_NS1_11comp_targetILNS1_3genE4ELNS1_11target_archE910ELNS1_3gpuE8ELNS1_3repE0EEENS1_38merge_mergepath_config_static_selectorELNS0_4arch9wavefront6targetE1EEEvSJ_: ; @_ZN7rocprim17ROCPRIM_400000_NS6detail17trampoline_kernelINS0_14default_configENS1_38merge_sort_block_merge_config_selectorIiiEEZZNS1_27merge_sort_block_merge_implIS3_N6thrust23THRUST_200600_302600_NS6detail15normal_iteratorINS8_10device_ptrIiEEEESD_jNS1_19radix_merge_compareILb1ELb0EiNS0_19identity_decomposerEEEEE10hipError_tT0_T1_T2_jT3_P12ihipStream_tbPNSt15iterator_traitsISI_E10value_typeEPNSO_ISJ_E10value_typeEPSK_NS1_7vsmem_tEENKUlT_SI_SJ_SK_E_clISD_PiSD_S10_EESH_SX_SI_SJ_SK_EUlSX_E0_NS1_11comp_targetILNS1_3genE4ELNS1_11target_archE910ELNS1_3gpuE8ELNS1_3repE0EEENS1_38merge_mergepath_config_static_selectorELNS0_4arch9wavefront6targetE1EEEvSJ_
; %bb.0:
	.section	.rodata,"a",@progbits
	.p2align	6, 0x0
	.amdhsa_kernel _ZN7rocprim17ROCPRIM_400000_NS6detail17trampoline_kernelINS0_14default_configENS1_38merge_sort_block_merge_config_selectorIiiEEZZNS1_27merge_sort_block_merge_implIS3_N6thrust23THRUST_200600_302600_NS6detail15normal_iteratorINS8_10device_ptrIiEEEESD_jNS1_19radix_merge_compareILb1ELb0EiNS0_19identity_decomposerEEEEE10hipError_tT0_T1_T2_jT3_P12ihipStream_tbPNSt15iterator_traitsISI_E10value_typeEPNSO_ISJ_E10value_typeEPSK_NS1_7vsmem_tEENKUlT_SI_SJ_SK_E_clISD_PiSD_S10_EESH_SX_SI_SJ_SK_EUlSX_E0_NS1_11comp_targetILNS1_3genE4ELNS1_11target_archE910ELNS1_3gpuE8ELNS1_3repE0EEENS1_38merge_mergepath_config_static_selectorELNS0_4arch9wavefront6targetE1EEEvSJ_
		.amdhsa_group_segment_fixed_size 0
		.amdhsa_private_segment_fixed_size 0
		.amdhsa_kernarg_size 64
		.amdhsa_user_sgpr_count 2
		.amdhsa_user_sgpr_dispatch_ptr 0
		.amdhsa_user_sgpr_queue_ptr 0
		.amdhsa_user_sgpr_kernarg_segment_ptr 1
		.amdhsa_user_sgpr_dispatch_id 0
		.amdhsa_user_sgpr_kernarg_preload_length 0
		.amdhsa_user_sgpr_kernarg_preload_offset 0
		.amdhsa_user_sgpr_private_segment_size 0
		.amdhsa_uses_dynamic_stack 0
		.amdhsa_enable_private_segment 0
		.amdhsa_system_sgpr_workgroup_id_x 1
		.amdhsa_system_sgpr_workgroup_id_y 0
		.amdhsa_system_sgpr_workgroup_id_z 0
		.amdhsa_system_sgpr_workgroup_info 0
		.amdhsa_system_vgpr_workitem_id 0
		.amdhsa_next_free_vgpr 1
		.amdhsa_next_free_sgpr 0
		.amdhsa_accum_offset 4
		.amdhsa_reserve_vcc 0
		.amdhsa_float_round_mode_32 0
		.amdhsa_float_round_mode_16_64 0
		.amdhsa_float_denorm_mode_32 3
		.amdhsa_float_denorm_mode_16_64 3
		.amdhsa_dx10_clamp 1
		.amdhsa_ieee_mode 1
		.amdhsa_fp16_overflow 0
		.amdhsa_tg_split 0
		.amdhsa_exception_fp_ieee_invalid_op 0
		.amdhsa_exception_fp_denorm_src 0
		.amdhsa_exception_fp_ieee_div_zero 0
		.amdhsa_exception_fp_ieee_overflow 0
		.amdhsa_exception_fp_ieee_underflow 0
		.amdhsa_exception_fp_ieee_inexact 0
		.amdhsa_exception_int_div_zero 0
	.end_amdhsa_kernel
	.section	.text._ZN7rocprim17ROCPRIM_400000_NS6detail17trampoline_kernelINS0_14default_configENS1_38merge_sort_block_merge_config_selectorIiiEEZZNS1_27merge_sort_block_merge_implIS3_N6thrust23THRUST_200600_302600_NS6detail15normal_iteratorINS8_10device_ptrIiEEEESD_jNS1_19radix_merge_compareILb1ELb0EiNS0_19identity_decomposerEEEEE10hipError_tT0_T1_T2_jT3_P12ihipStream_tbPNSt15iterator_traitsISI_E10value_typeEPNSO_ISJ_E10value_typeEPSK_NS1_7vsmem_tEENKUlT_SI_SJ_SK_E_clISD_PiSD_S10_EESH_SX_SI_SJ_SK_EUlSX_E0_NS1_11comp_targetILNS1_3genE4ELNS1_11target_archE910ELNS1_3gpuE8ELNS1_3repE0EEENS1_38merge_mergepath_config_static_selectorELNS0_4arch9wavefront6targetE1EEEvSJ_,"axG",@progbits,_ZN7rocprim17ROCPRIM_400000_NS6detail17trampoline_kernelINS0_14default_configENS1_38merge_sort_block_merge_config_selectorIiiEEZZNS1_27merge_sort_block_merge_implIS3_N6thrust23THRUST_200600_302600_NS6detail15normal_iteratorINS8_10device_ptrIiEEEESD_jNS1_19radix_merge_compareILb1ELb0EiNS0_19identity_decomposerEEEEE10hipError_tT0_T1_T2_jT3_P12ihipStream_tbPNSt15iterator_traitsISI_E10value_typeEPNSO_ISJ_E10value_typeEPSK_NS1_7vsmem_tEENKUlT_SI_SJ_SK_E_clISD_PiSD_S10_EESH_SX_SI_SJ_SK_EUlSX_E0_NS1_11comp_targetILNS1_3genE4ELNS1_11target_archE910ELNS1_3gpuE8ELNS1_3repE0EEENS1_38merge_mergepath_config_static_selectorELNS0_4arch9wavefront6targetE1EEEvSJ_,comdat
.Lfunc_end920:
	.size	_ZN7rocprim17ROCPRIM_400000_NS6detail17trampoline_kernelINS0_14default_configENS1_38merge_sort_block_merge_config_selectorIiiEEZZNS1_27merge_sort_block_merge_implIS3_N6thrust23THRUST_200600_302600_NS6detail15normal_iteratorINS8_10device_ptrIiEEEESD_jNS1_19radix_merge_compareILb1ELb0EiNS0_19identity_decomposerEEEEE10hipError_tT0_T1_T2_jT3_P12ihipStream_tbPNSt15iterator_traitsISI_E10value_typeEPNSO_ISJ_E10value_typeEPSK_NS1_7vsmem_tEENKUlT_SI_SJ_SK_E_clISD_PiSD_S10_EESH_SX_SI_SJ_SK_EUlSX_E0_NS1_11comp_targetILNS1_3genE4ELNS1_11target_archE910ELNS1_3gpuE8ELNS1_3repE0EEENS1_38merge_mergepath_config_static_selectorELNS0_4arch9wavefront6targetE1EEEvSJ_, .Lfunc_end920-_ZN7rocprim17ROCPRIM_400000_NS6detail17trampoline_kernelINS0_14default_configENS1_38merge_sort_block_merge_config_selectorIiiEEZZNS1_27merge_sort_block_merge_implIS3_N6thrust23THRUST_200600_302600_NS6detail15normal_iteratorINS8_10device_ptrIiEEEESD_jNS1_19radix_merge_compareILb1ELb0EiNS0_19identity_decomposerEEEEE10hipError_tT0_T1_T2_jT3_P12ihipStream_tbPNSt15iterator_traitsISI_E10value_typeEPNSO_ISJ_E10value_typeEPSK_NS1_7vsmem_tEENKUlT_SI_SJ_SK_E_clISD_PiSD_S10_EESH_SX_SI_SJ_SK_EUlSX_E0_NS1_11comp_targetILNS1_3genE4ELNS1_11target_archE910ELNS1_3gpuE8ELNS1_3repE0EEENS1_38merge_mergepath_config_static_selectorELNS0_4arch9wavefront6targetE1EEEvSJ_
                                        ; -- End function
	.set _ZN7rocprim17ROCPRIM_400000_NS6detail17trampoline_kernelINS0_14default_configENS1_38merge_sort_block_merge_config_selectorIiiEEZZNS1_27merge_sort_block_merge_implIS3_N6thrust23THRUST_200600_302600_NS6detail15normal_iteratorINS8_10device_ptrIiEEEESD_jNS1_19radix_merge_compareILb1ELb0EiNS0_19identity_decomposerEEEEE10hipError_tT0_T1_T2_jT3_P12ihipStream_tbPNSt15iterator_traitsISI_E10value_typeEPNSO_ISJ_E10value_typeEPSK_NS1_7vsmem_tEENKUlT_SI_SJ_SK_E_clISD_PiSD_S10_EESH_SX_SI_SJ_SK_EUlSX_E0_NS1_11comp_targetILNS1_3genE4ELNS1_11target_archE910ELNS1_3gpuE8ELNS1_3repE0EEENS1_38merge_mergepath_config_static_selectorELNS0_4arch9wavefront6targetE1EEEvSJ_.num_vgpr, 0
	.set _ZN7rocprim17ROCPRIM_400000_NS6detail17trampoline_kernelINS0_14default_configENS1_38merge_sort_block_merge_config_selectorIiiEEZZNS1_27merge_sort_block_merge_implIS3_N6thrust23THRUST_200600_302600_NS6detail15normal_iteratorINS8_10device_ptrIiEEEESD_jNS1_19radix_merge_compareILb1ELb0EiNS0_19identity_decomposerEEEEE10hipError_tT0_T1_T2_jT3_P12ihipStream_tbPNSt15iterator_traitsISI_E10value_typeEPNSO_ISJ_E10value_typeEPSK_NS1_7vsmem_tEENKUlT_SI_SJ_SK_E_clISD_PiSD_S10_EESH_SX_SI_SJ_SK_EUlSX_E0_NS1_11comp_targetILNS1_3genE4ELNS1_11target_archE910ELNS1_3gpuE8ELNS1_3repE0EEENS1_38merge_mergepath_config_static_selectorELNS0_4arch9wavefront6targetE1EEEvSJ_.num_agpr, 0
	.set _ZN7rocprim17ROCPRIM_400000_NS6detail17trampoline_kernelINS0_14default_configENS1_38merge_sort_block_merge_config_selectorIiiEEZZNS1_27merge_sort_block_merge_implIS3_N6thrust23THRUST_200600_302600_NS6detail15normal_iteratorINS8_10device_ptrIiEEEESD_jNS1_19radix_merge_compareILb1ELb0EiNS0_19identity_decomposerEEEEE10hipError_tT0_T1_T2_jT3_P12ihipStream_tbPNSt15iterator_traitsISI_E10value_typeEPNSO_ISJ_E10value_typeEPSK_NS1_7vsmem_tEENKUlT_SI_SJ_SK_E_clISD_PiSD_S10_EESH_SX_SI_SJ_SK_EUlSX_E0_NS1_11comp_targetILNS1_3genE4ELNS1_11target_archE910ELNS1_3gpuE8ELNS1_3repE0EEENS1_38merge_mergepath_config_static_selectorELNS0_4arch9wavefront6targetE1EEEvSJ_.numbered_sgpr, 0
	.set _ZN7rocprim17ROCPRIM_400000_NS6detail17trampoline_kernelINS0_14default_configENS1_38merge_sort_block_merge_config_selectorIiiEEZZNS1_27merge_sort_block_merge_implIS3_N6thrust23THRUST_200600_302600_NS6detail15normal_iteratorINS8_10device_ptrIiEEEESD_jNS1_19radix_merge_compareILb1ELb0EiNS0_19identity_decomposerEEEEE10hipError_tT0_T1_T2_jT3_P12ihipStream_tbPNSt15iterator_traitsISI_E10value_typeEPNSO_ISJ_E10value_typeEPSK_NS1_7vsmem_tEENKUlT_SI_SJ_SK_E_clISD_PiSD_S10_EESH_SX_SI_SJ_SK_EUlSX_E0_NS1_11comp_targetILNS1_3genE4ELNS1_11target_archE910ELNS1_3gpuE8ELNS1_3repE0EEENS1_38merge_mergepath_config_static_selectorELNS0_4arch9wavefront6targetE1EEEvSJ_.num_named_barrier, 0
	.set _ZN7rocprim17ROCPRIM_400000_NS6detail17trampoline_kernelINS0_14default_configENS1_38merge_sort_block_merge_config_selectorIiiEEZZNS1_27merge_sort_block_merge_implIS3_N6thrust23THRUST_200600_302600_NS6detail15normal_iteratorINS8_10device_ptrIiEEEESD_jNS1_19radix_merge_compareILb1ELb0EiNS0_19identity_decomposerEEEEE10hipError_tT0_T1_T2_jT3_P12ihipStream_tbPNSt15iterator_traitsISI_E10value_typeEPNSO_ISJ_E10value_typeEPSK_NS1_7vsmem_tEENKUlT_SI_SJ_SK_E_clISD_PiSD_S10_EESH_SX_SI_SJ_SK_EUlSX_E0_NS1_11comp_targetILNS1_3genE4ELNS1_11target_archE910ELNS1_3gpuE8ELNS1_3repE0EEENS1_38merge_mergepath_config_static_selectorELNS0_4arch9wavefront6targetE1EEEvSJ_.private_seg_size, 0
	.set _ZN7rocprim17ROCPRIM_400000_NS6detail17trampoline_kernelINS0_14default_configENS1_38merge_sort_block_merge_config_selectorIiiEEZZNS1_27merge_sort_block_merge_implIS3_N6thrust23THRUST_200600_302600_NS6detail15normal_iteratorINS8_10device_ptrIiEEEESD_jNS1_19radix_merge_compareILb1ELb0EiNS0_19identity_decomposerEEEEE10hipError_tT0_T1_T2_jT3_P12ihipStream_tbPNSt15iterator_traitsISI_E10value_typeEPNSO_ISJ_E10value_typeEPSK_NS1_7vsmem_tEENKUlT_SI_SJ_SK_E_clISD_PiSD_S10_EESH_SX_SI_SJ_SK_EUlSX_E0_NS1_11comp_targetILNS1_3genE4ELNS1_11target_archE910ELNS1_3gpuE8ELNS1_3repE0EEENS1_38merge_mergepath_config_static_selectorELNS0_4arch9wavefront6targetE1EEEvSJ_.uses_vcc, 0
	.set _ZN7rocprim17ROCPRIM_400000_NS6detail17trampoline_kernelINS0_14default_configENS1_38merge_sort_block_merge_config_selectorIiiEEZZNS1_27merge_sort_block_merge_implIS3_N6thrust23THRUST_200600_302600_NS6detail15normal_iteratorINS8_10device_ptrIiEEEESD_jNS1_19radix_merge_compareILb1ELb0EiNS0_19identity_decomposerEEEEE10hipError_tT0_T1_T2_jT3_P12ihipStream_tbPNSt15iterator_traitsISI_E10value_typeEPNSO_ISJ_E10value_typeEPSK_NS1_7vsmem_tEENKUlT_SI_SJ_SK_E_clISD_PiSD_S10_EESH_SX_SI_SJ_SK_EUlSX_E0_NS1_11comp_targetILNS1_3genE4ELNS1_11target_archE910ELNS1_3gpuE8ELNS1_3repE0EEENS1_38merge_mergepath_config_static_selectorELNS0_4arch9wavefront6targetE1EEEvSJ_.uses_flat_scratch, 0
	.set _ZN7rocprim17ROCPRIM_400000_NS6detail17trampoline_kernelINS0_14default_configENS1_38merge_sort_block_merge_config_selectorIiiEEZZNS1_27merge_sort_block_merge_implIS3_N6thrust23THRUST_200600_302600_NS6detail15normal_iteratorINS8_10device_ptrIiEEEESD_jNS1_19radix_merge_compareILb1ELb0EiNS0_19identity_decomposerEEEEE10hipError_tT0_T1_T2_jT3_P12ihipStream_tbPNSt15iterator_traitsISI_E10value_typeEPNSO_ISJ_E10value_typeEPSK_NS1_7vsmem_tEENKUlT_SI_SJ_SK_E_clISD_PiSD_S10_EESH_SX_SI_SJ_SK_EUlSX_E0_NS1_11comp_targetILNS1_3genE4ELNS1_11target_archE910ELNS1_3gpuE8ELNS1_3repE0EEENS1_38merge_mergepath_config_static_selectorELNS0_4arch9wavefront6targetE1EEEvSJ_.has_dyn_sized_stack, 0
	.set _ZN7rocprim17ROCPRIM_400000_NS6detail17trampoline_kernelINS0_14default_configENS1_38merge_sort_block_merge_config_selectorIiiEEZZNS1_27merge_sort_block_merge_implIS3_N6thrust23THRUST_200600_302600_NS6detail15normal_iteratorINS8_10device_ptrIiEEEESD_jNS1_19radix_merge_compareILb1ELb0EiNS0_19identity_decomposerEEEEE10hipError_tT0_T1_T2_jT3_P12ihipStream_tbPNSt15iterator_traitsISI_E10value_typeEPNSO_ISJ_E10value_typeEPSK_NS1_7vsmem_tEENKUlT_SI_SJ_SK_E_clISD_PiSD_S10_EESH_SX_SI_SJ_SK_EUlSX_E0_NS1_11comp_targetILNS1_3genE4ELNS1_11target_archE910ELNS1_3gpuE8ELNS1_3repE0EEENS1_38merge_mergepath_config_static_selectorELNS0_4arch9wavefront6targetE1EEEvSJ_.has_recursion, 0
	.set _ZN7rocprim17ROCPRIM_400000_NS6detail17trampoline_kernelINS0_14default_configENS1_38merge_sort_block_merge_config_selectorIiiEEZZNS1_27merge_sort_block_merge_implIS3_N6thrust23THRUST_200600_302600_NS6detail15normal_iteratorINS8_10device_ptrIiEEEESD_jNS1_19radix_merge_compareILb1ELb0EiNS0_19identity_decomposerEEEEE10hipError_tT0_T1_T2_jT3_P12ihipStream_tbPNSt15iterator_traitsISI_E10value_typeEPNSO_ISJ_E10value_typeEPSK_NS1_7vsmem_tEENKUlT_SI_SJ_SK_E_clISD_PiSD_S10_EESH_SX_SI_SJ_SK_EUlSX_E0_NS1_11comp_targetILNS1_3genE4ELNS1_11target_archE910ELNS1_3gpuE8ELNS1_3repE0EEENS1_38merge_mergepath_config_static_selectorELNS0_4arch9wavefront6targetE1EEEvSJ_.has_indirect_call, 0
	.section	.AMDGPU.csdata,"",@progbits
; Kernel info:
; codeLenInByte = 0
; TotalNumSgprs: 6
; NumVgprs: 0
; NumAgprs: 0
; TotalNumVgprs: 0
; ScratchSize: 0
; MemoryBound: 0
; FloatMode: 240
; IeeeMode: 1
; LDSByteSize: 0 bytes/workgroup (compile time only)
; SGPRBlocks: 0
; VGPRBlocks: 0
; NumSGPRsForWavesPerEU: 6
; NumVGPRsForWavesPerEU: 1
; AccumOffset: 4
; Occupancy: 8
; WaveLimiterHint : 0
; COMPUTE_PGM_RSRC2:SCRATCH_EN: 0
; COMPUTE_PGM_RSRC2:USER_SGPR: 2
; COMPUTE_PGM_RSRC2:TRAP_HANDLER: 0
; COMPUTE_PGM_RSRC2:TGID_X_EN: 1
; COMPUTE_PGM_RSRC2:TGID_Y_EN: 0
; COMPUTE_PGM_RSRC2:TGID_Z_EN: 0
; COMPUTE_PGM_RSRC2:TIDIG_COMP_CNT: 0
; COMPUTE_PGM_RSRC3_GFX90A:ACCUM_OFFSET: 0
; COMPUTE_PGM_RSRC3_GFX90A:TG_SPLIT: 0
	.section	.text._ZN7rocprim17ROCPRIM_400000_NS6detail17trampoline_kernelINS0_14default_configENS1_38merge_sort_block_merge_config_selectorIiiEEZZNS1_27merge_sort_block_merge_implIS3_N6thrust23THRUST_200600_302600_NS6detail15normal_iteratorINS8_10device_ptrIiEEEESD_jNS1_19radix_merge_compareILb1ELb0EiNS0_19identity_decomposerEEEEE10hipError_tT0_T1_T2_jT3_P12ihipStream_tbPNSt15iterator_traitsISI_E10value_typeEPNSO_ISJ_E10value_typeEPSK_NS1_7vsmem_tEENKUlT_SI_SJ_SK_E_clISD_PiSD_S10_EESH_SX_SI_SJ_SK_EUlSX_E0_NS1_11comp_targetILNS1_3genE3ELNS1_11target_archE908ELNS1_3gpuE7ELNS1_3repE0EEENS1_38merge_mergepath_config_static_selectorELNS0_4arch9wavefront6targetE1EEEvSJ_,"axG",@progbits,_ZN7rocprim17ROCPRIM_400000_NS6detail17trampoline_kernelINS0_14default_configENS1_38merge_sort_block_merge_config_selectorIiiEEZZNS1_27merge_sort_block_merge_implIS3_N6thrust23THRUST_200600_302600_NS6detail15normal_iteratorINS8_10device_ptrIiEEEESD_jNS1_19radix_merge_compareILb1ELb0EiNS0_19identity_decomposerEEEEE10hipError_tT0_T1_T2_jT3_P12ihipStream_tbPNSt15iterator_traitsISI_E10value_typeEPNSO_ISJ_E10value_typeEPSK_NS1_7vsmem_tEENKUlT_SI_SJ_SK_E_clISD_PiSD_S10_EESH_SX_SI_SJ_SK_EUlSX_E0_NS1_11comp_targetILNS1_3genE3ELNS1_11target_archE908ELNS1_3gpuE7ELNS1_3repE0EEENS1_38merge_mergepath_config_static_selectorELNS0_4arch9wavefront6targetE1EEEvSJ_,comdat
	.protected	_ZN7rocprim17ROCPRIM_400000_NS6detail17trampoline_kernelINS0_14default_configENS1_38merge_sort_block_merge_config_selectorIiiEEZZNS1_27merge_sort_block_merge_implIS3_N6thrust23THRUST_200600_302600_NS6detail15normal_iteratorINS8_10device_ptrIiEEEESD_jNS1_19radix_merge_compareILb1ELb0EiNS0_19identity_decomposerEEEEE10hipError_tT0_T1_T2_jT3_P12ihipStream_tbPNSt15iterator_traitsISI_E10value_typeEPNSO_ISJ_E10value_typeEPSK_NS1_7vsmem_tEENKUlT_SI_SJ_SK_E_clISD_PiSD_S10_EESH_SX_SI_SJ_SK_EUlSX_E0_NS1_11comp_targetILNS1_3genE3ELNS1_11target_archE908ELNS1_3gpuE7ELNS1_3repE0EEENS1_38merge_mergepath_config_static_selectorELNS0_4arch9wavefront6targetE1EEEvSJ_ ; -- Begin function _ZN7rocprim17ROCPRIM_400000_NS6detail17trampoline_kernelINS0_14default_configENS1_38merge_sort_block_merge_config_selectorIiiEEZZNS1_27merge_sort_block_merge_implIS3_N6thrust23THRUST_200600_302600_NS6detail15normal_iteratorINS8_10device_ptrIiEEEESD_jNS1_19radix_merge_compareILb1ELb0EiNS0_19identity_decomposerEEEEE10hipError_tT0_T1_T2_jT3_P12ihipStream_tbPNSt15iterator_traitsISI_E10value_typeEPNSO_ISJ_E10value_typeEPSK_NS1_7vsmem_tEENKUlT_SI_SJ_SK_E_clISD_PiSD_S10_EESH_SX_SI_SJ_SK_EUlSX_E0_NS1_11comp_targetILNS1_3genE3ELNS1_11target_archE908ELNS1_3gpuE7ELNS1_3repE0EEENS1_38merge_mergepath_config_static_selectorELNS0_4arch9wavefront6targetE1EEEvSJ_
	.globl	_ZN7rocprim17ROCPRIM_400000_NS6detail17trampoline_kernelINS0_14default_configENS1_38merge_sort_block_merge_config_selectorIiiEEZZNS1_27merge_sort_block_merge_implIS3_N6thrust23THRUST_200600_302600_NS6detail15normal_iteratorINS8_10device_ptrIiEEEESD_jNS1_19radix_merge_compareILb1ELb0EiNS0_19identity_decomposerEEEEE10hipError_tT0_T1_T2_jT3_P12ihipStream_tbPNSt15iterator_traitsISI_E10value_typeEPNSO_ISJ_E10value_typeEPSK_NS1_7vsmem_tEENKUlT_SI_SJ_SK_E_clISD_PiSD_S10_EESH_SX_SI_SJ_SK_EUlSX_E0_NS1_11comp_targetILNS1_3genE3ELNS1_11target_archE908ELNS1_3gpuE7ELNS1_3repE0EEENS1_38merge_mergepath_config_static_selectorELNS0_4arch9wavefront6targetE1EEEvSJ_
	.p2align	8
	.type	_ZN7rocprim17ROCPRIM_400000_NS6detail17trampoline_kernelINS0_14default_configENS1_38merge_sort_block_merge_config_selectorIiiEEZZNS1_27merge_sort_block_merge_implIS3_N6thrust23THRUST_200600_302600_NS6detail15normal_iteratorINS8_10device_ptrIiEEEESD_jNS1_19radix_merge_compareILb1ELb0EiNS0_19identity_decomposerEEEEE10hipError_tT0_T1_T2_jT3_P12ihipStream_tbPNSt15iterator_traitsISI_E10value_typeEPNSO_ISJ_E10value_typeEPSK_NS1_7vsmem_tEENKUlT_SI_SJ_SK_E_clISD_PiSD_S10_EESH_SX_SI_SJ_SK_EUlSX_E0_NS1_11comp_targetILNS1_3genE3ELNS1_11target_archE908ELNS1_3gpuE7ELNS1_3repE0EEENS1_38merge_mergepath_config_static_selectorELNS0_4arch9wavefront6targetE1EEEvSJ_,@function
_ZN7rocprim17ROCPRIM_400000_NS6detail17trampoline_kernelINS0_14default_configENS1_38merge_sort_block_merge_config_selectorIiiEEZZNS1_27merge_sort_block_merge_implIS3_N6thrust23THRUST_200600_302600_NS6detail15normal_iteratorINS8_10device_ptrIiEEEESD_jNS1_19radix_merge_compareILb1ELb0EiNS0_19identity_decomposerEEEEE10hipError_tT0_T1_T2_jT3_P12ihipStream_tbPNSt15iterator_traitsISI_E10value_typeEPNSO_ISJ_E10value_typeEPSK_NS1_7vsmem_tEENKUlT_SI_SJ_SK_E_clISD_PiSD_S10_EESH_SX_SI_SJ_SK_EUlSX_E0_NS1_11comp_targetILNS1_3genE3ELNS1_11target_archE908ELNS1_3gpuE7ELNS1_3repE0EEENS1_38merge_mergepath_config_static_selectorELNS0_4arch9wavefront6targetE1EEEvSJ_: ; @_ZN7rocprim17ROCPRIM_400000_NS6detail17trampoline_kernelINS0_14default_configENS1_38merge_sort_block_merge_config_selectorIiiEEZZNS1_27merge_sort_block_merge_implIS3_N6thrust23THRUST_200600_302600_NS6detail15normal_iteratorINS8_10device_ptrIiEEEESD_jNS1_19radix_merge_compareILb1ELb0EiNS0_19identity_decomposerEEEEE10hipError_tT0_T1_T2_jT3_P12ihipStream_tbPNSt15iterator_traitsISI_E10value_typeEPNSO_ISJ_E10value_typeEPSK_NS1_7vsmem_tEENKUlT_SI_SJ_SK_E_clISD_PiSD_S10_EESH_SX_SI_SJ_SK_EUlSX_E0_NS1_11comp_targetILNS1_3genE3ELNS1_11target_archE908ELNS1_3gpuE7ELNS1_3repE0EEENS1_38merge_mergepath_config_static_selectorELNS0_4arch9wavefront6targetE1EEEvSJ_
; %bb.0:
	.section	.rodata,"a",@progbits
	.p2align	6, 0x0
	.amdhsa_kernel _ZN7rocprim17ROCPRIM_400000_NS6detail17trampoline_kernelINS0_14default_configENS1_38merge_sort_block_merge_config_selectorIiiEEZZNS1_27merge_sort_block_merge_implIS3_N6thrust23THRUST_200600_302600_NS6detail15normal_iteratorINS8_10device_ptrIiEEEESD_jNS1_19radix_merge_compareILb1ELb0EiNS0_19identity_decomposerEEEEE10hipError_tT0_T1_T2_jT3_P12ihipStream_tbPNSt15iterator_traitsISI_E10value_typeEPNSO_ISJ_E10value_typeEPSK_NS1_7vsmem_tEENKUlT_SI_SJ_SK_E_clISD_PiSD_S10_EESH_SX_SI_SJ_SK_EUlSX_E0_NS1_11comp_targetILNS1_3genE3ELNS1_11target_archE908ELNS1_3gpuE7ELNS1_3repE0EEENS1_38merge_mergepath_config_static_selectorELNS0_4arch9wavefront6targetE1EEEvSJ_
		.amdhsa_group_segment_fixed_size 0
		.amdhsa_private_segment_fixed_size 0
		.amdhsa_kernarg_size 64
		.amdhsa_user_sgpr_count 2
		.amdhsa_user_sgpr_dispatch_ptr 0
		.amdhsa_user_sgpr_queue_ptr 0
		.amdhsa_user_sgpr_kernarg_segment_ptr 1
		.amdhsa_user_sgpr_dispatch_id 0
		.amdhsa_user_sgpr_kernarg_preload_length 0
		.amdhsa_user_sgpr_kernarg_preload_offset 0
		.amdhsa_user_sgpr_private_segment_size 0
		.amdhsa_uses_dynamic_stack 0
		.amdhsa_enable_private_segment 0
		.amdhsa_system_sgpr_workgroup_id_x 1
		.amdhsa_system_sgpr_workgroup_id_y 0
		.amdhsa_system_sgpr_workgroup_id_z 0
		.amdhsa_system_sgpr_workgroup_info 0
		.amdhsa_system_vgpr_workitem_id 0
		.amdhsa_next_free_vgpr 1
		.amdhsa_next_free_sgpr 0
		.amdhsa_accum_offset 4
		.amdhsa_reserve_vcc 0
		.amdhsa_float_round_mode_32 0
		.amdhsa_float_round_mode_16_64 0
		.amdhsa_float_denorm_mode_32 3
		.amdhsa_float_denorm_mode_16_64 3
		.amdhsa_dx10_clamp 1
		.amdhsa_ieee_mode 1
		.amdhsa_fp16_overflow 0
		.amdhsa_tg_split 0
		.amdhsa_exception_fp_ieee_invalid_op 0
		.amdhsa_exception_fp_denorm_src 0
		.amdhsa_exception_fp_ieee_div_zero 0
		.amdhsa_exception_fp_ieee_overflow 0
		.amdhsa_exception_fp_ieee_underflow 0
		.amdhsa_exception_fp_ieee_inexact 0
		.amdhsa_exception_int_div_zero 0
	.end_amdhsa_kernel
	.section	.text._ZN7rocprim17ROCPRIM_400000_NS6detail17trampoline_kernelINS0_14default_configENS1_38merge_sort_block_merge_config_selectorIiiEEZZNS1_27merge_sort_block_merge_implIS3_N6thrust23THRUST_200600_302600_NS6detail15normal_iteratorINS8_10device_ptrIiEEEESD_jNS1_19radix_merge_compareILb1ELb0EiNS0_19identity_decomposerEEEEE10hipError_tT0_T1_T2_jT3_P12ihipStream_tbPNSt15iterator_traitsISI_E10value_typeEPNSO_ISJ_E10value_typeEPSK_NS1_7vsmem_tEENKUlT_SI_SJ_SK_E_clISD_PiSD_S10_EESH_SX_SI_SJ_SK_EUlSX_E0_NS1_11comp_targetILNS1_3genE3ELNS1_11target_archE908ELNS1_3gpuE7ELNS1_3repE0EEENS1_38merge_mergepath_config_static_selectorELNS0_4arch9wavefront6targetE1EEEvSJ_,"axG",@progbits,_ZN7rocprim17ROCPRIM_400000_NS6detail17trampoline_kernelINS0_14default_configENS1_38merge_sort_block_merge_config_selectorIiiEEZZNS1_27merge_sort_block_merge_implIS3_N6thrust23THRUST_200600_302600_NS6detail15normal_iteratorINS8_10device_ptrIiEEEESD_jNS1_19radix_merge_compareILb1ELb0EiNS0_19identity_decomposerEEEEE10hipError_tT0_T1_T2_jT3_P12ihipStream_tbPNSt15iterator_traitsISI_E10value_typeEPNSO_ISJ_E10value_typeEPSK_NS1_7vsmem_tEENKUlT_SI_SJ_SK_E_clISD_PiSD_S10_EESH_SX_SI_SJ_SK_EUlSX_E0_NS1_11comp_targetILNS1_3genE3ELNS1_11target_archE908ELNS1_3gpuE7ELNS1_3repE0EEENS1_38merge_mergepath_config_static_selectorELNS0_4arch9wavefront6targetE1EEEvSJ_,comdat
.Lfunc_end921:
	.size	_ZN7rocprim17ROCPRIM_400000_NS6detail17trampoline_kernelINS0_14default_configENS1_38merge_sort_block_merge_config_selectorIiiEEZZNS1_27merge_sort_block_merge_implIS3_N6thrust23THRUST_200600_302600_NS6detail15normal_iteratorINS8_10device_ptrIiEEEESD_jNS1_19radix_merge_compareILb1ELb0EiNS0_19identity_decomposerEEEEE10hipError_tT0_T1_T2_jT3_P12ihipStream_tbPNSt15iterator_traitsISI_E10value_typeEPNSO_ISJ_E10value_typeEPSK_NS1_7vsmem_tEENKUlT_SI_SJ_SK_E_clISD_PiSD_S10_EESH_SX_SI_SJ_SK_EUlSX_E0_NS1_11comp_targetILNS1_3genE3ELNS1_11target_archE908ELNS1_3gpuE7ELNS1_3repE0EEENS1_38merge_mergepath_config_static_selectorELNS0_4arch9wavefront6targetE1EEEvSJ_, .Lfunc_end921-_ZN7rocprim17ROCPRIM_400000_NS6detail17trampoline_kernelINS0_14default_configENS1_38merge_sort_block_merge_config_selectorIiiEEZZNS1_27merge_sort_block_merge_implIS3_N6thrust23THRUST_200600_302600_NS6detail15normal_iteratorINS8_10device_ptrIiEEEESD_jNS1_19radix_merge_compareILb1ELb0EiNS0_19identity_decomposerEEEEE10hipError_tT0_T1_T2_jT3_P12ihipStream_tbPNSt15iterator_traitsISI_E10value_typeEPNSO_ISJ_E10value_typeEPSK_NS1_7vsmem_tEENKUlT_SI_SJ_SK_E_clISD_PiSD_S10_EESH_SX_SI_SJ_SK_EUlSX_E0_NS1_11comp_targetILNS1_3genE3ELNS1_11target_archE908ELNS1_3gpuE7ELNS1_3repE0EEENS1_38merge_mergepath_config_static_selectorELNS0_4arch9wavefront6targetE1EEEvSJ_
                                        ; -- End function
	.set _ZN7rocprim17ROCPRIM_400000_NS6detail17trampoline_kernelINS0_14default_configENS1_38merge_sort_block_merge_config_selectorIiiEEZZNS1_27merge_sort_block_merge_implIS3_N6thrust23THRUST_200600_302600_NS6detail15normal_iteratorINS8_10device_ptrIiEEEESD_jNS1_19radix_merge_compareILb1ELb0EiNS0_19identity_decomposerEEEEE10hipError_tT0_T1_T2_jT3_P12ihipStream_tbPNSt15iterator_traitsISI_E10value_typeEPNSO_ISJ_E10value_typeEPSK_NS1_7vsmem_tEENKUlT_SI_SJ_SK_E_clISD_PiSD_S10_EESH_SX_SI_SJ_SK_EUlSX_E0_NS1_11comp_targetILNS1_3genE3ELNS1_11target_archE908ELNS1_3gpuE7ELNS1_3repE0EEENS1_38merge_mergepath_config_static_selectorELNS0_4arch9wavefront6targetE1EEEvSJ_.num_vgpr, 0
	.set _ZN7rocprim17ROCPRIM_400000_NS6detail17trampoline_kernelINS0_14default_configENS1_38merge_sort_block_merge_config_selectorIiiEEZZNS1_27merge_sort_block_merge_implIS3_N6thrust23THRUST_200600_302600_NS6detail15normal_iteratorINS8_10device_ptrIiEEEESD_jNS1_19radix_merge_compareILb1ELb0EiNS0_19identity_decomposerEEEEE10hipError_tT0_T1_T2_jT3_P12ihipStream_tbPNSt15iterator_traitsISI_E10value_typeEPNSO_ISJ_E10value_typeEPSK_NS1_7vsmem_tEENKUlT_SI_SJ_SK_E_clISD_PiSD_S10_EESH_SX_SI_SJ_SK_EUlSX_E0_NS1_11comp_targetILNS1_3genE3ELNS1_11target_archE908ELNS1_3gpuE7ELNS1_3repE0EEENS1_38merge_mergepath_config_static_selectorELNS0_4arch9wavefront6targetE1EEEvSJ_.num_agpr, 0
	.set _ZN7rocprim17ROCPRIM_400000_NS6detail17trampoline_kernelINS0_14default_configENS1_38merge_sort_block_merge_config_selectorIiiEEZZNS1_27merge_sort_block_merge_implIS3_N6thrust23THRUST_200600_302600_NS6detail15normal_iteratorINS8_10device_ptrIiEEEESD_jNS1_19radix_merge_compareILb1ELb0EiNS0_19identity_decomposerEEEEE10hipError_tT0_T1_T2_jT3_P12ihipStream_tbPNSt15iterator_traitsISI_E10value_typeEPNSO_ISJ_E10value_typeEPSK_NS1_7vsmem_tEENKUlT_SI_SJ_SK_E_clISD_PiSD_S10_EESH_SX_SI_SJ_SK_EUlSX_E0_NS1_11comp_targetILNS1_3genE3ELNS1_11target_archE908ELNS1_3gpuE7ELNS1_3repE0EEENS1_38merge_mergepath_config_static_selectorELNS0_4arch9wavefront6targetE1EEEvSJ_.numbered_sgpr, 0
	.set _ZN7rocprim17ROCPRIM_400000_NS6detail17trampoline_kernelINS0_14default_configENS1_38merge_sort_block_merge_config_selectorIiiEEZZNS1_27merge_sort_block_merge_implIS3_N6thrust23THRUST_200600_302600_NS6detail15normal_iteratorINS8_10device_ptrIiEEEESD_jNS1_19radix_merge_compareILb1ELb0EiNS0_19identity_decomposerEEEEE10hipError_tT0_T1_T2_jT3_P12ihipStream_tbPNSt15iterator_traitsISI_E10value_typeEPNSO_ISJ_E10value_typeEPSK_NS1_7vsmem_tEENKUlT_SI_SJ_SK_E_clISD_PiSD_S10_EESH_SX_SI_SJ_SK_EUlSX_E0_NS1_11comp_targetILNS1_3genE3ELNS1_11target_archE908ELNS1_3gpuE7ELNS1_3repE0EEENS1_38merge_mergepath_config_static_selectorELNS0_4arch9wavefront6targetE1EEEvSJ_.num_named_barrier, 0
	.set _ZN7rocprim17ROCPRIM_400000_NS6detail17trampoline_kernelINS0_14default_configENS1_38merge_sort_block_merge_config_selectorIiiEEZZNS1_27merge_sort_block_merge_implIS3_N6thrust23THRUST_200600_302600_NS6detail15normal_iteratorINS8_10device_ptrIiEEEESD_jNS1_19radix_merge_compareILb1ELb0EiNS0_19identity_decomposerEEEEE10hipError_tT0_T1_T2_jT3_P12ihipStream_tbPNSt15iterator_traitsISI_E10value_typeEPNSO_ISJ_E10value_typeEPSK_NS1_7vsmem_tEENKUlT_SI_SJ_SK_E_clISD_PiSD_S10_EESH_SX_SI_SJ_SK_EUlSX_E0_NS1_11comp_targetILNS1_3genE3ELNS1_11target_archE908ELNS1_3gpuE7ELNS1_3repE0EEENS1_38merge_mergepath_config_static_selectorELNS0_4arch9wavefront6targetE1EEEvSJ_.private_seg_size, 0
	.set _ZN7rocprim17ROCPRIM_400000_NS6detail17trampoline_kernelINS0_14default_configENS1_38merge_sort_block_merge_config_selectorIiiEEZZNS1_27merge_sort_block_merge_implIS3_N6thrust23THRUST_200600_302600_NS6detail15normal_iteratorINS8_10device_ptrIiEEEESD_jNS1_19radix_merge_compareILb1ELb0EiNS0_19identity_decomposerEEEEE10hipError_tT0_T1_T2_jT3_P12ihipStream_tbPNSt15iterator_traitsISI_E10value_typeEPNSO_ISJ_E10value_typeEPSK_NS1_7vsmem_tEENKUlT_SI_SJ_SK_E_clISD_PiSD_S10_EESH_SX_SI_SJ_SK_EUlSX_E0_NS1_11comp_targetILNS1_3genE3ELNS1_11target_archE908ELNS1_3gpuE7ELNS1_3repE0EEENS1_38merge_mergepath_config_static_selectorELNS0_4arch9wavefront6targetE1EEEvSJ_.uses_vcc, 0
	.set _ZN7rocprim17ROCPRIM_400000_NS6detail17trampoline_kernelINS0_14default_configENS1_38merge_sort_block_merge_config_selectorIiiEEZZNS1_27merge_sort_block_merge_implIS3_N6thrust23THRUST_200600_302600_NS6detail15normal_iteratorINS8_10device_ptrIiEEEESD_jNS1_19radix_merge_compareILb1ELb0EiNS0_19identity_decomposerEEEEE10hipError_tT0_T1_T2_jT3_P12ihipStream_tbPNSt15iterator_traitsISI_E10value_typeEPNSO_ISJ_E10value_typeEPSK_NS1_7vsmem_tEENKUlT_SI_SJ_SK_E_clISD_PiSD_S10_EESH_SX_SI_SJ_SK_EUlSX_E0_NS1_11comp_targetILNS1_3genE3ELNS1_11target_archE908ELNS1_3gpuE7ELNS1_3repE0EEENS1_38merge_mergepath_config_static_selectorELNS0_4arch9wavefront6targetE1EEEvSJ_.uses_flat_scratch, 0
	.set _ZN7rocprim17ROCPRIM_400000_NS6detail17trampoline_kernelINS0_14default_configENS1_38merge_sort_block_merge_config_selectorIiiEEZZNS1_27merge_sort_block_merge_implIS3_N6thrust23THRUST_200600_302600_NS6detail15normal_iteratorINS8_10device_ptrIiEEEESD_jNS1_19radix_merge_compareILb1ELb0EiNS0_19identity_decomposerEEEEE10hipError_tT0_T1_T2_jT3_P12ihipStream_tbPNSt15iterator_traitsISI_E10value_typeEPNSO_ISJ_E10value_typeEPSK_NS1_7vsmem_tEENKUlT_SI_SJ_SK_E_clISD_PiSD_S10_EESH_SX_SI_SJ_SK_EUlSX_E0_NS1_11comp_targetILNS1_3genE3ELNS1_11target_archE908ELNS1_3gpuE7ELNS1_3repE0EEENS1_38merge_mergepath_config_static_selectorELNS0_4arch9wavefront6targetE1EEEvSJ_.has_dyn_sized_stack, 0
	.set _ZN7rocprim17ROCPRIM_400000_NS6detail17trampoline_kernelINS0_14default_configENS1_38merge_sort_block_merge_config_selectorIiiEEZZNS1_27merge_sort_block_merge_implIS3_N6thrust23THRUST_200600_302600_NS6detail15normal_iteratorINS8_10device_ptrIiEEEESD_jNS1_19radix_merge_compareILb1ELb0EiNS0_19identity_decomposerEEEEE10hipError_tT0_T1_T2_jT3_P12ihipStream_tbPNSt15iterator_traitsISI_E10value_typeEPNSO_ISJ_E10value_typeEPSK_NS1_7vsmem_tEENKUlT_SI_SJ_SK_E_clISD_PiSD_S10_EESH_SX_SI_SJ_SK_EUlSX_E0_NS1_11comp_targetILNS1_3genE3ELNS1_11target_archE908ELNS1_3gpuE7ELNS1_3repE0EEENS1_38merge_mergepath_config_static_selectorELNS0_4arch9wavefront6targetE1EEEvSJ_.has_recursion, 0
	.set _ZN7rocprim17ROCPRIM_400000_NS6detail17trampoline_kernelINS0_14default_configENS1_38merge_sort_block_merge_config_selectorIiiEEZZNS1_27merge_sort_block_merge_implIS3_N6thrust23THRUST_200600_302600_NS6detail15normal_iteratorINS8_10device_ptrIiEEEESD_jNS1_19radix_merge_compareILb1ELb0EiNS0_19identity_decomposerEEEEE10hipError_tT0_T1_T2_jT3_P12ihipStream_tbPNSt15iterator_traitsISI_E10value_typeEPNSO_ISJ_E10value_typeEPSK_NS1_7vsmem_tEENKUlT_SI_SJ_SK_E_clISD_PiSD_S10_EESH_SX_SI_SJ_SK_EUlSX_E0_NS1_11comp_targetILNS1_3genE3ELNS1_11target_archE908ELNS1_3gpuE7ELNS1_3repE0EEENS1_38merge_mergepath_config_static_selectorELNS0_4arch9wavefront6targetE1EEEvSJ_.has_indirect_call, 0
	.section	.AMDGPU.csdata,"",@progbits
; Kernel info:
; codeLenInByte = 0
; TotalNumSgprs: 6
; NumVgprs: 0
; NumAgprs: 0
; TotalNumVgprs: 0
; ScratchSize: 0
; MemoryBound: 0
; FloatMode: 240
; IeeeMode: 1
; LDSByteSize: 0 bytes/workgroup (compile time only)
; SGPRBlocks: 0
; VGPRBlocks: 0
; NumSGPRsForWavesPerEU: 6
; NumVGPRsForWavesPerEU: 1
; AccumOffset: 4
; Occupancy: 8
; WaveLimiterHint : 0
; COMPUTE_PGM_RSRC2:SCRATCH_EN: 0
; COMPUTE_PGM_RSRC2:USER_SGPR: 2
; COMPUTE_PGM_RSRC2:TRAP_HANDLER: 0
; COMPUTE_PGM_RSRC2:TGID_X_EN: 1
; COMPUTE_PGM_RSRC2:TGID_Y_EN: 0
; COMPUTE_PGM_RSRC2:TGID_Z_EN: 0
; COMPUTE_PGM_RSRC2:TIDIG_COMP_CNT: 0
; COMPUTE_PGM_RSRC3_GFX90A:ACCUM_OFFSET: 0
; COMPUTE_PGM_RSRC3_GFX90A:TG_SPLIT: 0
	.section	.text._ZN7rocprim17ROCPRIM_400000_NS6detail17trampoline_kernelINS0_14default_configENS1_38merge_sort_block_merge_config_selectorIiiEEZZNS1_27merge_sort_block_merge_implIS3_N6thrust23THRUST_200600_302600_NS6detail15normal_iteratorINS8_10device_ptrIiEEEESD_jNS1_19radix_merge_compareILb1ELb0EiNS0_19identity_decomposerEEEEE10hipError_tT0_T1_T2_jT3_P12ihipStream_tbPNSt15iterator_traitsISI_E10value_typeEPNSO_ISJ_E10value_typeEPSK_NS1_7vsmem_tEENKUlT_SI_SJ_SK_E_clISD_PiSD_S10_EESH_SX_SI_SJ_SK_EUlSX_E0_NS1_11comp_targetILNS1_3genE2ELNS1_11target_archE906ELNS1_3gpuE6ELNS1_3repE0EEENS1_38merge_mergepath_config_static_selectorELNS0_4arch9wavefront6targetE1EEEvSJ_,"axG",@progbits,_ZN7rocprim17ROCPRIM_400000_NS6detail17trampoline_kernelINS0_14default_configENS1_38merge_sort_block_merge_config_selectorIiiEEZZNS1_27merge_sort_block_merge_implIS3_N6thrust23THRUST_200600_302600_NS6detail15normal_iteratorINS8_10device_ptrIiEEEESD_jNS1_19radix_merge_compareILb1ELb0EiNS0_19identity_decomposerEEEEE10hipError_tT0_T1_T2_jT3_P12ihipStream_tbPNSt15iterator_traitsISI_E10value_typeEPNSO_ISJ_E10value_typeEPSK_NS1_7vsmem_tEENKUlT_SI_SJ_SK_E_clISD_PiSD_S10_EESH_SX_SI_SJ_SK_EUlSX_E0_NS1_11comp_targetILNS1_3genE2ELNS1_11target_archE906ELNS1_3gpuE6ELNS1_3repE0EEENS1_38merge_mergepath_config_static_selectorELNS0_4arch9wavefront6targetE1EEEvSJ_,comdat
	.protected	_ZN7rocprim17ROCPRIM_400000_NS6detail17trampoline_kernelINS0_14default_configENS1_38merge_sort_block_merge_config_selectorIiiEEZZNS1_27merge_sort_block_merge_implIS3_N6thrust23THRUST_200600_302600_NS6detail15normal_iteratorINS8_10device_ptrIiEEEESD_jNS1_19radix_merge_compareILb1ELb0EiNS0_19identity_decomposerEEEEE10hipError_tT0_T1_T2_jT3_P12ihipStream_tbPNSt15iterator_traitsISI_E10value_typeEPNSO_ISJ_E10value_typeEPSK_NS1_7vsmem_tEENKUlT_SI_SJ_SK_E_clISD_PiSD_S10_EESH_SX_SI_SJ_SK_EUlSX_E0_NS1_11comp_targetILNS1_3genE2ELNS1_11target_archE906ELNS1_3gpuE6ELNS1_3repE0EEENS1_38merge_mergepath_config_static_selectorELNS0_4arch9wavefront6targetE1EEEvSJ_ ; -- Begin function _ZN7rocprim17ROCPRIM_400000_NS6detail17trampoline_kernelINS0_14default_configENS1_38merge_sort_block_merge_config_selectorIiiEEZZNS1_27merge_sort_block_merge_implIS3_N6thrust23THRUST_200600_302600_NS6detail15normal_iteratorINS8_10device_ptrIiEEEESD_jNS1_19radix_merge_compareILb1ELb0EiNS0_19identity_decomposerEEEEE10hipError_tT0_T1_T2_jT3_P12ihipStream_tbPNSt15iterator_traitsISI_E10value_typeEPNSO_ISJ_E10value_typeEPSK_NS1_7vsmem_tEENKUlT_SI_SJ_SK_E_clISD_PiSD_S10_EESH_SX_SI_SJ_SK_EUlSX_E0_NS1_11comp_targetILNS1_3genE2ELNS1_11target_archE906ELNS1_3gpuE6ELNS1_3repE0EEENS1_38merge_mergepath_config_static_selectorELNS0_4arch9wavefront6targetE1EEEvSJ_
	.globl	_ZN7rocprim17ROCPRIM_400000_NS6detail17trampoline_kernelINS0_14default_configENS1_38merge_sort_block_merge_config_selectorIiiEEZZNS1_27merge_sort_block_merge_implIS3_N6thrust23THRUST_200600_302600_NS6detail15normal_iteratorINS8_10device_ptrIiEEEESD_jNS1_19radix_merge_compareILb1ELb0EiNS0_19identity_decomposerEEEEE10hipError_tT0_T1_T2_jT3_P12ihipStream_tbPNSt15iterator_traitsISI_E10value_typeEPNSO_ISJ_E10value_typeEPSK_NS1_7vsmem_tEENKUlT_SI_SJ_SK_E_clISD_PiSD_S10_EESH_SX_SI_SJ_SK_EUlSX_E0_NS1_11comp_targetILNS1_3genE2ELNS1_11target_archE906ELNS1_3gpuE6ELNS1_3repE0EEENS1_38merge_mergepath_config_static_selectorELNS0_4arch9wavefront6targetE1EEEvSJ_
	.p2align	8
	.type	_ZN7rocprim17ROCPRIM_400000_NS6detail17trampoline_kernelINS0_14default_configENS1_38merge_sort_block_merge_config_selectorIiiEEZZNS1_27merge_sort_block_merge_implIS3_N6thrust23THRUST_200600_302600_NS6detail15normal_iteratorINS8_10device_ptrIiEEEESD_jNS1_19radix_merge_compareILb1ELb0EiNS0_19identity_decomposerEEEEE10hipError_tT0_T1_T2_jT3_P12ihipStream_tbPNSt15iterator_traitsISI_E10value_typeEPNSO_ISJ_E10value_typeEPSK_NS1_7vsmem_tEENKUlT_SI_SJ_SK_E_clISD_PiSD_S10_EESH_SX_SI_SJ_SK_EUlSX_E0_NS1_11comp_targetILNS1_3genE2ELNS1_11target_archE906ELNS1_3gpuE6ELNS1_3repE0EEENS1_38merge_mergepath_config_static_selectorELNS0_4arch9wavefront6targetE1EEEvSJ_,@function
_ZN7rocprim17ROCPRIM_400000_NS6detail17trampoline_kernelINS0_14default_configENS1_38merge_sort_block_merge_config_selectorIiiEEZZNS1_27merge_sort_block_merge_implIS3_N6thrust23THRUST_200600_302600_NS6detail15normal_iteratorINS8_10device_ptrIiEEEESD_jNS1_19radix_merge_compareILb1ELb0EiNS0_19identity_decomposerEEEEE10hipError_tT0_T1_T2_jT3_P12ihipStream_tbPNSt15iterator_traitsISI_E10value_typeEPNSO_ISJ_E10value_typeEPSK_NS1_7vsmem_tEENKUlT_SI_SJ_SK_E_clISD_PiSD_S10_EESH_SX_SI_SJ_SK_EUlSX_E0_NS1_11comp_targetILNS1_3genE2ELNS1_11target_archE906ELNS1_3gpuE6ELNS1_3repE0EEENS1_38merge_mergepath_config_static_selectorELNS0_4arch9wavefront6targetE1EEEvSJ_: ; @_ZN7rocprim17ROCPRIM_400000_NS6detail17trampoline_kernelINS0_14default_configENS1_38merge_sort_block_merge_config_selectorIiiEEZZNS1_27merge_sort_block_merge_implIS3_N6thrust23THRUST_200600_302600_NS6detail15normal_iteratorINS8_10device_ptrIiEEEESD_jNS1_19radix_merge_compareILb1ELb0EiNS0_19identity_decomposerEEEEE10hipError_tT0_T1_T2_jT3_P12ihipStream_tbPNSt15iterator_traitsISI_E10value_typeEPNSO_ISJ_E10value_typeEPSK_NS1_7vsmem_tEENKUlT_SI_SJ_SK_E_clISD_PiSD_S10_EESH_SX_SI_SJ_SK_EUlSX_E0_NS1_11comp_targetILNS1_3genE2ELNS1_11target_archE906ELNS1_3gpuE6ELNS1_3repE0EEENS1_38merge_mergepath_config_static_selectorELNS0_4arch9wavefront6targetE1EEEvSJ_
; %bb.0:
	.section	.rodata,"a",@progbits
	.p2align	6, 0x0
	.amdhsa_kernel _ZN7rocprim17ROCPRIM_400000_NS6detail17trampoline_kernelINS0_14default_configENS1_38merge_sort_block_merge_config_selectorIiiEEZZNS1_27merge_sort_block_merge_implIS3_N6thrust23THRUST_200600_302600_NS6detail15normal_iteratorINS8_10device_ptrIiEEEESD_jNS1_19radix_merge_compareILb1ELb0EiNS0_19identity_decomposerEEEEE10hipError_tT0_T1_T2_jT3_P12ihipStream_tbPNSt15iterator_traitsISI_E10value_typeEPNSO_ISJ_E10value_typeEPSK_NS1_7vsmem_tEENKUlT_SI_SJ_SK_E_clISD_PiSD_S10_EESH_SX_SI_SJ_SK_EUlSX_E0_NS1_11comp_targetILNS1_3genE2ELNS1_11target_archE906ELNS1_3gpuE6ELNS1_3repE0EEENS1_38merge_mergepath_config_static_selectorELNS0_4arch9wavefront6targetE1EEEvSJ_
		.amdhsa_group_segment_fixed_size 0
		.amdhsa_private_segment_fixed_size 0
		.amdhsa_kernarg_size 64
		.amdhsa_user_sgpr_count 2
		.amdhsa_user_sgpr_dispatch_ptr 0
		.amdhsa_user_sgpr_queue_ptr 0
		.amdhsa_user_sgpr_kernarg_segment_ptr 1
		.amdhsa_user_sgpr_dispatch_id 0
		.amdhsa_user_sgpr_kernarg_preload_length 0
		.amdhsa_user_sgpr_kernarg_preload_offset 0
		.amdhsa_user_sgpr_private_segment_size 0
		.amdhsa_uses_dynamic_stack 0
		.amdhsa_enable_private_segment 0
		.amdhsa_system_sgpr_workgroup_id_x 1
		.amdhsa_system_sgpr_workgroup_id_y 0
		.amdhsa_system_sgpr_workgroup_id_z 0
		.amdhsa_system_sgpr_workgroup_info 0
		.amdhsa_system_vgpr_workitem_id 0
		.amdhsa_next_free_vgpr 1
		.amdhsa_next_free_sgpr 0
		.amdhsa_accum_offset 4
		.amdhsa_reserve_vcc 0
		.amdhsa_float_round_mode_32 0
		.amdhsa_float_round_mode_16_64 0
		.amdhsa_float_denorm_mode_32 3
		.amdhsa_float_denorm_mode_16_64 3
		.amdhsa_dx10_clamp 1
		.amdhsa_ieee_mode 1
		.amdhsa_fp16_overflow 0
		.amdhsa_tg_split 0
		.amdhsa_exception_fp_ieee_invalid_op 0
		.amdhsa_exception_fp_denorm_src 0
		.amdhsa_exception_fp_ieee_div_zero 0
		.amdhsa_exception_fp_ieee_overflow 0
		.amdhsa_exception_fp_ieee_underflow 0
		.amdhsa_exception_fp_ieee_inexact 0
		.amdhsa_exception_int_div_zero 0
	.end_amdhsa_kernel
	.section	.text._ZN7rocprim17ROCPRIM_400000_NS6detail17trampoline_kernelINS0_14default_configENS1_38merge_sort_block_merge_config_selectorIiiEEZZNS1_27merge_sort_block_merge_implIS3_N6thrust23THRUST_200600_302600_NS6detail15normal_iteratorINS8_10device_ptrIiEEEESD_jNS1_19radix_merge_compareILb1ELb0EiNS0_19identity_decomposerEEEEE10hipError_tT0_T1_T2_jT3_P12ihipStream_tbPNSt15iterator_traitsISI_E10value_typeEPNSO_ISJ_E10value_typeEPSK_NS1_7vsmem_tEENKUlT_SI_SJ_SK_E_clISD_PiSD_S10_EESH_SX_SI_SJ_SK_EUlSX_E0_NS1_11comp_targetILNS1_3genE2ELNS1_11target_archE906ELNS1_3gpuE6ELNS1_3repE0EEENS1_38merge_mergepath_config_static_selectorELNS0_4arch9wavefront6targetE1EEEvSJ_,"axG",@progbits,_ZN7rocprim17ROCPRIM_400000_NS6detail17trampoline_kernelINS0_14default_configENS1_38merge_sort_block_merge_config_selectorIiiEEZZNS1_27merge_sort_block_merge_implIS3_N6thrust23THRUST_200600_302600_NS6detail15normal_iteratorINS8_10device_ptrIiEEEESD_jNS1_19radix_merge_compareILb1ELb0EiNS0_19identity_decomposerEEEEE10hipError_tT0_T1_T2_jT3_P12ihipStream_tbPNSt15iterator_traitsISI_E10value_typeEPNSO_ISJ_E10value_typeEPSK_NS1_7vsmem_tEENKUlT_SI_SJ_SK_E_clISD_PiSD_S10_EESH_SX_SI_SJ_SK_EUlSX_E0_NS1_11comp_targetILNS1_3genE2ELNS1_11target_archE906ELNS1_3gpuE6ELNS1_3repE0EEENS1_38merge_mergepath_config_static_selectorELNS0_4arch9wavefront6targetE1EEEvSJ_,comdat
.Lfunc_end922:
	.size	_ZN7rocprim17ROCPRIM_400000_NS6detail17trampoline_kernelINS0_14default_configENS1_38merge_sort_block_merge_config_selectorIiiEEZZNS1_27merge_sort_block_merge_implIS3_N6thrust23THRUST_200600_302600_NS6detail15normal_iteratorINS8_10device_ptrIiEEEESD_jNS1_19radix_merge_compareILb1ELb0EiNS0_19identity_decomposerEEEEE10hipError_tT0_T1_T2_jT3_P12ihipStream_tbPNSt15iterator_traitsISI_E10value_typeEPNSO_ISJ_E10value_typeEPSK_NS1_7vsmem_tEENKUlT_SI_SJ_SK_E_clISD_PiSD_S10_EESH_SX_SI_SJ_SK_EUlSX_E0_NS1_11comp_targetILNS1_3genE2ELNS1_11target_archE906ELNS1_3gpuE6ELNS1_3repE0EEENS1_38merge_mergepath_config_static_selectorELNS0_4arch9wavefront6targetE1EEEvSJ_, .Lfunc_end922-_ZN7rocprim17ROCPRIM_400000_NS6detail17trampoline_kernelINS0_14default_configENS1_38merge_sort_block_merge_config_selectorIiiEEZZNS1_27merge_sort_block_merge_implIS3_N6thrust23THRUST_200600_302600_NS6detail15normal_iteratorINS8_10device_ptrIiEEEESD_jNS1_19radix_merge_compareILb1ELb0EiNS0_19identity_decomposerEEEEE10hipError_tT0_T1_T2_jT3_P12ihipStream_tbPNSt15iterator_traitsISI_E10value_typeEPNSO_ISJ_E10value_typeEPSK_NS1_7vsmem_tEENKUlT_SI_SJ_SK_E_clISD_PiSD_S10_EESH_SX_SI_SJ_SK_EUlSX_E0_NS1_11comp_targetILNS1_3genE2ELNS1_11target_archE906ELNS1_3gpuE6ELNS1_3repE0EEENS1_38merge_mergepath_config_static_selectorELNS0_4arch9wavefront6targetE1EEEvSJ_
                                        ; -- End function
	.set _ZN7rocprim17ROCPRIM_400000_NS6detail17trampoline_kernelINS0_14default_configENS1_38merge_sort_block_merge_config_selectorIiiEEZZNS1_27merge_sort_block_merge_implIS3_N6thrust23THRUST_200600_302600_NS6detail15normal_iteratorINS8_10device_ptrIiEEEESD_jNS1_19radix_merge_compareILb1ELb0EiNS0_19identity_decomposerEEEEE10hipError_tT0_T1_T2_jT3_P12ihipStream_tbPNSt15iterator_traitsISI_E10value_typeEPNSO_ISJ_E10value_typeEPSK_NS1_7vsmem_tEENKUlT_SI_SJ_SK_E_clISD_PiSD_S10_EESH_SX_SI_SJ_SK_EUlSX_E0_NS1_11comp_targetILNS1_3genE2ELNS1_11target_archE906ELNS1_3gpuE6ELNS1_3repE0EEENS1_38merge_mergepath_config_static_selectorELNS0_4arch9wavefront6targetE1EEEvSJ_.num_vgpr, 0
	.set _ZN7rocprim17ROCPRIM_400000_NS6detail17trampoline_kernelINS0_14default_configENS1_38merge_sort_block_merge_config_selectorIiiEEZZNS1_27merge_sort_block_merge_implIS3_N6thrust23THRUST_200600_302600_NS6detail15normal_iteratorINS8_10device_ptrIiEEEESD_jNS1_19radix_merge_compareILb1ELb0EiNS0_19identity_decomposerEEEEE10hipError_tT0_T1_T2_jT3_P12ihipStream_tbPNSt15iterator_traitsISI_E10value_typeEPNSO_ISJ_E10value_typeEPSK_NS1_7vsmem_tEENKUlT_SI_SJ_SK_E_clISD_PiSD_S10_EESH_SX_SI_SJ_SK_EUlSX_E0_NS1_11comp_targetILNS1_3genE2ELNS1_11target_archE906ELNS1_3gpuE6ELNS1_3repE0EEENS1_38merge_mergepath_config_static_selectorELNS0_4arch9wavefront6targetE1EEEvSJ_.num_agpr, 0
	.set _ZN7rocprim17ROCPRIM_400000_NS6detail17trampoline_kernelINS0_14default_configENS1_38merge_sort_block_merge_config_selectorIiiEEZZNS1_27merge_sort_block_merge_implIS3_N6thrust23THRUST_200600_302600_NS6detail15normal_iteratorINS8_10device_ptrIiEEEESD_jNS1_19radix_merge_compareILb1ELb0EiNS0_19identity_decomposerEEEEE10hipError_tT0_T1_T2_jT3_P12ihipStream_tbPNSt15iterator_traitsISI_E10value_typeEPNSO_ISJ_E10value_typeEPSK_NS1_7vsmem_tEENKUlT_SI_SJ_SK_E_clISD_PiSD_S10_EESH_SX_SI_SJ_SK_EUlSX_E0_NS1_11comp_targetILNS1_3genE2ELNS1_11target_archE906ELNS1_3gpuE6ELNS1_3repE0EEENS1_38merge_mergepath_config_static_selectorELNS0_4arch9wavefront6targetE1EEEvSJ_.numbered_sgpr, 0
	.set _ZN7rocprim17ROCPRIM_400000_NS6detail17trampoline_kernelINS0_14default_configENS1_38merge_sort_block_merge_config_selectorIiiEEZZNS1_27merge_sort_block_merge_implIS3_N6thrust23THRUST_200600_302600_NS6detail15normal_iteratorINS8_10device_ptrIiEEEESD_jNS1_19radix_merge_compareILb1ELb0EiNS0_19identity_decomposerEEEEE10hipError_tT0_T1_T2_jT3_P12ihipStream_tbPNSt15iterator_traitsISI_E10value_typeEPNSO_ISJ_E10value_typeEPSK_NS1_7vsmem_tEENKUlT_SI_SJ_SK_E_clISD_PiSD_S10_EESH_SX_SI_SJ_SK_EUlSX_E0_NS1_11comp_targetILNS1_3genE2ELNS1_11target_archE906ELNS1_3gpuE6ELNS1_3repE0EEENS1_38merge_mergepath_config_static_selectorELNS0_4arch9wavefront6targetE1EEEvSJ_.num_named_barrier, 0
	.set _ZN7rocprim17ROCPRIM_400000_NS6detail17trampoline_kernelINS0_14default_configENS1_38merge_sort_block_merge_config_selectorIiiEEZZNS1_27merge_sort_block_merge_implIS3_N6thrust23THRUST_200600_302600_NS6detail15normal_iteratorINS8_10device_ptrIiEEEESD_jNS1_19radix_merge_compareILb1ELb0EiNS0_19identity_decomposerEEEEE10hipError_tT0_T1_T2_jT3_P12ihipStream_tbPNSt15iterator_traitsISI_E10value_typeEPNSO_ISJ_E10value_typeEPSK_NS1_7vsmem_tEENKUlT_SI_SJ_SK_E_clISD_PiSD_S10_EESH_SX_SI_SJ_SK_EUlSX_E0_NS1_11comp_targetILNS1_3genE2ELNS1_11target_archE906ELNS1_3gpuE6ELNS1_3repE0EEENS1_38merge_mergepath_config_static_selectorELNS0_4arch9wavefront6targetE1EEEvSJ_.private_seg_size, 0
	.set _ZN7rocprim17ROCPRIM_400000_NS6detail17trampoline_kernelINS0_14default_configENS1_38merge_sort_block_merge_config_selectorIiiEEZZNS1_27merge_sort_block_merge_implIS3_N6thrust23THRUST_200600_302600_NS6detail15normal_iteratorINS8_10device_ptrIiEEEESD_jNS1_19radix_merge_compareILb1ELb0EiNS0_19identity_decomposerEEEEE10hipError_tT0_T1_T2_jT3_P12ihipStream_tbPNSt15iterator_traitsISI_E10value_typeEPNSO_ISJ_E10value_typeEPSK_NS1_7vsmem_tEENKUlT_SI_SJ_SK_E_clISD_PiSD_S10_EESH_SX_SI_SJ_SK_EUlSX_E0_NS1_11comp_targetILNS1_3genE2ELNS1_11target_archE906ELNS1_3gpuE6ELNS1_3repE0EEENS1_38merge_mergepath_config_static_selectorELNS0_4arch9wavefront6targetE1EEEvSJ_.uses_vcc, 0
	.set _ZN7rocprim17ROCPRIM_400000_NS6detail17trampoline_kernelINS0_14default_configENS1_38merge_sort_block_merge_config_selectorIiiEEZZNS1_27merge_sort_block_merge_implIS3_N6thrust23THRUST_200600_302600_NS6detail15normal_iteratorINS8_10device_ptrIiEEEESD_jNS1_19radix_merge_compareILb1ELb0EiNS0_19identity_decomposerEEEEE10hipError_tT0_T1_T2_jT3_P12ihipStream_tbPNSt15iterator_traitsISI_E10value_typeEPNSO_ISJ_E10value_typeEPSK_NS1_7vsmem_tEENKUlT_SI_SJ_SK_E_clISD_PiSD_S10_EESH_SX_SI_SJ_SK_EUlSX_E0_NS1_11comp_targetILNS1_3genE2ELNS1_11target_archE906ELNS1_3gpuE6ELNS1_3repE0EEENS1_38merge_mergepath_config_static_selectorELNS0_4arch9wavefront6targetE1EEEvSJ_.uses_flat_scratch, 0
	.set _ZN7rocprim17ROCPRIM_400000_NS6detail17trampoline_kernelINS0_14default_configENS1_38merge_sort_block_merge_config_selectorIiiEEZZNS1_27merge_sort_block_merge_implIS3_N6thrust23THRUST_200600_302600_NS6detail15normal_iteratorINS8_10device_ptrIiEEEESD_jNS1_19radix_merge_compareILb1ELb0EiNS0_19identity_decomposerEEEEE10hipError_tT0_T1_T2_jT3_P12ihipStream_tbPNSt15iterator_traitsISI_E10value_typeEPNSO_ISJ_E10value_typeEPSK_NS1_7vsmem_tEENKUlT_SI_SJ_SK_E_clISD_PiSD_S10_EESH_SX_SI_SJ_SK_EUlSX_E0_NS1_11comp_targetILNS1_3genE2ELNS1_11target_archE906ELNS1_3gpuE6ELNS1_3repE0EEENS1_38merge_mergepath_config_static_selectorELNS0_4arch9wavefront6targetE1EEEvSJ_.has_dyn_sized_stack, 0
	.set _ZN7rocprim17ROCPRIM_400000_NS6detail17trampoline_kernelINS0_14default_configENS1_38merge_sort_block_merge_config_selectorIiiEEZZNS1_27merge_sort_block_merge_implIS3_N6thrust23THRUST_200600_302600_NS6detail15normal_iteratorINS8_10device_ptrIiEEEESD_jNS1_19radix_merge_compareILb1ELb0EiNS0_19identity_decomposerEEEEE10hipError_tT0_T1_T2_jT3_P12ihipStream_tbPNSt15iterator_traitsISI_E10value_typeEPNSO_ISJ_E10value_typeEPSK_NS1_7vsmem_tEENKUlT_SI_SJ_SK_E_clISD_PiSD_S10_EESH_SX_SI_SJ_SK_EUlSX_E0_NS1_11comp_targetILNS1_3genE2ELNS1_11target_archE906ELNS1_3gpuE6ELNS1_3repE0EEENS1_38merge_mergepath_config_static_selectorELNS0_4arch9wavefront6targetE1EEEvSJ_.has_recursion, 0
	.set _ZN7rocprim17ROCPRIM_400000_NS6detail17trampoline_kernelINS0_14default_configENS1_38merge_sort_block_merge_config_selectorIiiEEZZNS1_27merge_sort_block_merge_implIS3_N6thrust23THRUST_200600_302600_NS6detail15normal_iteratorINS8_10device_ptrIiEEEESD_jNS1_19radix_merge_compareILb1ELb0EiNS0_19identity_decomposerEEEEE10hipError_tT0_T1_T2_jT3_P12ihipStream_tbPNSt15iterator_traitsISI_E10value_typeEPNSO_ISJ_E10value_typeEPSK_NS1_7vsmem_tEENKUlT_SI_SJ_SK_E_clISD_PiSD_S10_EESH_SX_SI_SJ_SK_EUlSX_E0_NS1_11comp_targetILNS1_3genE2ELNS1_11target_archE906ELNS1_3gpuE6ELNS1_3repE0EEENS1_38merge_mergepath_config_static_selectorELNS0_4arch9wavefront6targetE1EEEvSJ_.has_indirect_call, 0
	.section	.AMDGPU.csdata,"",@progbits
; Kernel info:
; codeLenInByte = 0
; TotalNumSgprs: 6
; NumVgprs: 0
; NumAgprs: 0
; TotalNumVgprs: 0
; ScratchSize: 0
; MemoryBound: 0
; FloatMode: 240
; IeeeMode: 1
; LDSByteSize: 0 bytes/workgroup (compile time only)
; SGPRBlocks: 0
; VGPRBlocks: 0
; NumSGPRsForWavesPerEU: 6
; NumVGPRsForWavesPerEU: 1
; AccumOffset: 4
; Occupancy: 8
; WaveLimiterHint : 0
; COMPUTE_PGM_RSRC2:SCRATCH_EN: 0
; COMPUTE_PGM_RSRC2:USER_SGPR: 2
; COMPUTE_PGM_RSRC2:TRAP_HANDLER: 0
; COMPUTE_PGM_RSRC2:TGID_X_EN: 1
; COMPUTE_PGM_RSRC2:TGID_Y_EN: 0
; COMPUTE_PGM_RSRC2:TGID_Z_EN: 0
; COMPUTE_PGM_RSRC2:TIDIG_COMP_CNT: 0
; COMPUTE_PGM_RSRC3_GFX90A:ACCUM_OFFSET: 0
; COMPUTE_PGM_RSRC3_GFX90A:TG_SPLIT: 0
	.section	.text._ZN7rocprim17ROCPRIM_400000_NS6detail17trampoline_kernelINS0_14default_configENS1_38merge_sort_block_merge_config_selectorIiiEEZZNS1_27merge_sort_block_merge_implIS3_N6thrust23THRUST_200600_302600_NS6detail15normal_iteratorINS8_10device_ptrIiEEEESD_jNS1_19radix_merge_compareILb1ELb0EiNS0_19identity_decomposerEEEEE10hipError_tT0_T1_T2_jT3_P12ihipStream_tbPNSt15iterator_traitsISI_E10value_typeEPNSO_ISJ_E10value_typeEPSK_NS1_7vsmem_tEENKUlT_SI_SJ_SK_E_clISD_PiSD_S10_EESH_SX_SI_SJ_SK_EUlSX_E0_NS1_11comp_targetILNS1_3genE9ELNS1_11target_archE1100ELNS1_3gpuE3ELNS1_3repE0EEENS1_38merge_mergepath_config_static_selectorELNS0_4arch9wavefront6targetE1EEEvSJ_,"axG",@progbits,_ZN7rocprim17ROCPRIM_400000_NS6detail17trampoline_kernelINS0_14default_configENS1_38merge_sort_block_merge_config_selectorIiiEEZZNS1_27merge_sort_block_merge_implIS3_N6thrust23THRUST_200600_302600_NS6detail15normal_iteratorINS8_10device_ptrIiEEEESD_jNS1_19radix_merge_compareILb1ELb0EiNS0_19identity_decomposerEEEEE10hipError_tT0_T1_T2_jT3_P12ihipStream_tbPNSt15iterator_traitsISI_E10value_typeEPNSO_ISJ_E10value_typeEPSK_NS1_7vsmem_tEENKUlT_SI_SJ_SK_E_clISD_PiSD_S10_EESH_SX_SI_SJ_SK_EUlSX_E0_NS1_11comp_targetILNS1_3genE9ELNS1_11target_archE1100ELNS1_3gpuE3ELNS1_3repE0EEENS1_38merge_mergepath_config_static_selectorELNS0_4arch9wavefront6targetE1EEEvSJ_,comdat
	.protected	_ZN7rocprim17ROCPRIM_400000_NS6detail17trampoline_kernelINS0_14default_configENS1_38merge_sort_block_merge_config_selectorIiiEEZZNS1_27merge_sort_block_merge_implIS3_N6thrust23THRUST_200600_302600_NS6detail15normal_iteratorINS8_10device_ptrIiEEEESD_jNS1_19radix_merge_compareILb1ELb0EiNS0_19identity_decomposerEEEEE10hipError_tT0_T1_T2_jT3_P12ihipStream_tbPNSt15iterator_traitsISI_E10value_typeEPNSO_ISJ_E10value_typeEPSK_NS1_7vsmem_tEENKUlT_SI_SJ_SK_E_clISD_PiSD_S10_EESH_SX_SI_SJ_SK_EUlSX_E0_NS1_11comp_targetILNS1_3genE9ELNS1_11target_archE1100ELNS1_3gpuE3ELNS1_3repE0EEENS1_38merge_mergepath_config_static_selectorELNS0_4arch9wavefront6targetE1EEEvSJ_ ; -- Begin function _ZN7rocprim17ROCPRIM_400000_NS6detail17trampoline_kernelINS0_14default_configENS1_38merge_sort_block_merge_config_selectorIiiEEZZNS1_27merge_sort_block_merge_implIS3_N6thrust23THRUST_200600_302600_NS6detail15normal_iteratorINS8_10device_ptrIiEEEESD_jNS1_19radix_merge_compareILb1ELb0EiNS0_19identity_decomposerEEEEE10hipError_tT0_T1_T2_jT3_P12ihipStream_tbPNSt15iterator_traitsISI_E10value_typeEPNSO_ISJ_E10value_typeEPSK_NS1_7vsmem_tEENKUlT_SI_SJ_SK_E_clISD_PiSD_S10_EESH_SX_SI_SJ_SK_EUlSX_E0_NS1_11comp_targetILNS1_3genE9ELNS1_11target_archE1100ELNS1_3gpuE3ELNS1_3repE0EEENS1_38merge_mergepath_config_static_selectorELNS0_4arch9wavefront6targetE1EEEvSJ_
	.globl	_ZN7rocprim17ROCPRIM_400000_NS6detail17trampoline_kernelINS0_14default_configENS1_38merge_sort_block_merge_config_selectorIiiEEZZNS1_27merge_sort_block_merge_implIS3_N6thrust23THRUST_200600_302600_NS6detail15normal_iteratorINS8_10device_ptrIiEEEESD_jNS1_19radix_merge_compareILb1ELb0EiNS0_19identity_decomposerEEEEE10hipError_tT0_T1_T2_jT3_P12ihipStream_tbPNSt15iterator_traitsISI_E10value_typeEPNSO_ISJ_E10value_typeEPSK_NS1_7vsmem_tEENKUlT_SI_SJ_SK_E_clISD_PiSD_S10_EESH_SX_SI_SJ_SK_EUlSX_E0_NS1_11comp_targetILNS1_3genE9ELNS1_11target_archE1100ELNS1_3gpuE3ELNS1_3repE0EEENS1_38merge_mergepath_config_static_selectorELNS0_4arch9wavefront6targetE1EEEvSJ_
	.p2align	8
	.type	_ZN7rocprim17ROCPRIM_400000_NS6detail17trampoline_kernelINS0_14default_configENS1_38merge_sort_block_merge_config_selectorIiiEEZZNS1_27merge_sort_block_merge_implIS3_N6thrust23THRUST_200600_302600_NS6detail15normal_iteratorINS8_10device_ptrIiEEEESD_jNS1_19radix_merge_compareILb1ELb0EiNS0_19identity_decomposerEEEEE10hipError_tT0_T1_T2_jT3_P12ihipStream_tbPNSt15iterator_traitsISI_E10value_typeEPNSO_ISJ_E10value_typeEPSK_NS1_7vsmem_tEENKUlT_SI_SJ_SK_E_clISD_PiSD_S10_EESH_SX_SI_SJ_SK_EUlSX_E0_NS1_11comp_targetILNS1_3genE9ELNS1_11target_archE1100ELNS1_3gpuE3ELNS1_3repE0EEENS1_38merge_mergepath_config_static_selectorELNS0_4arch9wavefront6targetE1EEEvSJ_,@function
_ZN7rocprim17ROCPRIM_400000_NS6detail17trampoline_kernelINS0_14default_configENS1_38merge_sort_block_merge_config_selectorIiiEEZZNS1_27merge_sort_block_merge_implIS3_N6thrust23THRUST_200600_302600_NS6detail15normal_iteratorINS8_10device_ptrIiEEEESD_jNS1_19radix_merge_compareILb1ELb0EiNS0_19identity_decomposerEEEEE10hipError_tT0_T1_T2_jT3_P12ihipStream_tbPNSt15iterator_traitsISI_E10value_typeEPNSO_ISJ_E10value_typeEPSK_NS1_7vsmem_tEENKUlT_SI_SJ_SK_E_clISD_PiSD_S10_EESH_SX_SI_SJ_SK_EUlSX_E0_NS1_11comp_targetILNS1_3genE9ELNS1_11target_archE1100ELNS1_3gpuE3ELNS1_3repE0EEENS1_38merge_mergepath_config_static_selectorELNS0_4arch9wavefront6targetE1EEEvSJ_: ; @_ZN7rocprim17ROCPRIM_400000_NS6detail17trampoline_kernelINS0_14default_configENS1_38merge_sort_block_merge_config_selectorIiiEEZZNS1_27merge_sort_block_merge_implIS3_N6thrust23THRUST_200600_302600_NS6detail15normal_iteratorINS8_10device_ptrIiEEEESD_jNS1_19radix_merge_compareILb1ELb0EiNS0_19identity_decomposerEEEEE10hipError_tT0_T1_T2_jT3_P12ihipStream_tbPNSt15iterator_traitsISI_E10value_typeEPNSO_ISJ_E10value_typeEPSK_NS1_7vsmem_tEENKUlT_SI_SJ_SK_E_clISD_PiSD_S10_EESH_SX_SI_SJ_SK_EUlSX_E0_NS1_11comp_targetILNS1_3genE9ELNS1_11target_archE1100ELNS1_3gpuE3ELNS1_3repE0EEENS1_38merge_mergepath_config_static_selectorELNS0_4arch9wavefront6targetE1EEEvSJ_
; %bb.0:
	.section	.rodata,"a",@progbits
	.p2align	6, 0x0
	.amdhsa_kernel _ZN7rocprim17ROCPRIM_400000_NS6detail17trampoline_kernelINS0_14default_configENS1_38merge_sort_block_merge_config_selectorIiiEEZZNS1_27merge_sort_block_merge_implIS3_N6thrust23THRUST_200600_302600_NS6detail15normal_iteratorINS8_10device_ptrIiEEEESD_jNS1_19radix_merge_compareILb1ELb0EiNS0_19identity_decomposerEEEEE10hipError_tT0_T1_T2_jT3_P12ihipStream_tbPNSt15iterator_traitsISI_E10value_typeEPNSO_ISJ_E10value_typeEPSK_NS1_7vsmem_tEENKUlT_SI_SJ_SK_E_clISD_PiSD_S10_EESH_SX_SI_SJ_SK_EUlSX_E0_NS1_11comp_targetILNS1_3genE9ELNS1_11target_archE1100ELNS1_3gpuE3ELNS1_3repE0EEENS1_38merge_mergepath_config_static_selectorELNS0_4arch9wavefront6targetE1EEEvSJ_
		.amdhsa_group_segment_fixed_size 0
		.amdhsa_private_segment_fixed_size 0
		.amdhsa_kernarg_size 64
		.amdhsa_user_sgpr_count 2
		.amdhsa_user_sgpr_dispatch_ptr 0
		.amdhsa_user_sgpr_queue_ptr 0
		.amdhsa_user_sgpr_kernarg_segment_ptr 1
		.amdhsa_user_sgpr_dispatch_id 0
		.amdhsa_user_sgpr_kernarg_preload_length 0
		.amdhsa_user_sgpr_kernarg_preload_offset 0
		.amdhsa_user_sgpr_private_segment_size 0
		.amdhsa_uses_dynamic_stack 0
		.amdhsa_enable_private_segment 0
		.amdhsa_system_sgpr_workgroup_id_x 1
		.amdhsa_system_sgpr_workgroup_id_y 0
		.amdhsa_system_sgpr_workgroup_id_z 0
		.amdhsa_system_sgpr_workgroup_info 0
		.amdhsa_system_vgpr_workitem_id 0
		.amdhsa_next_free_vgpr 1
		.amdhsa_next_free_sgpr 0
		.amdhsa_accum_offset 4
		.amdhsa_reserve_vcc 0
		.amdhsa_float_round_mode_32 0
		.amdhsa_float_round_mode_16_64 0
		.amdhsa_float_denorm_mode_32 3
		.amdhsa_float_denorm_mode_16_64 3
		.amdhsa_dx10_clamp 1
		.amdhsa_ieee_mode 1
		.amdhsa_fp16_overflow 0
		.amdhsa_tg_split 0
		.amdhsa_exception_fp_ieee_invalid_op 0
		.amdhsa_exception_fp_denorm_src 0
		.amdhsa_exception_fp_ieee_div_zero 0
		.amdhsa_exception_fp_ieee_overflow 0
		.amdhsa_exception_fp_ieee_underflow 0
		.amdhsa_exception_fp_ieee_inexact 0
		.amdhsa_exception_int_div_zero 0
	.end_amdhsa_kernel
	.section	.text._ZN7rocprim17ROCPRIM_400000_NS6detail17trampoline_kernelINS0_14default_configENS1_38merge_sort_block_merge_config_selectorIiiEEZZNS1_27merge_sort_block_merge_implIS3_N6thrust23THRUST_200600_302600_NS6detail15normal_iteratorINS8_10device_ptrIiEEEESD_jNS1_19radix_merge_compareILb1ELb0EiNS0_19identity_decomposerEEEEE10hipError_tT0_T1_T2_jT3_P12ihipStream_tbPNSt15iterator_traitsISI_E10value_typeEPNSO_ISJ_E10value_typeEPSK_NS1_7vsmem_tEENKUlT_SI_SJ_SK_E_clISD_PiSD_S10_EESH_SX_SI_SJ_SK_EUlSX_E0_NS1_11comp_targetILNS1_3genE9ELNS1_11target_archE1100ELNS1_3gpuE3ELNS1_3repE0EEENS1_38merge_mergepath_config_static_selectorELNS0_4arch9wavefront6targetE1EEEvSJ_,"axG",@progbits,_ZN7rocprim17ROCPRIM_400000_NS6detail17trampoline_kernelINS0_14default_configENS1_38merge_sort_block_merge_config_selectorIiiEEZZNS1_27merge_sort_block_merge_implIS3_N6thrust23THRUST_200600_302600_NS6detail15normal_iteratorINS8_10device_ptrIiEEEESD_jNS1_19radix_merge_compareILb1ELb0EiNS0_19identity_decomposerEEEEE10hipError_tT0_T1_T2_jT3_P12ihipStream_tbPNSt15iterator_traitsISI_E10value_typeEPNSO_ISJ_E10value_typeEPSK_NS1_7vsmem_tEENKUlT_SI_SJ_SK_E_clISD_PiSD_S10_EESH_SX_SI_SJ_SK_EUlSX_E0_NS1_11comp_targetILNS1_3genE9ELNS1_11target_archE1100ELNS1_3gpuE3ELNS1_3repE0EEENS1_38merge_mergepath_config_static_selectorELNS0_4arch9wavefront6targetE1EEEvSJ_,comdat
.Lfunc_end923:
	.size	_ZN7rocprim17ROCPRIM_400000_NS6detail17trampoline_kernelINS0_14default_configENS1_38merge_sort_block_merge_config_selectorIiiEEZZNS1_27merge_sort_block_merge_implIS3_N6thrust23THRUST_200600_302600_NS6detail15normal_iteratorINS8_10device_ptrIiEEEESD_jNS1_19radix_merge_compareILb1ELb0EiNS0_19identity_decomposerEEEEE10hipError_tT0_T1_T2_jT3_P12ihipStream_tbPNSt15iterator_traitsISI_E10value_typeEPNSO_ISJ_E10value_typeEPSK_NS1_7vsmem_tEENKUlT_SI_SJ_SK_E_clISD_PiSD_S10_EESH_SX_SI_SJ_SK_EUlSX_E0_NS1_11comp_targetILNS1_3genE9ELNS1_11target_archE1100ELNS1_3gpuE3ELNS1_3repE0EEENS1_38merge_mergepath_config_static_selectorELNS0_4arch9wavefront6targetE1EEEvSJ_, .Lfunc_end923-_ZN7rocprim17ROCPRIM_400000_NS6detail17trampoline_kernelINS0_14default_configENS1_38merge_sort_block_merge_config_selectorIiiEEZZNS1_27merge_sort_block_merge_implIS3_N6thrust23THRUST_200600_302600_NS6detail15normal_iteratorINS8_10device_ptrIiEEEESD_jNS1_19radix_merge_compareILb1ELb0EiNS0_19identity_decomposerEEEEE10hipError_tT0_T1_T2_jT3_P12ihipStream_tbPNSt15iterator_traitsISI_E10value_typeEPNSO_ISJ_E10value_typeEPSK_NS1_7vsmem_tEENKUlT_SI_SJ_SK_E_clISD_PiSD_S10_EESH_SX_SI_SJ_SK_EUlSX_E0_NS1_11comp_targetILNS1_3genE9ELNS1_11target_archE1100ELNS1_3gpuE3ELNS1_3repE0EEENS1_38merge_mergepath_config_static_selectorELNS0_4arch9wavefront6targetE1EEEvSJ_
                                        ; -- End function
	.set _ZN7rocprim17ROCPRIM_400000_NS6detail17trampoline_kernelINS0_14default_configENS1_38merge_sort_block_merge_config_selectorIiiEEZZNS1_27merge_sort_block_merge_implIS3_N6thrust23THRUST_200600_302600_NS6detail15normal_iteratorINS8_10device_ptrIiEEEESD_jNS1_19radix_merge_compareILb1ELb0EiNS0_19identity_decomposerEEEEE10hipError_tT0_T1_T2_jT3_P12ihipStream_tbPNSt15iterator_traitsISI_E10value_typeEPNSO_ISJ_E10value_typeEPSK_NS1_7vsmem_tEENKUlT_SI_SJ_SK_E_clISD_PiSD_S10_EESH_SX_SI_SJ_SK_EUlSX_E0_NS1_11comp_targetILNS1_3genE9ELNS1_11target_archE1100ELNS1_3gpuE3ELNS1_3repE0EEENS1_38merge_mergepath_config_static_selectorELNS0_4arch9wavefront6targetE1EEEvSJ_.num_vgpr, 0
	.set _ZN7rocprim17ROCPRIM_400000_NS6detail17trampoline_kernelINS0_14default_configENS1_38merge_sort_block_merge_config_selectorIiiEEZZNS1_27merge_sort_block_merge_implIS3_N6thrust23THRUST_200600_302600_NS6detail15normal_iteratorINS8_10device_ptrIiEEEESD_jNS1_19radix_merge_compareILb1ELb0EiNS0_19identity_decomposerEEEEE10hipError_tT0_T1_T2_jT3_P12ihipStream_tbPNSt15iterator_traitsISI_E10value_typeEPNSO_ISJ_E10value_typeEPSK_NS1_7vsmem_tEENKUlT_SI_SJ_SK_E_clISD_PiSD_S10_EESH_SX_SI_SJ_SK_EUlSX_E0_NS1_11comp_targetILNS1_3genE9ELNS1_11target_archE1100ELNS1_3gpuE3ELNS1_3repE0EEENS1_38merge_mergepath_config_static_selectorELNS0_4arch9wavefront6targetE1EEEvSJ_.num_agpr, 0
	.set _ZN7rocprim17ROCPRIM_400000_NS6detail17trampoline_kernelINS0_14default_configENS1_38merge_sort_block_merge_config_selectorIiiEEZZNS1_27merge_sort_block_merge_implIS3_N6thrust23THRUST_200600_302600_NS6detail15normal_iteratorINS8_10device_ptrIiEEEESD_jNS1_19radix_merge_compareILb1ELb0EiNS0_19identity_decomposerEEEEE10hipError_tT0_T1_T2_jT3_P12ihipStream_tbPNSt15iterator_traitsISI_E10value_typeEPNSO_ISJ_E10value_typeEPSK_NS1_7vsmem_tEENKUlT_SI_SJ_SK_E_clISD_PiSD_S10_EESH_SX_SI_SJ_SK_EUlSX_E0_NS1_11comp_targetILNS1_3genE9ELNS1_11target_archE1100ELNS1_3gpuE3ELNS1_3repE0EEENS1_38merge_mergepath_config_static_selectorELNS0_4arch9wavefront6targetE1EEEvSJ_.numbered_sgpr, 0
	.set _ZN7rocprim17ROCPRIM_400000_NS6detail17trampoline_kernelINS0_14default_configENS1_38merge_sort_block_merge_config_selectorIiiEEZZNS1_27merge_sort_block_merge_implIS3_N6thrust23THRUST_200600_302600_NS6detail15normal_iteratorINS8_10device_ptrIiEEEESD_jNS1_19radix_merge_compareILb1ELb0EiNS0_19identity_decomposerEEEEE10hipError_tT0_T1_T2_jT3_P12ihipStream_tbPNSt15iterator_traitsISI_E10value_typeEPNSO_ISJ_E10value_typeEPSK_NS1_7vsmem_tEENKUlT_SI_SJ_SK_E_clISD_PiSD_S10_EESH_SX_SI_SJ_SK_EUlSX_E0_NS1_11comp_targetILNS1_3genE9ELNS1_11target_archE1100ELNS1_3gpuE3ELNS1_3repE0EEENS1_38merge_mergepath_config_static_selectorELNS0_4arch9wavefront6targetE1EEEvSJ_.num_named_barrier, 0
	.set _ZN7rocprim17ROCPRIM_400000_NS6detail17trampoline_kernelINS0_14default_configENS1_38merge_sort_block_merge_config_selectorIiiEEZZNS1_27merge_sort_block_merge_implIS3_N6thrust23THRUST_200600_302600_NS6detail15normal_iteratorINS8_10device_ptrIiEEEESD_jNS1_19radix_merge_compareILb1ELb0EiNS0_19identity_decomposerEEEEE10hipError_tT0_T1_T2_jT3_P12ihipStream_tbPNSt15iterator_traitsISI_E10value_typeEPNSO_ISJ_E10value_typeEPSK_NS1_7vsmem_tEENKUlT_SI_SJ_SK_E_clISD_PiSD_S10_EESH_SX_SI_SJ_SK_EUlSX_E0_NS1_11comp_targetILNS1_3genE9ELNS1_11target_archE1100ELNS1_3gpuE3ELNS1_3repE0EEENS1_38merge_mergepath_config_static_selectorELNS0_4arch9wavefront6targetE1EEEvSJ_.private_seg_size, 0
	.set _ZN7rocprim17ROCPRIM_400000_NS6detail17trampoline_kernelINS0_14default_configENS1_38merge_sort_block_merge_config_selectorIiiEEZZNS1_27merge_sort_block_merge_implIS3_N6thrust23THRUST_200600_302600_NS6detail15normal_iteratorINS8_10device_ptrIiEEEESD_jNS1_19radix_merge_compareILb1ELb0EiNS0_19identity_decomposerEEEEE10hipError_tT0_T1_T2_jT3_P12ihipStream_tbPNSt15iterator_traitsISI_E10value_typeEPNSO_ISJ_E10value_typeEPSK_NS1_7vsmem_tEENKUlT_SI_SJ_SK_E_clISD_PiSD_S10_EESH_SX_SI_SJ_SK_EUlSX_E0_NS1_11comp_targetILNS1_3genE9ELNS1_11target_archE1100ELNS1_3gpuE3ELNS1_3repE0EEENS1_38merge_mergepath_config_static_selectorELNS0_4arch9wavefront6targetE1EEEvSJ_.uses_vcc, 0
	.set _ZN7rocprim17ROCPRIM_400000_NS6detail17trampoline_kernelINS0_14default_configENS1_38merge_sort_block_merge_config_selectorIiiEEZZNS1_27merge_sort_block_merge_implIS3_N6thrust23THRUST_200600_302600_NS6detail15normal_iteratorINS8_10device_ptrIiEEEESD_jNS1_19radix_merge_compareILb1ELb0EiNS0_19identity_decomposerEEEEE10hipError_tT0_T1_T2_jT3_P12ihipStream_tbPNSt15iterator_traitsISI_E10value_typeEPNSO_ISJ_E10value_typeEPSK_NS1_7vsmem_tEENKUlT_SI_SJ_SK_E_clISD_PiSD_S10_EESH_SX_SI_SJ_SK_EUlSX_E0_NS1_11comp_targetILNS1_3genE9ELNS1_11target_archE1100ELNS1_3gpuE3ELNS1_3repE0EEENS1_38merge_mergepath_config_static_selectorELNS0_4arch9wavefront6targetE1EEEvSJ_.uses_flat_scratch, 0
	.set _ZN7rocprim17ROCPRIM_400000_NS6detail17trampoline_kernelINS0_14default_configENS1_38merge_sort_block_merge_config_selectorIiiEEZZNS1_27merge_sort_block_merge_implIS3_N6thrust23THRUST_200600_302600_NS6detail15normal_iteratorINS8_10device_ptrIiEEEESD_jNS1_19radix_merge_compareILb1ELb0EiNS0_19identity_decomposerEEEEE10hipError_tT0_T1_T2_jT3_P12ihipStream_tbPNSt15iterator_traitsISI_E10value_typeEPNSO_ISJ_E10value_typeEPSK_NS1_7vsmem_tEENKUlT_SI_SJ_SK_E_clISD_PiSD_S10_EESH_SX_SI_SJ_SK_EUlSX_E0_NS1_11comp_targetILNS1_3genE9ELNS1_11target_archE1100ELNS1_3gpuE3ELNS1_3repE0EEENS1_38merge_mergepath_config_static_selectorELNS0_4arch9wavefront6targetE1EEEvSJ_.has_dyn_sized_stack, 0
	.set _ZN7rocprim17ROCPRIM_400000_NS6detail17trampoline_kernelINS0_14default_configENS1_38merge_sort_block_merge_config_selectorIiiEEZZNS1_27merge_sort_block_merge_implIS3_N6thrust23THRUST_200600_302600_NS6detail15normal_iteratorINS8_10device_ptrIiEEEESD_jNS1_19radix_merge_compareILb1ELb0EiNS0_19identity_decomposerEEEEE10hipError_tT0_T1_T2_jT3_P12ihipStream_tbPNSt15iterator_traitsISI_E10value_typeEPNSO_ISJ_E10value_typeEPSK_NS1_7vsmem_tEENKUlT_SI_SJ_SK_E_clISD_PiSD_S10_EESH_SX_SI_SJ_SK_EUlSX_E0_NS1_11comp_targetILNS1_3genE9ELNS1_11target_archE1100ELNS1_3gpuE3ELNS1_3repE0EEENS1_38merge_mergepath_config_static_selectorELNS0_4arch9wavefront6targetE1EEEvSJ_.has_recursion, 0
	.set _ZN7rocprim17ROCPRIM_400000_NS6detail17trampoline_kernelINS0_14default_configENS1_38merge_sort_block_merge_config_selectorIiiEEZZNS1_27merge_sort_block_merge_implIS3_N6thrust23THRUST_200600_302600_NS6detail15normal_iteratorINS8_10device_ptrIiEEEESD_jNS1_19radix_merge_compareILb1ELb0EiNS0_19identity_decomposerEEEEE10hipError_tT0_T1_T2_jT3_P12ihipStream_tbPNSt15iterator_traitsISI_E10value_typeEPNSO_ISJ_E10value_typeEPSK_NS1_7vsmem_tEENKUlT_SI_SJ_SK_E_clISD_PiSD_S10_EESH_SX_SI_SJ_SK_EUlSX_E0_NS1_11comp_targetILNS1_3genE9ELNS1_11target_archE1100ELNS1_3gpuE3ELNS1_3repE0EEENS1_38merge_mergepath_config_static_selectorELNS0_4arch9wavefront6targetE1EEEvSJ_.has_indirect_call, 0
	.section	.AMDGPU.csdata,"",@progbits
; Kernel info:
; codeLenInByte = 0
; TotalNumSgprs: 6
; NumVgprs: 0
; NumAgprs: 0
; TotalNumVgprs: 0
; ScratchSize: 0
; MemoryBound: 0
; FloatMode: 240
; IeeeMode: 1
; LDSByteSize: 0 bytes/workgroup (compile time only)
; SGPRBlocks: 0
; VGPRBlocks: 0
; NumSGPRsForWavesPerEU: 6
; NumVGPRsForWavesPerEU: 1
; AccumOffset: 4
; Occupancy: 8
; WaveLimiterHint : 0
; COMPUTE_PGM_RSRC2:SCRATCH_EN: 0
; COMPUTE_PGM_RSRC2:USER_SGPR: 2
; COMPUTE_PGM_RSRC2:TRAP_HANDLER: 0
; COMPUTE_PGM_RSRC2:TGID_X_EN: 1
; COMPUTE_PGM_RSRC2:TGID_Y_EN: 0
; COMPUTE_PGM_RSRC2:TGID_Z_EN: 0
; COMPUTE_PGM_RSRC2:TIDIG_COMP_CNT: 0
; COMPUTE_PGM_RSRC3_GFX90A:ACCUM_OFFSET: 0
; COMPUTE_PGM_RSRC3_GFX90A:TG_SPLIT: 0
	.section	.text._ZN7rocprim17ROCPRIM_400000_NS6detail17trampoline_kernelINS0_14default_configENS1_38merge_sort_block_merge_config_selectorIiiEEZZNS1_27merge_sort_block_merge_implIS3_N6thrust23THRUST_200600_302600_NS6detail15normal_iteratorINS8_10device_ptrIiEEEESD_jNS1_19radix_merge_compareILb1ELb0EiNS0_19identity_decomposerEEEEE10hipError_tT0_T1_T2_jT3_P12ihipStream_tbPNSt15iterator_traitsISI_E10value_typeEPNSO_ISJ_E10value_typeEPSK_NS1_7vsmem_tEENKUlT_SI_SJ_SK_E_clISD_PiSD_S10_EESH_SX_SI_SJ_SK_EUlSX_E0_NS1_11comp_targetILNS1_3genE8ELNS1_11target_archE1030ELNS1_3gpuE2ELNS1_3repE0EEENS1_38merge_mergepath_config_static_selectorELNS0_4arch9wavefront6targetE1EEEvSJ_,"axG",@progbits,_ZN7rocprim17ROCPRIM_400000_NS6detail17trampoline_kernelINS0_14default_configENS1_38merge_sort_block_merge_config_selectorIiiEEZZNS1_27merge_sort_block_merge_implIS3_N6thrust23THRUST_200600_302600_NS6detail15normal_iteratorINS8_10device_ptrIiEEEESD_jNS1_19radix_merge_compareILb1ELb0EiNS0_19identity_decomposerEEEEE10hipError_tT0_T1_T2_jT3_P12ihipStream_tbPNSt15iterator_traitsISI_E10value_typeEPNSO_ISJ_E10value_typeEPSK_NS1_7vsmem_tEENKUlT_SI_SJ_SK_E_clISD_PiSD_S10_EESH_SX_SI_SJ_SK_EUlSX_E0_NS1_11comp_targetILNS1_3genE8ELNS1_11target_archE1030ELNS1_3gpuE2ELNS1_3repE0EEENS1_38merge_mergepath_config_static_selectorELNS0_4arch9wavefront6targetE1EEEvSJ_,comdat
	.protected	_ZN7rocprim17ROCPRIM_400000_NS6detail17trampoline_kernelINS0_14default_configENS1_38merge_sort_block_merge_config_selectorIiiEEZZNS1_27merge_sort_block_merge_implIS3_N6thrust23THRUST_200600_302600_NS6detail15normal_iteratorINS8_10device_ptrIiEEEESD_jNS1_19radix_merge_compareILb1ELb0EiNS0_19identity_decomposerEEEEE10hipError_tT0_T1_T2_jT3_P12ihipStream_tbPNSt15iterator_traitsISI_E10value_typeEPNSO_ISJ_E10value_typeEPSK_NS1_7vsmem_tEENKUlT_SI_SJ_SK_E_clISD_PiSD_S10_EESH_SX_SI_SJ_SK_EUlSX_E0_NS1_11comp_targetILNS1_3genE8ELNS1_11target_archE1030ELNS1_3gpuE2ELNS1_3repE0EEENS1_38merge_mergepath_config_static_selectorELNS0_4arch9wavefront6targetE1EEEvSJ_ ; -- Begin function _ZN7rocprim17ROCPRIM_400000_NS6detail17trampoline_kernelINS0_14default_configENS1_38merge_sort_block_merge_config_selectorIiiEEZZNS1_27merge_sort_block_merge_implIS3_N6thrust23THRUST_200600_302600_NS6detail15normal_iteratorINS8_10device_ptrIiEEEESD_jNS1_19radix_merge_compareILb1ELb0EiNS0_19identity_decomposerEEEEE10hipError_tT0_T1_T2_jT3_P12ihipStream_tbPNSt15iterator_traitsISI_E10value_typeEPNSO_ISJ_E10value_typeEPSK_NS1_7vsmem_tEENKUlT_SI_SJ_SK_E_clISD_PiSD_S10_EESH_SX_SI_SJ_SK_EUlSX_E0_NS1_11comp_targetILNS1_3genE8ELNS1_11target_archE1030ELNS1_3gpuE2ELNS1_3repE0EEENS1_38merge_mergepath_config_static_selectorELNS0_4arch9wavefront6targetE1EEEvSJ_
	.globl	_ZN7rocprim17ROCPRIM_400000_NS6detail17trampoline_kernelINS0_14default_configENS1_38merge_sort_block_merge_config_selectorIiiEEZZNS1_27merge_sort_block_merge_implIS3_N6thrust23THRUST_200600_302600_NS6detail15normal_iteratorINS8_10device_ptrIiEEEESD_jNS1_19radix_merge_compareILb1ELb0EiNS0_19identity_decomposerEEEEE10hipError_tT0_T1_T2_jT3_P12ihipStream_tbPNSt15iterator_traitsISI_E10value_typeEPNSO_ISJ_E10value_typeEPSK_NS1_7vsmem_tEENKUlT_SI_SJ_SK_E_clISD_PiSD_S10_EESH_SX_SI_SJ_SK_EUlSX_E0_NS1_11comp_targetILNS1_3genE8ELNS1_11target_archE1030ELNS1_3gpuE2ELNS1_3repE0EEENS1_38merge_mergepath_config_static_selectorELNS0_4arch9wavefront6targetE1EEEvSJ_
	.p2align	8
	.type	_ZN7rocprim17ROCPRIM_400000_NS6detail17trampoline_kernelINS0_14default_configENS1_38merge_sort_block_merge_config_selectorIiiEEZZNS1_27merge_sort_block_merge_implIS3_N6thrust23THRUST_200600_302600_NS6detail15normal_iteratorINS8_10device_ptrIiEEEESD_jNS1_19radix_merge_compareILb1ELb0EiNS0_19identity_decomposerEEEEE10hipError_tT0_T1_T2_jT3_P12ihipStream_tbPNSt15iterator_traitsISI_E10value_typeEPNSO_ISJ_E10value_typeEPSK_NS1_7vsmem_tEENKUlT_SI_SJ_SK_E_clISD_PiSD_S10_EESH_SX_SI_SJ_SK_EUlSX_E0_NS1_11comp_targetILNS1_3genE8ELNS1_11target_archE1030ELNS1_3gpuE2ELNS1_3repE0EEENS1_38merge_mergepath_config_static_selectorELNS0_4arch9wavefront6targetE1EEEvSJ_,@function
_ZN7rocprim17ROCPRIM_400000_NS6detail17trampoline_kernelINS0_14default_configENS1_38merge_sort_block_merge_config_selectorIiiEEZZNS1_27merge_sort_block_merge_implIS3_N6thrust23THRUST_200600_302600_NS6detail15normal_iteratorINS8_10device_ptrIiEEEESD_jNS1_19radix_merge_compareILb1ELb0EiNS0_19identity_decomposerEEEEE10hipError_tT0_T1_T2_jT3_P12ihipStream_tbPNSt15iterator_traitsISI_E10value_typeEPNSO_ISJ_E10value_typeEPSK_NS1_7vsmem_tEENKUlT_SI_SJ_SK_E_clISD_PiSD_S10_EESH_SX_SI_SJ_SK_EUlSX_E0_NS1_11comp_targetILNS1_3genE8ELNS1_11target_archE1030ELNS1_3gpuE2ELNS1_3repE0EEENS1_38merge_mergepath_config_static_selectorELNS0_4arch9wavefront6targetE1EEEvSJ_: ; @_ZN7rocprim17ROCPRIM_400000_NS6detail17trampoline_kernelINS0_14default_configENS1_38merge_sort_block_merge_config_selectorIiiEEZZNS1_27merge_sort_block_merge_implIS3_N6thrust23THRUST_200600_302600_NS6detail15normal_iteratorINS8_10device_ptrIiEEEESD_jNS1_19radix_merge_compareILb1ELb0EiNS0_19identity_decomposerEEEEE10hipError_tT0_T1_T2_jT3_P12ihipStream_tbPNSt15iterator_traitsISI_E10value_typeEPNSO_ISJ_E10value_typeEPSK_NS1_7vsmem_tEENKUlT_SI_SJ_SK_E_clISD_PiSD_S10_EESH_SX_SI_SJ_SK_EUlSX_E0_NS1_11comp_targetILNS1_3genE8ELNS1_11target_archE1030ELNS1_3gpuE2ELNS1_3repE0EEENS1_38merge_mergepath_config_static_selectorELNS0_4arch9wavefront6targetE1EEEvSJ_
; %bb.0:
	.section	.rodata,"a",@progbits
	.p2align	6, 0x0
	.amdhsa_kernel _ZN7rocprim17ROCPRIM_400000_NS6detail17trampoline_kernelINS0_14default_configENS1_38merge_sort_block_merge_config_selectorIiiEEZZNS1_27merge_sort_block_merge_implIS3_N6thrust23THRUST_200600_302600_NS6detail15normal_iteratorINS8_10device_ptrIiEEEESD_jNS1_19radix_merge_compareILb1ELb0EiNS0_19identity_decomposerEEEEE10hipError_tT0_T1_T2_jT3_P12ihipStream_tbPNSt15iterator_traitsISI_E10value_typeEPNSO_ISJ_E10value_typeEPSK_NS1_7vsmem_tEENKUlT_SI_SJ_SK_E_clISD_PiSD_S10_EESH_SX_SI_SJ_SK_EUlSX_E0_NS1_11comp_targetILNS1_3genE8ELNS1_11target_archE1030ELNS1_3gpuE2ELNS1_3repE0EEENS1_38merge_mergepath_config_static_selectorELNS0_4arch9wavefront6targetE1EEEvSJ_
		.amdhsa_group_segment_fixed_size 0
		.amdhsa_private_segment_fixed_size 0
		.amdhsa_kernarg_size 64
		.amdhsa_user_sgpr_count 2
		.amdhsa_user_sgpr_dispatch_ptr 0
		.amdhsa_user_sgpr_queue_ptr 0
		.amdhsa_user_sgpr_kernarg_segment_ptr 1
		.amdhsa_user_sgpr_dispatch_id 0
		.amdhsa_user_sgpr_kernarg_preload_length 0
		.amdhsa_user_sgpr_kernarg_preload_offset 0
		.amdhsa_user_sgpr_private_segment_size 0
		.amdhsa_uses_dynamic_stack 0
		.amdhsa_enable_private_segment 0
		.amdhsa_system_sgpr_workgroup_id_x 1
		.amdhsa_system_sgpr_workgroup_id_y 0
		.amdhsa_system_sgpr_workgroup_id_z 0
		.amdhsa_system_sgpr_workgroup_info 0
		.amdhsa_system_vgpr_workitem_id 0
		.amdhsa_next_free_vgpr 1
		.amdhsa_next_free_sgpr 0
		.amdhsa_accum_offset 4
		.amdhsa_reserve_vcc 0
		.amdhsa_float_round_mode_32 0
		.amdhsa_float_round_mode_16_64 0
		.amdhsa_float_denorm_mode_32 3
		.amdhsa_float_denorm_mode_16_64 3
		.amdhsa_dx10_clamp 1
		.amdhsa_ieee_mode 1
		.amdhsa_fp16_overflow 0
		.amdhsa_tg_split 0
		.amdhsa_exception_fp_ieee_invalid_op 0
		.amdhsa_exception_fp_denorm_src 0
		.amdhsa_exception_fp_ieee_div_zero 0
		.amdhsa_exception_fp_ieee_overflow 0
		.amdhsa_exception_fp_ieee_underflow 0
		.amdhsa_exception_fp_ieee_inexact 0
		.amdhsa_exception_int_div_zero 0
	.end_amdhsa_kernel
	.section	.text._ZN7rocprim17ROCPRIM_400000_NS6detail17trampoline_kernelINS0_14default_configENS1_38merge_sort_block_merge_config_selectorIiiEEZZNS1_27merge_sort_block_merge_implIS3_N6thrust23THRUST_200600_302600_NS6detail15normal_iteratorINS8_10device_ptrIiEEEESD_jNS1_19radix_merge_compareILb1ELb0EiNS0_19identity_decomposerEEEEE10hipError_tT0_T1_T2_jT3_P12ihipStream_tbPNSt15iterator_traitsISI_E10value_typeEPNSO_ISJ_E10value_typeEPSK_NS1_7vsmem_tEENKUlT_SI_SJ_SK_E_clISD_PiSD_S10_EESH_SX_SI_SJ_SK_EUlSX_E0_NS1_11comp_targetILNS1_3genE8ELNS1_11target_archE1030ELNS1_3gpuE2ELNS1_3repE0EEENS1_38merge_mergepath_config_static_selectorELNS0_4arch9wavefront6targetE1EEEvSJ_,"axG",@progbits,_ZN7rocprim17ROCPRIM_400000_NS6detail17trampoline_kernelINS0_14default_configENS1_38merge_sort_block_merge_config_selectorIiiEEZZNS1_27merge_sort_block_merge_implIS3_N6thrust23THRUST_200600_302600_NS6detail15normal_iteratorINS8_10device_ptrIiEEEESD_jNS1_19radix_merge_compareILb1ELb0EiNS0_19identity_decomposerEEEEE10hipError_tT0_T1_T2_jT3_P12ihipStream_tbPNSt15iterator_traitsISI_E10value_typeEPNSO_ISJ_E10value_typeEPSK_NS1_7vsmem_tEENKUlT_SI_SJ_SK_E_clISD_PiSD_S10_EESH_SX_SI_SJ_SK_EUlSX_E0_NS1_11comp_targetILNS1_3genE8ELNS1_11target_archE1030ELNS1_3gpuE2ELNS1_3repE0EEENS1_38merge_mergepath_config_static_selectorELNS0_4arch9wavefront6targetE1EEEvSJ_,comdat
.Lfunc_end924:
	.size	_ZN7rocprim17ROCPRIM_400000_NS6detail17trampoline_kernelINS0_14default_configENS1_38merge_sort_block_merge_config_selectorIiiEEZZNS1_27merge_sort_block_merge_implIS3_N6thrust23THRUST_200600_302600_NS6detail15normal_iteratorINS8_10device_ptrIiEEEESD_jNS1_19radix_merge_compareILb1ELb0EiNS0_19identity_decomposerEEEEE10hipError_tT0_T1_T2_jT3_P12ihipStream_tbPNSt15iterator_traitsISI_E10value_typeEPNSO_ISJ_E10value_typeEPSK_NS1_7vsmem_tEENKUlT_SI_SJ_SK_E_clISD_PiSD_S10_EESH_SX_SI_SJ_SK_EUlSX_E0_NS1_11comp_targetILNS1_3genE8ELNS1_11target_archE1030ELNS1_3gpuE2ELNS1_3repE0EEENS1_38merge_mergepath_config_static_selectorELNS0_4arch9wavefront6targetE1EEEvSJ_, .Lfunc_end924-_ZN7rocprim17ROCPRIM_400000_NS6detail17trampoline_kernelINS0_14default_configENS1_38merge_sort_block_merge_config_selectorIiiEEZZNS1_27merge_sort_block_merge_implIS3_N6thrust23THRUST_200600_302600_NS6detail15normal_iteratorINS8_10device_ptrIiEEEESD_jNS1_19radix_merge_compareILb1ELb0EiNS0_19identity_decomposerEEEEE10hipError_tT0_T1_T2_jT3_P12ihipStream_tbPNSt15iterator_traitsISI_E10value_typeEPNSO_ISJ_E10value_typeEPSK_NS1_7vsmem_tEENKUlT_SI_SJ_SK_E_clISD_PiSD_S10_EESH_SX_SI_SJ_SK_EUlSX_E0_NS1_11comp_targetILNS1_3genE8ELNS1_11target_archE1030ELNS1_3gpuE2ELNS1_3repE0EEENS1_38merge_mergepath_config_static_selectorELNS0_4arch9wavefront6targetE1EEEvSJ_
                                        ; -- End function
	.set _ZN7rocprim17ROCPRIM_400000_NS6detail17trampoline_kernelINS0_14default_configENS1_38merge_sort_block_merge_config_selectorIiiEEZZNS1_27merge_sort_block_merge_implIS3_N6thrust23THRUST_200600_302600_NS6detail15normal_iteratorINS8_10device_ptrIiEEEESD_jNS1_19radix_merge_compareILb1ELb0EiNS0_19identity_decomposerEEEEE10hipError_tT0_T1_T2_jT3_P12ihipStream_tbPNSt15iterator_traitsISI_E10value_typeEPNSO_ISJ_E10value_typeEPSK_NS1_7vsmem_tEENKUlT_SI_SJ_SK_E_clISD_PiSD_S10_EESH_SX_SI_SJ_SK_EUlSX_E0_NS1_11comp_targetILNS1_3genE8ELNS1_11target_archE1030ELNS1_3gpuE2ELNS1_3repE0EEENS1_38merge_mergepath_config_static_selectorELNS0_4arch9wavefront6targetE1EEEvSJ_.num_vgpr, 0
	.set _ZN7rocprim17ROCPRIM_400000_NS6detail17trampoline_kernelINS0_14default_configENS1_38merge_sort_block_merge_config_selectorIiiEEZZNS1_27merge_sort_block_merge_implIS3_N6thrust23THRUST_200600_302600_NS6detail15normal_iteratorINS8_10device_ptrIiEEEESD_jNS1_19radix_merge_compareILb1ELb0EiNS0_19identity_decomposerEEEEE10hipError_tT0_T1_T2_jT3_P12ihipStream_tbPNSt15iterator_traitsISI_E10value_typeEPNSO_ISJ_E10value_typeEPSK_NS1_7vsmem_tEENKUlT_SI_SJ_SK_E_clISD_PiSD_S10_EESH_SX_SI_SJ_SK_EUlSX_E0_NS1_11comp_targetILNS1_3genE8ELNS1_11target_archE1030ELNS1_3gpuE2ELNS1_3repE0EEENS1_38merge_mergepath_config_static_selectorELNS0_4arch9wavefront6targetE1EEEvSJ_.num_agpr, 0
	.set _ZN7rocprim17ROCPRIM_400000_NS6detail17trampoline_kernelINS0_14default_configENS1_38merge_sort_block_merge_config_selectorIiiEEZZNS1_27merge_sort_block_merge_implIS3_N6thrust23THRUST_200600_302600_NS6detail15normal_iteratorINS8_10device_ptrIiEEEESD_jNS1_19radix_merge_compareILb1ELb0EiNS0_19identity_decomposerEEEEE10hipError_tT0_T1_T2_jT3_P12ihipStream_tbPNSt15iterator_traitsISI_E10value_typeEPNSO_ISJ_E10value_typeEPSK_NS1_7vsmem_tEENKUlT_SI_SJ_SK_E_clISD_PiSD_S10_EESH_SX_SI_SJ_SK_EUlSX_E0_NS1_11comp_targetILNS1_3genE8ELNS1_11target_archE1030ELNS1_3gpuE2ELNS1_3repE0EEENS1_38merge_mergepath_config_static_selectorELNS0_4arch9wavefront6targetE1EEEvSJ_.numbered_sgpr, 0
	.set _ZN7rocprim17ROCPRIM_400000_NS6detail17trampoline_kernelINS0_14default_configENS1_38merge_sort_block_merge_config_selectorIiiEEZZNS1_27merge_sort_block_merge_implIS3_N6thrust23THRUST_200600_302600_NS6detail15normal_iteratorINS8_10device_ptrIiEEEESD_jNS1_19radix_merge_compareILb1ELb0EiNS0_19identity_decomposerEEEEE10hipError_tT0_T1_T2_jT3_P12ihipStream_tbPNSt15iterator_traitsISI_E10value_typeEPNSO_ISJ_E10value_typeEPSK_NS1_7vsmem_tEENKUlT_SI_SJ_SK_E_clISD_PiSD_S10_EESH_SX_SI_SJ_SK_EUlSX_E0_NS1_11comp_targetILNS1_3genE8ELNS1_11target_archE1030ELNS1_3gpuE2ELNS1_3repE0EEENS1_38merge_mergepath_config_static_selectorELNS0_4arch9wavefront6targetE1EEEvSJ_.num_named_barrier, 0
	.set _ZN7rocprim17ROCPRIM_400000_NS6detail17trampoline_kernelINS0_14default_configENS1_38merge_sort_block_merge_config_selectorIiiEEZZNS1_27merge_sort_block_merge_implIS3_N6thrust23THRUST_200600_302600_NS6detail15normal_iteratorINS8_10device_ptrIiEEEESD_jNS1_19radix_merge_compareILb1ELb0EiNS0_19identity_decomposerEEEEE10hipError_tT0_T1_T2_jT3_P12ihipStream_tbPNSt15iterator_traitsISI_E10value_typeEPNSO_ISJ_E10value_typeEPSK_NS1_7vsmem_tEENKUlT_SI_SJ_SK_E_clISD_PiSD_S10_EESH_SX_SI_SJ_SK_EUlSX_E0_NS1_11comp_targetILNS1_3genE8ELNS1_11target_archE1030ELNS1_3gpuE2ELNS1_3repE0EEENS1_38merge_mergepath_config_static_selectorELNS0_4arch9wavefront6targetE1EEEvSJ_.private_seg_size, 0
	.set _ZN7rocprim17ROCPRIM_400000_NS6detail17trampoline_kernelINS0_14default_configENS1_38merge_sort_block_merge_config_selectorIiiEEZZNS1_27merge_sort_block_merge_implIS3_N6thrust23THRUST_200600_302600_NS6detail15normal_iteratorINS8_10device_ptrIiEEEESD_jNS1_19radix_merge_compareILb1ELb0EiNS0_19identity_decomposerEEEEE10hipError_tT0_T1_T2_jT3_P12ihipStream_tbPNSt15iterator_traitsISI_E10value_typeEPNSO_ISJ_E10value_typeEPSK_NS1_7vsmem_tEENKUlT_SI_SJ_SK_E_clISD_PiSD_S10_EESH_SX_SI_SJ_SK_EUlSX_E0_NS1_11comp_targetILNS1_3genE8ELNS1_11target_archE1030ELNS1_3gpuE2ELNS1_3repE0EEENS1_38merge_mergepath_config_static_selectorELNS0_4arch9wavefront6targetE1EEEvSJ_.uses_vcc, 0
	.set _ZN7rocprim17ROCPRIM_400000_NS6detail17trampoline_kernelINS0_14default_configENS1_38merge_sort_block_merge_config_selectorIiiEEZZNS1_27merge_sort_block_merge_implIS3_N6thrust23THRUST_200600_302600_NS6detail15normal_iteratorINS8_10device_ptrIiEEEESD_jNS1_19radix_merge_compareILb1ELb0EiNS0_19identity_decomposerEEEEE10hipError_tT0_T1_T2_jT3_P12ihipStream_tbPNSt15iterator_traitsISI_E10value_typeEPNSO_ISJ_E10value_typeEPSK_NS1_7vsmem_tEENKUlT_SI_SJ_SK_E_clISD_PiSD_S10_EESH_SX_SI_SJ_SK_EUlSX_E0_NS1_11comp_targetILNS1_3genE8ELNS1_11target_archE1030ELNS1_3gpuE2ELNS1_3repE0EEENS1_38merge_mergepath_config_static_selectorELNS0_4arch9wavefront6targetE1EEEvSJ_.uses_flat_scratch, 0
	.set _ZN7rocprim17ROCPRIM_400000_NS6detail17trampoline_kernelINS0_14default_configENS1_38merge_sort_block_merge_config_selectorIiiEEZZNS1_27merge_sort_block_merge_implIS3_N6thrust23THRUST_200600_302600_NS6detail15normal_iteratorINS8_10device_ptrIiEEEESD_jNS1_19radix_merge_compareILb1ELb0EiNS0_19identity_decomposerEEEEE10hipError_tT0_T1_T2_jT3_P12ihipStream_tbPNSt15iterator_traitsISI_E10value_typeEPNSO_ISJ_E10value_typeEPSK_NS1_7vsmem_tEENKUlT_SI_SJ_SK_E_clISD_PiSD_S10_EESH_SX_SI_SJ_SK_EUlSX_E0_NS1_11comp_targetILNS1_3genE8ELNS1_11target_archE1030ELNS1_3gpuE2ELNS1_3repE0EEENS1_38merge_mergepath_config_static_selectorELNS0_4arch9wavefront6targetE1EEEvSJ_.has_dyn_sized_stack, 0
	.set _ZN7rocprim17ROCPRIM_400000_NS6detail17trampoline_kernelINS0_14default_configENS1_38merge_sort_block_merge_config_selectorIiiEEZZNS1_27merge_sort_block_merge_implIS3_N6thrust23THRUST_200600_302600_NS6detail15normal_iteratorINS8_10device_ptrIiEEEESD_jNS1_19radix_merge_compareILb1ELb0EiNS0_19identity_decomposerEEEEE10hipError_tT0_T1_T2_jT3_P12ihipStream_tbPNSt15iterator_traitsISI_E10value_typeEPNSO_ISJ_E10value_typeEPSK_NS1_7vsmem_tEENKUlT_SI_SJ_SK_E_clISD_PiSD_S10_EESH_SX_SI_SJ_SK_EUlSX_E0_NS1_11comp_targetILNS1_3genE8ELNS1_11target_archE1030ELNS1_3gpuE2ELNS1_3repE0EEENS1_38merge_mergepath_config_static_selectorELNS0_4arch9wavefront6targetE1EEEvSJ_.has_recursion, 0
	.set _ZN7rocprim17ROCPRIM_400000_NS6detail17trampoline_kernelINS0_14default_configENS1_38merge_sort_block_merge_config_selectorIiiEEZZNS1_27merge_sort_block_merge_implIS3_N6thrust23THRUST_200600_302600_NS6detail15normal_iteratorINS8_10device_ptrIiEEEESD_jNS1_19radix_merge_compareILb1ELb0EiNS0_19identity_decomposerEEEEE10hipError_tT0_T1_T2_jT3_P12ihipStream_tbPNSt15iterator_traitsISI_E10value_typeEPNSO_ISJ_E10value_typeEPSK_NS1_7vsmem_tEENKUlT_SI_SJ_SK_E_clISD_PiSD_S10_EESH_SX_SI_SJ_SK_EUlSX_E0_NS1_11comp_targetILNS1_3genE8ELNS1_11target_archE1030ELNS1_3gpuE2ELNS1_3repE0EEENS1_38merge_mergepath_config_static_selectorELNS0_4arch9wavefront6targetE1EEEvSJ_.has_indirect_call, 0
	.section	.AMDGPU.csdata,"",@progbits
; Kernel info:
; codeLenInByte = 0
; TotalNumSgprs: 6
; NumVgprs: 0
; NumAgprs: 0
; TotalNumVgprs: 0
; ScratchSize: 0
; MemoryBound: 0
; FloatMode: 240
; IeeeMode: 1
; LDSByteSize: 0 bytes/workgroup (compile time only)
; SGPRBlocks: 0
; VGPRBlocks: 0
; NumSGPRsForWavesPerEU: 6
; NumVGPRsForWavesPerEU: 1
; AccumOffset: 4
; Occupancy: 8
; WaveLimiterHint : 0
; COMPUTE_PGM_RSRC2:SCRATCH_EN: 0
; COMPUTE_PGM_RSRC2:USER_SGPR: 2
; COMPUTE_PGM_RSRC2:TRAP_HANDLER: 0
; COMPUTE_PGM_RSRC2:TGID_X_EN: 1
; COMPUTE_PGM_RSRC2:TGID_Y_EN: 0
; COMPUTE_PGM_RSRC2:TGID_Z_EN: 0
; COMPUTE_PGM_RSRC2:TIDIG_COMP_CNT: 0
; COMPUTE_PGM_RSRC3_GFX90A:ACCUM_OFFSET: 0
; COMPUTE_PGM_RSRC3_GFX90A:TG_SPLIT: 0
	.section	.text._ZN7rocprim17ROCPRIM_400000_NS6detail17trampoline_kernelINS0_14default_configENS1_38merge_sort_block_merge_config_selectorIiiEEZZNS1_27merge_sort_block_merge_implIS3_N6thrust23THRUST_200600_302600_NS6detail15normal_iteratorINS8_10device_ptrIiEEEESD_jNS1_19radix_merge_compareILb1ELb0EiNS0_19identity_decomposerEEEEE10hipError_tT0_T1_T2_jT3_P12ihipStream_tbPNSt15iterator_traitsISI_E10value_typeEPNSO_ISJ_E10value_typeEPSK_NS1_7vsmem_tEENKUlT_SI_SJ_SK_E_clISD_PiSD_S10_EESH_SX_SI_SJ_SK_EUlSX_E1_NS1_11comp_targetILNS1_3genE0ELNS1_11target_archE4294967295ELNS1_3gpuE0ELNS1_3repE0EEENS1_36merge_oddeven_config_static_selectorELNS0_4arch9wavefront6targetE1EEEvSJ_,"axG",@progbits,_ZN7rocprim17ROCPRIM_400000_NS6detail17trampoline_kernelINS0_14default_configENS1_38merge_sort_block_merge_config_selectorIiiEEZZNS1_27merge_sort_block_merge_implIS3_N6thrust23THRUST_200600_302600_NS6detail15normal_iteratorINS8_10device_ptrIiEEEESD_jNS1_19radix_merge_compareILb1ELb0EiNS0_19identity_decomposerEEEEE10hipError_tT0_T1_T2_jT3_P12ihipStream_tbPNSt15iterator_traitsISI_E10value_typeEPNSO_ISJ_E10value_typeEPSK_NS1_7vsmem_tEENKUlT_SI_SJ_SK_E_clISD_PiSD_S10_EESH_SX_SI_SJ_SK_EUlSX_E1_NS1_11comp_targetILNS1_3genE0ELNS1_11target_archE4294967295ELNS1_3gpuE0ELNS1_3repE0EEENS1_36merge_oddeven_config_static_selectorELNS0_4arch9wavefront6targetE1EEEvSJ_,comdat
	.protected	_ZN7rocprim17ROCPRIM_400000_NS6detail17trampoline_kernelINS0_14default_configENS1_38merge_sort_block_merge_config_selectorIiiEEZZNS1_27merge_sort_block_merge_implIS3_N6thrust23THRUST_200600_302600_NS6detail15normal_iteratorINS8_10device_ptrIiEEEESD_jNS1_19radix_merge_compareILb1ELb0EiNS0_19identity_decomposerEEEEE10hipError_tT0_T1_T2_jT3_P12ihipStream_tbPNSt15iterator_traitsISI_E10value_typeEPNSO_ISJ_E10value_typeEPSK_NS1_7vsmem_tEENKUlT_SI_SJ_SK_E_clISD_PiSD_S10_EESH_SX_SI_SJ_SK_EUlSX_E1_NS1_11comp_targetILNS1_3genE0ELNS1_11target_archE4294967295ELNS1_3gpuE0ELNS1_3repE0EEENS1_36merge_oddeven_config_static_selectorELNS0_4arch9wavefront6targetE1EEEvSJ_ ; -- Begin function _ZN7rocprim17ROCPRIM_400000_NS6detail17trampoline_kernelINS0_14default_configENS1_38merge_sort_block_merge_config_selectorIiiEEZZNS1_27merge_sort_block_merge_implIS3_N6thrust23THRUST_200600_302600_NS6detail15normal_iteratorINS8_10device_ptrIiEEEESD_jNS1_19radix_merge_compareILb1ELb0EiNS0_19identity_decomposerEEEEE10hipError_tT0_T1_T2_jT3_P12ihipStream_tbPNSt15iterator_traitsISI_E10value_typeEPNSO_ISJ_E10value_typeEPSK_NS1_7vsmem_tEENKUlT_SI_SJ_SK_E_clISD_PiSD_S10_EESH_SX_SI_SJ_SK_EUlSX_E1_NS1_11comp_targetILNS1_3genE0ELNS1_11target_archE4294967295ELNS1_3gpuE0ELNS1_3repE0EEENS1_36merge_oddeven_config_static_selectorELNS0_4arch9wavefront6targetE1EEEvSJ_
	.globl	_ZN7rocprim17ROCPRIM_400000_NS6detail17trampoline_kernelINS0_14default_configENS1_38merge_sort_block_merge_config_selectorIiiEEZZNS1_27merge_sort_block_merge_implIS3_N6thrust23THRUST_200600_302600_NS6detail15normal_iteratorINS8_10device_ptrIiEEEESD_jNS1_19radix_merge_compareILb1ELb0EiNS0_19identity_decomposerEEEEE10hipError_tT0_T1_T2_jT3_P12ihipStream_tbPNSt15iterator_traitsISI_E10value_typeEPNSO_ISJ_E10value_typeEPSK_NS1_7vsmem_tEENKUlT_SI_SJ_SK_E_clISD_PiSD_S10_EESH_SX_SI_SJ_SK_EUlSX_E1_NS1_11comp_targetILNS1_3genE0ELNS1_11target_archE4294967295ELNS1_3gpuE0ELNS1_3repE0EEENS1_36merge_oddeven_config_static_selectorELNS0_4arch9wavefront6targetE1EEEvSJ_
	.p2align	8
	.type	_ZN7rocprim17ROCPRIM_400000_NS6detail17trampoline_kernelINS0_14default_configENS1_38merge_sort_block_merge_config_selectorIiiEEZZNS1_27merge_sort_block_merge_implIS3_N6thrust23THRUST_200600_302600_NS6detail15normal_iteratorINS8_10device_ptrIiEEEESD_jNS1_19radix_merge_compareILb1ELb0EiNS0_19identity_decomposerEEEEE10hipError_tT0_T1_T2_jT3_P12ihipStream_tbPNSt15iterator_traitsISI_E10value_typeEPNSO_ISJ_E10value_typeEPSK_NS1_7vsmem_tEENKUlT_SI_SJ_SK_E_clISD_PiSD_S10_EESH_SX_SI_SJ_SK_EUlSX_E1_NS1_11comp_targetILNS1_3genE0ELNS1_11target_archE4294967295ELNS1_3gpuE0ELNS1_3repE0EEENS1_36merge_oddeven_config_static_selectorELNS0_4arch9wavefront6targetE1EEEvSJ_,@function
_ZN7rocprim17ROCPRIM_400000_NS6detail17trampoline_kernelINS0_14default_configENS1_38merge_sort_block_merge_config_selectorIiiEEZZNS1_27merge_sort_block_merge_implIS3_N6thrust23THRUST_200600_302600_NS6detail15normal_iteratorINS8_10device_ptrIiEEEESD_jNS1_19radix_merge_compareILb1ELb0EiNS0_19identity_decomposerEEEEE10hipError_tT0_T1_T2_jT3_P12ihipStream_tbPNSt15iterator_traitsISI_E10value_typeEPNSO_ISJ_E10value_typeEPSK_NS1_7vsmem_tEENKUlT_SI_SJ_SK_E_clISD_PiSD_S10_EESH_SX_SI_SJ_SK_EUlSX_E1_NS1_11comp_targetILNS1_3genE0ELNS1_11target_archE4294967295ELNS1_3gpuE0ELNS1_3repE0EEENS1_36merge_oddeven_config_static_selectorELNS0_4arch9wavefront6targetE1EEEvSJ_: ; @_ZN7rocprim17ROCPRIM_400000_NS6detail17trampoline_kernelINS0_14default_configENS1_38merge_sort_block_merge_config_selectorIiiEEZZNS1_27merge_sort_block_merge_implIS3_N6thrust23THRUST_200600_302600_NS6detail15normal_iteratorINS8_10device_ptrIiEEEESD_jNS1_19radix_merge_compareILb1ELb0EiNS0_19identity_decomposerEEEEE10hipError_tT0_T1_T2_jT3_P12ihipStream_tbPNSt15iterator_traitsISI_E10value_typeEPNSO_ISJ_E10value_typeEPSK_NS1_7vsmem_tEENKUlT_SI_SJ_SK_E_clISD_PiSD_S10_EESH_SX_SI_SJ_SK_EUlSX_E1_NS1_11comp_targetILNS1_3genE0ELNS1_11target_archE4294967295ELNS1_3gpuE0ELNS1_3repE0EEENS1_36merge_oddeven_config_static_selectorELNS0_4arch9wavefront6targetE1EEEvSJ_
; %bb.0:
	s_load_dword s18, s[0:1], 0x20
	s_waitcnt lgkmcnt(0)
	s_lshr_b32 s3, s18, 8
	s_cmp_eq_u32 s2, s3
	s_cselect_b64 s[6:7], -1, 0
	s_cmp_lg_u32 s2, s3
	s_cselect_b64 s[8:9], -1, 0
	s_lshl_b32 s16, s2, 8
	s_sub_i32 s3, s18, s16
	v_cmp_gt_u32_e64 s[4:5], s3, v0
	s_or_b64 s[8:9], s[8:9], s[4:5]
	s_and_saveexec_b64 s[10:11], s[8:9]
	s_cbranch_execz .LBB925_24
; %bb.1:
	s_load_dwordx8 s[8:15], s[0:1], 0x0
	s_mov_b32 s17, 0
	s_lshl_b64 s[20:21], s[16:17], 2
	v_lshlrev_b32_e32 v1, 2, v0
	s_load_dword s17, s[0:1], 0x24
	s_waitcnt lgkmcnt(0)
	s_add_u32 s22, s8, s20
	s_addc_u32 s23, s9, s21
	s_add_u32 s12, s12, s20
	s_addc_u32 s13, s13, s21
	global_load_dword v2, v1, s[12:13]
	global_load_dword v3, v1, s[22:23]
	s_lshr_b32 s0, s17, 8
	s_sub_i32 s1, 0, s0
	s_and_b32 s1, s2, s1
	s_and_b32 s0, s1, s0
	s_lshl_b32 s19, s1, 8
	s_sub_i32 s12, 0, s17
	s_cmp_eq_u32 s0, 0
	s_cselect_b64 s[0:1], -1, 0
	s_and_b64 s[2:3], s[0:1], exec
	s_cselect_b32 s12, s17, s12
	s_add_i32 s12, s12, s19
	s_mov_b64 s[2:3], -1
	s_cmp_gt_u32 s18, s12
	v_add_u32_e32 v0, s16, v0
	s_cbranch_scc1 .LBB925_9
; %bb.2:
	s_and_b64 vcc, exec, s[6:7]
	s_cbranch_vccz .LBB925_6
; %bb.3:
	v_cmp_gt_u32_e32 vcc, s18, v0
	s_and_saveexec_b64 s[2:3], vcc
	s_cbranch_execz .LBB925_5
; %bb.4:
	v_mov_b32_e32 v1, 0
	v_lshlrev_b64 v[4:5], 2, v[0:1]
	v_lshl_add_u64 v[6:7], s[10:11], 0, v[4:5]
	v_lshl_add_u64 v[4:5], s[14:15], 0, v[4:5]
	s_waitcnt vmcnt(0)
	global_store_dword v[6:7], v3, off
	global_store_dword v[4:5], v2, off
.LBB925_5:
	s_or_b64 exec, exec, s[2:3]
	s_mov_b64 s[2:3], 0
.LBB925_6:
	s_andn2_b64 vcc, exec, s[2:3]
	s_cbranch_vccnz .LBB925_8
; %bb.7:
	v_mov_b32_e32 v1, 0
	v_lshlrev_b64 v[4:5], 2, v[0:1]
	v_lshl_add_u64 v[6:7], s[10:11], 0, v[4:5]
	v_lshl_add_u64 v[4:5], s[14:15], 0, v[4:5]
	s_waitcnt vmcnt(0)
	global_store_dword v[6:7], v3, off
	global_store_dword v[4:5], v2, off
.LBB925_8:
	s_mov_b64 s[2:3], 0
.LBB925_9:
	s_andn2_b64 vcc, exec, s[2:3]
	s_cbranch_vccnz .LBB925_24
; %bb.10:
	s_min_u32 s13, s12, s18
	s_add_i32 s2, s13, s17
	s_min_u32 s16, s2, s18
	s_min_u32 s2, s19, s13
	s_add_i32 s19, s19, s13
	v_subrev_u32_e32 v0, s19, v0
	v_add_u32_e32 v4, s2, v0
	s_andn2_b64 vcc, exec, s[6:7]
	s_mov_b64 s[2:3], -1
	s_cbranch_vccnz .LBB925_18
; %bb.11:
	s_and_saveexec_b64 s[2:3], s[4:5]
	s_cbranch_execz .LBB925_17
; %bb.12:
	s_cmp_ge_u32 s12, s16
	v_mov_b32_e32 v5, s13
	s_cbranch_scc1 .LBB925_16
; %bb.13:
	s_mov_b64 s[4:5], 0
	v_mov_b32_e32 v6, s16
	v_mov_b32_e32 v5, s13
	;; [unrolled: 1-line block ×3, first 2 shown]
.LBB925_14:                             ; =>This Inner Loop Header: Depth=1
	v_add_u32_e32 v0, v5, v6
	v_lshrrev_b32_e32 v0, 1, v0
	v_lshl_add_u64 v[8:9], v[0:1], 2, s[8:9]
	global_load_dword v7, v[8:9], off
	v_add_u32_e32 v8, 1, v0
	s_waitcnt vmcnt(0)
	v_cmp_gt_i32_e32 vcc, v7, v3
	s_nop 1
	v_cndmask_b32_e64 v9, 0, 1, vcc
	v_cmp_le_i32_e32 vcc, v3, v7
	s_nop 1
	v_cndmask_b32_e64 v7, 0, 1, vcc
	v_cndmask_b32_e64 v7, v7, v9, s[0:1]
	v_and_b32_e32 v7, 1, v7
	v_cmp_eq_u32_e32 vcc, 1, v7
	s_nop 1
	v_cndmask_b32_e32 v6, v0, v6, vcc
	v_cndmask_b32_e32 v5, v5, v8, vcc
	v_cmp_ge_u32_e32 vcc, v5, v6
	s_or_b64 s[4:5], vcc, s[4:5]
	s_andn2_b64 exec, exec, s[4:5]
	s_cbranch_execnz .LBB925_14
; %bb.15:
	s_or_b64 exec, exec, s[4:5]
.LBB925_16:
	v_add_u32_e32 v0, v5, v4
	v_mov_b32_e32 v1, 0
	v_lshlrev_b64 v[0:1], 2, v[0:1]
	v_lshl_add_u64 v[6:7], s[10:11], 0, v[0:1]
	v_lshl_add_u64 v[0:1], s[14:15], 0, v[0:1]
	s_waitcnt vmcnt(0)
	global_store_dword v[6:7], v3, off
	global_store_dword v[0:1], v2, off
.LBB925_17:
	s_or_b64 exec, exec, s[2:3]
	s_mov_b64 s[2:3], 0
.LBB925_18:
	s_andn2_b64 vcc, exec, s[2:3]
	s_cbranch_vccnz .LBB925_24
; %bb.19:
	s_cmp_ge_u32 s12, s16
	v_mov_b32_e32 v5, s13
	s_cbranch_scc1 .LBB925_23
; %bb.20:
	s_mov_b64 s[2:3], 0
	v_mov_b32_e32 v6, s16
	v_mov_b32_e32 v5, s13
	;; [unrolled: 1-line block ×3, first 2 shown]
.LBB925_21:                             ; =>This Inner Loop Header: Depth=1
	v_add_u32_e32 v0, v5, v6
	v_lshrrev_b32_e32 v0, 1, v0
	v_lshl_add_u64 v[8:9], v[0:1], 2, s[8:9]
	global_load_dword v7, v[8:9], off
	v_add_u32_e32 v8, 1, v0
	s_waitcnt vmcnt(0)
	v_cmp_gt_i32_e32 vcc, v7, v3
	s_nop 1
	v_cndmask_b32_e64 v9, 0, 1, vcc
	v_cmp_le_i32_e32 vcc, v3, v7
	s_nop 1
	v_cndmask_b32_e64 v7, 0, 1, vcc
	v_cndmask_b32_e64 v7, v7, v9, s[0:1]
	v_and_b32_e32 v7, 1, v7
	v_cmp_eq_u32_e32 vcc, 1, v7
	s_nop 1
	v_cndmask_b32_e32 v6, v0, v6, vcc
	v_cndmask_b32_e32 v5, v5, v8, vcc
	v_cmp_ge_u32_e32 vcc, v5, v6
	s_or_b64 s[2:3], vcc, s[2:3]
	s_andn2_b64 exec, exec, s[2:3]
	s_cbranch_execnz .LBB925_21
; %bb.22:
	s_or_b64 exec, exec, s[2:3]
.LBB925_23:
	v_add_u32_e32 v0, v5, v4
	v_mov_b32_e32 v1, 0
	v_lshlrev_b64 v[0:1], 2, v[0:1]
	v_lshl_add_u64 v[4:5], s[10:11], 0, v[0:1]
	v_lshl_add_u64 v[0:1], s[14:15], 0, v[0:1]
	s_waitcnt vmcnt(0)
	global_store_dword v[4:5], v3, off
	global_store_dword v[0:1], v2, off
.LBB925_24:
	s_endpgm
	.section	.rodata,"a",@progbits
	.p2align	6, 0x0
	.amdhsa_kernel _ZN7rocprim17ROCPRIM_400000_NS6detail17trampoline_kernelINS0_14default_configENS1_38merge_sort_block_merge_config_selectorIiiEEZZNS1_27merge_sort_block_merge_implIS3_N6thrust23THRUST_200600_302600_NS6detail15normal_iteratorINS8_10device_ptrIiEEEESD_jNS1_19radix_merge_compareILb1ELb0EiNS0_19identity_decomposerEEEEE10hipError_tT0_T1_T2_jT3_P12ihipStream_tbPNSt15iterator_traitsISI_E10value_typeEPNSO_ISJ_E10value_typeEPSK_NS1_7vsmem_tEENKUlT_SI_SJ_SK_E_clISD_PiSD_S10_EESH_SX_SI_SJ_SK_EUlSX_E1_NS1_11comp_targetILNS1_3genE0ELNS1_11target_archE4294967295ELNS1_3gpuE0ELNS1_3repE0EEENS1_36merge_oddeven_config_static_selectorELNS0_4arch9wavefront6targetE1EEEvSJ_
		.amdhsa_group_segment_fixed_size 0
		.amdhsa_private_segment_fixed_size 0
		.amdhsa_kernarg_size 48
		.amdhsa_user_sgpr_count 2
		.amdhsa_user_sgpr_dispatch_ptr 0
		.amdhsa_user_sgpr_queue_ptr 0
		.amdhsa_user_sgpr_kernarg_segment_ptr 1
		.amdhsa_user_sgpr_dispatch_id 0
		.amdhsa_user_sgpr_kernarg_preload_length 0
		.amdhsa_user_sgpr_kernarg_preload_offset 0
		.amdhsa_user_sgpr_private_segment_size 0
		.amdhsa_uses_dynamic_stack 0
		.amdhsa_enable_private_segment 0
		.amdhsa_system_sgpr_workgroup_id_x 1
		.amdhsa_system_sgpr_workgroup_id_y 0
		.amdhsa_system_sgpr_workgroup_id_z 0
		.amdhsa_system_sgpr_workgroup_info 0
		.amdhsa_system_vgpr_workitem_id 0
		.amdhsa_next_free_vgpr 10
		.amdhsa_next_free_sgpr 24
		.amdhsa_accum_offset 12
		.amdhsa_reserve_vcc 1
		.amdhsa_float_round_mode_32 0
		.amdhsa_float_round_mode_16_64 0
		.amdhsa_float_denorm_mode_32 3
		.amdhsa_float_denorm_mode_16_64 3
		.amdhsa_dx10_clamp 1
		.amdhsa_ieee_mode 1
		.amdhsa_fp16_overflow 0
		.amdhsa_tg_split 0
		.amdhsa_exception_fp_ieee_invalid_op 0
		.amdhsa_exception_fp_denorm_src 0
		.amdhsa_exception_fp_ieee_div_zero 0
		.amdhsa_exception_fp_ieee_overflow 0
		.amdhsa_exception_fp_ieee_underflow 0
		.amdhsa_exception_fp_ieee_inexact 0
		.amdhsa_exception_int_div_zero 0
	.end_amdhsa_kernel
	.section	.text._ZN7rocprim17ROCPRIM_400000_NS6detail17trampoline_kernelINS0_14default_configENS1_38merge_sort_block_merge_config_selectorIiiEEZZNS1_27merge_sort_block_merge_implIS3_N6thrust23THRUST_200600_302600_NS6detail15normal_iteratorINS8_10device_ptrIiEEEESD_jNS1_19radix_merge_compareILb1ELb0EiNS0_19identity_decomposerEEEEE10hipError_tT0_T1_T2_jT3_P12ihipStream_tbPNSt15iterator_traitsISI_E10value_typeEPNSO_ISJ_E10value_typeEPSK_NS1_7vsmem_tEENKUlT_SI_SJ_SK_E_clISD_PiSD_S10_EESH_SX_SI_SJ_SK_EUlSX_E1_NS1_11comp_targetILNS1_3genE0ELNS1_11target_archE4294967295ELNS1_3gpuE0ELNS1_3repE0EEENS1_36merge_oddeven_config_static_selectorELNS0_4arch9wavefront6targetE1EEEvSJ_,"axG",@progbits,_ZN7rocprim17ROCPRIM_400000_NS6detail17trampoline_kernelINS0_14default_configENS1_38merge_sort_block_merge_config_selectorIiiEEZZNS1_27merge_sort_block_merge_implIS3_N6thrust23THRUST_200600_302600_NS6detail15normal_iteratorINS8_10device_ptrIiEEEESD_jNS1_19radix_merge_compareILb1ELb0EiNS0_19identity_decomposerEEEEE10hipError_tT0_T1_T2_jT3_P12ihipStream_tbPNSt15iterator_traitsISI_E10value_typeEPNSO_ISJ_E10value_typeEPSK_NS1_7vsmem_tEENKUlT_SI_SJ_SK_E_clISD_PiSD_S10_EESH_SX_SI_SJ_SK_EUlSX_E1_NS1_11comp_targetILNS1_3genE0ELNS1_11target_archE4294967295ELNS1_3gpuE0ELNS1_3repE0EEENS1_36merge_oddeven_config_static_selectorELNS0_4arch9wavefront6targetE1EEEvSJ_,comdat
.Lfunc_end925:
	.size	_ZN7rocprim17ROCPRIM_400000_NS6detail17trampoline_kernelINS0_14default_configENS1_38merge_sort_block_merge_config_selectorIiiEEZZNS1_27merge_sort_block_merge_implIS3_N6thrust23THRUST_200600_302600_NS6detail15normal_iteratorINS8_10device_ptrIiEEEESD_jNS1_19radix_merge_compareILb1ELb0EiNS0_19identity_decomposerEEEEE10hipError_tT0_T1_T2_jT3_P12ihipStream_tbPNSt15iterator_traitsISI_E10value_typeEPNSO_ISJ_E10value_typeEPSK_NS1_7vsmem_tEENKUlT_SI_SJ_SK_E_clISD_PiSD_S10_EESH_SX_SI_SJ_SK_EUlSX_E1_NS1_11comp_targetILNS1_3genE0ELNS1_11target_archE4294967295ELNS1_3gpuE0ELNS1_3repE0EEENS1_36merge_oddeven_config_static_selectorELNS0_4arch9wavefront6targetE1EEEvSJ_, .Lfunc_end925-_ZN7rocprim17ROCPRIM_400000_NS6detail17trampoline_kernelINS0_14default_configENS1_38merge_sort_block_merge_config_selectorIiiEEZZNS1_27merge_sort_block_merge_implIS3_N6thrust23THRUST_200600_302600_NS6detail15normal_iteratorINS8_10device_ptrIiEEEESD_jNS1_19radix_merge_compareILb1ELb0EiNS0_19identity_decomposerEEEEE10hipError_tT0_T1_T2_jT3_P12ihipStream_tbPNSt15iterator_traitsISI_E10value_typeEPNSO_ISJ_E10value_typeEPSK_NS1_7vsmem_tEENKUlT_SI_SJ_SK_E_clISD_PiSD_S10_EESH_SX_SI_SJ_SK_EUlSX_E1_NS1_11comp_targetILNS1_3genE0ELNS1_11target_archE4294967295ELNS1_3gpuE0ELNS1_3repE0EEENS1_36merge_oddeven_config_static_selectorELNS0_4arch9wavefront6targetE1EEEvSJ_
                                        ; -- End function
	.set _ZN7rocprim17ROCPRIM_400000_NS6detail17trampoline_kernelINS0_14default_configENS1_38merge_sort_block_merge_config_selectorIiiEEZZNS1_27merge_sort_block_merge_implIS3_N6thrust23THRUST_200600_302600_NS6detail15normal_iteratorINS8_10device_ptrIiEEEESD_jNS1_19radix_merge_compareILb1ELb0EiNS0_19identity_decomposerEEEEE10hipError_tT0_T1_T2_jT3_P12ihipStream_tbPNSt15iterator_traitsISI_E10value_typeEPNSO_ISJ_E10value_typeEPSK_NS1_7vsmem_tEENKUlT_SI_SJ_SK_E_clISD_PiSD_S10_EESH_SX_SI_SJ_SK_EUlSX_E1_NS1_11comp_targetILNS1_3genE0ELNS1_11target_archE4294967295ELNS1_3gpuE0ELNS1_3repE0EEENS1_36merge_oddeven_config_static_selectorELNS0_4arch9wavefront6targetE1EEEvSJ_.num_vgpr, 10
	.set _ZN7rocprim17ROCPRIM_400000_NS6detail17trampoline_kernelINS0_14default_configENS1_38merge_sort_block_merge_config_selectorIiiEEZZNS1_27merge_sort_block_merge_implIS3_N6thrust23THRUST_200600_302600_NS6detail15normal_iteratorINS8_10device_ptrIiEEEESD_jNS1_19radix_merge_compareILb1ELb0EiNS0_19identity_decomposerEEEEE10hipError_tT0_T1_T2_jT3_P12ihipStream_tbPNSt15iterator_traitsISI_E10value_typeEPNSO_ISJ_E10value_typeEPSK_NS1_7vsmem_tEENKUlT_SI_SJ_SK_E_clISD_PiSD_S10_EESH_SX_SI_SJ_SK_EUlSX_E1_NS1_11comp_targetILNS1_3genE0ELNS1_11target_archE4294967295ELNS1_3gpuE0ELNS1_3repE0EEENS1_36merge_oddeven_config_static_selectorELNS0_4arch9wavefront6targetE1EEEvSJ_.num_agpr, 0
	.set _ZN7rocprim17ROCPRIM_400000_NS6detail17trampoline_kernelINS0_14default_configENS1_38merge_sort_block_merge_config_selectorIiiEEZZNS1_27merge_sort_block_merge_implIS3_N6thrust23THRUST_200600_302600_NS6detail15normal_iteratorINS8_10device_ptrIiEEEESD_jNS1_19radix_merge_compareILb1ELb0EiNS0_19identity_decomposerEEEEE10hipError_tT0_T1_T2_jT3_P12ihipStream_tbPNSt15iterator_traitsISI_E10value_typeEPNSO_ISJ_E10value_typeEPSK_NS1_7vsmem_tEENKUlT_SI_SJ_SK_E_clISD_PiSD_S10_EESH_SX_SI_SJ_SK_EUlSX_E1_NS1_11comp_targetILNS1_3genE0ELNS1_11target_archE4294967295ELNS1_3gpuE0ELNS1_3repE0EEENS1_36merge_oddeven_config_static_selectorELNS0_4arch9wavefront6targetE1EEEvSJ_.numbered_sgpr, 24
	.set _ZN7rocprim17ROCPRIM_400000_NS6detail17trampoline_kernelINS0_14default_configENS1_38merge_sort_block_merge_config_selectorIiiEEZZNS1_27merge_sort_block_merge_implIS3_N6thrust23THRUST_200600_302600_NS6detail15normal_iteratorINS8_10device_ptrIiEEEESD_jNS1_19radix_merge_compareILb1ELb0EiNS0_19identity_decomposerEEEEE10hipError_tT0_T1_T2_jT3_P12ihipStream_tbPNSt15iterator_traitsISI_E10value_typeEPNSO_ISJ_E10value_typeEPSK_NS1_7vsmem_tEENKUlT_SI_SJ_SK_E_clISD_PiSD_S10_EESH_SX_SI_SJ_SK_EUlSX_E1_NS1_11comp_targetILNS1_3genE0ELNS1_11target_archE4294967295ELNS1_3gpuE0ELNS1_3repE0EEENS1_36merge_oddeven_config_static_selectorELNS0_4arch9wavefront6targetE1EEEvSJ_.num_named_barrier, 0
	.set _ZN7rocprim17ROCPRIM_400000_NS6detail17trampoline_kernelINS0_14default_configENS1_38merge_sort_block_merge_config_selectorIiiEEZZNS1_27merge_sort_block_merge_implIS3_N6thrust23THRUST_200600_302600_NS6detail15normal_iteratorINS8_10device_ptrIiEEEESD_jNS1_19radix_merge_compareILb1ELb0EiNS0_19identity_decomposerEEEEE10hipError_tT0_T1_T2_jT3_P12ihipStream_tbPNSt15iterator_traitsISI_E10value_typeEPNSO_ISJ_E10value_typeEPSK_NS1_7vsmem_tEENKUlT_SI_SJ_SK_E_clISD_PiSD_S10_EESH_SX_SI_SJ_SK_EUlSX_E1_NS1_11comp_targetILNS1_3genE0ELNS1_11target_archE4294967295ELNS1_3gpuE0ELNS1_3repE0EEENS1_36merge_oddeven_config_static_selectorELNS0_4arch9wavefront6targetE1EEEvSJ_.private_seg_size, 0
	.set _ZN7rocprim17ROCPRIM_400000_NS6detail17trampoline_kernelINS0_14default_configENS1_38merge_sort_block_merge_config_selectorIiiEEZZNS1_27merge_sort_block_merge_implIS3_N6thrust23THRUST_200600_302600_NS6detail15normal_iteratorINS8_10device_ptrIiEEEESD_jNS1_19radix_merge_compareILb1ELb0EiNS0_19identity_decomposerEEEEE10hipError_tT0_T1_T2_jT3_P12ihipStream_tbPNSt15iterator_traitsISI_E10value_typeEPNSO_ISJ_E10value_typeEPSK_NS1_7vsmem_tEENKUlT_SI_SJ_SK_E_clISD_PiSD_S10_EESH_SX_SI_SJ_SK_EUlSX_E1_NS1_11comp_targetILNS1_3genE0ELNS1_11target_archE4294967295ELNS1_3gpuE0ELNS1_3repE0EEENS1_36merge_oddeven_config_static_selectorELNS0_4arch9wavefront6targetE1EEEvSJ_.uses_vcc, 1
	.set _ZN7rocprim17ROCPRIM_400000_NS6detail17trampoline_kernelINS0_14default_configENS1_38merge_sort_block_merge_config_selectorIiiEEZZNS1_27merge_sort_block_merge_implIS3_N6thrust23THRUST_200600_302600_NS6detail15normal_iteratorINS8_10device_ptrIiEEEESD_jNS1_19radix_merge_compareILb1ELb0EiNS0_19identity_decomposerEEEEE10hipError_tT0_T1_T2_jT3_P12ihipStream_tbPNSt15iterator_traitsISI_E10value_typeEPNSO_ISJ_E10value_typeEPSK_NS1_7vsmem_tEENKUlT_SI_SJ_SK_E_clISD_PiSD_S10_EESH_SX_SI_SJ_SK_EUlSX_E1_NS1_11comp_targetILNS1_3genE0ELNS1_11target_archE4294967295ELNS1_3gpuE0ELNS1_3repE0EEENS1_36merge_oddeven_config_static_selectorELNS0_4arch9wavefront6targetE1EEEvSJ_.uses_flat_scratch, 0
	.set _ZN7rocprim17ROCPRIM_400000_NS6detail17trampoline_kernelINS0_14default_configENS1_38merge_sort_block_merge_config_selectorIiiEEZZNS1_27merge_sort_block_merge_implIS3_N6thrust23THRUST_200600_302600_NS6detail15normal_iteratorINS8_10device_ptrIiEEEESD_jNS1_19radix_merge_compareILb1ELb0EiNS0_19identity_decomposerEEEEE10hipError_tT0_T1_T2_jT3_P12ihipStream_tbPNSt15iterator_traitsISI_E10value_typeEPNSO_ISJ_E10value_typeEPSK_NS1_7vsmem_tEENKUlT_SI_SJ_SK_E_clISD_PiSD_S10_EESH_SX_SI_SJ_SK_EUlSX_E1_NS1_11comp_targetILNS1_3genE0ELNS1_11target_archE4294967295ELNS1_3gpuE0ELNS1_3repE0EEENS1_36merge_oddeven_config_static_selectorELNS0_4arch9wavefront6targetE1EEEvSJ_.has_dyn_sized_stack, 0
	.set _ZN7rocprim17ROCPRIM_400000_NS6detail17trampoline_kernelINS0_14default_configENS1_38merge_sort_block_merge_config_selectorIiiEEZZNS1_27merge_sort_block_merge_implIS3_N6thrust23THRUST_200600_302600_NS6detail15normal_iteratorINS8_10device_ptrIiEEEESD_jNS1_19radix_merge_compareILb1ELb0EiNS0_19identity_decomposerEEEEE10hipError_tT0_T1_T2_jT3_P12ihipStream_tbPNSt15iterator_traitsISI_E10value_typeEPNSO_ISJ_E10value_typeEPSK_NS1_7vsmem_tEENKUlT_SI_SJ_SK_E_clISD_PiSD_S10_EESH_SX_SI_SJ_SK_EUlSX_E1_NS1_11comp_targetILNS1_3genE0ELNS1_11target_archE4294967295ELNS1_3gpuE0ELNS1_3repE0EEENS1_36merge_oddeven_config_static_selectorELNS0_4arch9wavefront6targetE1EEEvSJ_.has_recursion, 0
	.set _ZN7rocprim17ROCPRIM_400000_NS6detail17trampoline_kernelINS0_14default_configENS1_38merge_sort_block_merge_config_selectorIiiEEZZNS1_27merge_sort_block_merge_implIS3_N6thrust23THRUST_200600_302600_NS6detail15normal_iteratorINS8_10device_ptrIiEEEESD_jNS1_19radix_merge_compareILb1ELb0EiNS0_19identity_decomposerEEEEE10hipError_tT0_T1_T2_jT3_P12ihipStream_tbPNSt15iterator_traitsISI_E10value_typeEPNSO_ISJ_E10value_typeEPSK_NS1_7vsmem_tEENKUlT_SI_SJ_SK_E_clISD_PiSD_S10_EESH_SX_SI_SJ_SK_EUlSX_E1_NS1_11comp_targetILNS1_3genE0ELNS1_11target_archE4294967295ELNS1_3gpuE0ELNS1_3repE0EEENS1_36merge_oddeven_config_static_selectorELNS0_4arch9wavefront6targetE1EEEvSJ_.has_indirect_call, 0
	.section	.AMDGPU.csdata,"",@progbits
; Kernel info:
; codeLenInByte = 780
; TotalNumSgprs: 30
; NumVgprs: 10
; NumAgprs: 0
; TotalNumVgprs: 10
; ScratchSize: 0
; MemoryBound: 0
; FloatMode: 240
; IeeeMode: 1
; LDSByteSize: 0 bytes/workgroup (compile time only)
; SGPRBlocks: 3
; VGPRBlocks: 1
; NumSGPRsForWavesPerEU: 30
; NumVGPRsForWavesPerEU: 10
; AccumOffset: 12
; Occupancy: 8
; WaveLimiterHint : 0
; COMPUTE_PGM_RSRC2:SCRATCH_EN: 0
; COMPUTE_PGM_RSRC2:USER_SGPR: 2
; COMPUTE_PGM_RSRC2:TRAP_HANDLER: 0
; COMPUTE_PGM_RSRC2:TGID_X_EN: 1
; COMPUTE_PGM_RSRC2:TGID_Y_EN: 0
; COMPUTE_PGM_RSRC2:TGID_Z_EN: 0
; COMPUTE_PGM_RSRC2:TIDIG_COMP_CNT: 0
; COMPUTE_PGM_RSRC3_GFX90A:ACCUM_OFFSET: 2
; COMPUTE_PGM_RSRC3_GFX90A:TG_SPLIT: 0
	.section	.text._ZN7rocprim17ROCPRIM_400000_NS6detail17trampoline_kernelINS0_14default_configENS1_38merge_sort_block_merge_config_selectorIiiEEZZNS1_27merge_sort_block_merge_implIS3_N6thrust23THRUST_200600_302600_NS6detail15normal_iteratorINS8_10device_ptrIiEEEESD_jNS1_19radix_merge_compareILb1ELb0EiNS0_19identity_decomposerEEEEE10hipError_tT0_T1_T2_jT3_P12ihipStream_tbPNSt15iterator_traitsISI_E10value_typeEPNSO_ISJ_E10value_typeEPSK_NS1_7vsmem_tEENKUlT_SI_SJ_SK_E_clISD_PiSD_S10_EESH_SX_SI_SJ_SK_EUlSX_E1_NS1_11comp_targetILNS1_3genE10ELNS1_11target_archE1201ELNS1_3gpuE5ELNS1_3repE0EEENS1_36merge_oddeven_config_static_selectorELNS0_4arch9wavefront6targetE1EEEvSJ_,"axG",@progbits,_ZN7rocprim17ROCPRIM_400000_NS6detail17trampoline_kernelINS0_14default_configENS1_38merge_sort_block_merge_config_selectorIiiEEZZNS1_27merge_sort_block_merge_implIS3_N6thrust23THRUST_200600_302600_NS6detail15normal_iteratorINS8_10device_ptrIiEEEESD_jNS1_19radix_merge_compareILb1ELb0EiNS0_19identity_decomposerEEEEE10hipError_tT0_T1_T2_jT3_P12ihipStream_tbPNSt15iterator_traitsISI_E10value_typeEPNSO_ISJ_E10value_typeEPSK_NS1_7vsmem_tEENKUlT_SI_SJ_SK_E_clISD_PiSD_S10_EESH_SX_SI_SJ_SK_EUlSX_E1_NS1_11comp_targetILNS1_3genE10ELNS1_11target_archE1201ELNS1_3gpuE5ELNS1_3repE0EEENS1_36merge_oddeven_config_static_selectorELNS0_4arch9wavefront6targetE1EEEvSJ_,comdat
	.protected	_ZN7rocprim17ROCPRIM_400000_NS6detail17trampoline_kernelINS0_14default_configENS1_38merge_sort_block_merge_config_selectorIiiEEZZNS1_27merge_sort_block_merge_implIS3_N6thrust23THRUST_200600_302600_NS6detail15normal_iteratorINS8_10device_ptrIiEEEESD_jNS1_19radix_merge_compareILb1ELb0EiNS0_19identity_decomposerEEEEE10hipError_tT0_T1_T2_jT3_P12ihipStream_tbPNSt15iterator_traitsISI_E10value_typeEPNSO_ISJ_E10value_typeEPSK_NS1_7vsmem_tEENKUlT_SI_SJ_SK_E_clISD_PiSD_S10_EESH_SX_SI_SJ_SK_EUlSX_E1_NS1_11comp_targetILNS1_3genE10ELNS1_11target_archE1201ELNS1_3gpuE5ELNS1_3repE0EEENS1_36merge_oddeven_config_static_selectorELNS0_4arch9wavefront6targetE1EEEvSJ_ ; -- Begin function _ZN7rocprim17ROCPRIM_400000_NS6detail17trampoline_kernelINS0_14default_configENS1_38merge_sort_block_merge_config_selectorIiiEEZZNS1_27merge_sort_block_merge_implIS3_N6thrust23THRUST_200600_302600_NS6detail15normal_iteratorINS8_10device_ptrIiEEEESD_jNS1_19radix_merge_compareILb1ELb0EiNS0_19identity_decomposerEEEEE10hipError_tT0_T1_T2_jT3_P12ihipStream_tbPNSt15iterator_traitsISI_E10value_typeEPNSO_ISJ_E10value_typeEPSK_NS1_7vsmem_tEENKUlT_SI_SJ_SK_E_clISD_PiSD_S10_EESH_SX_SI_SJ_SK_EUlSX_E1_NS1_11comp_targetILNS1_3genE10ELNS1_11target_archE1201ELNS1_3gpuE5ELNS1_3repE0EEENS1_36merge_oddeven_config_static_selectorELNS0_4arch9wavefront6targetE1EEEvSJ_
	.globl	_ZN7rocprim17ROCPRIM_400000_NS6detail17trampoline_kernelINS0_14default_configENS1_38merge_sort_block_merge_config_selectorIiiEEZZNS1_27merge_sort_block_merge_implIS3_N6thrust23THRUST_200600_302600_NS6detail15normal_iteratorINS8_10device_ptrIiEEEESD_jNS1_19radix_merge_compareILb1ELb0EiNS0_19identity_decomposerEEEEE10hipError_tT0_T1_T2_jT3_P12ihipStream_tbPNSt15iterator_traitsISI_E10value_typeEPNSO_ISJ_E10value_typeEPSK_NS1_7vsmem_tEENKUlT_SI_SJ_SK_E_clISD_PiSD_S10_EESH_SX_SI_SJ_SK_EUlSX_E1_NS1_11comp_targetILNS1_3genE10ELNS1_11target_archE1201ELNS1_3gpuE5ELNS1_3repE0EEENS1_36merge_oddeven_config_static_selectorELNS0_4arch9wavefront6targetE1EEEvSJ_
	.p2align	8
	.type	_ZN7rocprim17ROCPRIM_400000_NS6detail17trampoline_kernelINS0_14default_configENS1_38merge_sort_block_merge_config_selectorIiiEEZZNS1_27merge_sort_block_merge_implIS3_N6thrust23THRUST_200600_302600_NS6detail15normal_iteratorINS8_10device_ptrIiEEEESD_jNS1_19radix_merge_compareILb1ELb0EiNS0_19identity_decomposerEEEEE10hipError_tT0_T1_T2_jT3_P12ihipStream_tbPNSt15iterator_traitsISI_E10value_typeEPNSO_ISJ_E10value_typeEPSK_NS1_7vsmem_tEENKUlT_SI_SJ_SK_E_clISD_PiSD_S10_EESH_SX_SI_SJ_SK_EUlSX_E1_NS1_11comp_targetILNS1_3genE10ELNS1_11target_archE1201ELNS1_3gpuE5ELNS1_3repE0EEENS1_36merge_oddeven_config_static_selectorELNS0_4arch9wavefront6targetE1EEEvSJ_,@function
_ZN7rocprim17ROCPRIM_400000_NS6detail17trampoline_kernelINS0_14default_configENS1_38merge_sort_block_merge_config_selectorIiiEEZZNS1_27merge_sort_block_merge_implIS3_N6thrust23THRUST_200600_302600_NS6detail15normal_iteratorINS8_10device_ptrIiEEEESD_jNS1_19radix_merge_compareILb1ELb0EiNS0_19identity_decomposerEEEEE10hipError_tT0_T1_T2_jT3_P12ihipStream_tbPNSt15iterator_traitsISI_E10value_typeEPNSO_ISJ_E10value_typeEPSK_NS1_7vsmem_tEENKUlT_SI_SJ_SK_E_clISD_PiSD_S10_EESH_SX_SI_SJ_SK_EUlSX_E1_NS1_11comp_targetILNS1_3genE10ELNS1_11target_archE1201ELNS1_3gpuE5ELNS1_3repE0EEENS1_36merge_oddeven_config_static_selectorELNS0_4arch9wavefront6targetE1EEEvSJ_: ; @_ZN7rocprim17ROCPRIM_400000_NS6detail17trampoline_kernelINS0_14default_configENS1_38merge_sort_block_merge_config_selectorIiiEEZZNS1_27merge_sort_block_merge_implIS3_N6thrust23THRUST_200600_302600_NS6detail15normal_iteratorINS8_10device_ptrIiEEEESD_jNS1_19radix_merge_compareILb1ELb0EiNS0_19identity_decomposerEEEEE10hipError_tT0_T1_T2_jT3_P12ihipStream_tbPNSt15iterator_traitsISI_E10value_typeEPNSO_ISJ_E10value_typeEPSK_NS1_7vsmem_tEENKUlT_SI_SJ_SK_E_clISD_PiSD_S10_EESH_SX_SI_SJ_SK_EUlSX_E1_NS1_11comp_targetILNS1_3genE10ELNS1_11target_archE1201ELNS1_3gpuE5ELNS1_3repE0EEENS1_36merge_oddeven_config_static_selectorELNS0_4arch9wavefront6targetE1EEEvSJ_
; %bb.0:
	.section	.rodata,"a",@progbits
	.p2align	6, 0x0
	.amdhsa_kernel _ZN7rocprim17ROCPRIM_400000_NS6detail17trampoline_kernelINS0_14default_configENS1_38merge_sort_block_merge_config_selectorIiiEEZZNS1_27merge_sort_block_merge_implIS3_N6thrust23THRUST_200600_302600_NS6detail15normal_iteratorINS8_10device_ptrIiEEEESD_jNS1_19radix_merge_compareILb1ELb0EiNS0_19identity_decomposerEEEEE10hipError_tT0_T1_T2_jT3_P12ihipStream_tbPNSt15iterator_traitsISI_E10value_typeEPNSO_ISJ_E10value_typeEPSK_NS1_7vsmem_tEENKUlT_SI_SJ_SK_E_clISD_PiSD_S10_EESH_SX_SI_SJ_SK_EUlSX_E1_NS1_11comp_targetILNS1_3genE10ELNS1_11target_archE1201ELNS1_3gpuE5ELNS1_3repE0EEENS1_36merge_oddeven_config_static_selectorELNS0_4arch9wavefront6targetE1EEEvSJ_
		.amdhsa_group_segment_fixed_size 0
		.amdhsa_private_segment_fixed_size 0
		.amdhsa_kernarg_size 48
		.amdhsa_user_sgpr_count 2
		.amdhsa_user_sgpr_dispatch_ptr 0
		.amdhsa_user_sgpr_queue_ptr 0
		.amdhsa_user_sgpr_kernarg_segment_ptr 1
		.amdhsa_user_sgpr_dispatch_id 0
		.amdhsa_user_sgpr_kernarg_preload_length 0
		.amdhsa_user_sgpr_kernarg_preload_offset 0
		.amdhsa_user_sgpr_private_segment_size 0
		.amdhsa_uses_dynamic_stack 0
		.amdhsa_enable_private_segment 0
		.amdhsa_system_sgpr_workgroup_id_x 1
		.amdhsa_system_sgpr_workgroup_id_y 0
		.amdhsa_system_sgpr_workgroup_id_z 0
		.amdhsa_system_sgpr_workgroup_info 0
		.amdhsa_system_vgpr_workitem_id 0
		.amdhsa_next_free_vgpr 1
		.amdhsa_next_free_sgpr 0
		.amdhsa_accum_offset 4
		.amdhsa_reserve_vcc 0
		.amdhsa_float_round_mode_32 0
		.amdhsa_float_round_mode_16_64 0
		.amdhsa_float_denorm_mode_32 3
		.amdhsa_float_denorm_mode_16_64 3
		.amdhsa_dx10_clamp 1
		.amdhsa_ieee_mode 1
		.amdhsa_fp16_overflow 0
		.amdhsa_tg_split 0
		.amdhsa_exception_fp_ieee_invalid_op 0
		.amdhsa_exception_fp_denorm_src 0
		.amdhsa_exception_fp_ieee_div_zero 0
		.amdhsa_exception_fp_ieee_overflow 0
		.amdhsa_exception_fp_ieee_underflow 0
		.amdhsa_exception_fp_ieee_inexact 0
		.amdhsa_exception_int_div_zero 0
	.end_amdhsa_kernel
	.section	.text._ZN7rocprim17ROCPRIM_400000_NS6detail17trampoline_kernelINS0_14default_configENS1_38merge_sort_block_merge_config_selectorIiiEEZZNS1_27merge_sort_block_merge_implIS3_N6thrust23THRUST_200600_302600_NS6detail15normal_iteratorINS8_10device_ptrIiEEEESD_jNS1_19radix_merge_compareILb1ELb0EiNS0_19identity_decomposerEEEEE10hipError_tT0_T1_T2_jT3_P12ihipStream_tbPNSt15iterator_traitsISI_E10value_typeEPNSO_ISJ_E10value_typeEPSK_NS1_7vsmem_tEENKUlT_SI_SJ_SK_E_clISD_PiSD_S10_EESH_SX_SI_SJ_SK_EUlSX_E1_NS1_11comp_targetILNS1_3genE10ELNS1_11target_archE1201ELNS1_3gpuE5ELNS1_3repE0EEENS1_36merge_oddeven_config_static_selectorELNS0_4arch9wavefront6targetE1EEEvSJ_,"axG",@progbits,_ZN7rocprim17ROCPRIM_400000_NS6detail17trampoline_kernelINS0_14default_configENS1_38merge_sort_block_merge_config_selectorIiiEEZZNS1_27merge_sort_block_merge_implIS3_N6thrust23THRUST_200600_302600_NS6detail15normal_iteratorINS8_10device_ptrIiEEEESD_jNS1_19radix_merge_compareILb1ELb0EiNS0_19identity_decomposerEEEEE10hipError_tT0_T1_T2_jT3_P12ihipStream_tbPNSt15iterator_traitsISI_E10value_typeEPNSO_ISJ_E10value_typeEPSK_NS1_7vsmem_tEENKUlT_SI_SJ_SK_E_clISD_PiSD_S10_EESH_SX_SI_SJ_SK_EUlSX_E1_NS1_11comp_targetILNS1_3genE10ELNS1_11target_archE1201ELNS1_3gpuE5ELNS1_3repE0EEENS1_36merge_oddeven_config_static_selectorELNS0_4arch9wavefront6targetE1EEEvSJ_,comdat
.Lfunc_end926:
	.size	_ZN7rocprim17ROCPRIM_400000_NS6detail17trampoline_kernelINS0_14default_configENS1_38merge_sort_block_merge_config_selectorIiiEEZZNS1_27merge_sort_block_merge_implIS3_N6thrust23THRUST_200600_302600_NS6detail15normal_iteratorINS8_10device_ptrIiEEEESD_jNS1_19radix_merge_compareILb1ELb0EiNS0_19identity_decomposerEEEEE10hipError_tT0_T1_T2_jT3_P12ihipStream_tbPNSt15iterator_traitsISI_E10value_typeEPNSO_ISJ_E10value_typeEPSK_NS1_7vsmem_tEENKUlT_SI_SJ_SK_E_clISD_PiSD_S10_EESH_SX_SI_SJ_SK_EUlSX_E1_NS1_11comp_targetILNS1_3genE10ELNS1_11target_archE1201ELNS1_3gpuE5ELNS1_3repE0EEENS1_36merge_oddeven_config_static_selectorELNS0_4arch9wavefront6targetE1EEEvSJ_, .Lfunc_end926-_ZN7rocprim17ROCPRIM_400000_NS6detail17trampoline_kernelINS0_14default_configENS1_38merge_sort_block_merge_config_selectorIiiEEZZNS1_27merge_sort_block_merge_implIS3_N6thrust23THRUST_200600_302600_NS6detail15normal_iteratorINS8_10device_ptrIiEEEESD_jNS1_19radix_merge_compareILb1ELb0EiNS0_19identity_decomposerEEEEE10hipError_tT0_T1_T2_jT3_P12ihipStream_tbPNSt15iterator_traitsISI_E10value_typeEPNSO_ISJ_E10value_typeEPSK_NS1_7vsmem_tEENKUlT_SI_SJ_SK_E_clISD_PiSD_S10_EESH_SX_SI_SJ_SK_EUlSX_E1_NS1_11comp_targetILNS1_3genE10ELNS1_11target_archE1201ELNS1_3gpuE5ELNS1_3repE0EEENS1_36merge_oddeven_config_static_selectorELNS0_4arch9wavefront6targetE1EEEvSJ_
                                        ; -- End function
	.set _ZN7rocprim17ROCPRIM_400000_NS6detail17trampoline_kernelINS0_14default_configENS1_38merge_sort_block_merge_config_selectorIiiEEZZNS1_27merge_sort_block_merge_implIS3_N6thrust23THRUST_200600_302600_NS6detail15normal_iteratorINS8_10device_ptrIiEEEESD_jNS1_19radix_merge_compareILb1ELb0EiNS0_19identity_decomposerEEEEE10hipError_tT0_T1_T2_jT3_P12ihipStream_tbPNSt15iterator_traitsISI_E10value_typeEPNSO_ISJ_E10value_typeEPSK_NS1_7vsmem_tEENKUlT_SI_SJ_SK_E_clISD_PiSD_S10_EESH_SX_SI_SJ_SK_EUlSX_E1_NS1_11comp_targetILNS1_3genE10ELNS1_11target_archE1201ELNS1_3gpuE5ELNS1_3repE0EEENS1_36merge_oddeven_config_static_selectorELNS0_4arch9wavefront6targetE1EEEvSJ_.num_vgpr, 0
	.set _ZN7rocprim17ROCPRIM_400000_NS6detail17trampoline_kernelINS0_14default_configENS1_38merge_sort_block_merge_config_selectorIiiEEZZNS1_27merge_sort_block_merge_implIS3_N6thrust23THRUST_200600_302600_NS6detail15normal_iteratorINS8_10device_ptrIiEEEESD_jNS1_19radix_merge_compareILb1ELb0EiNS0_19identity_decomposerEEEEE10hipError_tT0_T1_T2_jT3_P12ihipStream_tbPNSt15iterator_traitsISI_E10value_typeEPNSO_ISJ_E10value_typeEPSK_NS1_7vsmem_tEENKUlT_SI_SJ_SK_E_clISD_PiSD_S10_EESH_SX_SI_SJ_SK_EUlSX_E1_NS1_11comp_targetILNS1_3genE10ELNS1_11target_archE1201ELNS1_3gpuE5ELNS1_3repE0EEENS1_36merge_oddeven_config_static_selectorELNS0_4arch9wavefront6targetE1EEEvSJ_.num_agpr, 0
	.set _ZN7rocprim17ROCPRIM_400000_NS6detail17trampoline_kernelINS0_14default_configENS1_38merge_sort_block_merge_config_selectorIiiEEZZNS1_27merge_sort_block_merge_implIS3_N6thrust23THRUST_200600_302600_NS6detail15normal_iteratorINS8_10device_ptrIiEEEESD_jNS1_19radix_merge_compareILb1ELb0EiNS0_19identity_decomposerEEEEE10hipError_tT0_T1_T2_jT3_P12ihipStream_tbPNSt15iterator_traitsISI_E10value_typeEPNSO_ISJ_E10value_typeEPSK_NS1_7vsmem_tEENKUlT_SI_SJ_SK_E_clISD_PiSD_S10_EESH_SX_SI_SJ_SK_EUlSX_E1_NS1_11comp_targetILNS1_3genE10ELNS1_11target_archE1201ELNS1_3gpuE5ELNS1_3repE0EEENS1_36merge_oddeven_config_static_selectorELNS0_4arch9wavefront6targetE1EEEvSJ_.numbered_sgpr, 0
	.set _ZN7rocprim17ROCPRIM_400000_NS6detail17trampoline_kernelINS0_14default_configENS1_38merge_sort_block_merge_config_selectorIiiEEZZNS1_27merge_sort_block_merge_implIS3_N6thrust23THRUST_200600_302600_NS6detail15normal_iteratorINS8_10device_ptrIiEEEESD_jNS1_19radix_merge_compareILb1ELb0EiNS0_19identity_decomposerEEEEE10hipError_tT0_T1_T2_jT3_P12ihipStream_tbPNSt15iterator_traitsISI_E10value_typeEPNSO_ISJ_E10value_typeEPSK_NS1_7vsmem_tEENKUlT_SI_SJ_SK_E_clISD_PiSD_S10_EESH_SX_SI_SJ_SK_EUlSX_E1_NS1_11comp_targetILNS1_3genE10ELNS1_11target_archE1201ELNS1_3gpuE5ELNS1_3repE0EEENS1_36merge_oddeven_config_static_selectorELNS0_4arch9wavefront6targetE1EEEvSJ_.num_named_barrier, 0
	.set _ZN7rocprim17ROCPRIM_400000_NS6detail17trampoline_kernelINS0_14default_configENS1_38merge_sort_block_merge_config_selectorIiiEEZZNS1_27merge_sort_block_merge_implIS3_N6thrust23THRUST_200600_302600_NS6detail15normal_iteratorINS8_10device_ptrIiEEEESD_jNS1_19radix_merge_compareILb1ELb0EiNS0_19identity_decomposerEEEEE10hipError_tT0_T1_T2_jT3_P12ihipStream_tbPNSt15iterator_traitsISI_E10value_typeEPNSO_ISJ_E10value_typeEPSK_NS1_7vsmem_tEENKUlT_SI_SJ_SK_E_clISD_PiSD_S10_EESH_SX_SI_SJ_SK_EUlSX_E1_NS1_11comp_targetILNS1_3genE10ELNS1_11target_archE1201ELNS1_3gpuE5ELNS1_3repE0EEENS1_36merge_oddeven_config_static_selectorELNS0_4arch9wavefront6targetE1EEEvSJ_.private_seg_size, 0
	.set _ZN7rocprim17ROCPRIM_400000_NS6detail17trampoline_kernelINS0_14default_configENS1_38merge_sort_block_merge_config_selectorIiiEEZZNS1_27merge_sort_block_merge_implIS3_N6thrust23THRUST_200600_302600_NS6detail15normal_iteratorINS8_10device_ptrIiEEEESD_jNS1_19radix_merge_compareILb1ELb0EiNS0_19identity_decomposerEEEEE10hipError_tT0_T1_T2_jT3_P12ihipStream_tbPNSt15iterator_traitsISI_E10value_typeEPNSO_ISJ_E10value_typeEPSK_NS1_7vsmem_tEENKUlT_SI_SJ_SK_E_clISD_PiSD_S10_EESH_SX_SI_SJ_SK_EUlSX_E1_NS1_11comp_targetILNS1_3genE10ELNS1_11target_archE1201ELNS1_3gpuE5ELNS1_3repE0EEENS1_36merge_oddeven_config_static_selectorELNS0_4arch9wavefront6targetE1EEEvSJ_.uses_vcc, 0
	.set _ZN7rocprim17ROCPRIM_400000_NS6detail17trampoline_kernelINS0_14default_configENS1_38merge_sort_block_merge_config_selectorIiiEEZZNS1_27merge_sort_block_merge_implIS3_N6thrust23THRUST_200600_302600_NS6detail15normal_iteratorINS8_10device_ptrIiEEEESD_jNS1_19radix_merge_compareILb1ELb0EiNS0_19identity_decomposerEEEEE10hipError_tT0_T1_T2_jT3_P12ihipStream_tbPNSt15iterator_traitsISI_E10value_typeEPNSO_ISJ_E10value_typeEPSK_NS1_7vsmem_tEENKUlT_SI_SJ_SK_E_clISD_PiSD_S10_EESH_SX_SI_SJ_SK_EUlSX_E1_NS1_11comp_targetILNS1_3genE10ELNS1_11target_archE1201ELNS1_3gpuE5ELNS1_3repE0EEENS1_36merge_oddeven_config_static_selectorELNS0_4arch9wavefront6targetE1EEEvSJ_.uses_flat_scratch, 0
	.set _ZN7rocprim17ROCPRIM_400000_NS6detail17trampoline_kernelINS0_14default_configENS1_38merge_sort_block_merge_config_selectorIiiEEZZNS1_27merge_sort_block_merge_implIS3_N6thrust23THRUST_200600_302600_NS6detail15normal_iteratorINS8_10device_ptrIiEEEESD_jNS1_19radix_merge_compareILb1ELb0EiNS0_19identity_decomposerEEEEE10hipError_tT0_T1_T2_jT3_P12ihipStream_tbPNSt15iterator_traitsISI_E10value_typeEPNSO_ISJ_E10value_typeEPSK_NS1_7vsmem_tEENKUlT_SI_SJ_SK_E_clISD_PiSD_S10_EESH_SX_SI_SJ_SK_EUlSX_E1_NS1_11comp_targetILNS1_3genE10ELNS1_11target_archE1201ELNS1_3gpuE5ELNS1_3repE0EEENS1_36merge_oddeven_config_static_selectorELNS0_4arch9wavefront6targetE1EEEvSJ_.has_dyn_sized_stack, 0
	.set _ZN7rocprim17ROCPRIM_400000_NS6detail17trampoline_kernelINS0_14default_configENS1_38merge_sort_block_merge_config_selectorIiiEEZZNS1_27merge_sort_block_merge_implIS3_N6thrust23THRUST_200600_302600_NS6detail15normal_iteratorINS8_10device_ptrIiEEEESD_jNS1_19radix_merge_compareILb1ELb0EiNS0_19identity_decomposerEEEEE10hipError_tT0_T1_T2_jT3_P12ihipStream_tbPNSt15iterator_traitsISI_E10value_typeEPNSO_ISJ_E10value_typeEPSK_NS1_7vsmem_tEENKUlT_SI_SJ_SK_E_clISD_PiSD_S10_EESH_SX_SI_SJ_SK_EUlSX_E1_NS1_11comp_targetILNS1_3genE10ELNS1_11target_archE1201ELNS1_3gpuE5ELNS1_3repE0EEENS1_36merge_oddeven_config_static_selectorELNS0_4arch9wavefront6targetE1EEEvSJ_.has_recursion, 0
	.set _ZN7rocprim17ROCPRIM_400000_NS6detail17trampoline_kernelINS0_14default_configENS1_38merge_sort_block_merge_config_selectorIiiEEZZNS1_27merge_sort_block_merge_implIS3_N6thrust23THRUST_200600_302600_NS6detail15normal_iteratorINS8_10device_ptrIiEEEESD_jNS1_19radix_merge_compareILb1ELb0EiNS0_19identity_decomposerEEEEE10hipError_tT0_T1_T2_jT3_P12ihipStream_tbPNSt15iterator_traitsISI_E10value_typeEPNSO_ISJ_E10value_typeEPSK_NS1_7vsmem_tEENKUlT_SI_SJ_SK_E_clISD_PiSD_S10_EESH_SX_SI_SJ_SK_EUlSX_E1_NS1_11comp_targetILNS1_3genE10ELNS1_11target_archE1201ELNS1_3gpuE5ELNS1_3repE0EEENS1_36merge_oddeven_config_static_selectorELNS0_4arch9wavefront6targetE1EEEvSJ_.has_indirect_call, 0
	.section	.AMDGPU.csdata,"",@progbits
; Kernel info:
; codeLenInByte = 0
; TotalNumSgprs: 6
; NumVgprs: 0
; NumAgprs: 0
; TotalNumVgprs: 0
; ScratchSize: 0
; MemoryBound: 0
; FloatMode: 240
; IeeeMode: 1
; LDSByteSize: 0 bytes/workgroup (compile time only)
; SGPRBlocks: 0
; VGPRBlocks: 0
; NumSGPRsForWavesPerEU: 6
; NumVGPRsForWavesPerEU: 1
; AccumOffset: 4
; Occupancy: 8
; WaveLimiterHint : 0
; COMPUTE_PGM_RSRC2:SCRATCH_EN: 0
; COMPUTE_PGM_RSRC2:USER_SGPR: 2
; COMPUTE_PGM_RSRC2:TRAP_HANDLER: 0
; COMPUTE_PGM_RSRC2:TGID_X_EN: 1
; COMPUTE_PGM_RSRC2:TGID_Y_EN: 0
; COMPUTE_PGM_RSRC2:TGID_Z_EN: 0
; COMPUTE_PGM_RSRC2:TIDIG_COMP_CNT: 0
; COMPUTE_PGM_RSRC3_GFX90A:ACCUM_OFFSET: 0
; COMPUTE_PGM_RSRC3_GFX90A:TG_SPLIT: 0
	.section	.text._ZN7rocprim17ROCPRIM_400000_NS6detail17trampoline_kernelINS0_14default_configENS1_38merge_sort_block_merge_config_selectorIiiEEZZNS1_27merge_sort_block_merge_implIS3_N6thrust23THRUST_200600_302600_NS6detail15normal_iteratorINS8_10device_ptrIiEEEESD_jNS1_19radix_merge_compareILb1ELb0EiNS0_19identity_decomposerEEEEE10hipError_tT0_T1_T2_jT3_P12ihipStream_tbPNSt15iterator_traitsISI_E10value_typeEPNSO_ISJ_E10value_typeEPSK_NS1_7vsmem_tEENKUlT_SI_SJ_SK_E_clISD_PiSD_S10_EESH_SX_SI_SJ_SK_EUlSX_E1_NS1_11comp_targetILNS1_3genE5ELNS1_11target_archE942ELNS1_3gpuE9ELNS1_3repE0EEENS1_36merge_oddeven_config_static_selectorELNS0_4arch9wavefront6targetE1EEEvSJ_,"axG",@progbits,_ZN7rocprim17ROCPRIM_400000_NS6detail17trampoline_kernelINS0_14default_configENS1_38merge_sort_block_merge_config_selectorIiiEEZZNS1_27merge_sort_block_merge_implIS3_N6thrust23THRUST_200600_302600_NS6detail15normal_iteratorINS8_10device_ptrIiEEEESD_jNS1_19radix_merge_compareILb1ELb0EiNS0_19identity_decomposerEEEEE10hipError_tT0_T1_T2_jT3_P12ihipStream_tbPNSt15iterator_traitsISI_E10value_typeEPNSO_ISJ_E10value_typeEPSK_NS1_7vsmem_tEENKUlT_SI_SJ_SK_E_clISD_PiSD_S10_EESH_SX_SI_SJ_SK_EUlSX_E1_NS1_11comp_targetILNS1_3genE5ELNS1_11target_archE942ELNS1_3gpuE9ELNS1_3repE0EEENS1_36merge_oddeven_config_static_selectorELNS0_4arch9wavefront6targetE1EEEvSJ_,comdat
	.protected	_ZN7rocprim17ROCPRIM_400000_NS6detail17trampoline_kernelINS0_14default_configENS1_38merge_sort_block_merge_config_selectorIiiEEZZNS1_27merge_sort_block_merge_implIS3_N6thrust23THRUST_200600_302600_NS6detail15normal_iteratorINS8_10device_ptrIiEEEESD_jNS1_19radix_merge_compareILb1ELb0EiNS0_19identity_decomposerEEEEE10hipError_tT0_T1_T2_jT3_P12ihipStream_tbPNSt15iterator_traitsISI_E10value_typeEPNSO_ISJ_E10value_typeEPSK_NS1_7vsmem_tEENKUlT_SI_SJ_SK_E_clISD_PiSD_S10_EESH_SX_SI_SJ_SK_EUlSX_E1_NS1_11comp_targetILNS1_3genE5ELNS1_11target_archE942ELNS1_3gpuE9ELNS1_3repE0EEENS1_36merge_oddeven_config_static_selectorELNS0_4arch9wavefront6targetE1EEEvSJ_ ; -- Begin function _ZN7rocprim17ROCPRIM_400000_NS6detail17trampoline_kernelINS0_14default_configENS1_38merge_sort_block_merge_config_selectorIiiEEZZNS1_27merge_sort_block_merge_implIS3_N6thrust23THRUST_200600_302600_NS6detail15normal_iteratorINS8_10device_ptrIiEEEESD_jNS1_19radix_merge_compareILb1ELb0EiNS0_19identity_decomposerEEEEE10hipError_tT0_T1_T2_jT3_P12ihipStream_tbPNSt15iterator_traitsISI_E10value_typeEPNSO_ISJ_E10value_typeEPSK_NS1_7vsmem_tEENKUlT_SI_SJ_SK_E_clISD_PiSD_S10_EESH_SX_SI_SJ_SK_EUlSX_E1_NS1_11comp_targetILNS1_3genE5ELNS1_11target_archE942ELNS1_3gpuE9ELNS1_3repE0EEENS1_36merge_oddeven_config_static_selectorELNS0_4arch9wavefront6targetE1EEEvSJ_
	.globl	_ZN7rocprim17ROCPRIM_400000_NS6detail17trampoline_kernelINS0_14default_configENS1_38merge_sort_block_merge_config_selectorIiiEEZZNS1_27merge_sort_block_merge_implIS3_N6thrust23THRUST_200600_302600_NS6detail15normal_iteratorINS8_10device_ptrIiEEEESD_jNS1_19radix_merge_compareILb1ELb0EiNS0_19identity_decomposerEEEEE10hipError_tT0_T1_T2_jT3_P12ihipStream_tbPNSt15iterator_traitsISI_E10value_typeEPNSO_ISJ_E10value_typeEPSK_NS1_7vsmem_tEENKUlT_SI_SJ_SK_E_clISD_PiSD_S10_EESH_SX_SI_SJ_SK_EUlSX_E1_NS1_11comp_targetILNS1_3genE5ELNS1_11target_archE942ELNS1_3gpuE9ELNS1_3repE0EEENS1_36merge_oddeven_config_static_selectorELNS0_4arch9wavefront6targetE1EEEvSJ_
	.p2align	8
	.type	_ZN7rocprim17ROCPRIM_400000_NS6detail17trampoline_kernelINS0_14default_configENS1_38merge_sort_block_merge_config_selectorIiiEEZZNS1_27merge_sort_block_merge_implIS3_N6thrust23THRUST_200600_302600_NS6detail15normal_iteratorINS8_10device_ptrIiEEEESD_jNS1_19radix_merge_compareILb1ELb0EiNS0_19identity_decomposerEEEEE10hipError_tT0_T1_T2_jT3_P12ihipStream_tbPNSt15iterator_traitsISI_E10value_typeEPNSO_ISJ_E10value_typeEPSK_NS1_7vsmem_tEENKUlT_SI_SJ_SK_E_clISD_PiSD_S10_EESH_SX_SI_SJ_SK_EUlSX_E1_NS1_11comp_targetILNS1_3genE5ELNS1_11target_archE942ELNS1_3gpuE9ELNS1_3repE0EEENS1_36merge_oddeven_config_static_selectorELNS0_4arch9wavefront6targetE1EEEvSJ_,@function
_ZN7rocprim17ROCPRIM_400000_NS6detail17trampoline_kernelINS0_14default_configENS1_38merge_sort_block_merge_config_selectorIiiEEZZNS1_27merge_sort_block_merge_implIS3_N6thrust23THRUST_200600_302600_NS6detail15normal_iteratorINS8_10device_ptrIiEEEESD_jNS1_19radix_merge_compareILb1ELb0EiNS0_19identity_decomposerEEEEE10hipError_tT0_T1_T2_jT3_P12ihipStream_tbPNSt15iterator_traitsISI_E10value_typeEPNSO_ISJ_E10value_typeEPSK_NS1_7vsmem_tEENKUlT_SI_SJ_SK_E_clISD_PiSD_S10_EESH_SX_SI_SJ_SK_EUlSX_E1_NS1_11comp_targetILNS1_3genE5ELNS1_11target_archE942ELNS1_3gpuE9ELNS1_3repE0EEENS1_36merge_oddeven_config_static_selectorELNS0_4arch9wavefront6targetE1EEEvSJ_: ; @_ZN7rocprim17ROCPRIM_400000_NS6detail17trampoline_kernelINS0_14default_configENS1_38merge_sort_block_merge_config_selectorIiiEEZZNS1_27merge_sort_block_merge_implIS3_N6thrust23THRUST_200600_302600_NS6detail15normal_iteratorINS8_10device_ptrIiEEEESD_jNS1_19radix_merge_compareILb1ELb0EiNS0_19identity_decomposerEEEEE10hipError_tT0_T1_T2_jT3_P12ihipStream_tbPNSt15iterator_traitsISI_E10value_typeEPNSO_ISJ_E10value_typeEPSK_NS1_7vsmem_tEENKUlT_SI_SJ_SK_E_clISD_PiSD_S10_EESH_SX_SI_SJ_SK_EUlSX_E1_NS1_11comp_targetILNS1_3genE5ELNS1_11target_archE942ELNS1_3gpuE9ELNS1_3repE0EEENS1_36merge_oddeven_config_static_selectorELNS0_4arch9wavefront6targetE1EEEvSJ_
; %bb.0:
	.section	.rodata,"a",@progbits
	.p2align	6, 0x0
	.amdhsa_kernel _ZN7rocprim17ROCPRIM_400000_NS6detail17trampoline_kernelINS0_14default_configENS1_38merge_sort_block_merge_config_selectorIiiEEZZNS1_27merge_sort_block_merge_implIS3_N6thrust23THRUST_200600_302600_NS6detail15normal_iteratorINS8_10device_ptrIiEEEESD_jNS1_19radix_merge_compareILb1ELb0EiNS0_19identity_decomposerEEEEE10hipError_tT0_T1_T2_jT3_P12ihipStream_tbPNSt15iterator_traitsISI_E10value_typeEPNSO_ISJ_E10value_typeEPSK_NS1_7vsmem_tEENKUlT_SI_SJ_SK_E_clISD_PiSD_S10_EESH_SX_SI_SJ_SK_EUlSX_E1_NS1_11comp_targetILNS1_3genE5ELNS1_11target_archE942ELNS1_3gpuE9ELNS1_3repE0EEENS1_36merge_oddeven_config_static_selectorELNS0_4arch9wavefront6targetE1EEEvSJ_
		.amdhsa_group_segment_fixed_size 0
		.amdhsa_private_segment_fixed_size 0
		.amdhsa_kernarg_size 48
		.amdhsa_user_sgpr_count 2
		.amdhsa_user_sgpr_dispatch_ptr 0
		.amdhsa_user_sgpr_queue_ptr 0
		.amdhsa_user_sgpr_kernarg_segment_ptr 1
		.amdhsa_user_sgpr_dispatch_id 0
		.amdhsa_user_sgpr_kernarg_preload_length 0
		.amdhsa_user_sgpr_kernarg_preload_offset 0
		.amdhsa_user_sgpr_private_segment_size 0
		.amdhsa_uses_dynamic_stack 0
		.amdhsa_enable_private_segment 0
		.amdhsa_system_sgpr_workgroup_id_x 1
		.amdhsa_system_sgpr_workgroup_id_y 0
		.amdhsa_system_sgpr_workgroup_id_z 0
		.amdhsa_system_sgpr_workgroup_info 0
		.amdhsa_system_vgpr_workitem_id 0
		.amdhsa_next_free_vgpr 1
		.amdhsa_next_free_sgpr 0
		.amdhsa_accum_offset 4
		.amdhsa_reserve_vcc 0
		.amdhsa_float_round_mode_32 0
		.amdhsa_float_round_mode_16_64 0
		.amdhsa_float_denorm_mode_32 3
		.amdhsa_float_denorm_mode_16_64 3
		.amdhsa_dx10_clamp 1
		.amdhsa_ieee_mode 1
		.amdhsa_fp16_overflow 0
		.amdhsa_tg_split 0
		.amdhsa_exception_fp_ieee_invalid_op 0
		.amdhsa_exception_fp_denorm_src 0
		.amdhsa_exception_fp_ieee_div_zero 0
		.amdhsa_exception_fp_ieee_overflow 0
		.amdhsa_exception_fp_ieee_underflow 0
		.amdhsa_exception_fp_ieee_inexact 0
		.amdhsa_exception_int_div_zero 0
	.end_amdhsa_kernel
	.section	.text._ZN7rocprim17ROCPRIM_400000_NS6detail17trampoline_kernelINS0_14default_configENS1_38merge_sort_block_merge_config_selectorIiiEEZZNS1_27merge_sort_block_merge_implIS3_N6thrust23THRUST_200600_302600_NS6detail15normal_iteratorINS8_10device_ptrIiEEEESD_jNS1_19radix_merge_compareILb1ELb0EiNS0_19identity_decomposerEEEEE10hipError_tT0_T1_T2_jT3_P12ihipStream_tbPNSt15iterator_traitsISI_E10value_typeEPNSO_ISJ_E10value_typeEPSK_NS1_7vsmem_tEENKUlT_SI_SJ_SK_E_clISD_PiSD_S10_EESH_SX_SI_SJ_SK_EUlSX_E1_NS1_11comp_targetILNS1_3genE5ELNS1_11target_archE942ELNS1_3gpuE9ELNS1_3repE0EEENS1_36merge_oddeven_config_static_selectorELNS0_4arch9wavefront6targetE1EEEvSJ_,"axG",@progbits,_ZN7rocprim17ROCPRIM_400000_NS6detail17trampoline_kernelINS0_14default_configENS1_38merge_sort_block_merge_config_selectorIiiEEZZNS1_27merge_sort_block_merge_implIS3_N6thrust23THRUST_200600_302600_NS6detail15normal_iteratorINS8_10device_ptrIiEEEESD_jNS1_19radix_merge_compareILb1ELb0EiNS0_19identity_decomposerEEEEE10hipError_tT0_T1_T2_jT3_P12ihipStream_tbPNSt15iterator_traitsISI_E10value_typeEPNSO_ISJ_E10value_typeEPSK_NS1_7vsmem_tEENKUlT_SI_SJ_SK_E_clISD_PiSD_S10_EESH_SX_SI_SJ_SK_EUlSX_E1_NS1_11comp_targetILNS1_3genE5ELNS1_11target_archE942ELNS1_3gpuE9ELNS1_3repE0EEENS1_36merge_oddeven_config_static_selectorELNS0_4arch9wavefront6targetE1EEEvSJ_,comdat
.Lfunc_end927:
	.size	_ZN7rocprim17ROCPRIM_400000_NS6detail17trampoline_kernelINS0_14default_configENS1_38merge_sort_block_merge_config_selectorIiiEEZZNS1_27merge_sort_block_merge_implIS3_N6thrust23THRUST_200600_302600_NS6detail15normal_iteratorINS8_10device_ptrIiEEEESD_jNS1_19radix_merge_compareILb1ELb0EiNS0_19identity_decomposerEEEEE10hipError_tT0_T1_T2_jT3_P12ihipStream_tbPNSt15iterator_traitsISI_E10value_typeEPNSO_ISJ_E10value_typeEPSK_NS1_7vsmem_tEENKUlT_SI_SJ_SK_E_clISD_PiSD_S10_EESH_SX_SI_SJ_SK_EUlSX_E1_NS1_11comp_targetILNS1_3genE5ELNS1_11target_archE942ELNS1_3gpuE9ELNS1_3repE0EEENS1_36merge_oddeven_config_static_selectorELNS0_4arch9wavefront6targetE1EEEvSJ_, .Lfunc_end927-_ZN7rocprim17ROCPRIM_400000_NS6detail17trampoline_kernelINS0_14default_configENS1_38merge_sort_block_merge_config_selectorIiiEEZZNS1_27merge_sort_block_merge_implIS3_N6thrust23THRUST_200600_302600_NS6detail15normal_iteratorINS8_10device_ptrIiEEEESD_jNS1_19radix_merge_compareILb1ELb0EiNS0_19identity_decomposerEEEEE10hipError_tT0_T1_T2_jT3_P12ihipStream_tbPNSt15iterator_traitsISI_E10value_typeEPNSO_ISJ_E10value_typeEPSK_NS1_7vsmem_tEENKUlT_SI_SJ_SK_E_clISD_PiSD_S10_EESH_SX_SI_SJ_SK_EUlSX_E1_NS1_11comp_targetILNS1_3genE5ELNS1_11target_archE942ELNS1_3gpuE9ELNS1_3repE0EEENS1_36merge_oddeven_config_static_selectorELNS0_4arch9wavefront6targetE1EEEvSJ_
                                        ; -- End function
	.set _ZN7rocprim17ROCPRIM_400000_NS6detail17trampoline_kernelINS0_14default_configENS1_38merge_sort_block_merge_config_selectorIiiEEZZNS1_27merge_sort_block_merge_implIS3_N6thrust23THRUST_200600_302600_NS6detail15normal_iteratorINS8_10device_ptrIiEEEESD_jNS1_19radix_merge_compareILb1ELb0EiNS0_19identity_decomposerEEEEE10hipError_tT0_T1_T2_jT3_P12ihipStream_tbPNSt15iterator_traitsISI_E10value_typeEPNSO_ISJ_E10value_typeEPSK_NS1_7vsmem_tEENKUlT_SI_SJ_SK_E_clISD_PiSD_S10_EESH_SX_SI_SJ_SK_EUlSX_E1_NS1_11comp_targetILNS1_3genE5ELNS1_11target_archE942ELNS1_3gpuE9ELNS1_3repE0EEENS1_36merge_oddeven_config_static_selectorELNS0_4arch9wavefront6targetE1EEEvSJ_.num_vgpr, 0
	.set _ZN7rocprim17ROCPRIM_400000_NS6detail17trampoline_kernelINS0_14default_configENS1_38merge_sort_block_merge_config_selectorIiiEEZZNS1_27merge_sort_block_merge_implIS3_N6thrust23THRUST_200600_302600_NS6detail15normal_iteratorINS8_10device_ptrIiEEEESD_jNS1_19radix_merge_compareILb1ELb0EiNS0_19identity_decomposerEEEEE10hipError_tT0_T1_T2_jT3_P12ihipStream_tbPNSt15iterator_traitsISI_E10value_typeEPNSO_ISJ_E10value_typeEPSK_NS1_7vsmem_tEENKUlT_SI_SJ_SK_E_clISD_PiSD_S10_EESH_SX_SI_SJ_SK_EUlSX_E1_NS1_11comp_targetILNS1_3genE5ELNS1_11target_archE942ELNS1_3gpuE9ELNS1_3repE0EEENS1_36merge_oddeven_config_static_selectorELNS0_4arch9wavefront6targetE1EEEvSJ_.num_agpr, 0
	.set _ZN7rocprim17ROCPRIM_400000_NS6detail17trampoline_kernelINS0_14default_configENS1_38merge_sort_block_merge_config_selectorIiiEEZZNS1_27merge_sort_block_merge_implIS3_N6thrust23THRUST_200600_302600_NS6detail15normal_iteratorINS8_10device_ptrIiEEEESD_jNS1_19radix_merge_compareILb1ELb0EiNS0_19identity_decomposerEEEEE10hipError_tT0_T1_T2_jT3_P12ihipStream_tbPNSt15iterator_traitsISI_E10value_typeEPNSO_ISJ_E10value_typeEPSK_NS1_7vsmem_tEENKUlT_SI_SJ_SK_E_clISD_PiSD_S10_EESH_SX_SI_SJ_SK_EUlSX_E1_NS1_11comp_targetILNS1_3genE5ELNS1_11target_archE942ELNS1_3gpuE9ELNS1_3repE0EEENS1_36merge_oddeven_config_static_selectorELNS0_4arch9wavefront6targetE1EEEvSJ_.numbered_sgpr, 0
	.set _ZN7rocprim17ROCPRIM_400000_NS6detail17trampoline_kernelINS0_14default_configENS1_38merge_sort_block_merge_config_selectorIiiEEZZNS1_27merge_sort_block_merge_implIS3_N6thrust23THRUST_200600_302600_NS6detail15normal_iteratorINS8_10device_ptrIiEEEESD_jNS1_19radix_merge_compareILb1ELb0EiNS0_19identity_decomposerEEEEE10hipError_tT0_T1_T2_jT3_P12ihipStream_tbPNSt15iterator_traitsISI_E10value_typeEPNSO_ISJ_E10value_typeEPSK_NS1_7vsmem_tEENKUlT_SI_SJ_SK_E_clISD_PiSD_S10_EESH_SX_SI_SJ_SK_EUlSX_E1_NS1_11comp_targetILNS1_3genE5ELNS1_11target_archE942ELNS1_3gpuE9ELNS1_3repE0EEENS1_36merge_oddeven_config_static_selectorELNS0_4arch9wavefront6targetE1EEEvSJ_.num_named_barrier, 0
	.set _ZN7rocprim17ROCPRIM_400000_NS6detail17trampoline_kernelINS0_14default_configENS1_38merge_sort_block_merge_config_selectorIiiEEZZNS1_27merge_sort_block_merge_implIS3_N6thrust23THRUST_200600_302600_NS6detail15normal_iteratorINS8_10device_ptrIiEEEESD_jNS1_19radix_merge_compareILb1ELb0EiNS0_19identity_decomposerEEEEE10hipError_tT0_T1_T2_jT3_P12ihipStream_tbPNSt15iterator_traitsISI_E10value_typeEPNSO_ISJ_E10value_typeEPSK_NS1_7vsmem_tEENKUlT_SI_SJ_SK_E_clISD_PiSD_S10_EESH_SX_SI_SJ_SK_EUlSX_E1_NS1_11comp_targetILNS1_3genE5ELNS1_11target_archE942ELNS1_3gpuE9ELNS1_3repE0EEENS1_36merge_oddeven_config_static_selectorELNS0_4arch9wavefront6targetE1EEEvSJ_.private_seg_size, 0
	.set _ZN7rocprim17ROCPRIM_400000_NS6detail17trampoline_kernelINS0_14default_configENS1_38merge_sort_block_merge_config_selectorIiiEEZZNS1_27merge_sort_block_merge_implIS3_N6thrust23THRUST_200600_302600_NS6detail15normal_iteratorINS8_10device_ptrIiEEEESD_jNS1_19radix_merge_compareILb1ELb0EiNS0_19identity_decomposerEEEEE10hipError_tT0_T1_T2_jT3_P12ihipStream_tbPNSt15iterator_traitsISI_E10value_typeEPNSO_ISJ_E10value_typeEPSK_NS1_7vsmem_tEENKUlT_SI_SJ_SK_E_clISD_PiSD_S10_EESH_SX_SI_SJ_SK_EUlSX_E1_NS1_11comp_targetILNS1_3genE5ELNS1_11target_archE942ELNS1_3gpuE9ELNS1_3repE0EEENS1_36merge_oddeven_config_static_selectorELNS0_4arch9wavefront6targetE1EEEvSJ_.uses_vcc, 0
	.set _ZN7rocprim17ROCPRIM_400000_NS6detail17trampoline_kernelINS0_14default_configENS1_38merge_sort_block_merge_config_selectorIiiEEZZNS1_27merge_sort_block_merge_implIS3_N6thrust23THRUST_200600_302600_NS6detail15normal_iteratorINS8_10device_ptrIiEEEESD_jNS1_19radix_merge_compareILb1ELb0EiNS0_19identity_decomposerEEEEE10hipError_tT0_T1_T2_jT3_P12ihipStream_tbPNSt15iterator_traitsISI_E10value_typeEPNSO_ISJ_E10value_typeEPSK_NS1_7vsmem_tEENKUlT_SI_SJ_SK_E_clISD_PiSD_S10_EESH_SX_SI_SJ_SK_EUlSX_E1_NS1_11comp_targetILNS1_3genE5ELNS1_11target_archE942ELNS1_3gpuE9ELNS1_3repE0EEENS1_36merge_oddeven_config_static_selectorELNS0_4arch9wavefront6targetE1EEEvSJ_.uses_flat_scratch, 0
	.set _ZN7rocprim17ROCPRIM_400000_NS6detail17trampoline_kernelINS0_14default_configENS1_38merge_sort_block_merge_config_selectorIiiEEZZNS1_27merge_sort_block_merge_implIS3_N6thrust23THRUST_200600_302600_NS6detail15normal_iteratorINS8_10device_ptrIiEEEESD_jNS1_19radix_merge_compareILb1ELb0EiNS0_19identity_decomposerEEEEE10hipError_tT0_T1_T2_jT3_P12ihipStream_tbPNSt15iterator_traitsISI_E10value_typeEPNSO_ISJ_E10value_typeEPSK_NS1_7vsmem_tEENKUlT_SI_SJ_SK_E_clISD_PiSD_S10_EESH_SX_SI_SJ_SK_EUlSX_E1_NS1_11comp_targetILNS1_3genE5ELNS1_11target_archE942ELNS1_3gpuE9ELNS1_3repE0EEENS1_36merge_oddeven_config_static_selectorELNS0_4arch9wavefront6targetE1EEEvSJ_.has_dyn_sized_stack, 0
	.set _ZN7rocprim17ROCPRIM_400000_NS6detail17trampoline_kernelINS0_14default_configENS1_38merge_sort_block_merge_config_selectorIiiEEZZNS1_27merge_sort_block_merge_implIS3_N6thrust23THRUST_200600_302600_NS6detail15normal_iteratorINS8_10device_ptrIiEEEESD_jNS1_19radix_merge_compareILb1ELb0EiNS0_19identity_decomposerEEEEE10hipError_tT0_T1_T2_jT3_P12ihipStream_tbPNSt15iterator_traitsISI_E10value_typeEPNSO_ISJ_E10value_typeEPSK_NS1_7vsmem_tEENKUlT_SI_SJ_SK_E_clISD_PiSD_S10_EESH_SX_SI_SJ_SK_EUlSX_E1_NS1_11comp_targetILNS1_3genE5ELNS1_11target_archE942ELNS1_3gpuE9ELNS1_3repE0EEENS1_36merge_oddeven_config_static_selectorELNS0_4arch9wavefront6targetE1EEEvSJ_.has_recursion, 0
	.set _ZN7rocprim17ROCPRIM_400000_NS6detail17trampoline_kernelINS0_14default_configENS1_38merge_sort_block_merge_config_selectorIiiEEZZNS1_27merge_sort_block_merge_implIS3_N6thrust23THRUST_200600_302600_NS6detail15normal_iteratorINS8_10device_ptrIiEEEESD_jNS1_19radix_merge_compareILb1ELb0EiNS0_19identity_decomposerEEEEE10hipError_tT0_T1_T2_jT3_P12ihipStream_tbPNSt15iterator_traitsISI_E10value_typeEPNSO_ISJ_E10value_typeEPSK_NS1_7vsmem_tEENKUlT_SI_SJ_SK_E_clISD_PiSD_S10_EESH_SX_SI_SJ_SK_EUlSX_E1_NS1_11comp_targetILNS1_3genE5ELNS1_11target_archE942ELNS1_3gpuE9ELNS1_3repE0EEENS1_36merge_oddeven_config_static_selectorELNS0_4arch9wavefront6targetE1EEEvSJ_.has_indirect_call, 0
	.section	.AMDGPU.csdata,"",@progbits
; Kernel info:
; codeLenInByte = 0
; TotalNumSgprs: 6
; NumVgprs: 0
; NumAgprs: 0
; TotalNumVgprs: 0
; ScratchSize: 0
; MemoryBound: 0
; FloatMode: 240
; IeeeMode: 1
; LDSByteSize: 0 bytes/workgroup (compile time only)
; SGPRBlocks: 0
; VGPRBlocks: 0
; NumSGPRsForWavesPerEU: 6
; NumVGPRsForWavesPerEU: 1
; AccumOffset: 4
; Occupancy: 8
; WaveLimiterHint : 0
; COMPUTE_PGM_RSRC2:SCRATCH_EN: 0
; COMPUTE_PGM_RSRC2:USER_SGPR: 2
; COMPUTE_PGM_RSRC2:TRAP_HANDLER: 0
; COMPUTE_PGM_RSRC2:TGID_X_EN: 1
; COMPUTE_PGM_RSRC2:TGID_Y_EN: 0
; COMPUTE_PGM_RSRC2:TGID_Z_EN: 0
; COMPUTE_PGM_RSRC2:TIDIG_COMP_CNT: 0
; COMPUTE_PGM_RSRC3_GFX90A:ACCUM_OFFSET: 0
; COMPUTE_PGM_RSRC3_GFX90A:TG_SPLIT: 0
	.section	.text._ZN7rocprim17ROCPRIM_400000_NS6detail17trampoline_kernelINS0_14default_configENS1_38merge_sort_block_merge_config_selectorIiiEEZZNS1_27merge_sort_block_merge_implIS3_N6thrust23THRUST_200600_302600_NS6detail15normal_iteratorINS8_10device_ptrIiEEEESD_jNS1_19radix_merge_compareILb1ELb0EiNS0_19identity_decomposerEEEEE10hipError_tT0_T1_T2_jT3_P12ihipStream_tbPNSt15iterator_traitsISI_E10value_typeEPNSO_ISJ_E10value_typeEPSK_NS1_7vsmem_tEENKUlT_SI_SJ_SK_E_clISD_PiSD_S10_EESH_SX_SI_SJ_SK_EUlSX_E1_NS1_11comp_targetILNS1_3genE4ELNS1_11target_archE910ELNS1_3gpuE8ELNS1_3repE0EEENS1_36merge_oddeven_config_static_selectorELNS0_4arch9wavefront6targetE1EEEvSJ_,"axG",@progbits,_ZN7rocprim17ROCPRIM_400000_NS6detail17trampoline_kernelINS0_14default_configENS1_38merge_sort_block_merge_config_selectorIiiEEZZNS1_27merge_sort_block_merge_implIS3_N6thrust23THRUST_200600_302600_NS6detail15normal_iteratorINS8_10device_ptrIiEEEESD_jNS1_19radix_merge_compareILb1ELb0EiNS0_19identity_decomposerEEEEE10hipError_tT0_T1_T2_jT3_P12ihipStream_tbPNSt15iterator_traitsISI_E10value_typeEPNSO_ISJ_E10value_typeEPSK_NS1_7vsmem_tEENKUlT_SI_SJ_SK_E_clISD_PiSD_S10_EESH_SX_SI_SJ_SK_EUlSX_E1_NS1_11comp_targetILNS1_3genE4ELNS1_11target_archE910ELNS1_3gpuE8ELNS1_3repE0EEENS1_36merge_oddeven_config_static_selectorELNS0_4arch9wavefront6targetE1EEEvSJ_,comdat
	.protected	_ZN7rocprim17ROCPRIM_400000_NS6detail17trampoline_kernelINS0_14default_configENS1_38merge_sort_block_merge_config_selectorIiiEEZZNS1_27merge_sort_block_merge_implIS3_N6thrust23THRUST_200600_302600_NS6detail15normal_iteratorINS8_10device_ptrIiEEEESD_jNS1_19radix_merge_compareILb1ELb0EiNS0_19identity_decomposerEEEEE10hipError_tT0_T1_T2_jT3_P12ihipStream_tbPNSt15iterator_traitsISI_E10value_typeEPNSO_ISJ_E10value_typeEPSK_NS1_7vsmem_tEENKUlT_SI_SJ_SK_E_clISD_PiSD_S10_EESH_SX_SI_SJ_SK_EUlSX_E1_NS1_11comp_targetILNS1_3genE4ELNS1_11target_archE910ELNS1_3gpuE8ELNS1_3repE0EEENS1_36merge_oddeven_config_static_selectorELNS0_4arch9wavefront6targetE1EEEvSJ_ ; -- Begin function _ZN7rocprim17ROCPRIM_400000_NS6detail17trampoline_kernelINS0_14default_configENS1_38merge_sort_block_merge_config_selectorIiiEEZZNS1_27merge_sort_block_merge_implIS3_N6thrust23THRUST_200600_302600_NS6detail15normal_iteratorINS8_10device_ptrIiEEEESD_jNS1_19radix_merge_compareILb1ELb0EiNS0_19identity_decomposerEEEEE10hipError_tT0_T1_T2_jT3_P12ihipStream_tbPNSt15iterator_traitsISI_E10value_typeEPNSO_ISJ_E10value_typeEPSK_NS1_7vsmem_tEENKUlT_SI_SJ_SK_E_clISD_PiSD_S10_EESH_SX_SI_SJ_SK_EUlSX_E1_NS1_11comp_targetILNS1_3genE4ELNS1_11target_archE910ELNS1_3gpuE8ELNS1_3repE0EEENS1_36merge_oddeven_config_static_selectorELNS0_4arch9wavefront6targetE1EEEvSJ_
	.globl	_ZN7rocprim17ROCPRIM_400000_NS6detail17trampoline_kernelINS0_14default_configENS1_38merge_sort_block_merge_config_selectorIiiEEZZNS1_27merge_sort_block_merge_implIS3_N6thrust23THRUST_200600_302600_NS6detail15normal_iteratorINS8_10device_ptrIiEEEESD_jNS1_19radix_merge_compareILb1ELb0EiNS0_19identity_decomposerEEEEE10hipError_tT0_T1_T2_jT3_P12ihipStream_tbPNSt15iterator_traitsISI_E10value_typeEPNSO_ISJ_E10value_typeEPSK_NS1_7vsmem_tEENKUlT_SI_SJ_SK_E_clISD_PiSD_S10_EESH_SX_SI_SJ_SK_EUlSX_E1_NS1_11comp_targetILNS1_3genE4ELNS1_11target_archE910ELNS1_3gpuE8ELNS1_3repE0EEENS1_36merge_oddeven_config_static_selectorELNS0_4arch9wavefront6targetE1EEEvSJ_
	.p2align	8
	.type	_ZN7rocprim17ROCPRIM_400000_NS6detail17trampoline_kernelINS0_14default_configENS1_38merge_sort_block_merge_config_selectorIiiEEZZNS1_27merge_sort_block_merge_implIS3_N6thrust23THRUST_200600_302600_NS6detail15normal_iteratorINS8_10device_ptrIiEEEESD_jNS1_19radix_merge_compareILb1ELb0EiNS0_19identity_decomposerEEEEE10hipError_tT0_T1_T2_jT3_P12ihipStream_tbPNSt15iterator_traitsISI_E10value_typeEPNSO_ISJ_E10value_typeEPSK_NS1_7vsmem_tEENKUlT_SI_SJ_SK_E_clISD_PiSD_S10_EESH_SX_SI_SJ_SK_EUlSX_E1_NS1_11comp_targetILNS1_3genE4ELNS1_11target_archE910ELNS1_3gpuE8ELNS1_3repE0EEENS1_36merge_oddeven_config_static_selectorELNS0_4arch9wavefront6targetE1EEEvSJ_,@function
_ZN7rocprim17ROCPRIM_400000_NS6detail17trampoline_kernelINS0_14default_configENS1_38merge_sort_block_merge_config_selectorIiiEEZZNS1_27merge_sort_block_merge_implIS3_N6thrust23THRUST_200600_302600_NS6detail15normal_iteratorINS8_10device_ptrIiEEEESD_jNS1_19radix_merge_compareILb1ELb0EiNS0_19identity_decomposerEEEEE10hipError_tT0_T1_T2_jT3_P12ihipStream_tbPNSt15iterator_traitsISI_E10value_typeEPNSO_ISJ_E10value_typeEPSK_NS1_7vsmem_tEENKUlT_SI_SJ_SK_E_clISD_PiSD_S10_EESH_SX_SI_SJ_SK_EUlSX_E1_NS1_11comp_targetILNS1_3genE4ELNS1_11target_archE910ELNS1_3gpuE8ELNS1_3repE0EEENS1_36merge_oddeven_config_static_selectorELNS0_4arch9wavefront6targetE1EEEvSJ_: ; @_ZN7rocprim17ROCPRIM_400000_NS6detail17trampoline_kernelINS0_14default_configENS1_38merge_sort_block_merge_config_selectorIiiEEZZNS1_27merge_sort_block_merge_implIS3_N6thrust23THRUST_200600_302600_NS6detail15normal_iteratorINS8_10device_ptrIiEEEESD_jNS1_19radix_merge_compareILb1ELb0EiNS0_19identity_decomposerEEEEE10hipError_tT0_T1_T2_jT3_P12ihipStream_tbPNSt15iterator_traitsISI_E10value_typeEPNSO_ISJ_E10value_typeEPSK_NS1_7vsmem_tEENKUlT_SI_SJ_SK_E_clISD_PiSD_S10_EESH_SX_SI_SJ_SK_EUlSX_E1_NS1_11comp_targetILNS1_3genE4ELNS1_11target_archE910ELNS1_3gpuE8ELNS1_3repE0EEENS1_36merge_oddeven_config_static_selectorELNS0_4arch9wavefront6targetE1EEEvSJ_
; %bb.0:
	.section	.rodata,"a",@progbits
	.p2align	6, 0x0
	.amdhsa_kernel _ZN7rocprim17ROCPRIM_400000_NS6detail17trampoline_kernelINS0_14default_configENS1_38merge_sort_block_merge_config_selectorIiiEEZZNS1_27merge_sort_block_merge_implIS3_N6thrust23THRUST_200600_302600_NS6detail15normal_iteratorINS8_10device_ptrIiEEEESD_jNS1_19radix_merge_compareILb1ELb0EiNS0_19identity_decomposerEEEEE10hipError_tT0_T1_T2_jT3_P12ihipStream_tbPNSt15iterator_traitsISI_E10value_typeEPNSO_ISJ_E10value_typeEPSK_NS1_7vsmem_tEENKUlT_SI_SJ_SK_E_clISD_PiSD_S10_EESH_SX_SI_SJ_SK_EUlSX_E1_NS1_11comp_targetILNS1_3genE4ELNS1_11target_archE910ELNS1_3gpuE8ELNS1_3repE0EEENS1_36merge_oddeven_config_static_selectorELNS0_4arch9wavefront6targetE1EEEvSJ_
		.amdhsa_group_segment_fixed_size 0
		.amdhsa_private_segment_fixed_size 0
		.amdhsa_kernarg_size 48
		.amdhsa_user_sgpr_count 2
		.amdhsa_user_sgpr_dispatch_ptr 0
		.amdhsa_user_sgpr_queue_ptr 0
		.amdhsa_user_sgpr_kernarg_segment_ptr 1
		.amdhsa_user_sgpr_dispatch_id 0
		.amdhsa_user_sgpr_kernarg_preload_length 0
		.amdhsa_user_sgpr_kernarg_preload_offset 0
		.amdhsa_user_sgpr_private_segment_size 0
		.amdhsa_uses_dynamic_stack 0
		.amdhsa_enable_private_segment 0
		.amdhsa_system_sgpr_workgroup_id_x 1
		.amdhsa_system_sgpr_workgroup_id_y 0
		.amdhsa_system_sgpr_workgroup_id_z 0
		.amdhsa_system_sgpr_workgroup_info 0
		.amdhsa_system_vgpr_workitem_id 0
		.amdhsa_next_free_vgpr 1
		.amdhsa_next_free_sgpr 0
		.amdhsa_accum_offset 4
		.amdhsa_reserve_vcc 0
		.amdhsa_float_round_mode_32 0
		.amdhsa_float_round_mode_16_64 0
		.amdhsa_float_denorm_mode_32 3
		.amdhsa_float_denorm_mode_16_64 3
		.amdhsa_dx10_clamp 1
		.amdhsa_ieee_mode 1
		.amdhsa_fp16_overflow 0
		.amdhsa_tg_split 0
		.amdhsa_exception_fp_ieee_invalid_op 0
		.amdhsa_exception_fp_denorm_src 0
		.amdhsa_exception_fp_ieee_div_zero 0
		.amdhsa_exception_fp_ieee_overflow 0
		.amdhsa_exception_fp_ieee_underflow 0
		.amdhsa_exception_fp_ieee_inexact 0
		.amdhsa_exception_int_div_zero 0
	.end_amdhsa_kernel
	.section	.text._ZN7rocprim17ROCPRIM_400000_NS6detail17trampoline_kernelINS0_14default_configENS1_38merge_sort_block_merge_config_selectorIiiEEZZNS1_27merge_sort_block_merge_implIS3_N6thrust23THRUST_200600_302600_NS6detail15normal_iteratorINS8_10device_ptrIiEEEESD_jNS1_19radix_merge_compareILb1ELb0EiNS0_19identity_decomposerEEEEE10hipError_tT0_T1_T2_jT3_P12ihipStream_tbPNSt15iterator_traitsISI_E10value_typeEPNSO_ISJ_E10value_typeEPSK_NS1_7vsmem_tEENKUlT_SI_SJ_SK_E_clISD_PiSD_S10_EESH_SX_SI_SJ_SK_EUlSX_E1_NS1_11comp_targetILNS1_3genE4ELNS1_11target_archE910ELNS1_3gpuE8ELNS1_3repE0EEENS1_36merge_oddeven_config_static_selectorELNS0_4arch9wavefront6targetE1EEEvSJ_,"axG",@progbits,_ZN7rocprim17ROCPRIM_400000_NS6detail17trampoline_kernelINS0_14default_configENS1_38merge_sort_block_merge_config_selectorIiiEEZZNS1_27merge_sort_block_merge_implIS3_N6thrust23THRUST_200600_302600_NS6detail15normal_iteratorINS8_10device_ptrIiEEEESD_jNS1_19radix_merge_compareILb1ELb0EiNS0_19identity_decomposerEEEEE10hipError_tT0_T1_T2_jT3_P12ihipStream_tbPNSt15iterator_traitsISI_E10value_typeEPNSO_ISJ_E10value_typeEPSK_NS1_7vsmem_tEENKUlT_SI_SJ_SK_E_clISD_PiSD_S10_EESH_SX_SI_SJ_SK_EUlSX_E1_NS1_11comp_targetILNS1_3genE4ELNS1_11target_archE910ELNS1_3gpuE8ELNS1_3repE0EEENS1_36merge_oddeven_config_static_selectorELNS0_4arch9wavefront6targetE1EEEvSJ_,comdat
.Lfunc_end928:
	.size	_ZN7rocprim17ROCPRIM_400000_NS6detail17trampoline_kernelINS0_14default_configENS1_38merge_sort_block_merge_config_selectorIiiEEZZNS1_27merge_sort_block_merge_implIS3_N6thrust23THRUST_200600_302600_NS6detail15normal_iteratorINS8_10device_ptrIiEEEESD_jNS1_19radix_merge_compareILb1ELb0EiNS0_19identity_decomposerEEEEE10hipError_tT0_T1_T2_jT3_P12ihipStream_tbPNSt15iterator_traitsISI_E10value_typeEPNSO_ISJ_E10value_typeEPSK_NS1_7vsmem_tEENKUlT_SI_SJ_SK_E_clISD_PiSD_S10_EESH_SX_SI_SJ_SK_EUlSX_E1_NS1_11comp_targetILNS1_3genE4ELNS1_11target_archE910ELNS1_3gpuE8ELNS1_3repE0EEENS1_36merge_oddeven_config_static_selectorELNS0_4arch9wavefront6targetE1EEEvSJ_, .Lfunc_end928-_ZN7rocprim17ROCPRIM_400000_NS6detail17trampoline_kernelINS0_14default_configENS1_38merge_sort_block_merge_config_selectorIiiEEZZNS1_27merge_sort_block_merge_implIS3_N6thrust23THRUST_200600_302600_NS6detail15normal_iteratorINS8_10device_ptrIiEEEESD_jNS1_19radix_merge_compareILb1ELb0EiNS0_19identity_decomposerEEEEE10hipError_tT0_T1_T2_jT3_P12ihipStream_tbPNSt15iterator_traitsISI_E10value_typeEPNSO_ISJ_E10value_typeEPSK_NS1_7vsmem_tEENKUlT_SI_SJ_SK_E_clISD_PiSD_S10_EESH_SX_SI_SJ_SK_EUlSX_E1_NS1_11comp_targetILNS1_3genE4ELNS1_11target_archE910ELNS1_3gpuE8ELNS1_3repE0EEENS1_36merge_oddeven_config_static_selectorELNS0_4arch9wavefront6targetE1EEEvSJ_
                                        ; -- End function
	.set _ZN7rocprim17ROCPRIM_400000_NS6detail17trampoline_kernelINS0_14default_configENS1_38merge_sort_block_merge_config_selectorIiiEEZZNS1_27merge_sort_block_merge_implIS3_N6thrust23THRUST_200600_302600_NS6detail15normal_iteratorINS8_10device_ptrIiEEEESD_jNS1_19radix_merge_compareILb1ELb0EiNS0_19identity_decomposerEEEEE10hipError_tT0_T1_T2_jT3_P12ihipStream_tbPNSt15iterator_traitsISI_E10value_typeEPNSO_ISJ_E10value_typeEPSK_NS1_7vsmem_tEENKUlT_SI_SJ_SK_E_clISD_PiSD_S10_EESH_SX_SI_SJ_SK_EUlSX_E1_NS1_11comp_targetILNS1_3genE4ELNS1_11target_archE910ELNS1_3gpuE8ELNS1_3repE0EEENS1_36merge_oddeven_config_static_selectorELNS0_4arch9wavefront6targetE1EEEvSJ_.num_vgpr, 0
	.set _ZN7rocprim17ROCPRIM_400000_NS6detail17trampoline_kernelINS0_14default_configENS1_38merge_sort_block_merge_config_selectorIiiEEZZNS1_27merge_sort_block_merge_implIS3_N6thrust23THRUST_200600_302600_NS6detail15normal_iteratorINS8_10device_ptrIiEEEESD_jNS1_19radix_merge_compareILb1ELb0EiNS0_19identity_decomposerEEEEE10hipError_tT0_T1_T2_jT3_P12ihipStream_tbPNSt15iterator_traitsISI_E10value_typeEPNSO_ISJ_E10value_typeEPSK_NS1_7vsmem_tEENKUlT_SI_SJ_SK_E_clISD_PiSD_S10_EESH_SX_SI_SJ_SK_EUlSX_E1_NS1_11comp_targetILNS1_3genE4ELNS1_11target_archE910ELNS1_3gpuE8ELNS1_3repE0EEENS1_36merge_oddeven_config_static_selectorELNS0_4arch9wavefront6targetE1EEEvSJ_.num_agpr, 0
	.set _ZN7rocprim17ROCPRIM_400000_NS6detail17trampoline_kernelINS0_14default_configENS1_38merge_sort_block_merge_config_selectorIiiEEZZNS1_27merge_sort_block_merge_implIS3_N6thrust23THRUST_200600_302600_NS6detail15normal_iteratorINS8_10device_ptrIiEEEESD_jNS1_19radix_merge_compareILb1ELb0EiNS0_19identity_decomposerEEEEE10hipError_tT0_T1_T2_jT3_P12ihipStream_tbPNSt15iterator_traitsISI_E10value_typeEPNSO_ISJ_E10value_typeEPSK_NS1_7vsmem_tEENKUlT_SI_SJ_SK_E_clISD_PiSD_S10_EESH_SX_SI_SJ_SK_EUlSX_E1_NS1_11comp_targetILNS1_3genE4ELNS1_11target_archE910ELNS1_3gpuE8ELNS1_3repE0EEENS1_36merge_oddeven_config_static_selectorELNS0_4arch9wavefront6targetE1EEEvSJ_.numbered_sgpr, 0
	.set _ZN7rocprim17ROCPRIM_400000_NS6detail17trampoline_kernelINS0_14default_configENS1_38merge_sort_block_merge_config_selectorIiiEEZZNS1_27merge_sort_block_merge_implIS3_N6thrust23THRUST_200600_302600_NS6detail15normal_iteratorINS8_10device_ptrIiEEEESD_jNS1_19radix_merge_compareILb1ELb0EiNS0_19identity_decomposerEEEEE10hipError_tT0_T1_T2_jT3_P12ihipStream_tbPNSt15iterator_traitsISI_E10value_typeEPNSO_ISJ_E10value_typeEPSK_NS1_7vsmem_tEENKUlT_SI_SJ_SK_E_clISD_PiSD_S10_EESH_SX_SI_SJ_SK_EUlSX_E1_NS1_11comp_targetILNS1_3genE4ELNS1_11target_archE910ELNS1_3gpuE8ELNS1_3repE0EEENS1_36merge_oddeven_config_static_selectorELNS0_4arch9wavefront6targetE1EEEvSJ_.num_named_barrier, 0
	.set _ZN7rocprim17ROCPRIM_400000_NS6detail17trampoline_kernelINS0_14default_configENS1_38merge_sort_block_merge_config_selectorIiiEEZZNS1_27merge_sort_block_merge_implIS3_N6thrust23THRUST_200600_302600_NS6detail15normal_iteratorINS8_10device_ptrIiEEEESD_jNS1_19radix_merge_compareILb1ELb0EiNS0_19identity_decomposerEEEEE10hipError_tT0_T1_T2_jT3_P12ihipStream_tbPNSt15iterator_traitsISI_E10value_typeEPNSO_ISJ_E10value_typeEPSK_NS1_7vsmem_tEENKUlT_SI_SJ_SK_E_clISD_PiSD_S10_EESH_SX_SI_SJ_SK_EUlSX_E1_NS1_11comp_targetILNS1_3genE4ELNS1_11target_archE910ELNS1_3gpuE8ELNS1_3repE0EEENS1_36merge_oddeven_config_static_selectorELNS0_4arch9wavefront6targetE1EEEvSJ_.private_seg_size, 0
	.set _ZN7rocprim17ROCPRIM_400000_NS6detail17trampoline_kernelINS0_14default_configENS1_38merge_sort_block_merge_config_selectorIiiEEZZNS1_27merge_sort_block_merge_implIS3_N6thrust23THRUST_200600_302600_NS6detail15normal_iteratorINS8_10device_ptrIiEEEESD_jNS1_19radix_merge_compareILb1ELb0EiNS0_19identity_decomposerEEEEE10hipError_tT0_T1_T2_jT3_P12ihipStream_tbPNSt15iterator_traitsISI_E10value_typeEPNSO_ISJ_E10value_typeEPSK_NS1_7vsmem_tEENKUlT_SI_SJ_SK_E_clISD_PiSD_S10_EESH_SX_SI_SJ_SK_EUlSX_E1_NS1_11comp_targetILNS1_3genE4ELNS1_11target_archE910ELNS1_3gpuE8ELNS1_3repE0EEENS1_36merge_oddeven_config_static_selectorELNS0_4arch9wavefront6targetE1EEEvSJ_.uses_vcc, 0
	.set _ZN7rocprim17ROCPRIM_400000_NS6detail17trampoline_kernelINS0_14default_configENS1_38merge_sort_block_merge_config_selectorIiiEEZZNS1_27merge_sort_block_merge_implIS3_N6thrust23THRUST_200600_302600_NS6detail15normal_iteratorINS8_10device_ptrIiEEEESD_jNS1_19radix_merge_compareILb1ELb0EiNS0_19identity_decomposerEEEEE10hipError_tT0_T1_T2_jT3_P12ihipStream_tbPNSt15iterator_traitsISI_E10value_typeEPNSO_ISJ_E10value_typeEPSK_NS1_7vsmem_tEENKUlT_SI_SJ_SK_E_clISD_PiSD_S10_EESH_SX_SI_SJ_SK_EUlSX_E1_NS1_11comp_targetILNS1_3genE4ELNS1_11target_archE910ELNS1_3gpuE8ELNS1_3repE0EEENS1_36merge_oddeven_config_static_selectorELNS0_4arch9wavefront6targetE1EEEvSJ_.uses_flat_scratch, 0
	.set _ZN7rocprim17ROCPRIM_400000_NS6detail17trampoline_kernelINS0_14default_configENS1_38merge_sort_block_merge_config_selectorIiiEEZZNS1_27merge_sort_block_merge_implIS3_N6thrust23THRUST_200600_302600_NS6detail15normal_iteratorINS8_10device_ptrIiEEEESD_jNS1_19radix_merge_compareILb1ELb0EiNS0_19identity_decomposerEEEEE10hipError_tT0_T1_T2_jT3_P12ihipStream_tbPNSt15iterator_traitsISI_E10value_typeEPNSO_ISJ_E10value_typeEPSK_NS1_7vsmem_tEENKUlT_SI_SJ_SK_E_clISD_PiSD_S10_EESH_SX_SI_SJ_SK_EUlSX_E1_NS1_11comp_targetILNS1_3genE4ELNS1_11target_archE910ELNS1_3gpuE8ELNS1_3repE0EEENS1_36merge_oddeven_config_static_selectorELNS0_4arch9wavefront6targetE1EEEvSJ_.has_dyn_sized_stack, 0
	.set _ZN7rocprim17ROCPRIM_400000_NS6detail17trampoline_kernelINS0_14default_configENS1_38merge_sort_block_merge_config_selectorIiiEEZZNS1_27merge_sort_block_merge_implIS3_N6thrust23THRUST_200600_302600_NS6detail15normal_iteratorINS8_10device_ptrIiEEEESD_jNS1_19radix_merge_compareILb1ELb0EiNS0_19identity_decomposerEEEEE10hipError_tT0_T1_T2_jT3_P12ihipStream_tbPNSt15iterator_traitsISI_E10value_typeEPNSO_ISJ_E10value_typeEPSK_NS1_7vsmem_tEENKUlT_SI_SJ_SK_E_clISD_PiSD_S10_EESH_SX_SI_SJ_SK_EUlSX_E1_NS1_11comp_targetILNS1_3genE4ELNS1_11target_archE910ELNS1_3gpuE8ELNS1_3repE0EEENS1_36merge_oddeven_config_static_selectorELNS0_4arch9wavefront6targetE1EEEvSJ_.has_recursion, 0
	.set _ZN7rocprim17ROCPRIM_400000_NS6detail17trampoline_kernelINS0_14default_configENS1_38merge_sort_block_merge_config_selectorIiiEEZZNS1_27merge_sort_block_merge_implIS3_N6thrust23THRUST_200600_302600_NS6detail15normal_iteratorINS8_10device_ptrIiEEEESD_jNS1_19radix_merge_compareILb1ELb0EiNS0_19identity_decomposerEEEEE10hipError_tT0_T1_T2_jT3_P12ihipStream_tbPNSt15iterator_traitsISI_E10value_typeEPNSO_ISJ_E10value_typeEPSK_NS1_7vsmem_tEENKUlT_SI_SJ_SK_E_clISD_PiSD_S10_EESH_SX_SI_SJ_SK_EUlSX_E1_NS1_11comp_targetILNS1_3genE4ELNS1_11target_archE910ELNS1_3gpuE8ELNS1_3repE0EEENS1_36merge_oddeven_config_static_selectorELNS0_4arch9wavefront6targetE1EEEvSJ_.has_indirect_call, 0
	.section	.AMDGPU.csdata,"",@progbits
; Kernel info:
; codeLenInByte = 0
; TotalNumSgprs: 6
; NumVgprs: 0
; NumAgprs: 0
; TotalNumVgprs: 0
; ScratchSize: 0
; MemoryBound: 0
; FloatMode: 240
; IeeeMode: 1
; LDSByteSize: 0 bytes/workgroup (compile time only)
; SGPRBlocks: 0
; VGPRBlocks: 0
; NumSGPRsForWavesPerEU: 6
; NumVGPRsForWavesPerEU: 1
; AccumOffset: 4
; Occupancy: 8
; WaveLimiterHint : 0
; COMPUTE_PGM_RSRC2:SCRATCH_EN: 0
; COMPUTE_PGM_RSRC2:USER_SGPR: 2
; COMPUTE_PGM_RSRC2:TRAP_HANDLER: 0
; COMPUTE_PGM_RSRC2:TGID_X_EN: 1
; COMPUTE_PGM_RSRC2:TGID_Y_EN: 0
; COMPUTE_PGM_RSRC2:TGID_Z_EN: 0
; COMPUTE_PGM_RSRC2:TIDIG_COMP_CNT: 0
; COMPUTE_PGM_RSRC3_GFX90A:ACCUM_OFFSET: 0
; COMPUTE_PGM_RSRC3_GFX90A:TG_SPLIT: 0
	.section	.text._ZN7rocprim17ROCPRIM_400000_NS6detail17trampoline_kernelINS0_14default_configENS1_38merge_sort_block_merge_config_selectorIiiEEZZNS1_27merge_sort_block_merge_implIS3_N6thrust23THRUST_200600_302600_NS6detail15normal_iteratorINS8_10device_ptrIiEEEESD_jNS1_19radix_merge_compareILb1ELb0EiNS0_19identity_decomposerEEEEE10hipError_tT0_T1_T2_jT3_P12ihipStream_tbPNSt15iterator_traitsISI_E10value_typeEPNSO_ISJ_E10value_typeEPSK_NS1_7vsmem_tEENKUlT_SI_SJ_SK_E_clISD_PiSD_S10_EESH_SX_SI_SJ_SK_EUlSX_E1_NS1_11comp_targetILNS1_3genE3ELNS1_11target_archE908ELNS1_3gpuE7ELNS1_3repE0EEENS1_36merge_oddeven_config_static_selectorELNS0_4arch9wavefront6targetE1EEEvSJ_,"axG",@progbits,_ZN7rocprim17ROCPRIM_400000_NS6detail17trampoline_kernelINS0_14default_configENS1_38merge_sort_block_merge_config_selectorIiiEEZZNS1_27merge_sort_block_merge_implIS3_N6thrust23THRUST_200600_302600_NS6detail15normal_iteratorINS8_10device_ptrIiEEEESD_jNS1_19radix_merge_compareILb1ELb0EiNS0_19identity_decomposerEEEEE10hipError_tT0_T1_T2_jT3_P12ihipStream_tbPNSt15iterator_traitsISI_E10value_typeEPNSO_ISJ_E10value_typeEPSK_NS1_7vsmem_tEENKUlT_SI_SJ_SK_E_clISD_PiSD_S10_EESH_SX_SI_SJ_SK_EUlSX_E1_NS1_11comp_targetILNS1_3genE3ELNS1_11target_archE908ELNS1_3gpuE7ELNS1_3repE0EEENS1_36merge_oddeven_config_static_selectorELNS0_4arch9wavefront6targetE1EEEvSJ_,comdat
	.protected	_ZN7rocprim17ROCPRIM_400000_NS6detail17trampoline_kernelINS0_14default_configENS1_38merge_sort_block_merge_config_selectorIiiEEZZNS1_27merge_sort_block_merge_implIS3_N6thrust23THRUST_200600_302600_NS6detail15normal_iteratorINS8_10device_ptrIiEEEESD_jNS1_19radix_merge_compareILb1ELb0EiNS0_19identity_decomposerEEEEE10hipError_tT0_T1_T2_jT3_P12ihipStream_tbPNSt15iterator_traitsISI_E10value_typeEPNSO_ISJ_E10value_typeEPSK_NS1_7vsmem_tEENKUlT_SI_SJ_SK_E_clISD_PiSD_S10_EESH_SX_SI_SJ_SK_EUlSX_E1_NS1_11comp_targetILNS1_3genE3ELNS1_11target_archE908ELNS1_3gpuE7ELNS1_3repE0EEENS1_36merge_oddeven_config_static_selectorELNS0_4arch9wavefront6targetE1EEEvSJ_ ; -- Begin function _ZN7rocprim17ROCPRIM_400000_NS6detail17trampoline_kernelINS0_14default_configENS1_38merge_sort_block_merge_config_selectorIiiEEZZNS1_27merge_sort_block_merge_implIS3_N6thrust23THRUST_200600_302600_NS6detail15normal_iteratorINS8_10device_ptrIiEEEESD_jNS1_19radix_merge_compareILb1ELb0EiNS0_19identity_decomposerEEEEE10hipError_tT0_T1_T2_jT3_P12ihipStream_tbPNSt15iterator_traitsISI_E10value_typeEPNSO_ISJ_E10value_typeEPSK_NS1_7vsmem_tEENKUlT_SI_SJ_SK_E_clISD_PiSD_S10_EESH_SX_SI_SJ_SK_EUlSX_E1_NS1_11comp_targetILNS1_3genE3ELNS1_11target_archE908ELNS1_3gpuE7ELNS1_3repE0EEENS1_36merge_oddeven_config_static_selectorELNS0_4arch9wavefront6targetE1EEEvSJ_
	.globl	_ZN7rocprim17ROCPRIM_400000_NS6detail17trampoline_kernelINS0_14default_configENS1_38merge_sort_block_merge_config_selectorIiiEEZZNS1_27merge_sort_block_merge_implIS3_N6thrust23THRUST_200600_302600_NS6detail15normal_iteratorINS8_10device_ptrIiEEEESD_jNS1_19radix_merge_compareILb1ELb0EiNS0_19identity_decomposerEEEEE10hipError_tT0_T1_T2_jT3_P12ihipStream_tbPNSt15iterator_traitsISI_E10value_typeEPNSO_ISJ_E10value_typeEPSK_NS1_7vsmem_tEENKUlT_SI_SJ_SK_E_clISD_PiSD_S10_EESH_SX_SI_SJ_SK_EUlSX_E1_NS1_11comp_targetILNS1_3genE3ELNS1_11target_archE908ELNS1_3gpuE7ELNS1_3repE0EEENS1_36merge_oddeven_config_static_selectorELNS0_4arch9wavefront6targetE1EEEvSJ_
	.p2align	8
	.type	_ZN7rocprim17ROCPRIM_400000_NS6detail17trampoline_kernelINS0_14default_configENS1_38merge_sort_block_merge_config_selectorIiiEEZZNS1_27merge_sort_block_merge_implIS3_N6thrust23THRUST_200600_302600_NS6detail15normal_iteratorINS8_10device_ptrIiEEEESD_jNS1_19radix_merge_compareILb1ELb0EiNS0_19identity_decomposerEEEEE10hipError_tT0_T1_T2_jT3_P12ihipStream_tbPNSt15iterator_traitsISI_E10value_typeEPNSO_ISJ_E10value_typeEPSK_NS1_7vsmem_tEENKUlT_SI_SJ_SK_E_clISD_PiSD_S10_EESH_SX_SI_SJ_SK_EUlSX_E1_NS1_11comp_targetILNS1_3genE3ELNS1_11target_archE908ELNS1_3gpuE7ELNS1_3repE0EEENS1_36merge_oddeven_config_static_selectorELNS0_4arch9wavefront6targetE1EEEvSJ_,@function
_ZN7rocprim17ROCPRIM_400000_NS6detail17trampoline_kernelINS0_14default_configENS1_38merge_sort_block_merge_config_selectorIiiEEZZNS1_27merge_sort_block_merge_implIS3_N6thrust23THRUST_200600_302600_NS6detail15normal_iteratorINS8_10device_ptrIiEEEESD_jNS1_19radix_merge_compareILb1ELb0EiNS0_19identity_decomposerEEEEE10hipError_tT0_T1_T2_jT3_P12ihipStream_tbPNSt15iterator_traitsISI_E10value_typeEPNSO_ISJ_E10value_typeEPSK_NS1_7vsmem_tEENKUlT_SI_SJ_SK_E_clISD_PiSD_S10_EESH_SX_SI_SJ_SK_EUlSX_E1_NS1_11comp_targetILNS1_3genE3ELNS1_11target_archE908ELNS1_3gpuE7ELNS1_3repE0EEENS1_36merge_oddeven_config_static_selectorELNS0_4arch9wavefront6targetE1EEEvSJ_: ; @_ZN7rocprim17ROCPRIM_400000_NS6detail17trampoline_kernelINS0_14default_configENS1_38merge_sort_block_merge_config_selectorIiiEEZZNS1_27merge_sort_block_merge_implIS3_N6thrust23THRUST_200600_302600_NS6detail15normal_iteratorINS8_10device_ptrIiEEEESD_jNS1_19radix_merge_compareILb1ELb0EiNS0_19identity_decomposerEEEEE10hipError_tT0_T1_T2_jT3_P12ihipStream_tbPNSt15iterator_traitsISI_E10value_typeEPNSO_ISJ_E10value_typeEPSK_NS1_7vsmem_tEENKUlT_SI_SJ_SK_E_clISD_PiSD_S10_EESH_SX_SI_SJ_SK_EUlSX_E1_NS1_11comp_targetILNS1_3genE3ELNS1_11target_archE908ELNS1_3gpuE7ELNS1_3repE0EEENS1_36merge_oddeven_config_static_selectorELNS0_4arch9wavefront6targetE1EEEvSJ_
; %bb.0:
	.section	.rodata,"a",@progbits
	.p2align	6, 0x0
	.amdhsa_kernel _ZN7rocprim17ROCPRIM_400000_NS6detail17trampoline_kernelINS0_14default_configENS1_38merge_sort_block_merge_config_selectorIiiEEZZNS1_27merge_sort_block_merge_implIS3_N6thrust23THRUST_200600_302600_NS6detail15normal_iteratorINS8_10device_ptrIiEEEESD_jNS1_19radix_merge_compareILb1ELb0EiNS0_19identity_decomposerEEEEE10hipError_tT0_T1_T2_jT3_P12ihipStream_tbPNSt15iterator_traitsISI_E10value_typeEPNSO_ISJ_E10value_typeEPSK_NS1_7vsmem_tEENKUlT_SI_SJ_SK_E_clISD_PiSD_S10_EESH_SX_SI_SJ_SK_EUlSX_E1_NS1_11comp_targetILNS1_3genE3ELNS1_11target_archE908ELNS1_3gpuE7ELNS1_3repE0EEENS1_36merge_oddeven_config_static_selectorELNS0_4arch9wavefront6targetE1EEEvSJ_
		.amdhsa_group_segment_fixed_size 0
		.amdhsa_private_segment_fixed_size 0
		.amdhsa_kernarg_size 48
		.amdhsa_user_sgpr_count 2
		.amdhsa_user_sgpr_dispatch_ptr 0
		.amdhsa_user_sgpr_queue_ptr 0
		.amdhsa_user_sgpr_kernarg_segment_ptr 1
		.amdhsa_user_sgpr_dispatch_id 0
		.amdhsa_user_sgpr_kernarg_preload_length 0
		.amdhsa_user_sgpr_kernarg_preload_offset 0
		.amdhsa_user_sgpr_private_segment_size 0
		.amdhsa_uses_dynamic_stack 0
		.amdhsa_enable_private_segment 0
		.amdhsa_system_sgpr_workgroup_id_x 1
		.amdhsa_system_sgpr_workgroup_id_y 0
		.amdhsa_system_sgpr_workgroup_id_z 0
		.amdhsa_system_sgpr_workgroup_info 0
		.amdhsa_system_vgpr_workitem_id 0
		.amdhsa_next_free_vgpr 1
		.amdhsa_next_free_sgpr 0
		.amdhsa_accum_offset 4
		.amdhsa_reserve_vcc 0
		.amdhsa_float_round_mode_32 0
		.amdhsa_float_round_mode_16_64 0
		.amdhsa_float_denorm_mode_32 3
		.amdhsa_float_denorm_mode_16_64 3
		.amdhsa_dx10_clamp 1
		.amdhsa_ieee_mode 1
		.amdhsa_fp16_overflow 0
		.amdhsa_tg_split 0
		.amdhsa_exception_fp_ieee_invalid_op 0
		.amdhsa_exception_fp_denorm_src 0
		.amdhsa_exception_fp_ieee_div_zero 0
		.amdhsa_exception_fp_ieee_overflow 0
		.amdhsa_exception_fp_ieee_underflow 0
		.amdhsa_exception_fp_ieee_inexact 0
		.amdhsa_exception_int_div_zero 0
	.end_amdhsa_kernel
	.section	.text._ZN7rocprim17ROCPRIM_400000_NS6detail17trampoline_kernelINS0_14default_configENS1_38merge_sort_block_merge_config_selectorIiiEEZZNS1_27merge_sort_block_merge_implIS3_N6thrust23THRUST_200600_302600_NS6detail15normal_iteratorINS8_10device_ptrIiEEEESD_jNS1_19radix_merge_compareILb1ELb0EiNS0_19identity_decomposerEEEEE10hipError_tT0_T1_T2_jT3_P12ihipStream_tbPNSt15iterator_traitsISI_E10value_typeEPNSO_ISJ_E10value_typeEPSK_NS1_7vsmem_tEENKUlT_SI_SJ_SK_E_clISD_PiSD_S10_EESH_SX_SI_SJ_SK_EUlSX_E1_NS1_11comp_targetILNS1_3genE3ELNS1_11target_archE908ELNS1_3gpuE7ELNS1_3repE0EEENS1_36merge_oddeven_config_static_selectorELNS0_4arch9wavefront6targetE1EEEvSJ_,"axG",@progbits,_ZN7rocprim17ROCPRIM_400000_NS6detail17trampoline_kernelINS0_14default_configENS1_38merge_sort_block_merge_config_selectorIiiEEZZNS1_27merge_sort_block_merge_implIS3_N6thrust23THRUST_200600_302600_NS6detail15normal_iteratorINS8_10device_ptrIiEEEESD_jNS1_19radix_merge_compareILb1ELb0EiNS0_19identity_decomposerEEEEE10hipError_tT0_T1_T2_jT3_P12ihipStream_tbPNSt15iterator_traitsISI_E10value_typeEPNSO_ISJ_E10value_typeEPSK_NS1_7vsmem_tEENKUlT_SI_SJ_SK_E_clISD_PiSD_S10_EESH_SX_SI_SJ_SK_EUlSX_E1_NS1_11comp_targetILNS1_3genE3ELNS1_11target_archE908ELNS1_3gpuE7ELNS1_3repE0EEENS1_36merge_oddeven_config_static_selectorELNS0_4arch9wavefront6targetE1EEEvSJ_,comdat
.Lfunc_end929:
	.size	_ZN7rocprim17ROCPRIM_400000_NS6detail17trampoline_kernelINS0_14default_configENS1_38merge_sort_block_merge_config_selectorIiiEEZZNS1_27merge_sort_block_merge_implIS3_N6thrust23THRUST_200600_302600_NS6detail15normal_iteratorINS8_10device_ptrIiEEEESD_jNS1_19radix_merge_compareILb1ELb0EiNS0_19identity_decomposerEEEEE10hipError_tT0_T1_T2_jT3_P12ihipStream_tbPNSt15iterator_traitsISI_E10value_typeEPNSO_ISJ_E10value_typeEPSK_NS1_7vsmem_tEENKUlT_SI_SJ_SK_E_clISD_PiSD_S10_EESH_SX_SI_SJ_SK_EUlSX_E1_NS1_11comp_targetILNS1_3genE3ELNS1_11target_archE908ELNS1_3gpuE7ELNS1_3repE0EEENS1_36merge_oddeven_config_static_selectorELNS0_4arch9wavefront6targetE1EEEvSJ_, .Lfunc_end929-_ZN7rocprim17ROCPRIM_400000_NS6detail17trampoline_kernelINS0_14default_configENS1_38merge_sort_block_merge_config_selectorIiiEEZZNS1_27merge_sort_block_merge_implIS3_N6thrust23THRUST_200600_302600_NS6detail15normal_iteratorINS8_10device_ptrIiEEEESD_jNS1_19radix_merge_compareILb1ELb0EiNS0_19identity_decomposerEEEEE10hipError_tT0_T1_T2_jT3_P12ihipStream_tbPNSt15iterator_traitsISI_E10value_typeEPNSO_ISJ_E10value_typeEPSK_NS1_7vsmem_tEENKUlT_SI_SJ_SK_E_clISD_PiSD_S10_EESH_SX_SI_SJ_SK_EUlSX_E1_NS1_11comp_targetILNS1_3genE3ELNS1_11target_archE908ELNS1_3gpuE7ELNS1_3repE0EEENS1_36merge_oddeven_config_static_selectorELNS0_4arch9wavefront6targetE1EEEvSJ_
                                        ; -- End function
	.set _ZN7rocprim17ROCPRIM_400000_NS6detail17trampoline_kernelINS0_14default_configENS1_38merge_sort_block_merge_config_selectorIiiEEZZNS1_27merge_sort_block_merge_implIS3_N6thrust23THRUST_200600_302600_NS6detail15normal_iteratorINS8_10device_ptrIiEEEESD_jNS1_19radix_merge_compareILb1ELb0EiNS0_19identity_decomposerEEEEE10hipError_tT0_T1_T2_jT3_P12ihipStream_tbPNSt15iterator_traitsISI_E10value_typeEPNSO_ISJ_E10value_typeEPSK_NS1_7vsmem_tEENKUlT_SI_SJ_SK_E_clISD_PiSD_S10_EESH_SX_SI_SJ_SK_EUlSX_E1_NS1_11comp_targetILNS1_3genE3ELNS1_11target_archE908ELNS1_3gpuE7ELNS1_3repE0EEENS1_36merge_oddeven_config_static_selectorELNS0_4arch9wavefront6targetE1EEEvSJ_.num_vgpr, 0
	.set _ZN7rocprim17ROCPRIM_400000_NS6detail17trampoline_kernelINS0_14default_configENS1_38merge_sort_block_merge_config_selectorIiiEEZZNS1_27merge_sort_block_merge_implIS3_N6thrust23THRUST_200600_302600_NS6detail15normal_iteratorINS8_10device_ptrIiEEEESD_jNS1_19radix_merge_compareILb1ELb0EiNS0_19identity_decomposerEEEEE10hipError_tT0_T1_T2_jT3_P12ihipStream_tbPNSt15iterator_traitsISI_E10value_typeEPNSO_ISJ_E10value_typeEPSK_NS1_7vsmem_tEENKUlT_SI_SJ_SK_E_clISD_PiSD_S10_EESH_SX_SI_SJ_SK_EUlSX_E1_NS1_11comp_targetILNS1_3genE3ELNS1_11target_archE908ELNS1_3gpuE7ELNS1_3repE0EEENS1_36merge_oddeven_config_static_selectorELNS0_4arch9wavefront6targetE1EEEvSJ_.num_agpr, 0
	.set _ZN7rocprim17ROCPRIM_400000_NS6detail17trampoline_kernelINS0_14default_configENS1_38merge_sort_block_merge_config_selectorIiiEEZZNS1_27merge_sort_block_merge_implIS3_N6thrust23THRUST_200600_302600_NS6detail15normal_iteratorINS8_10device_ptrIiEEEESD_jNS1_19radix_merge_compareILb1ELb0EiNS0_19identity_decomposerEEEEE10hipError_tT0_T1_T2_jT3_P12ihipStream_tbPNSt15iterator_traitsISI_E10value_typeEPNSO_ISJ_E10value_typeEPSK_NS1_7vsmem_tEENKUlT_SI_SJ_SK_E_clISD_PiSD_S10_EESH_SX_SI_SJ_SK_EUlSX_E1_NS1_11comp_targetILNS1_3genE3ELNS1_11target_archE908ELNS1_3gpuE7ELNS1_3repE0EEENS1_36merge_oddeven_config_static_selectorELNS0_4arch9wavefront6targetE1EEEvSJ_.numbered_sgpr, 0
	.set _ZN7rocprim17ROCPRIM_400000_NS6detail17trampoline_kernelINS0_14default_configENS1_38merge_sort_block_merge_config_selectorIiiEEZZNS1_27merge_sort_block_merge_implIS3_N6thrust23THRUST_200600_302600_NS6detail15normal_iteratorINS8_10device_ptrIiEEEESD_jNS1_19radix_merge_compareILb1ELb0EiNS0_19identity_decomposerEEEEE10hipError_tT0_T1_T2_jT3_P12ihipStream_tbPNSt15iterator_traitsISI_E10value_typeEPNSO_ISJ_E10value_typeEPSK_NS1_7vsmem_tEENKUlT_SI_SJ_SK_E_clISD_PiSD_S10_EESH_SX_SI_SJ_SK_EUlSX_E1_NS1_11comp_targetILNS1_3genE3ELNS1_11target_archE908ELNS1_3gpuE7ELNS1_3repE0EEENS1_36merge_oddeven_config_static_selectorELNS0_4arch9wavefront6targetE1EEEvSJ_.num_named_barrier, 0
	.set _ZN7rocprim17ROCPRIM_400000_NS6detail17trampoline_kernelINS0_14default_configENS1_38merge_sort_block_merge_config_selectorIiiEEZZNS1_27merge_sort_block_merge_implIS3_N6thrust23THRUST_200600_302600_NS6detail15normal_iteratorINS8_10device_ptrIiEEEESD_jNS1_19radix_merge_compareILb1ELb0EiNS0_19identity_decomposerEEEEE10hipError_tT0_T1_T2_jT3_P12ihipStream_tbPNSt15iterator_traitsISI_E10value_typeEPNSO_ISJ_E10value_typeEPSK_NS1_7vsmem_tEENKUlT_SI_SJ_SK_E_clISD_PiSD_S10_EESH_SX_SI_SJ_SK_EUlSX_E1_NS1_11comp_targetILNS1_3genE3ELNS1_11target_archE908ELNS1_3gpuE7ELNS1_3repE0EEENS1_36merge_oddeven_config_static_selectorELNS0_4arch9wavefront6targetE1EEEvSJ_.private_seg_size, 0
	.set _ZN7rocprim17ROCPRIM_400000_NS6detail17trampoline_kernelINS0_14default_configENS1_38merge_sort_block_merge_config_selectorIiiEEZZNS1_27merge_sort_block_merge_implIS3_N6thrust23THRUST_200600_302600_NS6detail15normal_iteratorINS8_10device_ptrIiEEEESD_jNS1_19radix_merge_compareILb1ELb0EiNS0_19identity_decomposerEEEEE10hipError_tT0_T1_T2_jT3_P12ihipStream_tbPNSt15iterator_traitsISI_E10value_typeEPNSO_ISJ_E10value_typeEPSK_NS1_7vsmem_tEENKUlT_SI_SJ_SK_E_clISD_PiSD_S10_EESH_SX_SI_SJ_SK_EUlSX_E1_NS1_11comp_targetILNS1_3genE3ELNS1_11target_archE908ELNS1_3gpuE7ELNS1_3repE0EEENS1_36merge_oddeven_config_static_selectorELNS0_4arch9wavefront6targetE1EEEvSJ_.uses_vcc, 0
	.set _ZN7rocprim17ROCPRIM_400000_NS6detail17trampoline_kernelINS0_14default_configENS1_38merge_sort_block_merge_config_selectorIiiEEZZNS1_27merge_sort_block_merge_implIS3_N6thrust23THRUST_200600_302600_NS6detail15normal_iteratorINS8_10device_ptrIiEEEESD_jNS1_19radix_merge_compareILb1ELb0EiNS0_19identity_decomposerEEEEE10hipError_tT0_T1_T2_jT3_P12ihipStream_tbPNSt15iterator_traitsISI_E10value_typeEPNSO_ISJ_E10value_typeEPSK_NS1_7vsmem_tEENKUlT_SI_SJ_SK_E_clISD_PiSD_S10_EESH_SX_SI_SJ_SK_EUlSX_E1_NS1_11comp_targetILNS1_3genE3ELNS1_11target_archE908ELNS1_3gpuE7ELNS1_3repE0EEENS1_36merge_oddeven_config_static_selectorELNS0_4arch9wavefront6targetE1EEEvSJ_.uses_flat_scratch, 0
	.set _ZN7rocprim17ROCPRIM_400000_NS6detail17trampoline_kernelINS0_14default_configENS1_38merge_sort_block_merge_config_selectorIiiEEZZNS1_27merge_sort_block_merge_implIS3_N6thrust23THRUST_200600_302600_NS6detail15normal_iteratorINS8_10device_ptrIiEEEESD_jNS1_19radix_merge_compareILb1ELb0EiNS0_19identity_decomposerEEEEE10hipError_tT0_T1_T2_jT3_P12ihipStream_tbPNSt15iterator_traitsISI_E10value_typeEPNSO_ISJ_E10value_typeEPSK_NS1_7vsmem_tEENKUlT_SI_SJ_SK_E_clISD_PiSD_S10_EESH_SX_SI_SJ_SK_EUlSX_E1_NS1_11comp_targetILNS1_3genE3ELNS1_11target_archE908ELNS1_3gpuE7ELNS1_3repE0EEENS1_36merge_oddeven_config_static_selectorELNS0_4arch9wavefront6targetE1EEEvSJ_.has_dyn_sized_stack, 0
	.set _ZN7rocprim17ROCPRIM_400000_NS6detail17trampoline_kernelINS0_14default_configENS1_38merge_sort_block_merge_config_selectorIiiEEZZNS1_27merge_sort_block_merge_implIS3_N6thrust23THRUST_200600_302600_NS6detail15normal_iteratorINS8_10device_ptrIiEEEESD_jNS1_19radix_merge_compareILb1ELb0EiNS0_19identity_decomposerEEEEE10hipError_tT0_T1_T2_jT3_P12ihipStream_tbPNSt15iterator_traitsISI_E10value_typeEPNSO_ISJ_E10value_typeEPSK_NS1_7vsmem_tEENKUlT_SI_SJ_SK_E_clISD_PiSD_S10_EESH_SX_SI_SJ_SK_EUlSX_E1_NS1_11comp_targetILNS1_3genE3ELNS1_11target_archE908ELNS1_3gpuE7ELNS1_3repE0EEENS1_36merge_oddeven_config_static_selectorELNS0_4arch9wavefront6targetE1EEEvSJ_.has_recursion, 0
	.set _ZN7rocprim17ROCPRIM_400000_NS6detail17trampoline_kernelINS0_14default_configENS1_38merge_sort_block_merge_config_selectorIiiEEZZNS1_27merge_sort_block_merge_implIS3_N6thrust23THRUST_200600_302600_NS6detail15normal_iteratorINS8_10device_ptrIiEEEESD_jNS1_19radix_merge_compareILb1ELb0EiNS0_19identity_decomposerEEEEE10hipError_tT0_T1_T2_jT3_P12ihipStream_tbPNSt15iterator_traitsISI_E10value_typeEPNSO_ISJ_E10value_typeEPSK_NS1_7vsmem_tEENKUlT_SI_SJ_SK_E_clISD_PiSD_S10_EESH_SX_SI_SJ_SK_EUlSX_E1_NS1_11comp_targetILNS1_3genE3ELNS1_11target_archE908ELNS1_3gpuE7ELNS1_3repE0EEENS1_36merge_oddeven_config_static_selectorELNS0_4arch9wavefront6targetE1EEEvSJ_.has_indirect_call, 0
	.section	.AMDGPU.csdata,"",@progbits
; Kernel info:
; codeLenInByte = 0
; TotalNumSgprs: 6
; NumVgprs: 0
; NumAgprs: 0
; TotalNumVgprs: 0
; ScratchSize: 0
; MemoryBound: 0
; FloatMode: 240
; IeeeMode: 1
; LDSByteSize: 0 bytes/workgroup (compile time only)
; SGPRBlocks: 0
; VGPRBlocks: 0
; NumSGPRsForWavesPerEU: 6
; NumVGPRsForWavesPerEU: 1
; AccumOffset: 4
; Occupancy: 8
; WaveLimiterHint : 0
; COMPUTE_PGM_RSRC2:SCRATCH_EN: 0
; COMPUTE_PGM_RSRC2:USER_SGPR: 2
; COMPUTE_PGM_RSRC2:TRAP_HANDLER: 0
; COMPUTE_PGM_RSRC2:TGID_X_EN: 1
; COMPUTE_PGM_RSRC2:TGID_Y_EN: 0
; COMPUTE_PGM_RSRC2:TGID_Z_EN: 0
; COMPUTE_PGM_RSRC2:TIDIG_COMP_CNT: 0
; COMPUTE_PGM_RSRC3_GFX90A:ACCUM_OFFSET: 0
; COMPUTE_PGM_RSRC3_GFX90A:TG_SPLIT: 0
	.section	.text._ZN7rocprim17ROCPRIM_400000_NS6detail17trampoline_kernelINS0_14default_configENS1_38merge_sort_block_merge_config_selectorIiiEEZZNS1_27merge_sort_block_merge_implIS3_N6thrust23THRUST_200600_302600_NS6detail15normal_iteratorINS8_10device_ptrIiEEEESD_jNS1_19radix_merge_compareILb1ELb0EiNS0_19identity_decomposerEEEEE10hipError_tT0_T1_T2_jT3_P12ihipStream_tbPNSt15iterator_traitsISI_E10value_typeEPNSO_ISJ_E10value_typeEPSK_NS1_7vsmem_tEENKUlT_SI_SJ_SK_E_clISD_PiSD_S10_EESH_SX_SI_SJ_SK_EUlSX_E1_NS1_11comp_targetILNS1_3genE2ELNS1_11target_archE906ELNS1_3gpuE6ELNS1_3repE0EEENS1_36merge_oddeven_config_static_selectorELNS0_4arch9wavefront6targetE1EEEvSJ_,"axG",@progbits,_ZN7rocprim17ROCPRIM_400000_NS6detail17trampoline_kernelINS0_14default_configENS1_38merge_sort_block_merge_config_selectorIiiEEZZNS1_27merge_sort_block_merge_implIS3_N6thrust23THRUST_200600_302600_NS6detail15normal_iteratorINS8_10device_ptrIiEEEESD_jNS1_19radix_merge_compareILb1ELb0EiNS0_19identity_decomposerEEEEE10hipError_tT0_T1_T2_jT3_P12ihipStream_tbPNSt15iterator_traitsISI_E10value_typeEPNSO_ISJ_E10value_typeEPSK_NS1_7vsmem_tEENKUlT_SI_SJ_SK_E_clISD_PiSD_S10_EESH_SX_SI_SJ_SK_EUlSX_E1_NS1_11comp_targetILNS1_3genE2ELNS1_11target_archE906ELNS1_3gpuE6ELNS1_3repE0EEENS1_36merge_oddeven_config_static_selectorELNS0_4arch9wavefront6targetE1EEEvSJ_,comdat
	.protected	_ZN7rocprim17ROCPRIM_400000_NS6detail17trampoline_kernelINS0_14default_configENS1_38merge_sort_block_merge_config_selectorIiiEEZZNS1_27merge_sort_block_merge_implIS3_N6thrust23THRUST_200600_302600_NS6detail15normal_iteratorINS8_10device_ptrIiEEEESD_jNS1_19radix_merge_compareILb1ELb0EiNS0_19identity_decomposerEEEEE10hipError_tT0_T1_T2_jT3_P12ihipStream_tbPNSt15iterator_traitsISI_E10value_typeEPNSO_ISJ_E10value_typeEPSK_NS1_7vsmem_tEENKUlT_SI_SJ_SK_E_clISD_PiSD_S10_EESH_SX_SI_SJ_SK_EUlSX_E1_NS1_11comp_targetILNS1_3genE2ELNS1_11target_archE906ELNS1_3gpuE6ELNS1_3repE0EEENS1_36merge_oddeven_config_static_selectorELNS0_4arch9wavefront6targetE1EEEvSJ_ ; -- Begin function _ZN7rocprim17ROCPRIM_400000_NS6detail17trampoline_kernelINS0_14default_configENS1_38merge_sort_block_merge_config_selectorIiiEEZZNS1_27merge_sort_block_merge_implIS3_N6thrust23THRUST_200600_302600_NS6detail15normal_iteratorINS8_10device_ptrIiEEEESD_jNS1_19radix_merge_compareILb1ELb0EiNS0_19identity_decomposerEEEEE10hipError_tT0_T1_T2_jT3_P12ihipStream_tbPNSt15iterator_traitsISI_E10value_typeEPNSO_ISJ_E10value_typeEPSK_NS1_7vsmem_tEENKUlT_SI_SJ_SK_E_clISD_PiSD_S10_EESH_SX_SI_SJ_SK_EUlSX_E1_NS1_11comp_targetILNS1_3genE2ELNS1_11target_archE906ELNS1_3gpuE6ELNS1_3repE0EEENS1_36merge_oddeven_config_static_selectorELNS0_4arch9wavefront6targetE1EEEvSJ_
	.globl	_ZN7rocprim17ROCPRIM_400000_NS6detail17trampoline_kernelINS0_14default_configENS1_38merge_sort_block_merge_config_selectorIiiEEZZNS1_27merge_sort_block_merge_implIS3_N6thrust23THRUST_200600_302600_NS6detail15normal_iteratorINS8_10device_ptrIiEEEESD_jNS1_19radix_merge_compareILb1ELb0EiNS0_19identity_decomposerEEEEE10hipError_tT0_T1_T2_jT3_P12ihipStream_tbPNSt15iterator_traitsISI_E10value_typeEPNSO_ISJ_E10value_typeEPSK_NS1_7vsmem_tEENKUlT_SI_SJ_SK_E_clISD_PiSD_S10_EESH_SX_SI_SJ_SK_EUlSX_E1_NS1_11comp_targetILNS1_3genE2ELNS1_11target_archE906ELNS1_3gpuE6ELNS1_3repE0EEENS1_36merge_oddeven_config_static_selectorELNS0_4arch9wavefront6targetE1EEEvSJ_
	.p2align	8
	.type	_ZN7rocprim17ROCPRIM_400000_NS6detail17trampoline_kernelINS0_14default_configENS1_38merge_sort_block_merge_config_selectorIiiEEZZNS1_27merge_sort_block_merge_implIS3_N6thrust23THRUST_200600_302600_NS6detail15normal_iteratorINS8_10device_ptrIiEEEESD_jNS1_19radix_merge_compareILb1ELb0EiNS0_19identity_decomposerEEEEE10hipError_tT0_T1_T2_jT3_P12ihipStream_tbPNSt15iterator_traitsISI_E10value_typeEPNSO_ISJ_E10value_typeEPSK_NS1_7vsmem_tEENKUlT_SI_SJ_SK_E_clISD_PiSD_S10_EESH_SX_SI_SJ_SK_EUlSX_E1_NS1_11comp_targetILNS1_3genE2ELNS1_11target_archE906ELNS1_3gpuE6ELNS1_3repE0EEENS1_36merge_oddeven_config_static_selectorELNS0_4arch9wavefront6targetE1EEEvSJ_,@function
_ZN7rocprim17ROCPRIM_400000_NS6detail17trampoline_kernelINS0_14default_configENS1_38merge_sort_block_merge_config_selectorIiiEEZZNS1_27merge_sort_block_merge_implIS3_N6thrust23THRUST_200600_302600_NS6detail15normal_iteratorINS8_10device_ptrIiEEEESD_jNS1_19radix_merge_compareILb1ELb0EiNS0_19identity_decomposerEEEEE10hipError_tT0_T1_T2_jT3_P12ihipStream_tbPNSt15iterator_traitsISI_E10value_typeEPNSO_ISJ_E10value_typeEPSK_NS1_7vsmem_tEENKUlT_SI_SJ_SK_E_clISD_PiSD_S10_EESH_SX_SI_SJ_SK_EUlSX_E1_NS1_11comp_targetILNS1_3genE2ELNS1_11target_archE906ELNS1_3gpuE6ELNS1_3repE0EEENS1_36merge_oddeven_config_static_selectorELNS0_4arch9wavefront6targetE1EEEvSJ_: ; @_ZN7rocprim17ROCPRIM_400000_NS6detail17trampoline_kernelINS0_14default_configENS1_38merge_sort_block_merge_config_selectorIiiEEZZNS1_27merge_sort_block_merge_implIS3_N6thrust23THRUST_200600_302600_NS6detail15normal_iteratorINS8_10device_ptrIiEEEESD_jNS1_19radix_merge_compareILb1ELb0EiNS0_19identity_decomposerEEEEE10hipError_tT0_T1_T2_jT3_P12ihipStream_tbPNSt15iterator_traitsISI_E10value_typeEPNSO_ISJ_E10value_typeEPSK_NS1_7vsmem_tEENKUlT_SI_SJ_SK_E_clISD_PiSD_S10_EESH_SX_SI_SJ_SK_EUlSX_E1_NS1_11comp_targetILNS1_3genE2ELNS1_11target_archE906ELNS1_3gpuE6ELNS1_3repE0EEENS1_36merge_oddeven_config_static_selectorELNS0_4arch9wavefront6targetE1EEEvSJ_
; %bb.0:
	.section	.rodata,"a",@progbits
	.p2align	6, 0x0
	.amdhsa_kernel _ZN7rocprim17ROCPRIM_400000_NS6detail17trampoline_kernelINS0_14default_configENS1_38merge_sort_block_merge_config_selectorIiiEEZZNS1_27merge_sort_block_merge_implIS3_N6thrust23THRUST_200600_302600_NS6detail15normal_iteratorINS8_10device_ptrIiEEEESD_jNS1_19radix_merge_compareILb1ELb0EiNS0_19identity_decomposerEEEEE10hipError_tT0_T1_T2_jT3_P12ihipStream_tbPNSt15iterator_traitsISI_E10value_typeEPNSO_ISJ_E10value_typeEPSK_NS1_7vsmem_tEENKUlT_SI_SJ_SK_E_clISD_PiSD_S10_EESH_SX_SI_SJ_SK_EUlSX_E1_NS1_11comp_targetILNS1_3genE2ELNS1_11target_archE906ELNS1_3gpuE6ELNS1_3repE0EEENS1_36merge_oddeven_config_static_selectorELNS0_4arch9wavefront6targetE1EEEvSJ_
		.amdhsa_group_segment_fixed_size 0
		.amdhsa_private_segment_fixed_size 0
		.amdhsa_kernarg_size 48
		.amdhsa_user_sgpr_count 2
		.amdhsa_user_sgpr_dispatch_ptr 0
		.amdhsa_user_sgpr_queue_ptr 0
		.amdhsa_user_sgpr_kernarg_segment_ptr 1
		.amdhsa_user_sgpr_dispatch_id 0
		.amdhsa_user_sgpr_kernarg_preload_length 0
		.amdhsa_user_sgpr_kernarg_preload_offset 0
		.amdhsa_user_sgpr_private_segment_size 0
		.amdhsa_uses_dynamic_stack 0
		.amdhsa_enable_private_segment 0
		.amdhsa_system_sgpr_workgroup_id_x 1
		.amdhsa_system_sgpr_workgroup_id_y 0
		.amdhsa_system_sgpr_workgroup_id_z 0
		.amdhsa_system_sgpr_workgroup_info 0
		.amdhsa_system_vgpr_workitem_id 0
		.amdhsa_next_free_vgpr 1
		.amdhsa_next_free_sgpr 0
		.amdhsa_accum_offset 4
		.amdhsa_reserve_vcc 0
		.amdhsa_float_round_mode_32 0
		.amdhsa_float_round_mode_16_64 0
		.amdhsa_float_denorm_mode_32 3
		.amdhsa_float_denorm_mode_16_64 3
		.amdhsa_dx10_clamp 1
		.amdhsa_ieee_mode 1
		.amdhsa_fp16_overflow 0
		.amdhsa_tg_split 0
		.amdhsa_exception_fp_ieee_invalid_op 0
		.amdhsa_exception_fp_denorm_src 0
		.amdhsa_exception_fp_ieee_div_zero 0
		.amdhsa_exception_fp_ieee_overflow 0
		.amdhsa_exception_fp_ieee_underflow 0
		.amdhsa_exception_fp_ieee_inexact 0
		.amdhsa_exception_int_div_zero 0
	.end_amdhsa_kernel
	.section	.text._ZN7rocprim17ROCPRIM_400000_NS6detail17trampoline_kernelINS0_14default_configENS1_38merge_sort_block_merge_config_selectorIiiEEZZNS1_27merge_sort_block_merge_implIS3_N6thrust23THRUST_200600_302600_NS6detail15normal_iteratorINS8_10device_ptrIiEEEESD_jNS1_19radix_merge_compareILb1ELb0EiNS0_19identity_decomposerEEEEE10hipError_tT0_T1_T2_jT3_P12ihipStream_tbPNSt15iterator_traitsISI_E10value_typeEPNSO_ISJ_E10value_typeEPSK_NS1_7vsmem_tEENKUlT_SI_SJ_SK_E_clISD_PiSD_S10_EESH_SX_SI_SJ_SK_EUlSX_E1_NS1_11comp_targetILNS1_3genE2ELNS1_11target_archE906ELNS1_3gpuE6ELNS1_3repE0EEENS1_36merge_oddeven_config_static_selectorELNS0_4arch9wavefront6targetE1EEEvSJ_,"axG",@progbits,_ZN7rocprim17ROCPRIM_400000_NS6detail17trampoline_kernelINS0_14default_configENS1_38merge_sort_block_merge_config_selectorIiiEEZZNS1_27merge_sort_block_merge_implIS3_N6thrust23THRUST_200600_302600_NS6detail15normal_iteratorINS8_10device_ptrIiEEEESD_jNS1_19radix_merge_compareILb1ELb0EiNS0_19identity_decomposerEEEEE10hipError_tT0_T1_T2_jT3_P12ihipStream_tbPNSt15iterator_traitsISI_E10value_typeEPNSO_ISJ_E10value_typeEPSK_NS1_7vsmem_tEENKUlT_SI_SJ_SK_E_clISD_PiSD_S10_EESH_SX_SI_SJ_SK_EUlSX_E1_NS1_11comp_targetILNS1_3genE2ELNS1_11target_archE906ELNS1_3gpuE6ELNS1_3repE0EEENS1_36merge_oddeven_config_static_selectorELNS0_4arch9wavefront6targetE1EEEvSJ_,comdat
.Lfunc_end930:
	.size	_ZN7rocprim17ROCPRIM_400000_NS6detail17trampoline_kernelINS0_14default_configENS1_38merge_sort_block_merge_config_selectorIiiEEZZNS1_27merge_sort_block_merge_implIS3_N6thrust23THRUST_200600_302600_NS6detail15normal_iteratorINS8_10device_ptrIiEEEESD_jNS1_19radix_merge_compareILb1ELb0EiNS0_19identity_decomposerEEEEE10hipError_tT0_T1_T2_jT3_P12ihipStream_tbPNSt15iterator_traitsISI_E10value_typeEPNSO_ISJ_E10value_typeEPSK_NS1_7vsmem_tEENKUlT_SI_SJ_SK_E_clISD_PiSD_S10_EESH_SX_SI_SJ_SK_EUlSX_E1_NS1_11comp_targetILNS1_3genE2ELNS1_11target_archE906ELNS1_3gpuE6ELNS1_3repE0EEENS1_36merge_oddeven_config_static_selectorELNS0_4arch9wavefront6targetE1EEEvSJ_, .Lfunc_end930-_ZN7rocprim17ROCPRIM_400000_NS6detail17trampoline_kernelINS0_14default_configENS1_38merge_sort_block_merge_config_selectorIiiEEZZNS1_27merge_sort_block_merge_implIS3_N6thrust23THRUST_200600_302600_NS6detail15normal_iteratorINS8_10device_ptrIiEEEESD_jNS1_19radix_merge_compareILb1ELb0EiNS0_19identity_decomposerEEEEE10hipError_tT0_T1_T2_jT3_P12ihipStream_tbPNSt15iterator_traitsISI_E10value_typeEPNSO_ISJ_E10value_typeEPSK_NS1_7vsmem_tEENKUlT_SI_SJ_SK_E_clISD_PiSD_S10_EESH_SX_SI_SJ_SK_EUlSX_E1_NS1_11comp_targetILNS1_3genE2ELNS1_11target_archE906ELNS1_3gpuE6ELNS1_3repE0EEENS1_36merge_oddeven_config_static_selectorELNS0_4arch9wavefront6targetE1EEEvSJ_
                                        ; -- End function
	.set _ZN7rocprim17ROCPRIM_400000_NS6detail17trampoline_kernelINS0_14default_configENS1_38merge_sort_block_merge_config_selectorIiiEEZZNS1_27merge_sort_block_merge_implIS3_N6thrust23THRUST_200600_302600_NS6detail15normal_iteratorINS8_10device_ptrIiEEEESD_jNS1_19radix_merge_compareILb1ELb0EiNS0_19identity_decomposerEEEEE10hipError_tT0_T1_T2_jT3_P12ihipStream_tbPNSt15iterator_traitsISI_E10value_typeEPNSO_ISJ_E10value_typeEPSK_NS1_7vsmem_tEENKUlT_SI_SJ_SK_E_clISD_PiSD_S10_EESH_SX_SI_SJ_SK_EUlSX_E1_NS1_11comp_targetILNS1_3genE2ELNS1_11target_archE906ELNS1_3gpuE6ELNS1_3repE0EEENS1_36merge_oddeven_config_static_selectorELNS0_4arch9wavefront6targetE1EEEvSJ_.num_vgpr, 0
	.set _ZN7rocprim17ROCPRIM_400000_NS6detail17trampoline_kernelINS0_14default_configENS1_38merge_sort_block_merge_config_selectorIiiEEZZNS1_27merge_sort_block_merge_implIS3_N6thrust23THRUST_200600_302600_NS6detail15normal_iteratorINS8_10device_ptrIiEEEESD_jNS1_19radix_merge_compareILb1ELb0EiNS0_19identity_decomposerEEEEE10hipError_tT0_T1_T2_jT3_P12ihipStream_tbPNSt15iterator_traitsISI_E10value_typeEPNSO_ISJ_E10value_typeEPSK_NS1_7vsmem_tEENKUlT_SI_SJ_SK_E_clISD_PiSD_S10_EESH_SX_SI_SJ_SK_EUlSX_E1_NS1_11comp_targetILNS1_3genE2ELNS1_11target_archE906ELNS1_3gpuE6ELNS1_3repE0EEENS1_36merge_oddeven_config_static_selectorELNS0_4arch9wavefront6targetE1EEEvSJ_.num_agpr, 0
	.set _ZN7rocprim17ROCPRIM_400000_NS6detail17trampoline_kernelINS0_14default_configENS1_38merge_sort_block_merge_config_selectorIiiEEZZNS1_27merge_sort_block_merge_implIS3_N6thrust23THRUST_200600_302600_NS6detail15normal_iteratorINS8_10device_ptrIiEEEESD_jNS1_19radix_merge_compareILb1ELb0EiNS0_19identity_decomposerEEEEE10hipError_tT0_T1_T2_jT3_P12ihipStream_tbPNSt15iterator_traitsISI_E10value_typeEPNSO_ISJ_E10value_typeEPSK_NS1_7vsmem_tEENKUlT_SI_SJ_SK_E_clISD_PiSD_S10_EESH_SX_SI_SJ_SK_EUlSX_E1_NS1_11comp_targetILNS1_3genE2ELNS1_11target_archE906ELNS1_3gpuE6ELNS1_3repE0EEENS1_36merge_oddeven_config_static_selectorELNS0_4arch9wavefront6targetE1EEEvSJ_.numbered_sgpr, 0
	.set _ZN7rocprim17ROCPRIM_400000_NS6detail17trampoline_kernelINS0_14default_configENS1_38merge_sort_block_merge_config_selectorIiiEEZZNS1_27merge_sort_block_merge_implIS3_N6thrust23THRUST_200600_302600_NS6detail15normal_iteratorINS8_10device_ptrIiEEEESD_jNS1_19radix_merge_compareILb1ELb0EiNS0_19identity_decomposerEEEEE10hipError_tT0_T1_T2_jT3_P12ihipStream_tbPNSt15iterator_traitsISI_E10value_typeEPNSO_ISJ_E10value_typeEPSK_NS1_7vsmem_tEENKUlT_SI_SJ_SK_E_clISD_PiSD_S10_EESH_SX_SI_SJ_SK_EUlSX_E1_NS1_11comp_targetILNS1_3genE2ELNS1_11target_archE906ELNS1_3gpuE6ELNS1_3repE0EEENS1_36merge_oddeven_config_static_selectorELNS0_4arch9wavefront6targetE1EEEvSJ_.num_named_barrier, 0
	.set _ZN7rocprim17ROCPRIM_400000_NS6detail17trampoline_kernelINS0_14default_configENS1_38merge_sort_block_merge_config_selectorIiiEEZZNS1_27merge_sort_block_merge_implIS3_N6thrust23THRUST_200600_302600_NS6detail15normal_iteratorINS8_10device_ptrIiEEEESD_jNS1_19radix_merge_compareILb1ELb0EiNS0_19identity_decomposerEEEEE10hipError_tT0_T1_T2_jT3_P12ihipStream_tbPNSt15iterator_traitsISI_E10value_typeEPNSO_ISJ_E10value_typeEPSK_NS1_7vsmem_tEENKUlT_SI_SJ_SK_E_clISD_PiSD_S10_EESH_SX_SI_SJ_SK_EUlSX_E1_NS1_11comp_targetILNS1_3genE2ELNS1_11target_archE906ELNS1_3gpuE6ELNS1_3repE0EEENS1_36merge_oddeven_config_static_selectorELNS0_4arch9wavefront6targetE1EEEvSJ_.private_seg_size, 0
	.set _ZN7rocprim17ROCPRIM_400000_NS6detail17trampoline_kernelINS0_14default_configENS1_38merge_sort_block_merge_config_selectorIiiEEZZNS1_27merge_sort_block_merge_implIS3_N6thrust23THRUST_200600_302600_NS6detail15normal_iteratorINS8_10device_ptrIiEEEESD_jNS1_19radix_merge_compareILb1ELb0EiNS0_19identity_decomposerEEEEE10hipError_tT0_T1_T2_jT3_P12ihipStream_tbPNSt15iterator_traitsISI_E10value_typeEPNSO_ISJ_E10value_typeEPSK_NS1_7vsmem_tEENKUlT_SI_SJ_SK_E_clISD_PiSD_S10_EESH_SX_SI_SJ_SK_EUlSX_E1_NS1_11comp_targetILNS1_3genE2ELNS1_11target_archE906ELNS1_3gpuE6ELNS1_3repE0EEENS1_36merge_oddeven_config_static_selectorELNS0_4arch9wavefront6targetE1EEEvSJ_.uses_vcc, 0
	.set _ZN7rocprim17ROCPRIM_400000_NS6detail17trampoline_kernelINS0_14default_configENS1_38merge_sort_block_merge_config_selectorIiiEEZZNS1_27merge_sort_block_merge_implIS3_N6thrust23THRUST_200600_302600_NS6detail15normal_iteratorINS8_10device_ptrIiEEEESD_jNS1_19radix_merge_compareILb1ELb0EiNS0_19identity_decomposerEEEEE10hipError_tT0_T1_T2_jT3_P12ihipStream_tbPNSt15iterator_traitsISI_E10value_typeEPNSO_ISJ_E10value_typeEPSK_NS1_7vsmem_tEENKUlT_SI_SJ_SK_E_clISD_PiSD_S10_EESH_SX_SI_SJ_SK_EUlSX_E1_NS1_11comp_targetILNS1_3genE2ELNS1_11target_archE906ELNS1_3gpuE6ELNS1_3repE0EEENS1_36merge_oddeven_config_static_selectorELNS0_4arch9wavefront6targetE1EEEvSJ_.uses_flat_scratch, 0
	.set _ZN7rocprim17ROCPRIM_400000_NS6detail17trampoline_kernelINS0_14default_configENS1_38merge_sort_block_merge_config_selectorIiiEEZZNS1_27merge_sort_block_merge_implIS3_N6thrust23THRUST_200600_302600_NS6detail15normal_iteratorINS8_10device_ptrIiEEEESD_jNS1_19radix_merge_compareILb1ELb0EiNS0_19identity_decomposerEEEEE10hipError_tT0_T1_T2_jT3_P12ihipStream_tbPNSt15iterator_traitsISI_E10value_typeEPNSO_ISJ_E10value_typeEPSK_NS1_7vsmem_tEENKUlT_SI_SJ_SK_E_clISD_PiSD_S10_EESH_SX_SI_SJ_SK_EUlSX_E1_NS1_11comp_targetILNS1_3genE2ELNS1_11target_archE906ELNS1_3gpuE6ELNS1_3repE0EEENS1_36merge_oddeven_config_static_selectorELNS0_4arch9wavefront6targetE1EEEvSJ_.has_dyn_sized_stack, 0
	.set _ZN7rocprim17ROCPRIM_400000_NS6detail17trampoline_kernelINS0_14default_configENS1_38merge_sort_block_merge_config_selectorIiiEEZZNS1_27merge_sort_block_merge_implIS3_N6thrust23THRUST_200600_302600_NS6detail15normal_iteratorINS8_10device_ptrIiEEEESD_jNS1_19radix_merge_compareILb1ELb0EiNS0_19identity_decomposerEEEEE10hipError_tT0_T1_T2_jT3_P12ihipStream_tbPNSt15iterator_traitsISI_E10value_typeEPNSO_ISJ_E10value_typeEPSK_NS1_7vsmem_tEENKUlT_SI_SJ_SK_E_clISD_PiSD_S10_EESH_SX_SI_SJ_SK_EUlSX_E1_NS1_11comp_targetILNS1_3genE2ELNS1_11target_archE906ELNS1_3gpuE6ELNS1_3repE0EEENS1_36merge_oddeven_config_static_selectorELNS0_4arch9wavefront6targetE1EEEvSJ_.has_recursion, 0
	.set _ZN7rocprim17ROCPRIM_400000_NS6detail17trampoline_kernelINS0_14default_configENS1_38merge_sort_block_merge_config_selectorIiiEEZZNS1_27merge_sort_block_merge_implIS3_N6thrust23THRUST_200600_302600_NS6detail15normal_iteratorINS8_10device_ptrIiEEEESD_jNS1_19radix_merge_compareILb1ELb0EiNS0_19identity_decomposerEEEEE10hipError_tT0_T1_T2_jT3_P12ihipStream_tbPNSt15iterator_traitsISI_E10value_typeEPNSO_ISJ_E10value_typeEPSK_NS1_7vsmem_tEENKUlT_SI_SJ_SK_E_clISD_PiSD_S10_EESH_SX_SI_SJ_SK_EUlSX_E1_NS1_11comp_targetILNS1_3genE2ELNS1_11target_archE906ELNS1_3gpuE6ELNS1_3repE0EEENS1_36merge_oddeven_config_static_selectorELNS0_4arch9wavefront6targetE1EEEvSJ_.has_indirect_call, 0
	.section	.AMDGPU.csdata,"",@progbits
; Kernel info:
; codeLenInByte = 0
; TotalNumSgprs: 6
; NumVgprs: 0
; NumAgprs: 0
; TotalNumVgprs: 0
; ScratchSize: 0
; MemoryBound: 0
; FloatMode: 240
; IeeeMode: 1
; LDSByteSize: 0 bytes/workgroup (compile time only)
; SGPRBlocks: 0
; VGPRBlocks: 0
; NumSGPRsForWavesPerEU: 6
; NumVGPRsForWavesPerEU: 1
; AccumOffset: 4
; Occupancy: 8
; WaveLimiterHint : 0
; COMPUTE_PGM_RSRC2:SCRATCH_EN: 0
; COMPUTE_PGM_RSRC2:USER_SGPR: 2
; COMPUTE_PGM_RSRC2:TRAP_HANDLER: 0
; COMPUTE_PGM_RSRC2:TGID_X_EN: 1
; COMPUTE_PGM_RSRC2:TGID_Y_EN: 0
; COMPUTE_PGM_RSRC2:TGID_Z_EN: 0
; COMPUTE_PGM_RSRC2:TIDIG_COMP_CNT: 0
; COMPUTE_PGM_RSRC3_GFX90A:ACCUM_OFFSET: 0
; COMPUTE_PGM_RSRC3_GFX90A:TG_SPLIT: 0
	.section	.text._ZN7rocprim17ROCPRIM_400000_NS6detail17trampoline_kernelINS0_14default_configENS1_38merge_sort_block_merge_config_selectorIiiEEZZNS1_27merge_sort_block_merge_implIS3_N6thrust23THRUST_200600_302600_NS6detail15normal_iteratorINS8_10device_ptrIiEEEESD_jNS1_19radix_merge_compareILb1ELb0EiNS0_19identity_decomposerEEEEE10hipError_tT0_T1_T2_jT3_P12ihipStream_tbPNSt15iterator_traitsISI_E10value_typeEPNSO_ISJ_E10value_typeEPSK_NS1_7vsmem_tEENKUlT_SI_SJ_SK_E_clISD_PiSD_S10_EESH_SX_SI_SJ_SK_EUlSX_E1_NS1_11comp_targetILNS1_3genE9ELNS1_11target_archE1100ELNS1_3gpuE3ELNS1_3repE0EEENS1_36merge_oddeven_config_static_selectorELNS0_4arch9wavefront6targetE1EEEvSJ_,"axG",@progbits,_ZN7rocprim17ROCPRIM_400000_NS6detail17trampoline_kernelINS0_14default_configENS1_38merge_sort_block_merge_config_selectorIiiEEZZNS1_27merge_sort_block_merge_implIS3_N6thrust23THRUST_200600_302600_NS6detail15normal_iteratorINS8_10device_ptrIiEEEESD_jNS1_19radix_merge_compareILb1ELb0EiNS0_19identity_decomposerEEEEE10hipError_tT0_T1_T2_jT3_P12ihipStream_tbPNSt15iterator_traitsISI_E10value_typeEPNSO_ISJ_E10value_typeEPSK_NS1_7vsmem_tEENKUlT_SI_SJ_SK_E_clISD_PiSD_S10_EESH_SX_SI_SJ_SK_EUlSX_E1_NS1_11comp_targetILNS1_3genE9ELNS1_11target_archE1100ELNS1_3gpuE3ELNS1_3repE0EEENS1_36merge_oddeven_config_static_selectorELNS0_4arch9wavefront6targetE1EEEvSJ_,comdat
	.protected	_ZN7rocprim17ROCPRIM_400000_NS6detail17trampoline_kernelINS0_14default_configENS1_38merge_sort_block_merge_config_selectorIiiEEZZNS1_27merge_sort_block_merge_implIS3_N6thrust23THRUST_200600_302600_NS6detail15normal_iteratorINS8_10device_ptrIiEEEESD_jNS1_19radix_merge_compareILb1ELb0EiNS0_19identity_decomposerEEEEE10hipError_tT0_T1_T2_jT3_P12ihipStream_tbPNSt15iterator_traitsISI_E10value_typeEPNSO_ISJ_E10value_typeEPSK_NS1_7vsmem_tEENKUlT_SI_SJ_SK_E_clISD_PiSD_S10_EESH_SX_SI_SJ_SK_EUlSX_E1_NS1_11comp_targetILNS1_3genE9ELNS1_11target_archE1100ELNS1_3gpuE3ELNS1_3repE0EEENS1_36merge_oddeven_config_static_selectorELNS0_4arch9wavefront6targetE1EEEvSJ_ ; -- Begin function _ZN7rocprim17ROCPRIM_400000_NS6detail17trampoline_kernelINS0_14default_configENS1_38merge_sort_block_merge_config_selectorIiiEEZZNS1_27merge_sort_block_merge_implIS3_N6thrust23THRUST_200600_302600_NS6detail15normal_iteratorINS8_10device_ptrIiEEEESD_jNS1_19radix_merge_compareILb1ELb0EiNS0_19identity_decomposerEEEEE10hipError_tT0_T1_T2_jT3_P12ihipStream_tbPNSt15iterator_traitsISI_E10value_typeEPNSO_ISJ_E10value_typeEPSK_NS1_7vsmem_tEENKUlT_SI_SJ_SK_E_clISD_PiSD_S10_EESH_SX_SI_SJ_SK_EUlSX_E1_NS1_11comp_targetILNS1_3genE9ELNS1_11target_archE1100ELNS1_3gpuE3ELNS1_3repE0EEENS1_36merge_oddeven_config_static_selectorELNS0_4arch9wavefront6targetE1EEEvSJ_
	.globl	_ZN7rocprim17ROCPRIM_400000_NS6detail17trampoline_kernelINS0_14default_configENS1_38merge_sort_block_merge_config_selectorIiiEEZZNS1_27merge_sort_block_merge_implIS3_N6thrust23THRUST_200600_302600_NS6detail15normal_iteratorINS8_10device_ptrIiEEEESD_jNS1_19radix_merge_compareILb1ELb0EiNS0_19identity_decomposerEEEEE10hipError_tT0_T1_T2_jT3_P12ihipStream_tbPNSt15iterator_traitsISI_E10value_typeEPNSO_ISJ_E10value_typeEPSK_NS1_7vsmem_tEENKUlT_SI_SJ_SK_E_clISD_PiSD_S10_EESH_SX_SI_SJ_SK_EUlSX_E1_NS1_11comp_targetILNS1_3genE9ELNS1_11target_archE1100ELNS1_3gpuE3ELNS1_3repE0EEENS1_36merge_oddeven_config_static_selectorELNS0_4arch9wavefront6targetE1EEEvSJ_
	.p2align	8
	.type	_ZN7rocprim17ROCPRIM_400000_NS6detail17trampoline_kernelINS0_14default_configENS1_38merge_sort_block_merge_config_selectorIiiEEZZNS1_27merge_sort_block_merge_implIS3_N6thrust23THRUST_200600_302600_NS6detail15normal_iteratorINS8_10device_ptrIiEEEESD_jNS1_19radix_merge_compareILb1ELb0EiNS0_19identity_decomposerEEEEE10hipError_tT0_T1_T2_jT3_P12ihipStream_tbPNSt15iterator_traitsISI_E10value_typeEPNSO_ISJ_E10value_typeEPSK_NS1_7vsmem_tEENKUlT_SI_SJ_SK_E_clISD_PiSD_S10_EESH_SX_SI_SJ_SK_EUlSX_E1_NS1_11comp_targetILNS1_3genE9ELNS1_11target_archE1100ELNS1_3gpuE3ELNS1_3repE0EEENS1_36merge_oddeven_config_static_selectorELNS0_4arch9wavefront6targetE1EEEvSJ_,@function
_ZN7rocprim17ROCPRIM_400000_NS6detail17trampoline_kernelINS0_14default_configENS1_38merge_sort_block_merge_config_selectorIiiEEZZNS1_27merge_sort_block_merge_implIS3_N6thrust23THRUST_200600_302600_NS6detail15normal_iteratorINS8_10device_ptrIiEEEESD_jNS1_19radix_merge_compareILb1ELb0EiNS0_19identity_decomposerEEEEE10hipError_tT0_T1_T2_jT3_P12ihipStream_tbPNSt15iterator_traitsISI_E10value_typeEPNSO_ISJ_E10value_typeEPSK_NS1_7vsmem_tEENKUlT_SI_SJ_SK_E_clISD_PiSD_S10_EESH_SX_SI_SJ_SK_EUlSX_E1_NS1_11comp_targetILNS1_3genE9ELNS1_11target_archE1100ELNS1_3gpuE3ELNS1_3repE0EEENS1_36merge_oddeven_config_static_selectorELNS0_4arch9wavefront6targetE1EEEvSJ_: ; @_ZN7rocprim17ROCPRIM_400000_NS6detail17trampoline_kernelINS0_14default_configENS1_38merge_sort_block_merge_config_selectorIiiEEZZNS1_27merge_sort_block_merge_implIS3_N6thrust23THRUST_200600_302600_NS6detail15normal_iteratorINS8_10device_ptrIiEEEESD_jNS1_19radix_merge_compareILb1ELb0EiNS0_19identity_decomposerEEEEE10hipError_tT0_T1_T2_jT3_P12ihipStream_tbPNSt15iterator_traitsISI_E10value_typeEPNSO_ISJ_E10value_typeEPSK_NS1_7vsmem_tEENKUlT_SI_SJ_SK_E_clISD_PiSD_S10_EESH_SX_SI_SJ_SK_EUlSX_E1_NS1_11comp_targetILNS1_3genE9ELNS1_11target_archE1100ELNS1_3gpuE3ELNS1_3repE0EEENS1_36merge_oddeven_config_static_selectorELNS0_4arch9wavefront6targetE1EEEvSJ_
; %bb.0:
	.section	.rodata,"a",@progbits
	.p2align	6, 0x0
	.amdhsa_kernel _ZN7rocprim17ROCPRIM_400000_NS6detail17trampoline_kernelINS0_14default_configENS1_38merge_sort_block_merge_config_selectorIiiEEZZNS1_27merge_sort_block_merge_implIS3_N6thrust23THRUST_200600_302600_NS6detail15normal_iteratorINS8_10device_ptrIiEEEESD_jNS1_19radix_merge_compareILb1ELb0EiNS0_19identity_decomposerEEEEE10hipError_tT0_T1_T2_jT3_P12ihipStream_tbPNSt15iterator_traitsISI_E10value_typeEPNSO_ISJ_E10value_typeEPSK_NS1_7vsmem_tEENKUlT_SI_SJ_SK_E_clISD_PiSD_S10_EESH_SX_SI_SJ_SK_EUlSX_E1_NS1_11comp_targetILNS1_3genE9ELNS1_11target_archE1100ELNS1_3gpuE3ELNS1_3repE0EEENS1_36merge_oddeven_config_static_selectorELNS0_4arch9wavefront6targetE1EEEvSJ_
		.amdhsa_group_segment_fixed_size 0
		.amdhsa_private_segment_fixed_size 0
		.amdhsa_kernarg_size 48
		.amdhsa_user_sgpr_count 2
		.amdhsa_user_sgpr_dispatch_ptr 0
		.amdhsa_user_sgpr_queue_ptr 0
		.amdhsa_user_sgpr_kernarg_segment_ptr 1
		.amdhsa_user_sgpr_dispatch_id 0
		.amdhsa_user_sgpr_kernarg_preload_length 0
		.amdhsa_user_sgpr_kernarg_preload_offset 0
		.amdhsa_user_sgpr_private_segment_size 0
		.amdhsa_uses_dynamic_stack 0
		.amdhsa_enable_private_segment 0
		.amdhsa_system_sgpr_workgroup_id_x 1
		.amdhsa_system_sgpr_workgroup_id_y 0
		.amdhsa_system_sgpr_workgroup_id_z 0
		.amdhsa_system_sgpr_workgroup_info 0
		.amdhsa_system_vgpr_workitem_id 0
		.amdhsa_next_free_vgpr 1
		.amdhsa_next_free_sgpr 0
		.amdhsa_accum_offset 4
		.amdhsa_reserve_vcc 0
		.amdhsa_float_round_mode_32 0
		.amdhsa_float_round_mode_16_64 0
		.amdhsa_float_denorm_mode_32 3
		.amdhsa_float_denorm_mode_16_64 3
		.amdhsa_dx10_clamp 1
		.amdhsa_ieee_mode 1
		.amdhsa_fp16_overflow 0
		.amdhsa_tg_split 0
		.amdhsa_exception_fp_ieee_invalid_op 0
		.amdhsa_exception_fp_denorm_src 0
		.amdhsa_exception_fp_ieee_div_zero 0
		.amdhsa_exception_fp_ieee_overflow 0
		.amdhsa_exception_fp_ieee_underflow 0
		.amdhsa_exception_fp_ieee_inexact 0
		.amdhsa_exception_int_div_zero 0
	.end_amdhsa_kernel
	.section	.text._ZN7rocprim17ROCPRIM_400000_NS6detail17trampoline_kernelINS0_14default_configENS1_38merge_sort_block_merge_config_selectorIiiEEZZNS1_27merge_sort_block_merge_implIS3_N6thrust23THRUST_200600_302600_NS6detail15normal_iteratorINS8_10device_ptrIiEEEESD_jNS1_19radix_merge_compareILb1ELb0EiNS0_19identity_decomposerEEEEE10hipError_tT0_T1_T2_jT3_P12ihipStream_tbPNSt15iterator_traitsISI_E10value_typeEPNSO_ISJ_E10value_typeEPSK_NS1_7vsmem_tEENKUlT_SI_SJ_SK_E_clISD_PiSD_S10_EESH_SX_SI_SJ_SK_EUlSX_E1_NS1_11comp_targetILNS1_3genE9ELNS1_11target_archE1100ELNS1_3gpuE3ELNS1_3repE0EEENS1_36merge_oddeven_config_static_selectorELNS0_4arch9wavefront6targetE1EEEvSJ_,"axG",@progbits,_ZN7rocprim17ROCPRIM_400000_NS6detail17trampoline_kernelINS0_14default_configENS1_38merge_sort_block_merge_config_selectorIiiEEZZNS1_27merge_sort_block_merge_implIS3_N6thrust23THRUST_200600_302600_NS6detail15normal_iteratorINS8_10device_ptrIiEEEESD_jNS1_19radix_merge_compareILb1ELb0EiNS0_19identity_decomposerEEEEE10hipError_tT0_T1_T2_jT3_P12ihipStream_tbPNSt15iterator_traitsISI_E10value_typeEPNSO_ISJ_E10value_typeEPSK_NS1_7vsmem_tEENKUlT_SI_SJ_SK_E_clISD_PiSD_S10_EESH_SX_SI_SJ_SK_EUlSX_E1_NS1_11comp_targetILNS1_3genE9ELNS1_11target_archE1100ELNS1_3gpuE3ELNS1_3repE0EEENS1_36merge_oddeven_config_static_selectorELNS0_4arch9wavefront6targetE1EEEvSJ_,comdat
.Lfunc_end931:
	.size	_ZN7rocprim17ROCPRIM_400000_NS6detail17trampoline_kernelINS0_14default_configENS1_38merge_sort_block_merge_config_selectorIiiEEZZNS1_27merge_sort_block_merge_implIS3_N6thrust23THRUST_200600_302600_NS6detail15normal_iteratorINS8_10device_ptrIiEEEESD_jNS1_19radix_merge_compareILb1ELb0EiNS0_19identity_decomposerEEEEE10hipError_tT0_T1_T2_jT3_P12ihipStream_tbPNSt15iterator_traitsISI_E10value_typeEPNSO_ISJ_E10value_typeEPSK_NS1_7vsmem_tEENKUlT_SI_SJ_SK_E_clISD_PiSD_S10_EESH_SX_SI_SJ_SK_EUlSX_E1_NS1_11comp_targetILNS1_3genE9ELNS1_11target_archE1100ELNS1_3gpuE3ELNS1_3repE0EEENS1_36merge_oddeven_config_static_selectorELNS0_4arch9wavefront6targetE1EEEvSJ_, .Lfunc_end931-_ZN7rocprim17ROCPRIM_400000_NS6detail17trampoline_kernelINS0_14default_configENS1_38merge_sort_block_merge_config_selectorIiiEEZZNS1_27merge_sort_block_merge_implIS3_N6thrust23THRUST_200600_302600_NS6detail15normal_iteratorINS8_10device_ptrIiEEEESD_jNS1_19radix_merge_compareILb1ELb0EiNS0_19identity_decomposerEEEEE10hipError_tT0_T1_T2_jT3_P12ihipStream_tbPNSt15iterator_traitsISI_E10value_typeEPNSO_ISJ_E10value_typeEPSK_NS1_7vsmem_tEENKUlT_SI_SJ_SK_E_clISD_PiSD_S10_EESH_SX_SI_SJ_SK_EUlSX_E1_NS1_11comp_targetILNS1_3genE9ELNS1_11target_archE1100ELNS1_3gpuE3ELNS1_3repE0EEENS1_36merge_oddeven_config_static_selectorELNS0_4arch9wavefront6targetE1EEEvSJ_
                                        ; -- End function
	.set _ZN7rocprim17ROCPRIM_400000_NS6detail17trampoline_kernelINS0_14default_configENS1_38merge_sort_block_merge_config_selectorIiiEEZZNS1_27merge_sort_block_merge_implIS3_N6thrust23THRUST_200600_302600_NS6detail15normal_iteratorINS8_10device_ptrIiEEEESD_jNS1_19radix_merge_compareILb1ELb0EiNS0_19identity_decomposerEEEEE10hipError_tT0_T1_T2_jT3_P12ihipStream_tbPNSt15iterator_traitsISI_E10value_typeEPNSO_ISJ_E10value_typeEPSK_NS1_7vsmem_tEENKUlT_SI_SJ_SK_E_clISD_PiSD_S10_EESH_SX_SI_SJ_SK_EUlSX_E1_NS1_11comp_targetILNS1_3genE9ELNS1_11target_archE1100ELNS1_3gpuE3ELNS1_3repE0EEENS1_36merge_oddeven_config_static_selectorELNS0_4arch9wavefront6targetE1EEEvSJ_.num_vgpr, 0
	.set _ZN7rocprim17ROCPRIM_400000_NS6detail17trampoline_kernelINS0_14default_configENS1_38merge_sort_block_merge_config_selectorIiiEEZZNS1_27merge_sort_block_merge_implIS3_N6thrust23THRUST_200600_302600_NS6detail15normal_iteratorINS8_10device_ptrIiEEEESD_jNS1_19radix_merge_compareILb1ELb0EiNS0_19identity_decomposerEEEEE10hipError_tT0_T1_T2_jT3_P12ihipStream_tbPNSt15iterator_traitsISI_E10value_typeEPNSO_ISJ_E10value_typeEPSK_NS1_7vsmem_tEENKUlT_SI_SJ_SK_E_clISD_PiSD_S10_EESH_SX_SI_SJ_SK_EUlSX_E1_NS1_11comp_targetILNS1_3genE9ELNS1_11target_archE1100ELNS1_3gpuE3ELNS1_3repE0EEENS1_36merge_oddeven_config_static_selectorELNS0_4arch9wavefront6targetE1EEEvSJ_.num_agpr, 0
	.set _ZN7rocprim17ROCPRIM_400000_NS6detail17trampoline_kernelINS0_14default_configENS1_38merge_sort_block_merge_config_selectorIiiEEZZNS1_27merge_sort_block_merge_implIS3_N6thrust23THRUST_200600_302600_NS6detail15normal_iteratorINS8_10device_ptrIiEEEESD_jNS1_19radix_merge_compareILb1ELb0EiNS0_19identity_decomposerEEEEE10hipError_tT0_T1_T2_jT3_P12ihipStream_tbPNSt15iterator_traitsISI_E10value_typeEPNSO_ISJ_E10value_typeEPSK_NS1_7vsmem_tEENKUlT_SI_SJ_SK_E_clISD_PiSD_S10_EESH_SX_SI_SJ_SK_EUlSX_E1_NS1_11comp_targetILNS1_3genE9ELNS1_11target_archE1100ELNS1_3gpuE3ELNS1_3repE0EEENS1_36merge_oddeven_config_static_selectorELNS0_4arch9wavefront6targetE1EEEvSJ_.numbered_sgpr, 0
	.set _ZN7rocprim17ROCPRIM_400000_NS6detail17trampoline_kernelINS0_14default_configENS1_38merge_sort_block_merge_config_selectorIiiEEZZNS1_27merge_sort_block_merge_implIS3_N6thrust23THRUST_200600_302600_NS6detail15normal_iteratorINS8_10device_ptrIiEEEESD_jNS1_19radix_merge_compareILb1ELb0EiNS0_19identity_decomposerEEEEE10hipError_tT0_T1_T2_jT3_P12ihipStream_tbPNSt15iterator_traitsISI_E10value_typeEPNSO_ISJ_E10value_typeEPSK_NS1_7vsmem_tEENKUlT_SI_SJ_SK_E_clISD_PiSD_S10_EESH_SX_SI_SJ_SK_EUlSX_E1_NS1_11comp_targetILNS1_3genE9ELNS1_11target_archE1100ELNS1_3gpuE3ELNS1_3repE0EEENS1_36merge_oddeven_config_static_selectorELNS0_4arch9wavefront6targetE1EEEvSJ_.num_named_barrier, 0
	.set _ZN7rocprim17ROCPRIM_400000_NS6detail17trampoline_kernelINS0_14default_configENS1_38merge_sort_block_merge_config_selectorIiiEEZZNS1_27merge_sort_block_merge_implIS3_N6thrust23THRUST_200600_302600_NS6detail15normal_iteratorINS8_10device_ptrIiEEEESD_jNS1_19radix_merge_compareILb1ELb0EiNS0_19identity_decomposerEEEEE10hipError_tT0_T1_T2_jT3_P12ihipStream_tbPNSt15iterator_traitsISI_E10value_typeEPNSO_ISJ_E10value_typeEPSK_NS1_7vsmem_tEENKUlT_SI_SJ_SK_E_clISD_PiSD_S10_EESH_SX_SI_SJ_SK_EUlSX_E1_NS1_11comp_targetILNS1_3genE9ELNS1_11target_archE1100ELNS1_3gpuE3ELNS1_3repE0EEENS1_36merge_oddeven_config_static_selectorELNS0_4arch9wavefront6targetE1EEEvSJ_.private_seg_size, 0
	.set _ZN7rocprim17ROCPRIM_400000_NS6detail17trampoline_kernelINS0_14default_configENS1_38merge_sort_block_merge_config_selectorIiiEEZZNS1_27merge_sort_block_merge_implIS3_N6thrust23THRUST_200600_302600_NS6detail15normal_iteratorINS8_10device_ptrIiEEEESD_jNS1_19radix_merge_compareILb1ELb0EiNS0_19identity_decomposerEEEEE10hipError_tT0_T1_T2_jT3_P12ihipStream_tbPNSt15iterator_traitsISI_E10value_typeEPNSO_ISJ_E10value_typeEPSK_NS1_7vsmem_tEENKUlT_SI_SJ_SK_E_clISD_PiSD_S10_EESH_SX_SI_SJ_SK_EUlSX_E1_NS1_11comp_targetILNS1_3genE9ELNS1_11target_archE1100ELNS1_3gpuE3ELNS1_3repE0EEENS1_36merge_oddeven_config_static_selectorELNS0_4arch9wavefront6targetE1EEEvSJ_.uses_vcc, 0
	.set _ZN7rocprim17ROCPRIM_400000_NS6detail17trampoline_kernelINS0_14default_configENS1_38merge_sort_block_merge_config_selectorIiiEEZZNS1_27merge_sort_block_merge_implIS3_N6thrust23THRUST_200600_302600_NS6detail15normal_iteratorINS8_10device_ptrIiEEEESD_jNS1_19radix_merge_compareILb1ELb0EiNS0_19identity_decomposerEEEEE10hipError_tT0_T1_T2_jT3_P12ihipStream_tbPNSt15iterator_traitsISI_E10value_typeEPNSO_ISJ_E10value_typeEPSK_NS1_7vsmem_tEENKUlT_SI_SJ_SK_E_clISD_PiSD_S10_EESH_SX_SI_SJ_SK_EUlSX_E1_NS1_11comp_targetILNS1_3genE9ELNS1_11target_archE1100ELNS1_3gpuE3ELNS1_3repE0EEENS1_36merge_oddeven_config_static_selectorELNS0_4arch9wavefront6targetE1EEEvSJ_.uses_flat_scratch, 0
	.set _ZN7rocprim17ROCPRIM_400000_NS6detail17trampoline_kernelINS0_14default_configENS1_38merge_sort_block_merge_config_selectorIiiEEZZNS1_27merge_sort_block_merge_implIS3_N6thrust23THRUST_200600_302600_NS6detail15normal_iteratorINS8_10device_ptrIiEEEESD_jNS1_19radix_merge_compareILb1ELb0EiNS0_19identity_decomposerEEEEE10hipError_tT0_T1_T2_jT3_P12ihipStream_tbPNSt15iterator_traitsISI_E10value_typeEPNSO_ISJ_E10value_typeEPSK_NS1_7vsmem_tEENKUlT_SI_SJ_SK_E_clISD_PiSD_S10_EESH_SX_SI_SJ_SK_EUlSX_E1_NS1_11comp_targetILNS1_3genE9ELNS1_11target_archE1100ELNS1_3gpuE3ELNS1_3repE0EEENS1_36merge_oddeven_config_static_selectorELNS0_4arch9wavefront6targetE1EEEvSJ_.has_dyn_sized_stack, 0
	.set _ZN7rocprim17ROCPRIM_400000_NS6detail17trampoline_kernelINS0_14default_configENS1_38merge_sort_block_merge_config_selectorIiiEEZZNS1_27merge_sort_block_merge_implIS3_N6thrust23THRUST_200600_302600_NS6detail15normal_iteratorINS8_10device_ptrIiEEEESD_jNS1_19radix_merge_compareILb1ELb0EiNS0_19identity_decomposerEEEEE10hipError_tT0_T1_T2_jT3_P12ihipStream_tbPNSt15iterator_traitsISI_E10value_typeEPNSO_ISJ_E10value_typeEPSK_NS1_7vsmem_tEENKUlT_SI_SJ_SK_E_clISD_PiSD_S10_EESH_SX_SI_SJ_SK_EUlSX_E1_NS1_11comp_targetILNS1_3genE9ELNS1_11target_archE1100ELNS1_3gpuE3ELNS1_3repE0EEENS1_36merge_oddeven_config_static_selectorELNS0_4arch9wavefront6targetE1EEEvSJ_.has_recursion, 0
	.set _ZN7rocprim17ROCPRIM_400000_NS6detail17trampoline_kernelINS0_14default_configENS1_38merge_sort_block_merge_config_selectorIiiEEZZNS1_27merge_sort_block_merge_implIS3_N6thrust23THRUST_200600_302600_NS6detail15normal_iteratorINS8_10device_ptrIiEEEESD_jNS1_19radix_merge_compareILb1ELb0EiNS0_19identity_decomposerEEEEE10hipError_tT0_T1_T2_jT3_P12ihipStream_tbPNSt15iterator_traitsISI_E10value_typeEPNSO_ISJ_E10value_typeEPSK_NS1_7vsmem_tEENKUlT_SI_SJ_SK_E_clISD_PiSD_S10_EESH_SX_SI_SJ_SK_EUlSX_E1_NS1_11comp_targetILNS1_3genE9ELNS1_11target_archE1100ELNS1_3gpuE3ELNS1_3repE0EEENS1_36merge_oddeven_config_static_selectorELNS0_4arch9wavefront6targetE1EEEvSJ_.has_indirect_call, 0
	.section	.AMDGPU.csdata,"",@progbits
; Kernel info:
; codeLenInByte = 0
; TotalNumSgprs: 6
; NumVgprs: 0
; NumAgprs: 0
; TotalNumVgprs: 0
; ScratchSize: 0
; MemoryBound: 0
; FloatMode: 240
; IeeeMode: 1
; LDSByteSize: 0 bytes/workgroup (compile time only)
; SGPRBlocks: 0
; VGPRBlocks: 0
; NumSGPRsForWavesPerEU: 6
; NumVGPRsForWavesPerEU: 1
; AccumOffset: 4
; Occupancy: 8
; WaveLimiterHint : 0
; COMPUTE_PGM_RSRC2:SCRATCH_EN: 0
; COMPUTE_PGM_RSRC2:USER_SGPR: 2
; COMPUTE_PGM_RSRC2:TRAP_HANDLER: 0
; COMPUTE_PGM_RSRC2:TGID_X_EN: 1
; COMPUTE_PGM_RSRC2:TGID_Y_EN: 0
; COMPUTE_PGM_RSRC2:TGID_Z_EN: 0
; COMPUTE_PGM_RSRC2:TIDIG_COMP_CNT: 0
; COMPUTE_PGM_RSRC3_GFX90A:ACCUM_OFFSET: 0
; COMPUTE_PGM_RSRC3_GFX90A:TG_SPLIT: 0
	.section	.text._ZN7rocprim17ROCPRIM_400000_NS6detail17trampoline_kernelINS0_14default_configENS1_38merge_sort_block_merge_config_selectorIiiEEZZNS1_27merge_sort_block_merge_implIS3_N6thrust23THRUST_200600_302600_NS6detail15normal_iteratorINS8_10device_ptrIiEEEESD_jNS1_19radix_merge_compareILb1ELb0EiNS0_19identity_decomposerEEEEE10hipError_tT0_T1_T2_jT3_P12ihipStream_tbPNSt15iterator_traitsISI_E10value_typeEPNSO_ISJ_E10value_typeEPSK_NS1_7vsmem_tEENKUlT_SI_SJ_SK_E_clISD_PiSD_S10_EESH_SX_SI_SJ_SK_EUlSX_E1_NS1_11comp_targetILNS1_3genE8ELNS1_11target_archE1030ELNS1_3gpuE2ELNS1_3repE0EEENS1_36merge_oddeven_config_static_selectorELNS0_4arch9wavefront6targetE1EEEvSJ_,"axG",@progbits,_ZN7rocprim17ROCPRIM_400000_NS6detail17trampoline_kernelINS0_14default_configENS1_38merge_sort_block_merge_config_selectorIiiEEZZNS1_27merge_sort_block_merge_implIS3_N6thrust23THRUST_200600_302600_NS6detail15normal_iteratorINS8_10device_ptrIiEEEESD_jNS1_19radix_merge_compareILb1ELb0EiNS0_19identity_decomposerEEEEE10hipError_tT0_T1_T2_jT3_P12ihipStream_tbPNSt15iterator_traitsISI_E10value_typeEPNSO_ISJ_E10value_typeEPSK_NS1_7vsmem_tEENKUlT_SI_SJ_SK_E_clISD_PiSD_S10_EESH_SX_SI_SJ_SK_EUlSX_E1_NS1_11comp_targetILNS1_3genE8ELNS1_11target_archE1030ELNS1_3gpuE2ELNS1_3repE0EEENS1_36merge_oddeven_config_static_selectorELNS0_4arch9wavefront6targetE1EEEvSJ_,comdat
	.protected	_ZN7rocprim17ROCPRIM_400000_NS6detail17trampoline_kernelINS0_14default_configENS1_38merge_sort_block_merge_config_selectorIiiEEZZNS1_27merge_sort_block_merge_implIS3_N6thrust23THRUST_200600_302600_NS6detail15normal_iteratorINS8_10device_ptrIiEEEESD_jNS1_19radix_merge_compareILb1ELb0EiNS0_19identity_decomposerEEEEE10hipError_tT0_T1_T2_jT3_P12ihipStream_tbPNSt15iterator_traitsISI_E10value_typeEPNSO_ISJ_E10value_typeEPSK_NS1_7vsmem_tEENKUlT_SI_SJ_SK_E_clISD_PiSD_S10_EESH_SX_SI_SJ_SK_EUlSX_E1_NS1_11comp_targetILNS1_3genE8ELNS1_11target_archE1030ELNS1_3gpuE2ELNS1_3repE0EEENS1_36merge_oddeven_config_static_selectorELNS0_4arch9wavefront6targetE1EEEvSJ_ ; -- Begin function _ZN7rocprim17ROCPRIM_400000_NS6detail17trampoline_kernelINS0_14default_configENS1_38merge_sort_block_merge_config_selectorIiiEEZZNS1_27merge_sort_block_merge_implIS3_N6thrust23THRUST_200600_302600_NS6detail15normal_iteratorINS8_10device_ptrIiEEEESD_jNS1_19radix_merge_compareILb1ELb0EiNS0_19identity_decomposerEEEEE10hipError_tT0_T1_T2_jT3_P12ihipStream_tbPNSt15iterator_traitsISI_E10value_typeEPNSO_ISJ_E10value_typeEPSK_NS1_7vsmem_tEENKUlT_SI_SJ_SK_E_clISD_PiSD_S10_EESH_SX_SI_SJ_SK_EUlSX_E1_NS1_11comp_targetILNS1_3genE8ELNS1_11target_archE1030ELNS1_3gpuE2ELNS1_3repE0EEENS1_36merge_oddeven_config_static_selectorELNS0_4arch9wavefront6targetE1EEEvSJ_
	.globl	_ZN7rocprim17ROCPRIM_400000_NS6detail17trampoline_kernelINS0_14default_configENS1_38merge_sort_block_merge_config_selectorIiiEEZZNS1_27merge_sort_block_merge_implIS3_N6thrust23THRUST_200600_302600_NS6detail15normal_iteratorINS8_10device_ptrIiEEEESD_jNS1_19radix_merge_compareILb1ELb0EiNS0_19identity_decomposerEEEEE10hipError_tT0_T1_T2_jT3_P12ihipStream_tbPNSt15iterator_traitsISI_E10value_typeEPNSO_ISJ_E10value_typeEPSK_NS1_7vsmem_tEENKUlT_SI_SJ_SK_E_clISD_PiSD_S10_EESH_SX_SI_SJ_SK_EUlSX_E1_NS1_11comp_targetILNS1_3genE8ELNS1_11target_archE1030ELNS1_3gpuE2ELNS1_3repE0EEENS1_36merge_oddeven_config_static_selectorELNS0_4arch9wavefront6targetE1EEEvSJ_
	.p2align	8
	.type	_ZN7rocprim17ROCPRIM_400000_NS6detail17trampoline_kernelINS0_14default_configENS1_38merge_sort_block_merge_config_selectorIiiEEZZNS1_27merge_sort_block_merge_implIS3_N6thrust23THRUST_200600_302600_NS6detail15normal_iteratorINS8_10device_ptrIiEEEESD_jNS1_19radix_merge_compareILb1ELb0EiNS0_19identity_decomposerEEEEE10hipError_tT0_T1_T2_jT3_P12ihipStream_tbPNSt15iterator_traitsISI_E10value_typeEPNSO_ISJ_E10value_typeEPSK_NS1_7vsmem_tEENKUlT_SI_SJ_SK_E_clISD_PiSD_S10_EESH_SX_SI_SJ_SK_EUlSX_E1_NS1_11comp_targetILNS1_3genE8ELNS1_11target_archE1030ELNS1_3gpuE2ELNS1_3repE0EEENS1_36merge_oddeven_config_static_selectorELNS0_4arch9wavefront6targetE1EEEvSJ_,@function
_ZN7rocprim17ROCPRIM_400000_NS6detail17trampoline_kernelINS0_14default_configENS1_38merge_sort_block_merge_config_selectorIiiEEZZNS1_27merge_sort_block_merge_implIS3_N6thrust23THRUST_200600_302600_NS6detail15normal_iteratorINS8_10device_ptrIiEEEESD_jNS1_19radix_merge_compareILb1ELb0EiNS0_19identity_decomposerEEEEE10hipError_tT0_T1_T2_jT3_P12ihipStream_tbPNSt15iterator_traitsISI_E10value_typeEPNSO_ISJ_E10value_typeEPSK_NS1_7vsmem_tEENKUlT_SI_SJ_SK_E_clISD_PiSD_S10_EESH_SX_SI_SJ_SK_EUlSX_E1_NS1_11comp_targetILNS1_3genE8ELNS1_11target_archE1030ELNS1_3gpuE2ELNS1_3repE0EEENS1_36merge_oddeven_config_static_selectorELNS0_4arch9wavefront6targetE1EEEvSJ_: ; @_ZN7rocprim17ROCPRIM_400000_NS6detail17trampoline_kernelINS0_14default_configENS1_38merge_sort_block_merge_config_selectorIiiEEZZNS1_27merge_sort_block_merge_implIS3_N6thrust23THRUST_200600_302600_NS6detail15normal_iteratorINS8_10device_ptrIiEEEESD_jNS1_19radix_merge_compareILb1ELb0EiNS0_19identity_decomposerEEEEE10hipError_tT0_T1_T2_jT3_P12ihipStream_tbPNSt15iterator_traitsISI_E10value_typeEPNSO_ISJ_E10value_typeEPSK_NS1_7vsmem_tEENKUlT_SI_SJ_SK_E_clISD_PiSD_S10_EESH_SX_SI_SJ_SK_EUlSX_E1_NS1_11comp_targetILNS1_3genE8ELNS1_11target_archE1030ELNS1_3gpuE2ELNS1_3repE0EEENS1_36merge_oddeven_config_static_selectorELNS0_4arch9wavefront6targetE1EEEvSJ_
; %bb.0:
	.section	.rodata,"a",@progbits
	.p2align	6, 0x0
	.amdhsa_kernel _ZN7rocprim17ROCPRIM_400000_NS6detail17trampoline_kernelINS0_14default_configENS1_38merge_sort_block_merge_config_selectorIiiEEZZNS1_27merge_sort_block_merge_implIS3_N6thrust23THRUST_200600_302600_NS6detail15normal_iteratorINS8_10device_ptrIiEEEESD_jNS1_19radix_merge_compareILb1ELb0EiNS0_19identity_decomposerEEEEE10hipError_tT0_T1_T2_jT3_P12ihipStream_tbPNSt15iterator_traitsISI_E10value_typeEPNSO_ISJ_E10value_typeEPSK_NS1_7vsmem_tEENKUlT_SI_SJ_SK_E_clISD_PiSD_S10_EESH_SX_SI_SJ_SK_EUlSX_E1_NS1_11comp_targetILNS1_3genE8ELNS1_11target_archE1030ELNS1_3gpuE2ELNS1_3repE0EEENS1_36merge_oddeven_config_static_selectorELNS0_4arch9wavefront6targetE1EEEvSJ_
		.amdhsa_group_segment_fixed_size 0
		.amdhsa_private_segment_fixed_size 0
		.amdhsa_kernarg_size 48
		.amdhsa_user_sgpr_count 2
		.amdhsa_user_sgpr_dispatch_ptr 0
		.amdhsa_user_sgpr_queue_ptr 0
		.amdhsa_user_sgpr_kernarg_segment_ptr 1
		.amdhsa_user_sgpr_dispatch_id 0
		.amdhsa_user_sgpr_kernarg_preload_length 0
		.amdhsa_user_sgpr_kernarg_preload_offset 0
		.amdhsa_user_sgpr_private_segment_size 0
		.amdhsa_uses_dynamic_stack 0
		.amdhsa_enable_private_segment 0
		.amdhsa_system_sgpr_workgroup_id_x 1
		.amdhsa_system_sgpr_workgroup_id_y 0
		.amdhsa_system_sgpr_workgroup_id_z 0
		.amdhsa_system_sgpr_workgroup_info 0
		.amdhsa_system_vgpr_workitem_id 0
		.amdhsa_next_free_vgpr 1
		.amdhsa_next_free_sgpr 0
		.amdhsa_accum_offset 4
		.amdhsa_reserve_vcc 0
		.amdhsa_float_round_mode_32 0
		.amdhsa_float_round_mode_16_64 0
		.amdhsa_float_denorm_mode_32 3
		.amdhsa_float_denorm_mode_16_64 3
		.amdhsa_dx10_clamp 1
		.amdhsa_ieee_mode 1
		.amdhsa_fp16_overflow 0
		.amdhsa_tg_split 0
		.amdhsa_exception_fp_ieee_invalid_op 0
		.amdhsa_exception_fp_denorm_src 0
		.amdhsa_exception_fp_ieee_div_zero 0
		.amdhsa_exception_fp_ieee_overflow 0
		.amdhsa_exception_fp_ieee_underflow 0
		.amdhsa_exception_fp_ieee_inexact 0
		.amdhsa_exception_int_div_zero 0
	.end_amdhsa_kernel
	.section	.text._ZN7rocprim17ROCPRIM_400000_NS6detail17trampoline_kernelINS0_14default_configENS1_38merge_sort_block_merge_config_selectorIiiEEZZNS1_27merge_sort_block_merge_implIS3_N6thrust23THRUST_200600_302600_NS6detail15normal_iteratorINS8_10device_ptrIiEEEESD_jNS1_19radix_merge_compareILb1ELb0EiNS0_19identity_decomposerEEEEE10hipError_tT0_T1_T2_jT3_P12ihipStream_tbPNSt15iterator_traitsISI_E10value_typeEPNSO_ISJ_E10value_typeEPSK_NS1_7vsmem_tEENKUlT_SI_SJ_SK_E_clISD_PiSD_S10_EESH_SX_SI_SJ_SK_EUlSX_E1_NS1_11comp_targetILNS1_3genE8ELNS1_11target_archE1030ELNS1_3gpuE2ELNS1_3repE0EEENS1_36merge_oddeven_config_static_selectorELNS0_4arch9wavefront6targetE1EEEvSJ_,"axG",@progbits,_ZN7rocprim17ROCPRIM_400000_NS6detail17trampoline_kernelINS0_14default_configENS1_38merge_sort_block_merge_config_selectorIiiEEZZNS1_27merge_sort_block_merge_implIS3_N6thrust23THRUST_200600_302600_NS6detail15normal_iteratorINS8_10device_ptrIiEEEESD_jNS1_19radix_merge_compareILb1ELb0EiNS0_19identity_decomposerEEEEE10hipError_tT0_T1_T2_jT3_P12ihipStream_tbPNSt15iterator_traitsISI_E10value_typeEPNSO_ISJ_E10value_typeEPSK_NS1_7vsmem_tEENKUlT_SI_SJ_SK_E_clISD_PiSD_S10_EESH_SX_SI_SJ_SK_EUlSX_E1_NS1_11comp_targetILNS1_3genE8ELNS1_11target_archE1030ELNS1_3gpuE2ELNS1_3repE0EEENS1_36merge_oddeven_config_static_selectorELNS0_4arch9wavefront6targetE1EEEvSJ_,comdat
.Lfunc_end932:
	.size	_ZN7rocprim17ROCPRIM_400000_NS6detail17trampoline_kernelINS0_14default_configENS1_38merge_sort_block_merge_config_selectorIiiEEZZNS1_27merge_sort_block_merge_implIS3_N6thrust23THRUST_200600_302600_NS6detail15normal_iteratorINS8_10device_ptrIiEEEESD_jNS1_19radix_merge_compareILb1ELb0EiNS0_19identity_decomposerEEEEE10hipError_tT0_T1_T2_jT3_P12ihipStream_tbPNSt15iterator_traitsISI_E10value_typeEPNSO_ISJ_E10value_typeEPSK_NS1_7vsmem_tEENKUlT_SI_SJ_SK_E_clISD_PiSD_S10_EESH_SX_SI_SJ_SK_EUlSX_E1_NS1_11comp_targetILNS1_3genE8ELNS1_11target_archE1030ELNS1_3gpuE2ELNS1_3repE0EEENS1_36merge_oddeven_config_static_selectorELNS0_4arch9wavefront6targetE1EEEvSJ_, .Lfunc_end932-_ZN7rocprim17ROCPRIM_400000_NS6detail17trampoline_kernelINS0_14default_configENS1_38merge_sort_block_merge_config_selectorIiiEEZZNS1_27merge_sort_block_merge_implIS3_N6thrust23THRUST_200600_302600_NS6detail15normal_iteratorINS8_10device_ptrIiEEEESD_jNS1_19radix_merge_compareILb1ELb0EiNS0_19identity_decomposerEEEEE10hipError_tT0_T1_T2_jT3_P12ihipStream_tbPNSt15iterator_traitsISI_E10value_typeEPNSO_ISJ_E10value_typeEPSK_NS1_7vsmem_tEENKUlT_SI_SJ_SK_E_clISD_PiSD_S10_EESH_SX_SI_SJ_SK_EUlSX_E1_NS1_11comp_targetILNS1_3genE8ELNS1_11target_archE1030ELNS1_3gpuE2ELNS1_3repE0EEENS1_36merge_oddeven_config_static_selectorELNS0_4arch9wavefront6targetE1EEEvSJ_
                                        ; -- End function
	.set _ZN7rocprim17ROCPRIM_400000_NS6detail17trampoline_kernelINS0_14default_configENS1_38merge_sort_block_merge_config_selectorIiiEEZZNS1_27merge_sort_block_merge_implIS3_N6thrust23THRUST_200600_302600_NS6detail15normal_iteratorINS8_10device_ptrIiEEEESD_jNS1_19radix_merge_compareILb1ELb0EiNS0_19identity_decomposerEEEEE10hipError_tT0_T1_T2_jT3_P12ihipStream_tbPNSt15iterator_traitsISI_E10value_typeEPNSO_ISJ_E10value_typeEPSK_NS1_7vsmem_tEENKUlT_SI_SJ_SK_E_clISD_PiSD_S10_EESH_SX_SI_SJ_SK_EUlSX_E1_NS1_11comp_targetILNS1_3genE8ELNS1_11target_archE1030ELNS1_3gpuE2ELNS1_3repE0EEENS1_36merge_oddeven_config_static_selectorELNS0_4arch9wavefront6targetE1EEEvSJ_.num_vgpr, 0
	.set _ZN7rocprim17ROCPRIM_400000_NS6detail17trampoline_kernelINS0_14default_configENS1_38merge_sort_block_merge_config_selectorIiiEEZZNS1_27merge_sort_block_merge_implIS3_N6thrust23THRUST_200600_302600_NS6detail15normal_iteratorINS8_10device_ptrIiEEEESD_jNS1_19radix_merge_compareILb1ELb0EiNS0_19identity_decomposerEEEEE10hipError_tT0_T1_T2_jT3_P12ihipStream_tbPNSt15iterator_traitsISI_E10value_typeEPNSO_ISJ_E10value_typeEPSK_NS1_7vsmem_tEENKUlT_SI_SJ_SK_E_clISD_PiSD_S10_EESH_SX_SI_SJ_SK_EUlSX_E1_NS1_11comp_targetILNS1_3genE8ELNS1_11target_archE1030ELNS1_3gpuE2ELNS1_3repE0EEENS1_36merge_oddeven_config_static_selectorELNS0_4arch9wavefront6targetE1EEEvSJ_.num_agpr, 0
	.set _ZN7rocprim17ROCPRIM_400000_NS6detail17trampoline_kernelINS0_14default_configENS1_38merge_sort_block_merge_config_selectorIiiEEZZNS1_27merge_sort_block_merge_implIS3_N6thrust23THRUST_200600_302600_NS6detail15normal_iteratorINS8_10device_ptrIiEEEESD_jNS1_19radix_merge_compareILb1ELb0EiNS0_19identity_decomposerEEEEE10hipError_tT0_T1_T2_jT3_P12ihipStream_tbPNSt15iterator_traitsISI_E10value_typeEPNSO_ISJ_E10value_typeEPSK_NS1_7vsmem_tEENKUlT_SI_SJ_SK_E_clISD_PiSD_S10_EESH_SX_SI_SJ_SK_EUlSX_E1_NS1_11comp_targetILNS1_3genE8ELNS1_11target_archE1030ELNS1_3gpuE2ELNS1_3repE0EEENS1_36merge_oddeven_config_static_selectorELNS0_4arch9wavefront6targetE1EEEvSJ_.numbered_sgpr, 0
	.set _ZN7rocprim17ROCPRIM_400000_NS6detail17trampoline_kernelINS0_14default_configENS1_38merge_sort_block_merge_config_selectorIiiEEZZNS1_27merge_sort_block_merge_implIS3_N6thrust23THRUST_200600_302600_NS6detail15normal_iteratorINS8_10device_ptrIiEEEESD_jNS1_19radix_merge_compareILb1ELb0EiNS0_19identity_decomposerEEEEE10hipError_tT0_T1_T2_jT3_P12ihipStream_tbPNSt15iterator_traitsISI_E10value_typeEPNSO_ISJ_E10value_typeEPSK_NS1_7vsmem_tEENKUlT_SI_SJ_SK_E_clISD_PiSD_S10_EESH_SX_SI_SJ_SK_EUlSX_E1_NS1_11comp_targetILNS1_3genE8ELNS1_11target_archE1030ELNS1_3gpuE2ELNS1_3repE0EEENS1_36merge_oddeven_config_static_selectorELNS0_4arch9wavefront6targetE1EEEvSJ_.num_named_barrier, 0
	.set _ZN7rocprim17ROCPRIM_400000_NS6detail17trampoline_kernelINS0_14default_configENS1_38merge_sort_block_merge_config_selectorIiiEEZZNS1_27merge_sort_block_merge_implIS3_N6thrust23THRUST_200600_302600_NS6detail15normal_iteratorINS8_10device_ptrIiEEEESD_jNS1_19radix_merge_compareILb1ELb0EiNS0_19identity_decomposerEEEEE10hipError_tT0_T1_T2_jT3_P12ihipStream_tbPNSt15iterator_traitsISI_E10value_typeEPNSO_ISJ_E10value_typeEPSK_NS1_7vsmem_tEENKUlT_SI_SJ_SK_E_clISD_PiSD_S10_EESH_SX_SI_SJ_SK_EUlSX_E1_NS1_11comp_targetILNS1_3genE8ELNS1_11target_archE1030ELNS1_3gpuE2ELNS1_3repE0EEENS1_36merge_oddeven_config_static_selectorELNS0_4arch9wavefront6targetE1EEEvSJ_.private_seg_size, 0
	.set _ZN7rocprim17ROCPRIM_400000_NS6detail17trampoline_kernelINS0_14default_configENS1_38merge_sort_block_merge_config_selectorIiiEEZZNS1_27merge_sort_block_merge_implIS3_N6thrust23THRUST_200600_302600_NS6detail15normal_iteratorINS8_10device_ptrIiEEEESD_jNS1_19radix_merge_compareILb1ELb0EiNS0_19identity_decomposerEEEEE10hipError_tT0_T1_T2_jT3_P12ihipStream_tbPNSt15iterator_traitsISI_E10value_typeEPNSO_ISJ_E10value_typeEPSK_NS1_7vsmem_tEENKUlT_SI_SJ_SK_E_clISD_PiSD_S10_EESH_SX_SI_SJ_SK_EUlSX_E1_NS1_11comp_targetILNS1_3genE8ELNS1_11target_archE1030ELNS1_3gpuE2ELNS1_3repE0EEENS1_36merge_oddeven_config_static_selectorELNS0_4arch9wavefront6targetE1EEEvSJ_.uses_vcc, 0
	.set _ZN7rocprim17ROCPRIM_400000_NS6detail17trampoline_kernelINS0_14default_configENS1_38merge_sort_block_merge_config_selectorIiiEEZZNS1_27merge_sort_block_merge_implIS3_N6thrust23THRUST_200600_302600_NS6detail15normal_iteratorINS8_10device_ptrIiEEEESD_jNS1_19radix_merge_compareILb1ELb0EiNS0_19identity_decomposerEEEEE10hipError_tT0_T1_T2_jT3_P12ihipStream_tbPNSt15iterator_traitsISI_E10value_typeEPNSO_ISJ_E10value_typeEPSK_NS1_7vsmem_tEENKUlT_SI_SJ_SK_E_clISD_PiSD_S10_EESH_SX_SI_SJ_SK_EUlSX_E1_NS1_11comp_targetILNS1_3genE8ELNS1_11target_archE1030ELNS1_3gpuE2ELNS1_3repE0EEENS1_36merge_oddeven_config_static_selectorELNS0_4arch9wavefront6targetE1EEEvSJ_.uses_flat_scratch, 0
	.set _ZN7rocprim17ROCPRIM_400000_NS6detail17trampoline_kernelINS0_14default_configENS1_38merge_sort_block_merge_config_selectorIiiEEZZNS1_27merge_sort_block_merge_implIS3_N6thrust23THRUST_200600_302600_NS6detail15normal_iteratorINS8_10device_ptrIiEEEESD_jNS1_19radix_merge_compareILb1ELb0EiNS0_19identity_decomposerEEEEE10hipError_tT0_T1_T2_jT3_P12ihipStream_tbPNSt15iterator_traitsISI_E10value_typeEPNSO_ISJ_E10value_typeEPSK_NS1_7vsmem_tEENKUlT_SI_SJ_SK_E_clISD_PiSD_S10_EESH_SX_SI_SJ_SK_EUlSX_E1_NS1_11comp_targetILNS1_3genE8ELNS1_11target_archE1030ELNS1_3gpuE2ELNS1_3repE0EEENS1_36merge_oddeven_config_static_selectorELNS0_4arch9wavefront6targetE1EEEvSJ_.has_dyn_sized_stack, 0
	.set _ZN7rocprim17ROCPRIM_400000_NS6detail17trampoline_kernelINS0_14default_configENS1_38merge_sort_block_merge_config_selectorIiiEEZZNS1_27merge_sort_block_merge_implIS3_N6thrust23THRUST_200600_302600_NS6detail15normal_iteratorINS8_10device_ptrIiEEEESD_jNS1_19radix_merge_compareILb1ELb0EiNS0_19identity_decomposerEEEEE10hipError_tT0_T1_T2_jT3_P12ihipStream_tbPNSt15iterator_traitsISI_E10value_typeEPNSO_ISJ_E10value_typeEPSK_NS1_7vsmem_tEENKUlT_SI_SJ_SK_E_clISD_PiSD_S10_EESH_SX_SI_SJ_SK_EUlSX_E1_NS1_11comp_targetILNS1_3genE8ELNS1_11target_archE1030ELNS1_3gpuE2ELNS1_3repE0EEENS1_36merge_oddeven_config_static_selectorELNS0_4arch9wavefront6targetE1EEEvSJ_.has_recursion, 0
	.set _ZN7rocprim17ROCPRIM_400000_NS6detail17trampoline_kernelINS0_14default_configENS1_38merge_sort_block_merge_config_selectorIiiEEZZNS1_27merge_sort_block_merge_implIS3_N6thrust23THRUST_200600_302600_NS6detail15normal_iteratorINS8_10device_ptrIiEEEESD_jNS1_19radix_merge_compareILb1ELb0EiNS0_19identity_decomposerEEEEE10hipError_tT0_T1_T2_jT3_P12ihipStream_tbPNSt15iterator_traitsISI_E10value_typeEPNSO_ISJ_E10value_typeEPSK_NS1_7vsmem_tEENKUlT_SI_SJ_SK_E_clISD_PiSD_S10_EESH_SX_SI_SJ_SK_EUlSX_E1_NS1_11comp_targetILNS1_3genE8ELNS1_11target_archE1030ELNS1_3gpuE2ELNS1_3repE0EEENS1_36merge_oddeven_config_static_selectorELNS0_4arch9wavefront6targetE1EEEvSJ_.has_indirect_call, 0
	.section	.AMDGPU.csdata,"",@progbits
; Kernel info:
; codeLenInByte = 0
; TotalNumSgprs: 6
; NumVgprs: 0
; NumAgprs: 0
; TotalNumVgprs: 0
; ScratchSize: 0
; MemoryBound: 0
; FloatMode: 240
; IeeeMode: 1
; LDSByteSize: 0 bytes/workgroup (compile time only)
; SGPRBlocks: 0
; VGPRBlocks: 0
; NumSGPRsForWavesPerEU: 6
; NumVGPRsForWavesPerEU: 1
; AccumOffset: 4
; Occupancy: 8
; WaveLimiterHint : 0
; COMPUTE_PGM_RSRC2:SCRATCH_EN: 0
; COMPUTE_PGM_RSRC2:USER_SGPR: 2
; COMPUTE_PGM_RSRC2:TRAP_HANDLER: 0
; COMPUTE_PGM_RSRC2:TGID_X_EN: 1
; COMPUTE_PGM_RSRC2:TGID_Y_EN: 0
; COMPUTE_PGM_RSRC2:TGID_Z_EN: 0
; COMPUTE_PGM_RSRC2:TIDIG_COMP_CNT: 0
; COMPUTE_PGM_RSRC3_GFX90A:ACCUM_OFFSET: 0
; COMPUTE_PGM_RSRC3_GFX90A:TG_SPLIT: 0
	.section	.text._ZN7rocprim17ROCPRIM_400000_NS6detail17trampoline_kernelINS0_14default_configENS1_38merge_sort_block_merge_config_selectorIiiEEZZNS1_27merge_sort_block_merge_implIS3_N6thrust23THRUST_200600_302600_NS6detail15normal_iteratorINS8_10device_ptrIiEEEESD_jNS1_19radix_merge_compareILb1ELb1EiNS0_19identity_decomposerEEEEE10hipError_tT0_T1_T2_jT3_P12ihipStream_tbPNSt15iterator_traitsISI_E10value_typeEPNSO_ISJ_E10value_typeEPSK_NS1_7vsmem_tEENKUlT_SI_SJ_SK_E_clIPiSD_S10_SD_EESH_SX_SI_SJ_SK_EUlSX_E_NS1_11comp_targetILNS1_3genE0ELNS1_11target_archE4294967295ELNS1_3gpuE0ELNS1_3repE0EEENS1_48merge_mergepath_partition_config_static_selectorELNS0_4arch9wavefront6targetE1EEEvSJ_,"axG",@progbits,_ZN7rocprim17ROCPRIM_400000_NS6detail17trampoline_kernelINS0_14default_configENS1_38merge_sort_block_merge_config_selectorIiiEEZZNS1_27merge_sort_block_merge_implIS3_N6thrust23THRUST_200600_302600_NS6detail15normal_iteratorINS8_10device_ptrIiEEEESD_jNS1_19radix_merge_compareILb1ELb1EiNS0_19identity_decomposerEEEEE10hipError_tT0_T1_T2_jT3_P12ihipStream_tbPNSt15iterator_traitsISI_E10value_typeEPNSO_ISJ_E10value_typeEPSK_NS1_7vsmem_tEENKUlT_SI_SJ_SK_E_clIPiSD_S10_SD_EESH_SX_SI_SJ_SK_EUlSX_E_NS1_11comp_targetILNS1_3genE0ELNS1_11target_archE4294967295ELNS1_3gpuE0ELNS1_3repE0EEENS1_48merge_mergepath_partition_config_static_selectorELNS0_4arch9wavefront6targetE1EEEvSJ_,comdat
	.protected	_ZN7rocprim17ROCPRIM_400000_NS6detail17trampoline_kernelINS0_14default_configENS1_38merge_sort_block_merge_config_selectorIiiEEZZNS1_27merge_sort_block_merge_implIS3_N6thrust23THRUST_200600_302600_NS6detail15normal_iteratorINS8_10device_ptrIiEEEESD_jNS1_19radix_merge_compareILb1ELb1EiNS0_19identity_decomposerEEEEE10hipError_tT0_T1_T2_jT3_P12ihipStream_tbPNSt15iterator_traitsISI_E10value_typeEPNSO_ISJ_E10value_typeEPSK_NS1_7vsmem_tEENKUlT_SI_SJ_SK_E_clIPiSD_S10_SD_EESH_SX_SI_SJ_SK_EUlSX_E_NS1_11comp_targetILNS1_3genE0ELNS1_11target_archE4294967295ELNS1_3gpuE0ELNS1_3repE0EEENS1_48merge_mergepath_partition_config_static_selectorELNS0_4arch9wavefront6targetE1EEEvSJ_ ; -- Begin function _ZN7rocprim17ROCPRIM_400000_NS6detail17trampoline_kernelINS0_14default_configENS1_38merge_sort_block_merge_config_selectorIiiEEZZNS1_27merge_sort_block_merge_implIS3_N6thrust23THRUST_200600_302600_NS6detail15normal_iteratorINS8_10device_ptrIiEEEESD_jNS1_19radix_merge_compareILb1ELb1EiNS0_19identity_decomposerEEEEE10hipError_tT0_T1_T2_jT3_P12ihipStream_tbPNSt15iterator_traitsISI_E10value_typeEPNSO_ISJ_E10value_typeEPSK_NS1_7vsmem_tEENKUlT_SI_SJ_SK_E_clIPiSD_S10_SD_EESH_SX_SI_SJ_SK_EUlSX_E_NS1_11comp_targetILNS1_3genE0ELNS1_11target_archE4294967295ELNS1_3gpuE0ELNS1_3repE0EEENS1_48merge_mergepath_partition_config_static_selectorELNS0_4arch9wavefront6targetE1EEEvSJ_
	.globl	_ZN7rocprim17ROCPRIM_400000_NS6detail17trampoline_kernelINS0_14default_configENS1_38merge_sort_block_merge_config_selectorIiiEEZZNS1_27merge_sort_block_merge_implIS3_N6thrust23THRUST_200600_302600_NS6detail15normal_iteratorINS8_10device_ptrIiEEEESD_jNS1_19radix_merge_compareILb1ELb1EiNS0_19identity_decomposerEEEEE10hipError_tT0_T1_T2_jT3_P12ihipStream_tbPNSt15iterator_traitsISI_E10value_typeEPNSO_ISJ_E10value_typeEPSK_NS1_7vsmem_tEENKUlT_SI_SJ_SK_E_clIPiSD_S10_SD_EESH_SX_SI_SJ_SK_EUlSX_E_NS1_11comp_targetILNS1_3genE0ELNS1_11target_archE4294967295ELNS1_3gpuE0ELNS1_3repE0EEENS1_48merge_mergepath_partition_config_static_selectorELNS0_4arch9wavefront6targetE1EEEvSJ_
	.p2align	8
	.type	_ZN7rocprim17ROCPRIM_400000_NS6detail17trampoline_kernelINS0_14default_configENS1_38merge_sort_block_merge_config_selectorIiiEEZZNS1_27merge_sort_block_merge_implIS3_N6thrust23THRUST_200600_302600_NS6detail15normal_iteratorINS8_10device_ptrIiEEEESD_jNS1_19radix_merge_compareILb1ELb1EiNS0_19identity_decomposerEEEEE10hipError_tT0_T1_T2_jT3_P12ihipStream_tbPNSt15iterator_traitsISI_E10value_typeEPNSO_ISJ_E10value_typeEPSK_NS1_7vsmem_tEENKUlT_SI_SJ_SK_E_clIPiSD_S10_SD_EESH_SX_SI_SJ_SK_EUlSX_E_NS1_11comp_targetILNS1_3genE0ELNS1_11target_archE4294967295ELNS1_3gpuE0ELNS1_3repE0EEENS1_48merge_mergepath_partition_config_static_selectorELNS0_4arch9wavefront6targetE1EEEvSJ_,@function
_ZN7rocprim17ROCPRIM_400000_NS6detail17trampoline_kernelINS0_14default_configENS1_38merge_sort_block_merge_config_selectorIiiEEZZNS1_27merge_sort_block_merge_implIS3_N6thrust23THRUST_200600_302600_NS6detail15normal_iteratorINS8_10device_ptrIiEEEESD_jNS1_19radix_merge_compareILb1ELb1EiNS0_19identity_decomposerEEEEE10hipError_tT0_T1_T2_jT3_P12ihipStream_tbPNSt15iterator_traitsISI_E10value_typeEPNSO_ISJ_E10value_typeEPSK_NS1_7vsmem_tEENKUlT_SI_SJ_SK_E_clIPiSD_S10_SD_EESH_SX_SI_SJ_SK_EUlSX_E_NS1_11comp_targetILNS1_3genE0ELNS1_11target_archE4294967295ELNS1_3gpuE0ELNS1_3repE0EEENS1_48merge_mergepath_partition_config_static_selectorELNS0_4arch9wavefront6targetE1EEEvSJ_: ; @_ZN7rocprim17ROCPRIM_400000_NS6detail17trampoline_kernelINS0_14default_configENS1_38merge_sort_block_merge_config_selectorIiiEEZZNS1_27merge_sort_block_merge_implIS3_N6thrust23THRUST_200600_302600_NS6detail15normal_iteratorINS8_10device_ptrIiEEEESD_jNS1_19radix_merge_compareILb1ELb1EiNS0_19identity_decomposerEEEEE10hipError_tT0_T1_T2_jT3_P12ihipStream_tbPNSt15iterator_traitsISI_E10value_typeEPNSO_ISJ_E10value_typeEPSK_NS1_7vsmem_tEENKUlT_SI_SJ_SK_E_clIPiSD_S10_SD_EESH_SX_SI_SJ_SK_EUlSX_E_NS1_11comp_targetILNS1_3genE0ELNS1_11target_archE4294967295ELNS1_3gpuE0ELNS1_3repE0EEENS1_48merge_mergepath_partition_config_static_selectorELNS0_4arch9wavefront6targetE1EEEvSJ_
; %bb.0:
	s_load_dword s3, s[0:1], 0x0
	v_lshl_or_b32 v0, s2, 7, v0
	s_waitcnt lgkmcnt(0)
	v_cmp_gt_u32_e32 vcc, s3, v0
	s_and_saveexec_b64 s[2:3], vcc
	s_cbranch_execz .LBB933_6
; %bb.1:
	s_load_dwordx2 s[4:5], s[0:1], 0x4
	s_load_dwordx2 s[2:3], s[0:1], 0x20
	s_waitcnt lgkmcnt(0)
	s_lshr_b32 s6, s4, 9
	s_and_b32 s6, s6, 0x7ffffe
	s_add_i32 s7, s6, -1
	s_sub_i32 s6, 0, s6
	v_and_b32_e32 v1, s6, v0
	v_lshlrev_b32_e32 v1, 10, v1
	v_min_u32_e32 v2, s5, v1
	v_add_u32_e32 v1, s4, v1
	v_min_u32_e32 v4, s5, v1
	v_add_u32_e32 v1, s4, v4
	v_and_b32_e32 v3, s7, v0
	v_min_u32_e32 v1, s5, v1
	v_sub_u32_e32 v5, v1, v2
	v_lshlrev_b32_e32 v3, 10, v3
	v_min_u32_e32 v10, v5, v3
	v_sub_u32_e32 v3, v4, v2
	v_sub_u32_e32 v1, v1, v4
	v_sub_u32_e64 v1, v10, v1 clamp
	v_min_u32_e32 v11, v10, v3
	v_cmp_lt_u32_e32 vcc, v1, v11
	s_and_saveexec_b64 s[4:5], vcc
	s_cbranch_execz .LBB933_5
; %bb.2:
	s_load_dwordx2 s[8:9], s[0:1], 0x10
	s_load_dword s6, s[0:1], 0x18
	v_mov_b32_e32 v5, 0
	v_mov_b32_e32 v3, v5
	s_mov_b64 s[0:1], 0
	s_waitcnt lgkmcnt(0)
	v_lshl_add_u64 v[6:7], v[2:3], 2, s[8:9]
	v_lshl_add_u64 v[8:9], v[4:5], 2, s[8:9]
.LBB933_3:                              ; =>This Inner Loop Header: Depth=1
	v_add_u32_e32 v3, v11, v1
	v_lshrrev_b32_e32 v4, 1, v3
	v_mov_b32_e32 v13, v5
	v_xad_u32 v12, v4, -1, v10
	v_lshl_add_u64 v[14:15], v[4:5], 2, v[6:7]
	v_lshl_add_u64 v[12:13], v[12:13], 2, v[8:9]
	global_load_dword v3, v[14:15], off
	global_load_dword v16, v[12:13], off
	v_add_u32_e32 v12, 1, v4
	s_waitcnt vmcnt(1)
	v_and_b32_e32 v3, s6, v3
	s_waitcnt vmcnt(0)
	v_and_b32_e32 v13, s6, v16
	v_cmp_gt_i32_e32 vcc, v13, v3
	s_nop 1
	v_cndmask_b32_e32 v11, v11, v4, vcc
	v_cndmask_b32_e32 v1, v12, v1, vcc
	v_cmp_ge_u32_e32 vcc, v1, v11
	s_or_b64 s[0:1], vcc, s[0:1]
	s_andn2_b64 exec, exec, s[0:1]
	s_cbranch_execnz .LBB933_3
; %bb.4:
	s_or_b64 exec, exec, s[0:1]
.LBB933_5:
	s_or_b64 exec, exec, s[4:5]
	v_add_u32_e32 v2, v1, v2
	v_mov_b32_e32 v1, 0
	v_lshl_add_u64 v[0:1], v[0:1], 2, s[2:3]
	global_store_dword v[0:1], v2, off
.LBB933_6:
	s_endpgm
	.section	.rodata,"a",@progbits
	.p2align	6, 0x0
	.amdhsa_kernel _ZN7rocprim17ROCPRIM_400000_NS6detail17trampoline_kernelINS0_14default_configENS1_38merge_sort_block_merge_config_selectorIiiEEZZNS1_27merge_sort_block_merge_implIS3_N6thrust23THRUST_200600_302600_NS6detail15normal_iteratorINS8_10device_ptrIiEEEESD_jNS1_19radix_merge_compareILb1ELb1EiNS0_19identity_decomposerEEEEE10hipError_tT0_T1_T2_jT3_P12ihipStream_tbPNSt15iterator_traitsISI_E10value_typeEPNSO_ISJ_E10value_typeEPSK_NS1_7vsmem_tEENKUlT_SI_SJ_SK_E_clIPiSD_S10_SD_EESH_SX_SI_SJ_SK_EUlSX_E_NS1_11comp_targetILNS1_3genE0ELNS1_11target_archE4294967295ELNS1_3gpuE0ELNS1_3repE0EEENS1_48merge_mergepath_partition_config_static_selectorELNS0_4arch9wavefront6targetE1EEEvSJ_
		.amdhsa_group_segment_fixed_size 0
		.amdhsa_private_segment_fixed_size 0
		.amdhsa_kernarg_size 40
		.amdhsa_user_sgpr_count 2
		.amdhsa_user_sgpr_dispatch_ptr 0
		.amdhsa_user_sgpr_queue_ptr 0
		.amdhsa_user_sgpr_kernarg_segment_ptr 1
		.amdhsa_user_sgpr_dispatch_id 0
		.amdhsa_user_sgpr_kernarg_preload_length 0
		.amdhsa_user_sgpr_kernarg_preload_offset 0
		.amdhsa_user_sgpr_private_segment_size 0
		.amdhsa_uses_dynamic_stack 0
		.amdhsa_enable_private_segment 0
		.amdhsa_system_sgpr_workgroup_id_x 1
		.amdhsa_system_sgpr_workgroup_id_y 0
		.amdhsa_system_sgpr_workgroup_id_z 0
		.amdhsa_system_sgpr_workgroup_info 0
		.amdhsa_system_vgpr_workitem_id 0
		.amdhsa_next_free_vgpr 17
		.amdhsa_next_free_sgpr 10
		.amdhsa_accum_offset 20
		.amdhsa_reserve_vcc 1
		.amdhsa_float_round_mode_32 0
		.amdhsa_float_round_mode_16_64 0
		.amdhsa_float_denorm_mode_32 3
		.amdhsa_float_denorm_mode_16_64 3
		.amdhsa_dx10_clamp 1
		.amdhsa_ieee_mode 1
		.amdhsa_fp16_overflow 0
		.amdhsa_tg_split 0
		.amdhsa_exception_fp_ieee_invalid_op 0
		.amdhsa_exception_fp_denorm_src 0
		.amdhsa_exception_fp_ieee_div_zero 0
		.amdhsa_exception_fp_ieee_overflow 0
		.amdhsa_exception_fp_ieee_underflow 0
		.amdhsa_exception_fp_ieee_inexact 0
		.amdhsa_exception_int_div_zero 0
	.end_amdhsa_kernel
	.section	.text._ZN7rocprim17ROCPRIM_400000_NS6detail17trampoline_kernelINS0_14default_configENS1_38merge_sort_block_merge_config_selectorIiiEEZZNS1_27merge_sort_block_merge_implIS3_N6thrust23THRUST_200600_302600_NS6detail15normal_iteratorINS8_10device_ptrIiEEEESD_jNS1_19radix_merge_compareILb1ELb1EiNS0_19identity_decomposerEEEEE10hipError_tT0_T1_T2_jT3_P12ihipStream_tbPNSt15iterator_traitsISI_E10value_typeEPNSO_ISJ_E10value_typeEPSK_NS1_7vsmem_tEENKUlT_SI_SJ_SK_E_clIPiSD_S10_SD_EESH_SX_SI_SJ_SK_EUlSX_E_NS1_11comp_targetILNS1_3genE0ELNS1_11target_archE4294967295ELNS1_3gpuE0ELNS1_3repE0EEENS1_48merge_mergepath_partition_config_static_selectorELNS0_4arch9wavefront6targetE1EEEvSJ_,"axG",@progbits,_ZN7rocprim17ROCPRIM_400000_NS6detail17trampoline_kernelINS0_14default_configENS1_38merge_sort_block_merge_config_selectorIiiEEZZNS1_27merge_sort_block_merge_implIS3_N6thrust23THRUST_200600_302600_NS6detail15normal_iteratorINS8_10device_ptrIiEEEESD_jNS1_19radix_merge_compareILb1ELb1EiNS0_19identity_decomposerEEEEE10hipError_tT0_T1_T2_jT3_P12ihipStream_tbPNSt15iterator_traitsISI_E10value_typeEPNSO_ISJ_E10value_typeEPSK_NS1_7vsmem_tEENKUlT_SI_SJ_SK_E_clIPiSD_S10_SD_EESH_SX_SI_SJ_SK_EUlSX_E_NS1_11comp_targetILNS1_3genE0ELNS1_11target_archE4294967295ELNS1_3gpuE0ELNS1_3repE0EEENS1_48merge_mergepath_partition_config_static_selectorELNS0_4arch9wavefront6targetE1EEEvSJ_,comdat
.Lfunc_end933:
	.size	_ZN7rocprim17ROCPRIM_400000_NS6detail17trampoline_kernelINS0_14default_configENS1_38merge_sort_block_merge_config_selectorIiiEEZZNS1_27merge_sort_block_merge_implIS3_N6thrust23THRUST_200600_302600_NS6detail15normal_iteratorINS8_10device_ptrIiEEEESD_jNS1_19radix_merge_compareILb1ELb1EiNS0_19identity_decomposerEEEEE10hipError_tT0_T1_T2_jT3_P12ihipStream_tbPNSt15iterator_traitsISI_E10value_typeEPNSO_ISJ_E10value_typeEPSK_NS1_7vsmem_tEENKUlT_SI_SJ_SK_E_clIPiSD_S10_SD_EESH_SX_SI_SJ_SK_EUlSX_E_NS1_11comp_targetILNS1_3genE0ELNS1_11target_archE4294967295ELNS1_3gpuE0ELNS1_3repE0EEENS1_48merge_mergepath_partition_config_static_selectorELNS0_4arch9wavefront6targetE1EEEvSJ_, .Lfunc_end933-_ZN7rocprim17ROCPRIM_400000_NS6detail17trampoline_kernelINS0_14default_configENS1_38merge_sort_block_merge_config_selectorIiiEEZZNS1_27merge_sort_block_merge_implIS3_N6thrust23THRUST_200600_302600_NS6detail15normal_iteratorINS8_10device_ptrIiEEEESD_jNS1_19radix_merge_compareILb1ELb1EiNS0_19identity_decomposerEEEEE10hipError_tT0_T1_T2_jT3_P12ihipStream_tbPNSt15iterator_traitsISI_E10value_typeEPNSO_ISJ_E10value_typeEPSK_NS1_7vsmem_tEENKUlT_SI_SJ_SK_E_clIPiSD_S10_SD_EESH_SX_SI_SJ_SK_EUlSX_E_NS1_11comp_targetILNS1_3genE0ELNS1_11target_archE4294967295ELNS1_3gpuE0ELNS1_3repE0EEENS1_48merge_mergepath_partition_config_static_selectorELNS0_4arch9wavefront6targetE1EEEvSJ_
                                        ; -- End function
	.set _ZN7rocprim17ROCPRIM_400000_NS6detail17trampoline_kernelINS0_14default_configENS1_38merge_sort_block_merge_config_selectorIiiEEZZNS1_27merge_sort_block_merge_implIS3_N6thrust23THRUST_200600_302600_NS6detail15normal_iteratorINS8_10device_ptrIiEEEESD_jNS1_19radix_merge_compareILb1ELb1EiNS0_19identity_decomposerEEEEE10hipError_tT0_T1_T2_jT3_P12ihipStream_tbPNSt15iterator_traitsISI_E10value_typeEPNSO_ISJ_E10value_typeEPSK_NS1_7vsmem_tEENKUlT_SI_SJ_SK_E_clIPiSD_S10_SD_EESH_SX_SI_SJ_SK_EUlSX_E_NS1_11comp_targetILNS1_3genE0ELNS1_11target_archE4294967295ELNS1_3gpuE0ELNS1_3repE0EEENS1_48merge_mergepath_partition_config_static_selectorELNS0_4arch9wavefront6targetE1EEEvSJ_.num_vgpr, 17
	.set _ZN7rocprim17ROCPRIM_400000_NS6detail17trampoline_kernelINS0_14default_configENS1_38merge_sort_block_merge_config_selectorIiiEEZZNS1_27merge_sort_block_merge_implIS3_N6thrust23THRUST_200600_302600_NS6detail15normal_iteratorINS8_10device_ptrIiEEEESD_jNS1_19radix_merge_compareILb1ELb1EiNS0_19identity_decomposerEEEEE10hipError_tT0_T1_T2_jT3_P12ihipStream_tbPNSt15iterator_traitsISI_E10value_typeEPNSO_ISJ_E10value_typeEPSK_NS1_7vsmem_tEENKUlT_SI_SJ_SK_E_clIPiSD_S10_SD_EESH_SX_SI_SJ_SK_EUlSX_E_NS1_11comp_targetILNS1_3genE0ELNS1_11target_archE4294967295ELNS1_3gpuE0ELNS1_3repE0EEENS1_48merge_mergepath_partition_config_static_selectorELNS0_4arch9wavefront6targetE1EEEvSJ_.num_agpr, 0
	.set _ZN7rocprim17ROCPRIM_400000_NS6detail17trampoline_kernelINS0_14default_configENS1_38merge_sort_block_merge_config_selectorIiiEEZZNS1_27merge_sort_block_merge_implIS3_N6thrust23THRUST_200600_302600_NS6detail15normal_iteratorINS8_10device_ptrIiEEEESD_jNS1_19radix_merge_compareILb1ELb1EiNS0_19identity_decomposerEEEEE10hipError_tT0_T1_T2_jT3_P12ihipStream_tbPNSt15iterator_traitsISI_E10value_typeEPNSO_ISJ_E10value_typeEPSK_NS1_7vsmem_tEENKUlT_SI_SJ_SK_E_clIPiSD_S10_SD_EESH_SX_SI_SJ_SK_EUlSX_E_NS1_11comp_targetILNS1_3genE0ELNS1_11target_archE4294967295ELNS1_3gpuE0ELNS1_3repE0EEENS1_48merge_mergepath_partition_config_static_selectorELNS0_4arch9wavefront6targetE1EEEvSJ_.numbered_sgpr, 10
	.set _ZN7rocprim17ROCPRIM_400000_NS6detail17trampoline_kernelINS0_14default_configENS1_38merge_sort_block_merge_config_selectorIiiEEZZNS1_27merge_sort_block_merge_implIS3_N6thrust23THRUST_200600_302600_NS6detail15normal_iteratorINS8_10device_ptrIiEEEESD_jNS1_19radix_merge_compareILb1ELb1EiNS0_19identity_decomposerEEEEE10hipError_tT0_T1_T2_jT3_P12ihipStream_tbPNSt15iterator_traitsISI_E10value_typeEPNSO_ISJ_E10value_typeEPSK_NS1_7vsmem_tEENKUlT_SI_SJ_SK_E_clIPiSD_S10_SD_EESH_SX_SI_SJ_SK_EUlSX_E_NS1_11comp_targetILNS1_3genE0ELNS1_11target_archE4294967295ELNS1_3gpuE0ELNS1_3repE0EEENS1_48merge_mergepath_partition_config_static_selectorELNS0_4arch9wavefront6targetE1EEEvSJ_.num_named_barrier, 0
	.set _ZN7rocprim17ROCPRIM_400000_NS6detail17trampoline_kernelINS0_14default_configENS1_38merge_sort_block_merge_config_selectorIiiEEZZNS1_27merge_sort_block_merge_implIS3_N6thrust23THRUST_200600_302600_NS6detail15normal_iteratorINS8_10device_ptrIiEEEESD_jNS1_19radix_merge_compareILb1ELb1EiNS0_19identity_decomposerEEEEE10hipError_tT0_T1_T2_jT3_P12ihipStream_tbPNSt15iterator_traitsISI_E10value_typeEPNSO_ISJ_E10value_typeEPSK_NS1_7vsmem_tEENKUlT_SI_SJ_SK_E_clIPiSD_S10_SD_EESH_SX_SI_SJ_SK_EUlSX_E_NS1_11comp_targetILNS1_3genE0ELNS1_11target_archE4294967295ELNS1_3gpuE0ELNS1_3repE0EEENS1_48merge_mergepath_partition_config_static_selectorELNS0_4arch9wavefront6targetE1EEEvSJ_.private_seg_size, 0
	.set _ZN7rocprim17ROCPRIM_400000_NS6detail17trampoline_kernelINS0_14default_configENS1_38merge_sort_block_merge_config_selectorIiiEEZZNS1_27merge_sort_block_merge_implIS3_N6thrust23THRUST_200600_302600_NS6detail15normal_iteratorINS8_10device_ptrIiEEEESD_jNS1_19radix_merge_compareILb1ELb1EiNS0_19identity_decomposerEEEEE10hipError_tT0_T1_T2_jT3_P12ihipStream_tbPNSt15iterator_traitsISI_E10value_typeEPNSO_ISJ_E10value_typeEPSK_NS1_7vsmem_tEENKUlT_SI_SJ_SK_E_clIPiSD_S10_SD_EESH_SX_SI_SJ_SK_EUlSX_E_NS1_11comp_targetILNS1_3genE0ELNS1_11target_archE4294967295ELNS1_3gpuE0ELNS1_3repE0EEENS1_48merge_mergepath_partition_config_static_selectorELNS0_4arch9wavefront6targetE1EEEvSJ_.uses_vcc, 1
	.set _ZN7rocprim17ROCPRIM_400000_NS6detail17trampoline_kernelINS0_14default_configENS1_38merge_sort_block_merge_config_selectorIiiEEZZNS1_27merge_sort_block_merge_implIS3_N6thrust23THRUST_200600_302600_NS6detail15normal_iteratorINS8_10device_ptrIiEEEESD_jNS1_19radix_merge_compareILb1ELb1EiNS0_19identity_decomposerEEEEE10hipError_tT0_T1_T2_jT3_P12ihipStream_tbPNSt15iterator_traitsISI_E10value_typeEPNSO_ISJ_E10value_typeEPSK_NS1_7vsmem_tEENKUlT_SI_SJ_SK_E_clIPiSD_S10_SD_EESH_SX_SI_SJ_SK_EUlSX_E_NS1_11comp_targetILNS1_3genE0ELNS1_11target_archE4294967295ELNS1_3gpuE0ELNS1_3repE0EEENS1_48merge_mergepath_partition_config_static_selectorELNS0_4arch9wavefront6targetE1EEEvSJ_.uses_flat_scratch, 0
	.set _ZN7rocprim17ROCPRIM_400000_NS6detail17trampoline_kernelINS0_14default_configENS1_38merge_sort_block_merge_config_selectorIiiEEZZNS1_27merge_sort_block_merge_implIS3_N6thrust23THRUST_200600_302600_NS6detail15normal_iteratorINS8_10device_ptrIiEEEESD_jNS1_19radix_merge_compareILb1ELb1EiNS0_19identity_decomposerEEEEE10hipError_tT0_T1_T2_jT3_P12ihipStream_tbPNSt15iterator_traitsISI_E10value_typeEPNSO_ISJ_E10value_typeEPSK_NS1_7vsmem_tEENKUlT_SI_SJ_SK_E_clIPiSD_S10_SD_EESH_SX_SI_SJ_SK_EUlSX_E_NS1_11comp_targetILNS1_3genE0ELNS1_11target_archE4294967295ELNS1_3gpuE0ELNS1_3repE0EEENS1_48merge_mergepath_partition_config_static_selectorELNS0_4arch9wavefront6targetE1EEEvSJ_.has_dyn_sized_stack, 0
	.set _ZN7rocprim17ROCPRIM_400000_NS6detail17trampoline_kernelINS0_14default_configENS1_38merge_sort_block_merge_config_selectorIiiEEZZNS1_27merge_sort_block_merge_implIS3_N6thrust23THRUST_200600_302600_NS6detail15normal_iteratorINS8_10device_ptrIiEEEESD_jNS1_19radix_merge_compareILb1ELb1EiNS0_19identity_decomposerEEEEE10hipError_tT0_T1_T2_jT3_P12ihipStream_tbPNSt15iterator_traitsISI_E10value_typeEPNSO_ISJ_E10value_typeEPSK_NS1_7vsmem_tEENKUlT_SI_SJ_SK_E_clIPiSD_S10_SD_EESH_SX_SI_SJ_SK_EUlSX_E_NS1_11comp_targetILNS1_3genE0ELNS1_11target_archE4294967295ELNS1_3gpuE0ELNS1_3repE0EEENS1_48merge_mergepath_partition_config_static_selectorELNS0_4arch9wavefront6targetE1EEEvSJ_.has_recursion, 0
	.set _ZN7rocprim17ROCPRIM_400000_NS6detail17trampoline_kernelINS0_14default_configENS1_38merge_sort_block_merge_config_selectorIiiEEZZNS1_27merge_sort_block_merge_implIS3_N6thrust23THRUST_200600_302600_NS6detail15normal_iteratorINS8_10device_ptrIiEEEESD_jNS1_19radix_merge_compareILb1ELb1EiNS0_19identity_decomposerEEEEE10hipError_tT0_T1_T2_jT3_P12ihipStream_tbPNSt15iterator_traitsISI_E10value_typeEPNSO_ISJ_E10value_typeEPSK_NS1_7vsmem_tEENKUlT_SI_SJ_SK_E_clIPiSD_S10_SD_EESH_SX_SI_SJ_SK_EUlSX_E_NS1_11comp_targetILNS1_3genE0ELNS1_11target_archE4294967295ELNS1_3gpuE0ELNS1_3repE0EEENS1_48merge_mergepath_partition_config_static_selectorELNS0_4arch9wavefront6targetE1EEEvSJ_.has_indirect_call, 0
	.section	.AMDGPU.csdata,"",@progbits
; Kernel info:
; codeLenInByte = 336
; TotalNumSgprs: 16
; NumVgprs: 17
; NumAgprs: 0
; TotalNumVgprs: 17
; ScratchSize: 0
; MemoryBound: 0
; FloatMode: 240
; IeeeMode: 1
; LDSByteSize: 0 bytes/workgroup (compile time only)
; SGPRBlocks: 1
; VGPRBlocks: 2
; NumSGPRsForWavesPerEU: 16
; NumVGPRsForWavesPerEU: 17
; AccumOffset: 20
; Occupancy: 8
; WaveLimiterHint : 0
; COMPUTE_PGM_RSRC2:SCRATCH_EN: 0
; COMPUTE_PGM_RSRC2:USER_SGPR: 2
; COMPUTE_PGM_RSRC2:TRAP_HANDLER: 0
; COMPUTE_PGM_RSRC2:TGID_X_EN: 1
; COMPUTE_PGM_RSRC2:TGID_Y_EN: 0
; COMPUTE_PGM_RSRC2:TGID_Z_EN: 0
; COMPUTE_PGM_RSRC2:TIDIG_COMP_CNT: 0
; COMPUTE_PGM_RSRC3_GFX90A:ACCUM_OFFSET: 4
; COMPUTE_PGM_RSRC3_GFX90A:TG_SPLIT: 0
	.section	.text._ZN7rocprim17ROCPRIM_400000_NS6detail17trampoline_kernelINS0_14default_configENS1_38merge_sort_block_merge_config_selectorIiiEEZZNS1_27merge_sort_block_merge_implIS3_N6thrust23THRUST_200600_302600_NS6detail15normal_iteratorINS8_10device_ptrIiEEEESD_jNS1_19radix_merge_compareILb1ELb1EiNS0_19identity_decomposerEEEEE10hipError_tT0_T1_T2_jT3_P12ihipStream_tbPNSt15iterator_traitsISI_E10value_typeEPNSO_ISJ_E10value_typeEPSK_NS1_7vsmem_tEENKUlT_SI_SJ_SK_E_clIPiSD_S10_SD_EESH_SX_SI_SJ_SK_EUlSX_E_NS1_11comp_targetILNS1_3genE10ELNS1_11target_archE1201ELNS1_3gpuE5ELNS1_3repE0EEENS1_48merge_mergepath_partition_config_static_selectorELNS0_4arch9wavefront6targetE1EEEvSJ_,"axG",@progbits,_ZN7rocprim17ROCPRIM_400000_NS6detail17trampoline_kernelINS0_14default_configENS1_38merge_sort_block_merge_config_selectorIiiEEZZNS1_27merge_sort_block_merge_implIS3_N6thrust23THRUST_200600_302600_NS6detail15normal_iteratorINS8_10device_ptrIiEEEESD_jNS1_19radix_merge_compareILb1ELb1EiNS0_19identity_decomposerEEEEE10hipError_tT0_T1_T2_jT3_P12ihipStream_tbPNSt15iterator_traitsISI_E10value_typeEPNSO_ISJ_E10value_typeEPSK_NS1_7vsmem_tEENKUlT_SI_SJ_SK_E_clIPiSD_S10_SD_EESH_SX_SI_SJ_SK_EUlSX_E_NS1_11comp_targetILNS1_3genE10ELNS1_11target_archE1201ELNS1_3gpuE5ELNS1_3repE0EEENS1_48merge_mergepath_partition_config_static_selectorELNS0_4arch9wavefront6targetE1EEEvSJ_,comdat
	.protected	_ZN7rocprim17ROCPRIM_400000_NS6detail17trampoline_kernelINS0_14default_configENS1_38merge_sort_block_merge_config_selectorIiiEEZZNS1_27merge_sort_block_merge_implIS3_N6thrust23THRUST_200600_302600_NS6detail15normal_iteratorINS8_10device_ptrIiEEEESD_jNS1_19radix_merge_compareILb1ELb1EiNS0_19identity_decomposerEEEEE10hipError_tT0_T1_T2_jT3_P12ihipStream_tbPNSt15iterator_traitsISI_E10value_typeEPNSO_ISJ_E10value_typeEPSK_NS1_7vsmem_tEENKUlT_SI_SJ_SK_E_clIPiSD_S10_SD_EESH_SX_SI_SJ_SK_EUlSX_E_NS1_11comp_targetILNS1_3genE10ELNS1_11target_archE1201ELNS1_3gpuE5ELNS1_3repE0EEENS1_48merge_mergepath_partition_config_static_selectorELNS0_4arch9wavefront6targetE1EEEvSJ_ ; -- Begin function _ZN7rocprim17ROCPRIM_400000_NS6detail17trampoline_kernelINS0_14default_configENS1_38merge_sort_block_merge_config_selectorIiiEEZZNS1_27merge_sort_block_merge_implIS3_N6thrust23THRUST_200600_302600_NS6detail15normal_iteratorINS8_10device_ptrIiEEEESD_jNS1_19radix_merge_compareILb1ELb1EiNS0_19identity_decomposerEEEEE10hipError_tT0_T1_T2_jT3_P12ihipStream_tbPNSt15iterator_traitsISI_E10value_typeEPNSO_ISJ_E10value_typeEPSK_NS1_7vsmem_tEENKUlT_SI_SJ_SK_E_clIPiSD_S10_SD_EESH_SX_SI_SJ_SK_EUlSX_E_NS1_11comp_targetILNS1_3genE10ELNS1_11target_archE1201ELNS1_3gpuE5ELNS1_3repE0EEENS1_48merge_mergepath_partition_config_static_selectorELNS0_4arch9wavefront6targetE1EEEvSJ_
	.globl	_ZN7rocprim17ROCPRIM_400000_NS6detail17trampoline_kernelINS0_14default_configENS1_38merge_sort_block_merge_config_selectorIiiEEZZNS1_27merge_sort_block_merge_implIS3_N6thrust23THRUST_200600_302600_NS6detail15normal_iteratorINS8_10device_ptrIiEEEESD_jNS1_19radix_merge_compareILb1ELb1EiNS0_19identity_decomposerEEEEE10hipError_tT0_T1_T2_jT3_P12ihipStream_tbPNSt15iterator_traitsISI_E10value_typeEPNSO_ISJ_E10value_typeEPSK_NS1_7vsmem_tEENKUlT_SI_SJ_SK_E_clIPiSD_S10_SD_EESH_SX_SI_SJ_SK_EUlSX_E_NS1_11comp_targetILNS1_3genE10ELNS1_11target_archE1201ELNS1_3gpuE5ELNS1_3repE0EEENS1_48merge_mergepath_partition_config_static_selectorELNS0_4arch9wavefront6targetE1EEEvSJ_
	.p2align	8
	.type	_ZN7rocprim17ROCPRIM_400000_NS6detail17trampoline_kernelINS0_14default_configENS1_38merge_sort_block_merge_config_selectorIiiEEZZNS1_27merge_sort_block_merge_implIS3_N6thrust23THRUST_200600_302600_NS6detail15normal_iteratorINS8_10device_ptrIiEEEESD_jNS1_19radix_merge_compareILb1ELb1EiNS0_19identity_decomposerEEEEE10hipError_tT0_T1_T2_jT3_P12ihipStream_tbPNSt15iterator_traitsISI_E10value_typeEPNSO_ISJ_E10value_typeEPSK_NS1_7vsmem_tEENKUlT_SI_SJ_SK_E_clIPiSD_S10_SD_EESH_SX_SI_SJ_SK_EUlSX_E_NS1_11comp_targetILNS1_3genE10ELNS1_11target_archE1201ELNS1_3gpuE5ELNS1_3repE0EEENS1_48merge_mergepath_partition_config_static_selectorELNS0_4arch9wavefront6targetE1EEEvSJ_,@function
_ZN7rocprim17ROCPRIM_400000_NS6detail17trampoline_kernelINS0_14default_configENS1_38merge_sort_block_merge_config_selectorIiiEEZZNS1_27merge_sort_block_merge_implIS3_N6thrust23THRUST_200600_302600_NS6detail15normal_iteratorINS8_10device_ptrIiEEEESD_jNS1_19radix_merge_compareILb1ELb1EiNS0_19identity_decomposerEEEEE10hipError_tT0_T1_T2_jT3_P12ihipStream_tbPNSt15iterator_traitsISI_E10value_typeEPNSO_ISJ_E10value_typeEPSK_NS1_7vsmem_tEENKUlT_SI_SJ_SK_E_clIPiSD_S10_SD_EESH_SX_SI_SJ_SK_EUlSX_E_NS1_11comp_targetILNS1_3genE10ELNS1_11target_archE1201ELNS1_3gpuE5ELNS1_3repE0EEENS1_48merge_mergepath_partition_config_static_selectorELNS0_4arch9wavefront6targetE1EEEvSJ_: ; @_ZN7rocprim17ROCPRIM_400000_NS6detail17trampoline_kernelINS0_14default_configENS1_38merge_sort_block_merge_config_selectorIiiEEZZNS1_27merge_sort_block_merge_implIS3_N6thrust23THRUST_200600_302600_NS6detail15normal_iteratorINS8_10device_ptrIiEEEESD_jNS1_19radix_merge_compareILb1ELb1EiNS0_19identity_decomposerEEEEE10hipError_tT0_T1_T2_jT3_P12ihipStream_tbPNSt15iterator_traitsISI_E10value_typeEPNSO_ISJ_E10value_typeEPSK_NS1_7vsmem_tEENKUlT_SI_SJ_SK_E_clIPiSD_S10_SD_EESH_SX_SI_SJ_SK_EUlSX_E_NS1_11comp_targetILNS1_3genE10ELNS1_11target_archE1201ELNS1_3gpuE5ELNS1_3repE0EEENS1_48merge_mergepath_partition_config_static_selectorELNS0_4arch9wavefront6targetE1EEEvSJ_
; %bb.0:
	.section	.rodata,"a",@progbits
	.p2align	6, 0x0
	.amdhsa_kernel _ZN7rocprim17ROCPRIM_400000_NS6detail17trampoline_kernelINS0_14default_configENS1_38merge_sort_block_merge_config_selectorIiiEEZZNS1_27merge_sort_block_merge_implIS3_N6thrust23THRUST_200600_302600_NS6detail15normal_iteratorINS8_10device_ptrIiEEEESD_jNS1_19radix_merge_compareILb1ELb1EiNS0_19identity_decomposerEEEEE10hipError_tT0_T1_T2_jT3_P12ihipStream_tbPNSt15iterator_traitsISI_E10value_typeEPNSO_ISJ_E10value_typeEPSK_NS1_7vsmem_tEENKUlT_SI_SJ_SK_E_clIPiSD_S10_SD_EESH_SX_SI_SJ_SK_EUlSX_E_NS1_11comp_targetILNS1_3genE10ELNS1_11target_archE1201ELNS1_3gpuE5ELNS1_3repE0EEENS1_48merge_mergepath_partition_config_static_selectorELNS0_4arch9wavefront6targetE1EEEvSJ_
		.amdhsa_group_segment_fixed_size 0
		.amdhsa_private_segment_fixed_size 0
		.amdhsa_kernarg_size 40
		.amdhsa_user_sgpr_count 2
		.amdhsa_user_sgpr_dispatch_ptr 0
		.amdhsa_user_sgpr_queue_ptr 0
		.amdhsa_user_sgpr_kernarg_segment_ptr 1
		.amdhsa_user_sgpr_dispatch_id 0
		.amdhsa_user_sgpr_kernarg_preload_length 0
		.amdhsa_user_sgpr_kernarg_preload_offset 0
		.amdhsa_user_sgpr_private_segment_size 0
		.amdhsa_uses_dynamic_stack 0
		.amdhsa_enable_private_segment 0
		.amdhsa_system_sgpr_workgroup_id_x 1
		.amdhsa_system_sgpr_workgroup_id_y 0
		.amdhsa_system_sgpr_workgroup_id_z 0
		.amdhsa_system_sgpr_workgroup_info 0
		.amdhsa_system_vgpr_workitem_id 0
		.amdhsa_next_free_vgpr 1
		.amdhsa_next_free_sgpr 0
		.amdhsa_accum_offset 4
		.amdhsa_reserve_vcc 0
		.amdhsa_float_round_mode_32 0
		.amdhsa_float_round_mode_16_64 0
		.amdhsa_float_denorm_mode_32 3
		.amdhsa_float_denorm_mode_16_64 3
		.amdhsa_dx10_clamp 1
		.amdhsa_ieee_mode 1
		.amdhsa_fp16_overflow 0
		.amdhsa_tg_split 0
		.amdhsa_exception_fp_ieee_invalid_op 0
		.amdhsa_exception_fp_denorm_src 0
		.amdhsa_exception_fp_ieee_div_zero 0
		.amdhsa_exception_fp_ieee_overflow 0
		.amdhsa_exception_fp_ieee_underflow 0
		.amdhsa_exception_fp_ieee_inexact 0
		.amdhsa_exception_int_div_zero 0
	.end_amdhsa_kernel
	.section	.text._ZN7rocprim17ROCPRIM_400000_NS6detail17trampoline_kernelINS0_14default_configENS1_38merge_sort_block_merge_config_selectorIiiEEZZNS1_27merge_sort_block_merge_implIS3_N6thrust23THRUST_200600_302600_NS6detail15normal_iteratorINS8_10device_ptrIiEEEESD_jNS1_19radix_merge_compareILb1ELb1EiNS0_19identity_decomposerEEEEE10hipError_tT0_T1_T2_jT3_P12ihipStream_tbPNSt15iterator_traitsISI_E10value_typeEPNSO_ISJ_E10value_typeEPSK_NS1_7vsmem_tEENKUlT_SI_SJ_SK_E_clIPiSD_S10_SD_EESH_SX_SI_SJ_SK_EUlSX_E_NS1_11comp_targetILNS1_3genE10ELNS1_11target_archE1201ELNS1_3gpuE5ELNS1_3repE0EEENS1_48merge_mergepath_partition_config_static_selectorELNS0_4arch9wavefront6targetE1EEEvSJ_,"axG",@progbits,_ZN7rocprim17ROCPRIM_400000_NS6detail17trampoline_kernelINS0_14default_configENS1_38merge_sort_block_merge_config_selectorIiiEEZZNS1_27merge_sort_block_merge_implIS3_N6thrust23THRUST_200600_302600_NS6detail15normal_iteratorINS8_10device_ptrIiEEEESD_jNS1_19radix_merge_compareILb1ELb1EiNS0_19identity_decomposerEEEEE10hipError_tT0_T1_T2_jT3_P12ihipStream_tbPNSt15iterator_traitsISI_E10value_typeEPNSO_ISJ_E10value_typeEPSK_NS1_7vsmem_tEENKUlT_SI_SJ_SK_E_clIPiSD_S10_SD_EESH_SX_SI_SJ_SK_EUlSX_E_NS1_11comp_targetILNS1_3genE10ELNS1_11target_archE1201ELNS1_3gpuE5ELNS1_3repE0EEENS1_48merge_mergepath_partition_config_static_selectorELNS0_4arch9wavefront6targetE1EEEvSJ_,comdat
.Lfunc_end934:
	.size	_ZN7rocprim17ROCPRIM_400000_NS6detail17trampoline_kernelINS0_14default_configENS1_38merge_sort_block_merge_config_selectorIiiEEZZNS1_27merge_sort_block_merge_implIS3_N6thrust23THRUST_200600_302600_NS6detail15normal_iteratorINS8_10device_ptrIiEEEESD_jNS1_19radix_merge_compareILb1ELb1EiNS0_19identity_decomposerEEEEE10hipError_tT0_T1_T2_jT3_P12ihipStream_tbPNSt15iterator_traitsISI_E10value_typeEPNSO_ISJ_E10value_typeEPSK_NS1_7vsmem_tEENKUlT_SI_SJ_SK_E_clIPiSD_S10_SD_EESH_SX_SI_SJ_SK_EUlSX_E_NS1_11comp_targetILNS1_3genE10ELNS1_11target_archE1201ELNS1_3gpuE5ELNS1_3repE0EEENS1_48merge_mergepath_partition_config_static_selectorELNS0_4arch9wavefront6targetE1EEEvSJ_, .Lfunc_end934-_ZN7rocprim17ROCPRIM_400000_NS6detail17trampoline_kernelINS0_14default_configENS1_38merge_sort_block_merge_config_selectorIiiEEZZNS1_27merge_sort_block_merge_implIS3_N6thrust23THRUST_200600_302600_NS6detail15normal_iteratorINS8_10device_ptrIiEEEESD_jNS1_19radix_merge_compareILb1ELb1EiNS0_19identity_decomposerEEEEE10hipError_tT0_T1_T2_jT3_P12ihipStream_tbPNSt15iterator_traitsISI_E10value_typeEPNSO_ISJ_E10value_typeEPSK_NS1_7vsmem_tEENKUlT_SI_SJ_SK_E_clIPiSD_S10_SD_EESH_SX_SI_SJ_SK_EUlSX_E_NS1_11comp_targetILNS1_3genE10ELNS1_11target_archE1201ELNS1_3gpuE5ELNS1_3repE0EEENS1_48merge_mergepath_partition_config_static_selectorELNS0_4arch9wavefront6targetE1EEEvSJ_
                                        ; -- End function
	.set _ZN7rocprim17ROCPRIM_400000_NS6detail17trampoline_kernelINS0_14default_configENS1_38merge_sort_block_merge_config_selectorIiiEEZZNS1_27merge_sort_block_merge_implIS3_N6thrust23THRUST_200600_302600_NS6detail15normal_iteratorINS8_10device_ptrIiEEEESD_jNS1_19radix_merge_compareILb1ELb1EiNS0_19identity_decomposerEEEEE10hipError_tT0_T1_T2_jT3_P12ihipStream_tbPNSt15iterator_traitsISI_E10value_typeEPNSO_ISJ_E10value_typeEPSK_NS1_7vsmem_tEENKUlT_SI_SJ_SK_E_clIPiSD_S10_SD_EESH_SX_SI_SJ_SK_EUlSX_E_NS1_11comp_targetILNS1_3genE10ELNS1_11target_archE1201ELNS1_3gpuE5ELNS1_3repE0EEENS1_48merge_mergepath_partition_config_static_selectorELNS0_4arch9wavefront6targetE1EEEvSJ_.num_vgpr, 0
	.set _ZN7rocprim17ROCPRIM_400000_NS6detail17trampoline_kernelINS0_14default_configENS1_38merge_sort_block_merge_config_selectorIiiEEZZNS1_27merge_sort_block_merge_implIS3_N6thrust23THRUST_200600_302600_NS6detail15normal_iteratorINS8_10device_ptrIiEEEESD_jNS1_19radix_merge_compareILb1ELb1EiNS0_19identity_decomposerEEEEE10hipError_tT0_T1_T2_jT3_P12ihipStream_tbPNSt15iterator_traitsISI_E10value_typeEPNSO_ISJ_E10value_typeEPSK_NS1_7vsmem_tEENKUlT_SI_SJ_SK_E_clIPiSD_S10_SD_EESH_SX_SI_SJ_SK_EUlSX_E_NS1_11comp_targetILNS1_3genE10ELNS1_11target_archE1201ELNS1_3gpuE5ELNS1_3repE0EEENS1_48merge_mergepath_partition_config_static_selectorELNS0_4arch9wavefront6targetE1EEEvSJ_.num_agpr, 0
	.set _ZN7rocprim17ROCPRIM_400000_NS6detail17trampoline_kernelINS0_14default_configENS1_38merge_sort_block_merge_config_selectorIiiEEZZNS1_27merge_sort_block_merge_implIS3_N6thrust23THRUST_200600_302600_NS6detail15normal_iteratorINS8_10device_ptrIiEEEESD_jNS1_19radix_merge_compareILb1ELb1EiNS0_19identity_decomposerEEEEE10hipError_tT0_T1_T2_jT3_P12ihipStream_tbPNSt15iterator_traitsISI_E10value_typeEPNSO_ISJ_E10value_typeEPSK_NS1_7vsmem_tEENKUlT_SI_SJ_SK_E_clIPiSD_S10_SD_EESH_SX_SI_SJ_SK_EUlSX_E_NS1_11comp_targetILNS1_3genE10ELNS1_11target_archE1201ELNS1_3gpuE5ELNS1_3repE0EEENS1_48merge_mergepath_partition_config_static_selectorELNS0_4arch9wavefront6targetE1EEEvSJ_.numbered_sgpr, 0
	.set _ZN7rocprim17ROCPRIM_400000_NS6detail17trampoline_kernelINS0_14default_configENS1_38merge_sort_block_merge_config_selectorIiiEEZZNS1_27merge_sort_block_merge_implIS3_N6thrust23THRUST_200600_302600_NS6detail15normal_iteratorINS8_10device_ptrIiEEEESD_jNS1_19radix_merge_compareILb1ELb1EiNS0_19identity_decomposerEEEEE10hipError_tT0_T1_T2_jT3_P12ihipStream_tbPNSt15iterator_traitsISI_E10value_typeEPNSO_ISJ_E10value_typeEPSK_NS1_7vsmem_tEENKUlT_SI_SJ_SK_E_clIPiSD_S10_SD_EESH_SX_SI_SJ_SK_EUlSX_E_NS1_11comp_targetILNS1_3genE10ELNS1_11target_archE1201ELNS1_3gpuE5ELNS1_3repE0EEENS1_48merge_mergepath_partition_config_static_selectorELNS0_4arch9wavefront6targetE1EEEvSJ_.num_named_barrier, 0
	.set _ZN7rocprim17ROCPRIM_400000_NS6detail17trampoline_kernelINS0_14default_configENS1_38merge_sort_block_merge_config_selectorIiiEEZZNS1_27merge_sort_block_merge_implIS3_N6thrust23THRUST_200600_302600_NS6detail15normal_iteratorINS8_10device_ptrIiEEEESD_jNS1_19radix_merge_compareILb1ELb1EiNS0_19identity_decomposerEEEEE10hipError_tT0_T1_T2_jT3_P12ihipStream_tbPNSt15iterator_traitsISI_E10value_typeEPNSO_ISJ_E10value_typeEPSK_NS1_7vsmem_tEENKUlT_SI_SJ_SK_E_clIPiSD_S10_SD_EESH_SX_SI_SJ_SK_EUlSX_E_NS1_11comp_targetILNS1_3genE10ELNS1_11target_archE1201ELNS1_3gpuE5ELNS1_3repE0EEENS1_48merge_mergepath_partition_config_static_selectorELNS0_4arch9wavefront6targetE1EEEvSJ_.private_seg_size, 0
	.set _ZN7rocprim17ROCPRIM_400000_NS6detail17trampoline_kernelINS0_14default_configENS1_38merge_sort_block_merge_config_selectorIiiEEZZNS1_27merge_sort_block_merge_implIS3_N6thrust23THRUST_200600_302600_NS6detail15normal_iteratorINS8_10device_ptrIiEEEESD_jNS1_19radix_merge_compareILb1ELb1EiNS0_19identity_decomposerEEEEE10hipError_tT0_T1_T2_jT3_P12ihipStream_tbPNSt15iterator_traitsISI_E10value_typeEPNSO_ISJ_E10value_typeEPSK_NS1_7vsmem_tEENKUlT_SI_SJ_SK_E_clIPiSD_S10_SD_EESH_SX_SI_SJ_SK_EUlSX_E_NS1_11comp_targetILNS1_3genE10ELNS1_11target_archE1201ELNS1_3gpuE5ELNS1_3repE0EEENS1_48merge_mergepath_partition_config_static_selectorELNS0_4arch9wavefront6targetE1EEEvSJ_.uses_vcc, 0
	.set _ZN7rocprim17ROCPRIM_400000_NS6detail17trampoline_kernelINS0_14default_configENS1_38merge_sort_block_merge_config_selectorIiiEEZZNS1_27merge_sort_block_merge_implIS3_N6thrust23THRUST_200600_302600_NS6detail15normal_iteratorINS8_10device_ptrIiEEEESD_jNS1_19radix_merge_compareILb1ELb1EiNS0_19identity_decomposerEEEEE10hipError_tT0_T1_T2_jT3_P12ihipStream_tbPNSt15iterator_traitsISI_E10value_typeEPNSO_ISJ_E10value_typeEPSK_NS1_7vsmem_tEENKUlT_SI_SJ_SK_E_clIPiSD_S10_SD_EESH_SX_SI_SJ_SK_EUlSX_E_NS1_11comp_targetILNS1_3genE10ELNS1_11target_archE1201ELNS1_3gpuE5ELNS1_3repE0EEENS1_48merge_mergepath_partition_config_static_selectorELNS0_4arch9wavefront6targetE1EEEvSJ_.uses_flat_scratch, 0
	.set _ZN7rocprim17ROCPRIM_400000_NS6detail17trampoline_kernelINS0_14default_configENS1_38merge_sort_block_merge_config_selectorIiiEEZZNS1_27merge_sort_block_merge_implIS3_N6thrust23THRUST_200600_302600_NS6detail15normal_iteratorINS8_10device_ptrIiEEEESD_jNS1_19radix_merge_compareILb1ELb1EiNS0_19identity_decomposerEEEEE10hipError_tT0_T1_T2_jT3_P12ihipStream_tbPNSt15iterator_traitsISI_E10value_typeEPNSO_ISJ_E10value_typeEPSK_NS1_7vsmem_tEENKUlT_SI_SJ_SK_E_clIPiSD_S10_SD_EESH_SX_SI_SJ_SK_EUlSX_E_NS1_11comp_targetILNS1_3genE10ELNS1_11target_archE1201ELNS1_3gpuE5ELNS1_3repE0EEENS1_48merge_mergepath_partition_config_static_selectorELNS0_4arch9wavefront6targetE1EEEvSJ_.has_dyn_sized_stack, 0
	.set _ZN7rocprim17ROCPRIM_400000_NS6detail17trampoline_kernelINS0_14default_configENS1_38merge_sort_block_merge_config_selectorIiiEEZZNS1_27merge_sort_block_merge_implIS3_N6thrust23THRUST_200600_302600_NS6detail15normal_iteratorINS8_10device_ptrIiEEEESD_jNS1_19radix_merge_compareILb1ELb1EiNS0_19identity_decomposerEEEEE10hipError_tT0_T1_T2_jT3_P12ihipStream_tbPNSt15iterator_traitsISI_E10value_typeEPNSO_ISJ_E10value_typeEPSK_NS1_7vsmem_tEENKUlT_SI_SJ_SK_E_clIPiSD_S10_SD_EESH_SX_SI_SJ_SK_EUlSX_E_NS1_11comp_targetILNS1_3genE10ELNS1_11target_archE1201ELNS1_3gpuE5ELNS1_3repE0EEENS1_48merge_mergepath_partition_config_static_selectorELNS0_4arch9wavefront6targetE1EEEvSJ_.has_recursion, 0
	.set _ZN7rocprim17ROCPRIM_400000_NS6detail17trampoline_kernelINS0_14default_configENS1_38merge_sort_block_merge_config_selectorIiiEEZZNS1_27merge_sort_block_merge_implIS3_N6thrust23THRUST_200600_302600_NS6detail15normal_iteratorINS8_10device_ptrIiEEEESD_jNS1_19radix_merge_compareILb1ELb1EiNS0_19identity_decomposerEEEEE10hipError_tT0_T1_T2_jT3_P12ihipStream_tbPNSt15iterator_traitsISI_E10value_typeEPNSO_ISJ_E10value_typeEPSK_NS1_7vsmem_tEENKUlT_SI_SJ_SK_E_clIPiSD_S10_SD_EESH_SX_SI_SJ_SK_EUlSX_E_NS1_11comp_targetILNS1_3genE10ELNS1_11target_archE1201ELNS1_3gpuE5ELNS1_3repE0EEENS1_48merge_mergepath_partition_config_static_selectorELNS0_4arch9wavefront6targetE1EEEvSJ_.has_indirect_call, 0
	.section	.AMDGPU.csdata,"",@progbits
; Kernel info:
; codeLenInByte = 0
; TotalNumSgprs: 6
; NumVgprs: 0
; NumAgprs: 0
; TotalNumVgprs: 0
; ScratchSize: 0
; MemoryBound: 0
; FloatMode: 240
; IeeeMode: 1
; LDSByteSize: 0 bytes/workgroup (compile time only)
; SGPRBlocks: 0
; VGPRBlocks: 0
; NumSGPRsForWavesPerEU: 6
; NumVGPRsForWavesPerEU: 1
; AccumOffset: 4
; Occupancy: 8
; WaveLimiterHint : 0
; COMPUTE_PGM_RSRC2:SCRATCH_EN: 0
; COMPUTE_PGM_RSRC2:USER_SGPR: 2
; COMPUTE_PGM_RSRC2:TRAP_HANDLER: 0
; COMPUTE_PGM_RSRC2:TGID_X_EN: 1
; COMPUTE_PGM_RSRC2:TGID_Y_EN: 0
; COMPUTE_PGM_RSRC2:TGID_Z_EN: 0
; COMPUTE_PGM_RSRC2:TIDIG_COMP_CNT: 0
; COMPUTE_PGM_RSRC3_GFX90A:ACCUM_OFFSET: 0
; COMPUTE_PGM_RSRC3_GFX90A:TG_SPLIT: 0
	.section	.text._ZN7rocprim17ROCPRIM_400000_NS6detail17trampoline_kernelINS0_14default_configENS1_38merge_sort_block_merge_config_selectorIiiEEZZNS1_27merge_sort_block_merge_implIS3_N6thrust23THRUST_200600_302600_NS6detail15normal_iteratorINS8_10device_ptrIiEEEESD_jNS1_19radix_merge_compareILb1ELb1EiNS0_19identity_decomposerEEEEE10hipError_tT0_T1_T2_jT3_P12ihipStream_tbPNSt15iterator_traitsISI_E10value_typeEPNSO_ISJ_E10value_typeEPSK_NS1_7vsmem_tEENKUlT_SI_SJ_SK_E_clIPiSD_S10_SD_EESH_SX_SI_SJ_SK_EUlSX_E_NS1_11comp_targetILNS1_3genE5ELNS1_11target_archE942ELNS1_3gpuE9ELNS1_3repE0EEENS1_48merge_mergepath_partition_config_static_selectorELNS0_4arch9wavefront6targetE1EEEvSJ_,"axG",@progbits,_ZN7rocprim17ROCPRIM_400000_NS6detail17trampoline_kernelINS0_14default_configENS1_38merge_sort_block_merge_config_selectorIiiEEZZNS1_27merge_sort_block_merge_implIS3_N6thrust23THRUST_200600_302600_NS6detail15normal_iteratorINS8_10device_ptrIiEEEESD_jNS1_19radix_merge_compareILb1ELb1EiNS0_19identity_decomposerEEEEE10hipError_tT0_T1_T2_jT3_P12ihipStream_tbPNSt15iterator_traitsISI_E10value_typeEPNSO_ISJ_E10value_typeEPSK_NS1_7vsmem_tEENKUlT_SI_SJ_SK_E_clIPiSD_S10_SD_EESH_SX_SI_SJ_SK_EUlSX_E_NS1_11comp_targetILNS1_3genE5ELNS1_11target_archE942ELNS1_3gpuE9ELNS1_3repE0EEENS1_48merge_mergepath_partition_config_static_selectorELNS0_4arch9wavefront6targetE1EEEvSJ_,comdat
	.protected	_ZN7rocprim17ROCPRIM_400000_NS6detail17trampoline_kernelINS0_14default_configENS1_38merge_sort_block_merge_config_selectorIiiEEZZNS1_27merge_sort_block_merge_implIS3_N6thrust23THRUST_200600_302600_NS6detail15normal_iteratorINS8_10device_ptrIiEEEESD_jNS1_19radix_merge_compareILb1ELb1EiNS0_19identity_decomposerEEEEE10hipError_tT0_T1_T2_jT3_P12ihipStream_tbPNSt15iterator_traitsISI_E10value_typeEPNSO_ISJ_E10value_typeEPSK_NS1_7vsmem_tEENKUlT_SI_SJ_SK_E_clIPiSD_S10_SD_EESH_SX_SI_SJ_SK_EUlSX_E_NS1_11comp_targetILNS1_3genE5ELNS1_11target_archE942ELNS1_3gpuE9ELNS1_3repE0EEENS1_48merge_mergepath_partition_config_static_selectorELNS0_4arch9wavefront6targetE1EEEvSJ_ ; -- Begin function _ZN7rocprim17ROCPRIM_400000_NS6detail17trampoline_kernelINS0_14default_configENS1_38merge_sort_block_merge_config_selectorIiiEEZZNS1_27merge_sort_block_merge_implIS3_N6thrust23THRUST_200600_302600_NS6detail15normal_iteratorINS8_10device_ptrIiEEEESD_jNS1_19radix_merge_compareILb1ELb1EiNS0_19identity_decomposerEEEEE10hipError_tT0_T1_T2_jT3_P12ihipStream_tbPNSt15iterator_traitsISI_E10value_typeEPNSO_ISJ_E10value_typeEPSK_NS1_7vsmem_tEENKUlT_SI_SJ_SK_E_clIPiSD_S10_SD_EESH_SX_SI_SJ_SK_EUlSX_E_NS1_11comp_targetILNS1_3genE5ELNS1_11target_archE942ELNS1_3gpuE9ELNS1_3repE0EEENS1_48merge_mergepath_partition_config_static_selectorELNS0_4arch9wavefront6targetE1EEEvSJ_
	.globl	_ZN7rocprim17ROCPRIM_400000_NS6detail17trampoline_kernelINS0_14default_configENS1_38merge_sort_block_merge_config_selectorIiiEEZZNS1_27merge_sort_block_merge_implIS3_N6thrust23THRUST_200600_302600_NS6detail15normal_iteratorINS8_10device_ptrIiEEEESD_jNS1_19radix_merge_compareILb1ELb1EiNS0_19identity_decomposerEEEEE10hipError_tT0_T1_T2_jT3_P12ihipStream_tbPNSt15iterator_traitsISI_E10value_typeEPNSO_ISJ_E10value_typeEPSK_NS1_7vsmem_tEENKUlT_SI_SJ_SK_E_clIPiSD_S10_SD_EESH_SX_SI_SJ_SK_EUlSX_E_NS1_11comp_targetILNS1_3genE5ELNS1_11target_archE942ELNS1_3gpuE9ELNS1_3repE0EEENS1_48merge_mergepath_partition_config_static_selectorELNS0_4arch9wavefront6targetE1EEEvSJ_
	.p2align	8
	.type	_ZN7rocprim17ROCPRIM_400000_NS6detail17trampoline_kernelINS0_14default_configENS1_38merge_sort_block_merge_config_selectorIiiEEZZNS1_27merge_sort_block_merge_implIS3_N6thrust23THRUST_200600_302600_NS6detail15normal_iteratorINS8_10device_ptrIiEEEESD_jNS1_19radix_merge_compareILb1ELb1EiNS0_19identity_decomposerEEEEE10hipError_tT0_T1_T2_jT3_P12ihipStream_tbPNSt15iterator_traitsISI_E10value_typeEPNSO_ISJ_E10value_typeEPSK_NS1_7vsmem_tEENKUlT_SI_SJ_SK_E_clIPiSD_S10_SD_EESH_SX_SI_SJ_SK_EUlSX_E_NS1_11comp_targetILNS1_3genE5ELNS1_11target_archE942ELNS1_3gpuE9ELNS1_3repE0EEENS1_48merge_mergepath_partition_config_static_selectorELNS0_4arch9wavefront6targetE1EEEvSJ_,@function
_ZN7rocprim17ROCPRIM_400000_NS6detail17trampoline_kernelINS0_14default_configENS1_38merge_sort_block_merge_config_selectorIiiEEZZNS1_27merge_sort_block_merge_implIS3_N6thrust23THRUST_200600_302600_NS6detail15normal_iteratorINS8_10device_ptrIiEEEESD_jNS1_19radix_merge_compareILb1ELb1EiNS0_19identity_decomposerEEEEE10hipError_tT0_T1_T2_jT3_P12ihipStream_tbPNSt15iterator_traitsISI_E10value_typeEPNSO_ISJ_E10value_typeEPSK_NS1_7vsmem_tEENKUlT_SI_SJ_SK_E_clIPiSD_S10_SD_EESH_SX_SI_SJ_SK_EUlSX_E_NS1_11comp_targetILNS1_3genE5ELNS1_11target_archE942ELNS1_3gpuE9ELNS1_3repE0EEENS1_48merge_mergepath_partition_config_static_selectorELNS0_4arch9wavefront6targetE1EEEvSJ_: ; @_ZN7rocprim17ROCPRIM_400000_NS6detail17trampoline_kernelINS0_14default_configENS1_38merge_sort_block_merge_config_selectorIiiEEZZNS1_27merge_sort_block_merge_implIS3_N6thrust23THRUST_200600_302600_NS6detail15normal_iteratorINS8_10device_ptrIiEEEESD_jNS1_19radix_merge_compareILb1ELb1EiNS0_19identity_decomposerEEEEE10hipError_tT0_T1_T2_jT3_P12ihipStream_tbPNSt15iterator_traitsISI_E10value_typeEPNSO_ISJ_E10value_typeEPSK_NS1_7vsmem_tEENKUlT_SI_SJ_SK_E_clIPiSD_S10_SD_EESH_SX_SI_SJ_SK_EUlSX_E_NS1_11comp_targetILNS1_3genE5ELNS1_11target_archE942ELNS1_3gpuE9ELNS1_3repE0EEENS1_48merge_mergepath_partition_config_static_selectorELNS0_4arch9wavefront6targetE1EEEvSJ_
; %bb.0:
	.section	.rodata,"a",@progbits
	.p2align	6, 0x0
	.amdhsa_kernel _ZN7rocprim17ROCPRIM_400000_NS6detail17trampoline_kernelINS0_14default_configENS1_38merge_sort_block_merge_config_selectorIiiEEZZNS1_27merge_sort_block_merge_implIS3_N6thrust23THRUST_200600_302600_NS6detail15normal_iteratorINS8_10device_ptrIiEEEESD_jNS1_19radix_merge_compareILb1ELb1EiNS0_19identity_decomposerEEEEE10hipError_tT0_T1_T2_jT3_P12ihipStream_tbPNSt15iterator_traitsISI_E10value_typeEPNSO_ISJ_E10value_typeEPSK_NS1_7vsmem_tEENKUlT_SI_SJ_SK_E_clIPiSD_S10_SD_EESH_SX_SI_SJ_SK_EUlSX_E_NS1_11comp_targetILNS1_3genE5ELNS1_11target_archE942ELNS1_3gpuE9ELNS1_3repE0EEENS1_48merge_mergepath_partition_config_static_selectorELNS0_4arch9wavefront6targetE1EEEvSJ_
		.amdhsa_group_segment_fixed_size 0
		.amdhsa_private_segment_fixed_size 0
		.amdhsa_kernarg_size 40
		.amdhsa_user_sgpr_count 2
		.amdhsa_user_sgpr_dispatch_ptr 0
		.amdhsa_user_sgpr_queue_ptr 0
		.amdhsa_user_sgpr_kernarg_segment_ptr 1
		.amdhsa_user_sgpr_dispatch_id 0
		.amdhsa_user_sgpr_kernarg_preload_length 0
		.amdhsa_user_sgpr_kernarg_preload_offset 0
		.amdhsa_user_sgpr_private_segment_size 0
		.amdhsa_uses_dynamic_stack 0
		.amdhsa_enable_private_segment 0
		.amdhsa_system_sgpr_workgroup_id_x 1
		.amdhsa_system_sgpr_workgroup_id_y 0
		.amdhsa_system_sgpr_workgroup_id_z 0
		.amdhsa_system_sgpr_workgroup_info 0
		.amdhsa_system_vgpr_workitem_id 0
		.amdhsa_next_free_vgpr 1
		.amdhsa_next_free_sgpr 0
		.amdhsa_accum_offset 4
		.amdhsa_reserve_vcc 0
		.amdhsa_float_round_mode_32 0
		.amdhsa_float_round_mode_16_64 0
		.amdhsa_float_denorm_mode_32 3
		.amdhsa_float_denorm_mode_16_64 3
		.amdhsa_dx10_clamp 1
		.amdhsa_ieee_mode 1
		.amdhsa_fp16_overflow 0
		.amdhsa_tg_split 0
		.amdhsa_exception_fp_ieee_invalid_op 0
		.amdhsa_exception_fp_denorm_src 0
		.amdhsa_exception_fp_ieee_div_zero 0
		.amdhsa_exception_fp_ieee_overflow 0
		.amdhsa_exception_fp_ieee_underflow 0
		.amdhsa_exception_fp_ieee_inexact 0
		.amdhsa_exception_int_div_zero 0
	.end_amdhsa_kernel
	.section	.text._ZN7rocprim17ROCPRIM_400000_NS6detail17trampoline_kernelINS0_14default_configENS1_38merge_sort_block_merge_config_selectorIiiEEZZNS1_27merge_sort_block_merge_implIS3_N6thrust23THRUST_200600_302600_NS6detail15normal_iteratorINS8_10device_ptrIiEEEESD_jNS1_19radix_merge_compareILb1ELb1EiNS0_19identity_decomposerEEEEE10hipError_tT0_T1_T2_jT3_P12ihipStream_tbPNSt15iterator_traitsISI_E10value_typeEPNSO_ISJ_E10value_typeEPSK_NS1_7vsmem_tEENKUlT_SI_SJ_SK_E_clIPiSD_S10_SD_EESH_SX_SI_SJ_SK_EUlSX_E_NS1_11comp_targetILNS1_3genE5ELNS1_11target_archE942ELNS1_3gpuE9ELNS1_3repE0EEENS1_48merge_mergepath_partition_config_static_selectorELNS0_4arch9wavefront6targetE1EEEvSJ_,"axG",@progbits,_ZN7rocprim17ROCPRIM_400000_NS6detail17trampoline_kernelINS0_14default_configENS1_38merge_sort_block_merge_config_selectorIiiEEZZNS1_27merge_sort_block_merge_implIS3_N6thrust23THRUST_200600_302600_NS6detail15normal_iteratorINS8_10device_ptrIiEEEESD_jNS1_19radix_merge_compareILb1ELb1EiNS0_19identity_decomposerEEEEE10hipError_tT0_T1_T2_jT3_P12ihipStream_tbPNSt15iterator_traitsISI_E10value_typeEPNSO_ISJ_E10value_typeEPSK_NS1_7vsmem_tEENKUlT_SI_SJ_SK_E_clIPiSD_S10_SD_EESH_SX_SI_SJ_SK_EUlSX_E_NS1_11comp_targetILNS1_3genE5ELNS1_11target_archE942ELNS1_3gpuE9ELNS1_3repE0EEENS1_48merge_mergepath_partition_config_static_selectorELNS0_4arch9wavefront6targetE1EEEvSJ_,comdat
.Lfunc_end935:
	.size	_ZN7rocprim17ROCPRIM_400000_NS6detail17trampoline_kernelINS0_14default_configENS1_38merge_sort_block_merge_config_selectorIiiEEZZNS1_27merge_sort_block_merge_implIS3_N6thrust23THRUST_200600_302600_NS6detail15normal_iteratorINS8_10device_ptrIiEEEESD_jNS1_19radix_merge_compareILb1ELb1EiNS0_19identity_decomposerEEEEE10hipError_tT0_T1_T2_jT3_P12ihipStream_tbPNSt15iterator_traitsISI_E10value_typeEPNSO_ISJ_E10value_typeEPSK_NS1_7vsmem_tEENKUlT_SI_SJ_SK_E_clIPiSD_S10_SD_EESH_SX_SI_SJ_SK_EUlSX_E_NS1_11comp_targetILNS1_3genE5ELNS1_11target_archE942ELNS1_3gpuE9ELNS1_3repE0EEENS1_48merge_mergepath_partition_config_static_selectorELNS0_4arch9wavefront6targetE1EEEvSJ_, .Lfunc_end935-_ZN7rocprim17ROCPRIM_400000_NS6detail17trampoline_kernelINS0_14default_configENS1_38merge_sort_block_merge_config_selectorIiiEEZZNS1_27merge_sort_block_merge_implIS3_N6thrust23THRUST_200600_302600_NS6detail15normal_iteratorINS8_10device_ptrIiEEEESD_jNS1_19radix_merge_compareILb1ELb1EiNS0_19identity_decomposerEEEEE10hipError_tT0_T1_T2_jT3_P12ihipStream_tbPNSt15iterator_traitsISI_E10value_typeEPNSO_ISJ_E10value_typeEPSK_NS1_7vsmem_tEENKUlT_SI_SJ_SK_E_clIPiSD_S10_SD_EESH_SX_SI_SJ_SK_EUlSX_E_NS1_11comp_targetILNS1_3genE5ELNS1_11target_archE942ELNS1_3gpuE9ELNS1_3repE0EEENS1_48merge_mergepath_partition_config_static_selectorELNS0_4arch9wavefront6targetE1EEEvSJ_
                                        ; -- End function
	.set _ZN7rocprim17ROCPRIM_400000_NS6detail17trampoline_kernelINS0_14default_configENS1_38merge_sort_block_merge_config_selectorIiiEEZZNS1_27merge_sort_block_merge_implIS3_N6thrust23THRUST_200600_302600_NS6detail15normal_iteratorINS8_10device_ptrIiEEEESD_jNS1_19radix_merge_compareILb1ELb1EiNS0_19identity_decomposerEEEEE10hipError_tT0_T1_T2_jT3_P12ihipStream_tbPNSt15iterator_traitsISI_E10value_typeEPNSO_ISJ_E10value_typeEPSK_NS1_7vsmem_tEENKUlT_SI_SJ_SK_E_clIPiSD_S10_SD_EESH_SX_SI_SJ_SK_EUlSX_E_NS1_11comp_targetILNS1_3genE5ELNS1_11target_archE942ELNS1_3gpuE9ELNS1_3repE0EEENS1_48merge_mergepath_partition_config_static_selectorELNS0_4arch9wavefront6targetE1EEEvSJ_.num_vgpr, 0
	.set _ZN7rocprim17ROCPRIM_400000_NS6detail17trampoline_kernelINS0_14default_configENS1_38merge_sort_block_merge_config_selectorIiiEEZZNS1_27merge_sort_block_merge_implIS3_N6thrust23THRUST_200600_302600_NS6detail15normal_iteratorINS8_10device_ptrIiEEEESD_jNS1_19radix_merge_compareILb1ELb1EiNS0_19identity_decomposerEEEEE10hipError_tT0_T1_T2_jT3_P12ihipStream_tbPNSt15iterator_traitsISI_E10value_typeEPNSO_ISJ_E10value_typeEPSK_NS1_7vsmem_tEENKUlT_SI_SJ_SK_E_clIPiSD_S10_SD_EESH_SX_SI_SJ_SK_EUlSX_E_NS1_11comp_targetILNS1_3genE5ELNS1_11target_archE942ELNS1_3gpuE9ELNS1_3repE0EEENS1_48merge_mergepath_partition_config_static_selectorELNS0_4arch9wavefront6targetE1EEEvSJ_.num_agpr, 0
	.set _ZN7rocprim17ROCPRIM_400000_NS6detail17trampoline_kernelINS0_14default_configENS1_38merge_sort_block_merge_config_selectorIiiEEZZNS1_27merge_sort_block_merge_implIS3_N6thrust23THRUST_200600_302600_NS6detail15normal_iteratorINS8_10device_ptrIiEEEESD_jNS1_19radix_merge_compareILb1ELb1EiNS0_19identity_decomposerEEEEE10hipError_tT0_T1_T2_jT3_P12ihipStream_tbPNSt15iterator_traitsISI_E10value_typeEPNSO_ISJ_E10value_typeEPSK_NS1_7vsmem_tEENKUlT_SI_SJ_SK_E_clIPiSD_S10_SD_EESH_SX_SI_SJ_SK_EUlSX_E_NS1_11comp_targetILNS1_3genE5ELNS1_11target_archE942ELNS1_3gpuE9ELNS1_3repE0EEENS1_48merge_mergepath_partition_config_static_selectorELNS0_4arch9wavefront6targetE1EEEvSJ_.numbered_sgpr, 0
	.set _ZN7rocprim17ROCPRIM_400000_NS6detail17trampoline_kernelINS0_14default_configENS1_38merge_sort_block_merge_config_selectorIiiEEZZNS1_27merge_sort_block_merge_implIS3_N6thrust23THRUST_200600_302600_NS6detail15normal_iteratorINS8_10device_ptrIiEEEESD_jNS1_19radix_merge_compareILb1ELb1EiNS0_19identity_decomposerEEEEE10hipError_tT0_T1_T2_jT3_P12ihipStream_tbPNSt15iterator_traitsISI_E10value_typeEPNSO_ISJ_E10value_typeEPSK_NS1_7vsmem_tEENKUlT_SI_SJ_SK_E_clIPiSD_S10_SD_EESH_SX_SI_SJ_SK_EUlSX_E_NS1_11comp_targetILNS1_3genE5ELNS1_11target_archE942ELNS1_3gpuE9ELNS1_3repE0EEENS1_48merge_mergepath_partition_config_static_selectorELNS0_4arch9wavefront6targetE1EEEvSJ_.num_named_barrier, 0
	.set _ZN7rocprim17ROCPRIM_400000_NS6detail17trampoline_kernelINS0_14default_configENS1_38merge_sort_block_merge_config_selectorIiiEEZZNS1_27merge_sort_block_merge_implIS3_N6thrust23THRUST_200600_302600_NS6detail15normal_iteratorINS8_10device_ptrIiEEEESD_jNS1_19radix_merge_compareILb1ELb1EiNS0_19identity_decomposerEEEEE10hipError_tT0_T1_T2_jT3_P12ihipStream_tbPNSt15iterator_traitsISI_E10value_typeEPNSO_ISJ_E10value_typeEPSK_NS1_7vsmem_tEENKUlT_SI_SJ_SK_E_clIPiSD_S10_SD_EESH_SX_SI_SJ_SK_EUlSX_E_NS1_11comp_targetILNS1_3genE5ELNS1_11target_archE942ELNS1_3gpuE9ELNS1_3repE0EEENS1_48merge_mergepath_partition_config_static_selectorELNS0_4arch9wavefront6targetE1EEEvSJ_.private_seg_size, 0
	.set _ZN7rocprim17ROCPRIM_400000_NS6detail17trampoline_kernelINS0_14default_configENS1_38merge_sort_block_merge_config_selectorIiiEEZZNS1_27merge_sort_block_merge_implIS3_N6thrust23THRUST_200600_302600_NS6detail15normal_iteratorINS8_10device_ptrIiEEEESD_jNS1_19radix_merge_compareILb1ELb1EiNS0_19identity_decomposerEEEEE10hipError_tT0_T1_T2_jT3_P12ihipStream_tbPNSt15iterator_traitsISI_E10value_typeEPNSO_ISJ_E10value_typeEPSK_NS1_7vsmem_tEENKUlT_SI_SJ_SK_E_clIPiSD_S10_SD_EESH_SX_SI_SJ_SK_EUlSX_E_NS1_11comp_targetILNS1_3genE5ELNS1_11target_archE942ELNS1_3gpuE9ELNS1_3repE0EEENS1_48merge_mergepath_partition_config_static_selectorELNS0_4arch9wavefront6targetE1EEEvSJ_.uses_vcc, 0
	.set _ZN7rocprim17ROCPRIM_400000_NS6detail17trampoline_kernelINS0_14default_configENS1_38merge_sort_block_merge_config_selectorIiiEEZZNS1_27merge_sort_block_merge_implIS3_N6thrust23THRUST_200600_302600_NS6detail15normal_iteratorINS8_10device_ptrIiEEEESD_jNS1_19radix_merge_compareILb1ELb1EiNS0_19identity_decomposerEEEEE10hipError_tT0_T1_T2_jT3_P12ihipStream_tbPNSt15iterator_traitsISI_E10value_typeEPNSO_ISJ_E10value_typeEPSK_NS1_7vsmem_tEENKUlT_SI_SJ_SK_E_clIPiSD_S10_SD_EESH_SX_SI_SJ_SK_EUlSX_E_NS1_11comp_targetILNS1_3genE5ELNS1_11target_archE942ELNS1_3gpuE9ELNS1_3repE0EEENS1_48merge_mergepath_partition_config_static_selectorELNS0_4arch9wavefront6targetE1EEEvSJ_.uses_flat_scratch, 0
	.set _ZN7rocprim17ROCPRIM_400000_NS6detail17trampoline_kernelINS0_14default_configENS1_38merge_sort_block_merge_config_selectorIiiEEZZNS1_27merge_sort_block_merge_implIS3_N6thrust23THRUST_200600_302600_NS6detail15normal_iteratorINS8_10device_ptrIiEEEESD_jNS1_19radix_merge_compareILb1ELb1EiNS0_19identity_decomposerEEEEE10hipError_tT0_T1_T2_jT3_P12ihipStream_tbPNSt15iterator_traitsISI_E10value_typeEPNSO_ISJ_E10value_typeEPSK_NS1_7vsmem_tEENKUlT_SI_SJ_SK_E_clIPiSD_S10_SD_EESH_SX_SI_SJ_SK_EUlSX_E_NS1_11comp_targetILNS1_3genE5ELNS1_11target_archE942ELNS1_3gpuE9ELNS1_3repE0EEENS1_48merge_mergepath_partition_config_static_selectorELNS0_4arch9wavefront6targetE1EEEvSJ_.has_dyn_sized_stack, 0
	.set _ZN7rocprim17ROCPRIM_400000_NS6detail17trampoline_kernelINS0_14default_configENS1_38merge_sort_block_merge_config_selectorIiiEEZZNS1_27merge_sort_block_merge_implIS3_N6thrust23THRUST_200600_302600_NS6detail15normal_iteratorINS8_10device_ptrIiEEEESD_jNS1_19radix_merge_compareILb1ELb1EiNS0_19identity_decomposerEEEEE10hipError_tT0_T1_T2_jT3_P12ihipStream_tbPNSt15iterator_traitsISI_E10value_typeEPNSO_ISJ_E10value_typeEPSK_NS1_7vsmem_tEENKUlT_SI_SJ_SK_E_clIPiSD_S10_SD_EESH_SX_SI_SJ_SK_EUlSX_E_NS1_11comp_targetILNS1_3genE5ELNS1_11target_archE942ELNS1_3gpuE9ELNS1_3repE0EEENS1_48merge_mergepath_partition_config_static_selectorELNS0_4arch9wavefront6targetE1EEEvSJ_.has_recursion, 0
	.set _ZN7rocprim17ROCPRIM_400000_NS6detail17trampoline_kernelINS0_14default_configENS1_38merge_sort_block_merge_config_selectorIiiEEZZNS1_27merge_sort_block_merge_implIS3_N6thrust23THRUST_200600_302600_NS6detail15normal_iteratorINS8_10device_ptrIiEEEESD_jNS1_19radix_merge_compareILb1ELb1EiNS0_19identity_decomposerEEEEE10hipError_tT0_T1_T2_jT3_P12ihipStream_tbPNSt15iterator_traitsISI_E10value_typeEPNSO_ISJ_E10value_typeEPSK_NS1_7vsmem_tEENKUlT_SI_SJ_SK_E_clIPiSD_S10_SD_EESH_SX_SI_SJ_SK_EUlSX_E_NS1_11comp_targetILNS1_3genE5ELNS1_11target_archE942ELNS1_3gpuE9ELNS1_3repE0EEENS1_48merge_mergepath_partition_config_static_selectorELNS0_4arch9wavefront6targetE1EEEvSJ_.has_indirect_call, 0
	.section	.AMDGPU.csdata,"",@progbits
; Kernel info:
; codeLenInByte = 0
; TotalNumSgprs: 6
; NumVgprs: 0
; NumAgprs: 0
; TotalNumVgprs: 0
; ScratchSize: 0
; MemoryBound: 0
; FloatMode: 240
; IeeeMode: 1
; LDSByteSize: 0 bytes/workgroup (compile time only)
; SGPRBlocks: 0
; VGPRBlocks: 0
; NumSGPRsForWavesPerEU: 6
; NumVGPRsForWavesPerEU: 1
; AccumOffset: 4
; Occupancy: 8
; WaveLimiterHint : 0
; COMPUTE_PGM_RSRC2:SCRATCH_EN: 0
; COMPUTE_PGM_RSRC2:USER_SGPR: 2
; COMPUTE_PGM_RSRC2:TRAP_HANDLER: 0
; COMPUTE_PGM_RSRC2:TGID_X_EN: 1
; COMPUTE_PGM_RSRC2:TGID_Y_EN: 0
; COMPUTE_PGM_RSRC2:TGID_Z_EN: 0
; COMPUTE_PGM_RSRC2:TIDIG_COMP_CNT: 0
; COMPUTE_PGM_RSRC3_GFX90A:ACCUM_OFFSET: 0
; COMPUTE_PGM_RSRC3_GFX90A:TG_SPLIT: 0
	.section	.text._ZN7rocprim17ROCPRIM_400000_NS6detail17trampoline_kernelINS0_14default_configENS1_38merge_sort_block_merge_config_selectorIiiEEZZNS1_27merge_sort_block_merge_implIS3_N6thrust23THRUST_200600_302600_NS6detail15normal_iteratorINS8_10device_ptrIiEEEESD_jNS1_19radix_merge_compareILb1ELb1EiNS0_19identity_decomposerEEEEE10hipError_tT0_T1_T2_jT3_P12ihipStream_tbPNSt15iterator_traitsISI_E10value_typeEPNSO_ISJ_E10value_typeEPSK_NS1_7vsmem_tEENKUlT_SI_SJ_SK_E_clIPiSD_S10_SD_EESH_SX_SI_SJ_SK_EUlSX_E_NS1_11comp_targetILNS1_3genE4ELNS1_11target_archE910ELNS1_3gpuE8ELNS1_3repE0EEENS1_48merge_mergepath_partition_config_static_selectorELNS0_4arch9wavefront6targetE1EEEvSJ_,"axG",@progbits,_ZN7rocprim17ROCPRIM_400000_NS6detail17trampoline_kernelINS0_14default_configENS1_38merge_sort_block_merge_config_selectorIiiEEZZNS1_27merge_sort_block_merge_implIS3_N6thrust23THRUST_200600_302600_NS6detail15normal_iteratorINS8_10device_ptrIiEEEESD_jNS1_19radix_merge_compareILb1ELb1EiNS0_19identity_decomposerEEEEE10hipError_tT0_T1_T2_jT3_P12ihipStream_tbPNSt15iterator_traitsISI_E10value_typeEPNSO_ISJ_E10value_typeEPSK_NS1_7vsmem_tEENKUlT_SI_SJ_SK_E_clIPiSD_S10_SD_EESH_SX_SI_SJ_SK_EUlSX_E_NS1_11comp_targetILNS1_3genE4ELNS1_11target_archE910ELNS1_3gpuE8ELNS1_3repE0EEENS1_48merge_mergepath_partition_config_static_selectorELNS0_4arch9wavefront6targetE1EEEvSJ_,comdat
	.protected	_ZN7rocprim17ROCPRIM_400000_NS6detail17trampoline_kernelINS0_14default_configENS1_38merge_sort_block_merge_config_selectorIiiEEZZNS1_27merge_sort_block_merge_implIS3_N6thrust23THRUST_200600_302600_NS6detail15normal_iteratorINS8_10device_ptrIiEEEESD_jNS1_19radix_merge_compareILb1ELb1EiNS0_19identity_decomposerEEEEE10hipError_tT0_T1_T2_jT3_P12ihipStream_tbPNSt15iterator_traitsISI_E10value_typeEPNSO_ISJ_E10value_typeEPSK_NS1_7vsmem_tEENKUlT_SI_SJ_SK_E_clIPiSD_S10_SD_EESH_SX_SI_SJ_SK_EUlSX_E_NS1_11comp_targetILNS1_3genE4ELNS1_11target_archE910ELNS1_3gpuE8ELNS1_3repE0EEENS1_48merge_mergepath_partition_config_static_selectorELNS0_4arch9wavefront6targetE1EEEvSJ_ ; -- Begin function _ZN7rocprim17ROCPRIM_400000_NS6detail17trampoline_kernelINS0_14default_configENS1_38merge_sort_block_merge_config_selectorIiiEEZZNS1_27merge_sort_block_merge_implIS3_N6thrust23THRUST_200600_302600_NS6detail15normal_iteratorINS8_10device_ptrIiEEEESD_jNS1_19radix_merge_compareILb1ELb1EiNS0_19identity_decomposerEEEEE10hipError_tT0_T1_T2_jT3_P12ihipStream_tbPNSt15iterator_traitsISI_E10value_typeEPNSO_ISJ_E10value_typeEPSK_NS1_7vsmem_tEENKUlT_SI_SJ_SK_E_clIPiSD_S10_SD_EESH_SX_SI_SJ_SK_EUlSX_E_NS1_11comp_targetILNS1_3genE4ELNS1_11target_archE910ELNS1_3gpuE8ELNS1_3repE0EEENS1_48merge_mergepath_partition_config_static_selectorELNS0_4arch9wavefront6targetE1EEEvSJ_
	.globl	_ZN7rocprim17ROCPRIM_400000_NS6detail17trampoline_kernelINS0_14default_configENS1_38merge_sort_block_merge_config_selectorIiiEEZZNS1_27merge_sort_block_merge_implIS3_N6thrust23THRUST_200600_302600_NS6detail15normal_iteratorINS8_10device_ptrIiEEEESD_jNS1_19radix_merge_compareILb1ELb1EiNS0_19identity_decomposerEEEEE10hipError_tT0_T1_T2_jT3_P12ihipStream_tbPNSt15iterator_traitsISI_E10value_typeEPNSO_ISJ_E10value_typeEPSK_NS1_7vsmem_tEENKUlT_SI_SJ_SK_E_clIPiSD_S10_SD_EESH_SX_SI_SJ_SK_EUlSX_E_NS1_11comp_targetILNS1_3genE4ELNS1_11target_archE910ELNS1_3gpuE8ELNS1_3repE0EEENS1_48merge_mergepath_partition_config_static_selectorELNS0_4arch9wavefront6targetE1EEEvSJ_
	.p2align	8
	.type	_ZN7rocprim17ROCPRIM_400000_NS6detail17trampoline_kernelINS0_14default_configENS1_38merge_sort_block_merge_config_selectorIiiEEZZNS1_27merge_sort_block_merge_implIS3_N6thrust23THRUST_200600_302600_NS6detail15normal_iteratorINS8_10device_ptrIiEEEESD_jNS1_19radix_merge_compareILb1ELb1EiNS0_19identity_decomposerEEEEE10hipError_tT0_T1_T2_jT3_P12ihipStream_tbPNSt15iterator_traitsISI_E10value_typeEPNSO_ISJ_E10value_typeEPSK_NS1_7vsmem_tEENKUlT_SI_SJ_SK_E_clIPiSD_S10_SD_EESH_SX_SI_SJ_SK_EUlSX_E_NS1_11comp_targetILNS1_3genE4ELNS1_11target_archE910ELNS1_3gpuE8ELNS1_3repE0EEENS1_48merge_mergepath_partition_config_static_selectorELNS0_4arch9wavefront6targetE1EEEvSJ_,@function
_ZN7rocprim17ROCPRIM_400000_NS6detail17trampoline_kernelINS0_14default_configENS1_38merge_sort_block_merge_config_selectorIiiEEZZNS1_27merge_sort_block_merge_implIS3_N6thrust23THRUST_200600_302600_NS6detail15normal_iteratorINS8_10device_ptrIiEEEESD_jNS1_19radix_merge_compareILb1ELb1EiNS0_19identity_decomposerEEEEE10hipError_tT0_T1_T2_jT3_P12ihipStream_tbPNSt15iterator_traitsISI_E10value_typeEPNSO_ISJ_E10value_typeEPSK_NS1_7vsmem_tEENKUlT_SI_SJ_SK_E_clIPiSD_S10_SD_EESH_SX_SI_SJ_SK_EUlSX_E_NS1_11comp_targetILNS1_3genE4ELNS1_11target_archE910ELNS1_3gpuE8ELNS1_3repE0EEENS1_48merge_mergepath_partition_config_static_selectorELNS0_4arch9wavefront6targetE1EEEvSJ_: ; @_ZN7rocprim17ROCPRIM_400000_NS6detail17trampoline_kernelINS0_14default_configENS1_38merge_sort_block_merge_config_selectorIiiEEZZNS1_27merge_sort_block_merge_implIS3_N6thrust23THRUST_200600_302600_NS6detail15normal_iteratorINS8_10device_ptrIiEEEESD_jNS1_19radix_merge_compareILb1ELb1EiNS0_19identity_decomposerEEEEE10hipError_tT0_T1_T2_jT3_P12ihipStream_tbPNSt15iterator_traitsISI_E10value_typeEPNSO_ISJ_E10value_typeEPSK_NS1_7vsmem_tEENKUlT_SI_SJ_SK_E_clIPiSD_S10_SD_EESH_SX_SI_SJ_SK_EUlSX_E_NS1_11comp_targetILNS1_3genE4ELNS1_11target_archE910ELNS1_3gpuE8ELNS1_3repE0EEENS1_48merge_mergepath_partition_config_static_selectorELNS0_4arch9wavefront6targetE1EEEvSJ_
; %bb.0:
	.section	.rodata,"a",@progbits
	.p2align	6, 0x0
	.amdhsa_kernel _ZN7rocprim17ROCPRIM_400000_NS6detail17trampoline_kernelINS0_14default_configENS1_38merge_sort_block_merge_config_selectorIiiEEZZNS1_27merge_sort_block_merge_implIS3_N6thrust23THRUST_200600_302600_NS6detail15normal_iteratorINS8_10device_ptrIiEEEESD_jNS1_19radix_merge_compareILb1ELb1EiNS0_19identity_decomposerEEEEE10hipError_tT0_T1_T2_jT3_P12ihipStream_tbPNSt15iterator_traitsISI_E10value_typeEPNSO_ISJ_E10value_typeEPSK_NS1_7vsmem_tEENKUlT_SI_SJ_SK_E_clIPiSD_S10_SD_EESH_SX_SI_SJ_SK_EUlSX_E_NS1_11comp_targetILNS1_3genE4ELNS1_11target_archE910ELNS1_3gpuE8ELNS1_3repE0EEENS1_48merge_mergepath_partition_config_static_selectorELNS0_4arch9wavefront6targetE1EEEvSJ_
		.amdhsa_group_segment_fixed_size 0
		.amdhsa_private_segment_fixed_size 0
		.amdhsa_kernarg_size 40
		.amdhsa_user_sgpr_count 2
		.amdhsa_user_sgpr_dispatch_ptr 0
		.amdhsa_user_sgpr_queue_ptr 0
		.amdhsa_user_sgpr_kernarg_segment_ptr 1
		.amdhsa_user_sgpr_dispatch_id 0
		.amdhsa_user_sgpr_kernarg_preload_length 0
		.amdhsa_user_sgpr_kernarg_preload_offset 0
		.amdhsa_user_sgpr_private_segment_size 0
		.amdhsa_uses_dynamic_stack 0
		.amdhsa_enable_private_segment 0
		.amdhsa_system_sgpr_workgroup_id_x 1
		.amdhsa_system_sgpr_workgroup_id_y 0
		.amdhsa_system_sgpr_workgroup_id_z 0
		.amdhsa_system_sgpr_workgroup_info 0
		.amdhsa_system_vgpr_workitem_id 0
		.amdhsa_next_free_vgpr 1
		.amdhsa_next_free_sgpr 0
		.amdhsa_accum_offset 4
		.amdhsa_reserve_vcc 0
		.amdhsa_float_round_mode_32 0
		.amdhsa_float_round_mode_16_64 0
		.amdhsa_float_denorm_mode_32 3
		.amdhsa_float_denorm_mode_16_64 3
		.amdhsa_dx10_clamp 1
		.amdhsa_ieee_mode 1
		.amdhsa_fp16_overflow 0
		.amdhsa_tg_split 0
		.amdhsa_exception_fp_ieee_invalid_op 0
		.amdhsa_exception_fp_denorm_src 0
		.amdhsa_exception_fp_ieee_div_zero 0
		.amdhsa_exception_fp_ieee_overflow 0
		.amdhsa_exception_fp_ieee_underflow 0
		.amdhsa_exception_fp_ieee_inexact 0
		.amdhsa_exception_int_div_zero 0
	.end_amdhsa_kernel
	.section	.text._ZN7rocprim17ROCPRIM_400000_NS6detail17trampoline_kernelINS0_14default_configENS1_38merge_sort_block_merge_config_selectorIiiEEZZNS1_27merge_sort_block_merge_implIS3_N6thrust23THRUST_200600_302600_NS6detail15normal_iteratorINS8_10device_ptrIiEEEESD_jNS1_19radix_merge_compareILb1ELb1EiNS0_19identity_decomposerEEEEE10hipError_tT0_T1_T2_jT3_P12ihipStream_tbPNSt15iterator_traitsISI_E10value_typeEPNSO_ISJ_E10value_typeEPSK_NS1_7vsmem_tEENKUlT_SI_SJ_SK_E_clIPiSD_S10_SD_EESH_SX_SI_SJ_SK_EUlSX_E_NS1_11comp_targetILNS1_3genE4ELNS1_11target_archE910ELNS1_3gpuE8ELNS1_3repE0EEENS1_48merge_mergepath_partition_config_static_selectorELNS0_4arch9wavefront6targetE1EEEvSJ_,"axG",@progbits,_ZN7rocprim17ROCPRIM_400000_NS6detail17trampoline_kernelINS0_14default_configENS1_38merge_sort_block_merge_config_selectorIiiEEZZNS1_27merge_sort_block_merge_implIS3_N6thrust23THRUST_200600_302600_NS6detail15normal_iteratorINS8_10device_ptrIiEEEESD_jNS1_19radix_merge_compareILb1ELb1EiNS0_19identity_decomposerEEEEE10hipError_tT0_T1_T2_jT3_P12ihipStream_tbPNSt15iterator_traitsISI_E10value_typeEPNSO_ISJ_E10value_typeEPSK_NS1_7vsmem_tEENKUlT_SI_SJ_SK_E_clIPiSD_S10_SD_EESH_SX_SI_SJ_SK_EUlSX_E_NS1_11comp_targetILNS1_3genE4ELNS1_11target_archE910ELNS1_3gpuE8ELNS1_3repE0EEENS1_48merge_mergepath_partition_config_static_selectorELNS0_4arch9wavefront6targetE1EEEvSJ_,comdat
.Lfunc_end936:
	.size	_ZN7rocprim17ROCPRIM_400000_NS6detail17trampoline_kernelINS0_14default_configENS1_38merge_sort_block_merge_config_selectorIiiEEZZNS1_27merge_sort_block_merge_implIS3_N6thrust23THRUST_200600_302600_NS6detail15normal_iteratorINS8_10device_ptrIiEEEESD_jNS1_19radix_merge_compareILb1ELb1EiNS0_19identity_decomposerEEEEE10hipError_tT0_T1_T2_jT3_P12ihipStream_tbPNSt15iterator_traitsISI_E10value_typeEPNSO_ISJ_E10value_typeEPSK_NS1_7vsmem_tEENKUlT_SI_SJ_SK_E_clIPiSD_S10_SD_EESH_SX_SI_SJ_SK_EUlSX_E_NS1_11comp_targetILNS1_3genE4ELNS1_11target_archE910ELNS1_3gpuE8ELNS1_3repE0EEENS1_48merge_mergepath_partition_config_static_selectorELNS0_4arch9wavefront6targetE1EEEvSJ_, .Lfunc_end936-_ZN7rocprim17ROCPRIM_400000_NS6detail17trampoline_kernelINS0_14default_configENS1_38merge_sort_block_merge_config_selectorIiiEEZZNS1_27merge_sort_block_merge_implIS3_N6thrust23THRUST_200600_302600_NS6detail15normal_iteratorINS8_10device_ptrIiEEEESD_jNS1_19radix_merge_compareILb1ELb1EiNS0_19identity_decomposerEEEEE10hipError_tT0_T1_T2_jT3_P12ihipStream_tbPNSt15iterator_traitsISI_E10value_typeEPNSO_ISJ_E10value_typeEPSK_NS1_7vsmem_tEENKUlT_SI_SJ_SK_E_clIPiSD_S10_SD_EESH_SX_SI_SJ_SK_EUlSX_E_NS1_11comp_targetILNS1_3genE4ELNS1_11target_archE910ELNS1_3gpuE8ELNS1_3repE0EEENS1_48merge_mergepath_partition_config_static_selectorELNS0_4arch9wavefront6targetE1EEEvSJ_
                                        ; -- End function
	.set _ZN7rocprim17ROCPRIM_400000_NS6detail17trampoline_kernelINS0_14default_configENS1_38merge_sort_block_merge_config_selectorIiiEEZZNS1_27merge_sort_block_merge_implIS3_N6thrust23THRUST_200600_302600_NS6detail15normal_iteratorINS8_10device_ptrIiEEEESD_jNS1_19radix_merge_compareILb1ELb1EiNS0_19identity_decomposerEEEEE10hipError_tT0_T1_T2_jT3_P12ihipStream_tbPNSt15iterator_traitsISI_E10value_typeEPNSO_ISJ_E10value_typeEPSK_NS1_7vsmem_tEENKUlT_SI_SJ_SK_E_clIPiSD_S10_SD_EESH_SX_SI_SJ_SK_EUlSX_E_NS1_11comp_targetILNS1_3genE4ELNS1_11target_archE910ELNS1_3gpuE8ELNS1_3repE0EEENS1_48merge_mergepath_partition_config_static_selectorELNS0_4arch9wavefront6targetE1EEEvSJ_.num_vgpr, 0
	.set _ZN7rocprim17ROCPRIM_400000_NS6detail17trampoline_kernelINS0_14default_configENS1_38merge_sort_block_merge_config_selectorIiiEEZZNS1_27merge_sort_block_merge_implIS3_N6thrust23THRUST_200600_302600_NS6detail15normal_iteratorINS8_10device_ptrIiEEEESD_jNS1_19radix_merge_compareILb1ELb1EiNS0_19identity_decomposerEEEEE10hipError_tT0_T1_T2_jT3_P12ihipStream_tbPNSt15iterator_traitsISI_E10value_typeEPNSO_ISJ_E10value_typeEPSK_NS1_7vsmem_tEENKUlT_SI_SJ_SK_E_clIPiSD_S10_SD_EESH_SX_SI_SJ_SK_EUlSX_E_NS1_11comp_targetILNS1_3genE4ELNS1_11target_archE910ELNS1_3gpuE8ELNS1_3repE0EEENS1_48merge_mergepath_partition_config_static_selectorELNS0_4arch9wavefront6targetE1EEEvSJ_.num_agpr, 0
	.set _ZN7rocprim17ROCPRIM_400000_NS6detail17trampoline_kernelINS0_14default_configENS1_38merge_sort_block_merge_config_selectorIiiEEZZNS1_27merge_sort_block_merge_implIS3_N6thrust23THRUST_200600_302600_NS6detail15normal_iteratorINS8_10device_ptrIiEEEESD_jNS1_19radix_merge_compareILb1ELb1EiNS0_19identity_decomposerEEEEE10hipError_tT0_T1_T2_jT3_P12ihipStream_tbPNSt15iterator_traitsISI_E10value_typeEPNSO_ISJ_E10value_typeEPSK_NS1_7vsmem_tEENKUlT_SI_SJ_SK_E_clIPiSD_S10_SD_EESH_SX_SI_SJ_SK_EUlSX_E_NS1_11comp_targetILNS1_3genE4ELNS1_11target_archE910ELNS1_3gpuE8ELNS1_3repE0EEENS1_48merge_mergepath_partition_config_static_selectorELNS0_4arch9wavefront6targetE1EEEvSJ_.numbered_sgpr, 0
	.set _ZN7rocprim17ROCPRIM_400000_NS6detail17trampoline_kernelINS0_14default_configENS1_38merge_sort_block_merge_config_selectorIiiEEZZNS1_27merge_sort_block_merge_implIS3_N6thrust23THRUST_200600_302600_NS6detail15normal_iteratorINS8_10device_ptrIiEEEESD_jNS1_19radix_merge_compareILb1ELb1EiNS0_19identity_decomposerEEEEE10hipError_tT0_T1_T2_jT3_P12ihipStream_tbPNSt15iterator_traitsISI_E10value_typeEPNSO_ISJ_E10value_typeEPSK_NS1_7vsmem_tEENKUlT_SI_SJ_SK_E_clIPiSD_S10_SD_EESH_SX_SI_SJ_SK_EUlSX_E_NS1_11comp_targetILNS1_3genE4ELNS1_11target_archE910ELNS1_3gpuE8ELNS1_3repE0EEENS1_48merge_mergepath_partition_config_static_selectorELNS0_4arch9wavefront6targetE1EEEvSJ_.num_named_barrier, 0
	.set _ZN7rocprim17ROCPRIM_400000_NS6detail17trampoline_kernelINS0_14default_configENS1_38merge_sort_block_merge_config_selectorIiiEEZZNS1_27merge_sort_block_merge_implIS3_N6thrust23THRUST_200600_302600_NS6detail15normal_iteratorINS8_10device_ptrIiEEEESD_jNS1_19radix_merge_compareILb1ELb1EiNS0_19identity_decomposerEEEEE10hipError_tT0_T1_T2_jT3_P12ihipStream_tbPNSt15iterator_traitsISI_E10value_typeEPNSO_ISJ_E10value_typeEPSK_NS1_7vsmem_tEENKUlT_SI_SJ_SK_E_clIPiSD_S10_SD_EESH_SX_SI_SJ_SK_EUlSX_E_NS1_11comp_targetILNS1_3genE4ELNS1_11target_archE910ELNS1_3gpuE8ELNS1_3repE0EEENS1_48merge_mergepath_partition_config_static_selectorELNS0_4arch9wavefront6targetE1EEEvSJ_.private_seg_size, 0
	.set _ZN7rocprim17ROCPRIM_400000_NS6detail17trampoline_kernelINS0_14default_configENS1_38merge_sort_block_merge_config_selectorIiiEEZZNS1_27merge_sort_block_merge_implIS3_N6thrust23THRUST_200600_302600_NS6detail15normal_iteratorINS8_10device_ptrIiEEEESD_jNS1_19radix_merge_compareILb1ELb1EiNS0_19identity_decomposerEEEEE10hipError_tT0_T1_T2_jT3_P12ihipStream_tbPNSt15iterator_traitsISI_E10value_typeEPNSO_ISJ_E10value_typeEPSK_NS1_7vsmem_tEENKUlT_SI_SJ_SK_E_clIPiSD_S10_SD_EESH_SX_SI_SJ_SK_EUlSX_E_NS1_11comp_targetILNS1_3genE4ELNS1_11target_archE910ELNS1_3gpuE8ELNS1_3repE0EEENS1_48merge_mergepath_partition_config_static_selectorELNS0_4arch9wavefront6targetE1EEEvSJ_.uses_vcc, 0
	.set _ZN7rocprim17ROCPRIM_400000_NS6detail17trampoline_kernelINS0_14default_configENS1_38merge_sort_block_merge_config_selectorIiiEEZZNS1_27merge_sort_block_merge_implIS3_N6thrust23THRUST_200600_302600_NS6detail15normal_iteratorINS8_10device_ptrIiEEEESD_jNS1_19radix_merge_compareILb1ELb1EiNS0_19identity_decomposerEEEEE10hipError_tT0_T1_T2_jT3_P12ihipStream_tbPNSt15iterator_traitsISI_E10value_typeEPNSO_ISJ_E10value_typeEPSK_NS1_7vsmem_tEENKUlT_SI_SJ_SK_E_clIPiSD_S10_SD_EESH_SX_SI_SJ_SK_EUlSX_E_NS1_11comp_targetILNS1_3genE4ELNS1_11target_archE910ELNS1_3gpuE8ELNS1_3repE0EEENS1_48merge_mergepath_partition_config_static_selectorELNS0_4arch9wavefront6targetE1EEEvSJ_.uses_flat_scratch, 0
	.set _ZN7rocprim17ROCPRIM_400000_NS6detail17trampoline_kernelINS0_14default_configENS1_38merge_sort_block_merge_config_selectorIiiEEZZNS1_27merge_sort_block_merge_implIS3_N6thrust23THRUST_200600_302600_NS6detail15normal_iteratorINS8_10device_ptrIiEEEESD_jNS1_19radix_merge_compareILb1ELb1EiNS0_19identity_decomposerEEEEE10hipError_tT0_T1_T2_jT3_P12ihipStream_tbPNSt15iterator_traitsISI_E10value_typeEPNSO_ISJ_E10value_typeEPSK_NS1_7vsmem_tEENKUlT_SI_SJ_SK_E_clIPiSD_S10_SD_EESH_SX_SI_SJ_SK_EUlSX_E_NS1_11comp_targetILNS1_3genE4ELNS1_11target_archE910ELNS1_3gpuE8ELNS1_3repE0EEENS1_48merge_mergepath_partition_config_static_selectorELNS0_4arch9wavefront6targetE1EEEvSJ_.has_dyn_sized_stack, 0
	.set _ZN7rocprim17ROCPRIM_400000_NS6detail17trampoline_kernelINS0_14default_configENS1_38merge_sort_block_merge_config_selectorIiiEEZZNS1_27merge_sort_block_merge_implIS3_N6thrust23THRUST_200600_302600_NS6detail15normal_iteratorINS8_10device_ptrIiEEEESD_jNS1_19radix_merge_compareILb1ELb1EiNS0_19identity_decomposerEEEEE10hipError_tT0_T1_T2_jT3_P12ihipStream_tbPNSt15iterator_traitsISI_E10value_typeEPNSO_ISJ_E10value_typeEPSK_NS1_7vsmem_tEENKUlT_SI_SJ_SK_E_clIPiSD_S10_SD_EESH_SX_SI_SJ_SK_EUlSX_E_NS1_11comp_targetILNS1_3genE4ELNS1_11target_archE910ELNS1_3gpuE8ELNS1_3repE0EEENS1_48merge_mergepath_partition_config_static_selectorELNS0_4arch9wavefront6targetE1EEEvSJ_.has_recursion, 0
	.set _ZN7rocprim17ROCPRIM_400000_NS6detail17trampoline_kernelINS0_14default_configENS1_38merge_sort_block_merge_config_selectorIiiEEZZNS1_27merge_sort_block_merge_implIS3_N6thrust23THRUST_200600_302600_NS6detail15normal_iteratorINS8_10device_ptrIiEEEESD_jNS1_19radix_merge_compareILb1ELb1EiNS0_19identity_decomposerEEEEE10hipError_tT0_T1_T2_jT3_P12ihipStream_tbPNSt15iterator_traitsISI_E10value_typeEPNSO_ISJ_E10value_typeEPSK_NS1_7vsmem_tEENKUlT_SI_SJ_SK_E_clIPiSD_S10_SD_EESH_SX_SI_SJ_SK_EUlSX_E_NS1_11comp_targetILNS1_3genE4ELNS1_11target_archE910ELNS1_3gpuE8ELNS1_3repE0EEENS1_48merge_mergepath_partition_config_static_selectorELNS0_4arch9wavefront6targetE1EEEvSJ_.has_indirect_call, 0
	.section	.AMDGPU.csdata,"",@progbits
; Kernel info:
; codeLenInByte = 0
; TotalNumSgprs: 6
; NumVgprs: 0
; NumAgprs: 0
; TotalNumVgprs: 0
; ScratchSize: 0
; MemoryBound: 0
; FloatMode: 240
; IeeeMode: 1
; LDSByteSize: 0 bytes/workgroup (compile time only)
; SGPRBlocks: 0
; VGPRBlocks: 0
; NumSGPRsForWavesPerEU: 6
; NumVGPRsForWavesPerEU: 1
; AccumOffset: 4
; Occupancy: 8
; WaveLimiterHint : 0
; COMPUTE_PGM_RSRC2:SCRATCH_EN: 0
; COMPUTE_PGM_RSRC2:USER_SGPR: 2
; COMPUTE_PGM_RSRC2:TRAP_HANDLER: 0
; COMPUTE_PGM_RSRC2:TGID_X_EN: 1
; COMPUTE_PGM_RSRC2:TGID_Y_EN: 0
; COMPUTE_PGM_RSRC2:TGID_Z_EN: 0
; COMPUTE_PGM_RSRC2:TIDIG_COMP_CNT: 0
; COMPUTE_PGM_RSRC3_GFX90A:ACCUM_OFFSET: 0
; COMPUTE_PGM_RSRC3_GFX90A:TG_SPLIT: 0
	.section	.text._ZN7rocprim17ROCPRIM_400000_NS6detail17trampoline_kernelINS0_14default_configENS1_38merge_sort_block_merge_config_selectorIiiEEZZNS1_27merge_sort_block_merge_implIS3_N6thrust23THRUST_200600_302600_NS6detail15normal_iteratorINS8_10device_ptrIiEEEESD_jNS1_19radix_merge_compareILb1ELb1EiNS0_19identity_decomposerEEEEE10hipError_tT0_T1_T2_jT3_P12ihipStream_tbPNSt15iterator_traitsISI_E10value_typeEPNSO_ISJ_E10value_typeEPSK_NS1_7vsmem_tEENKUlT_SI_SJ_SK_E_clIPiSD_S10_SD_EESH_SX_SI_SJ_SK_EUlSX_E_NS1_11comp_targetILNS1_3genE3ELNS1_11target_archE908ELNS1_3gpuE7ELNS1_3repE0EEENS1_48merge_mergepath_partition_config_static_selectorELNS0_4arch9wavefront6targetE1EEEvSJ_,"axG",@progbits,_ZN7rocprim17ROCPRIM_400000_NS6detail17trampoline_kernelINS0_14default_configENS1_38merge_sort_block_merge_config_selectorIiiEEZZNS1_27merge_sort_block_merge_implIS3_N6thrust23THRUST_200600_302600_NS6detail15normal_iteratorINS8_10device_ptrIiEEEESD_jNS1_19radix_merge_compareILb1ELb1EiNS0_19identity_decomposerEEEEE10hipError_tT0_T1_T2_jT3_P12ihipStream_tbPNSt15iterator_traitsISI_E10value_typeEPNSO_ISJ_E10value_typeEPSK_NS1_7vsmem_tEENKUlT_SI_SJ_SK_E_clIPiSD_S10_SD_EESH_SX_SI_SJ_SK_EUlSX_E_NS1_11comp_targetILNS1_3genE3ELNS1_11target_archE908ELNS1_3gpuE7ELNS1_3repE0EEENS1_48merge_mergepath_partition_config_static_selectorELNS0_4arch9wavefront6targetE1EEEvSJ_,comdat
	.protected	_ZN7rocprim17ROCPRIM_400000_NS6detail17trampoline_kernelINS0_14default_configENS1_38merge_sort_block_merge_config_selectorIiiEEZZNS1_27merge_sort_block_merge_implIS3_N6thrust23THRUST_200600_302600_NS6detail15normal_iteratorINS8_10device_ptrIiEEEESD_jNS1_19radix_merge_compareILb1ELb1EiNS0_19identity_decomposerEEEEE10hipError_tT0_T1_T2_jT3_P12ihipStream_tbPNSt15iterator_traitsISI_E10value_typeEPNSO_ISJ_E10value_typeEPSK_NS1_7vsmem_tEENKUlT_SI_SJ_SK_E_clIPiSD_S10_SD_EESH_SX_SI_SJ_SK_EUlSX_E_NS1_11comp_targetILNS1_3genE3ELNS1_11target_archE908ELNS1_3gpuE7ELNS1_3repE0EEENS1_48merge_mergepath_partition_config_static_selectorELNS0_4arch9wavefront6targetE1EEEvSJ_ ; -- Begin function _ZN7rocprim17ROCPRIM_400000_NS6detail17trampoline_kernelINS0_14default_configENS1_38merge_sort_block_merge_config_selectorIiiEEZZNS1_27merge_sort_block_merge_implIS3_N6thrust23THRUST_200600_302600_NS6detail15normal_iteratorINS8_10device_ptrIiEEEESD_jNS1_19radix_merge_compareILb1ELb1EiNS0_19identity_decomposerEEEEE10hipError_tT0_T1_T2_jT3_P12ihipStream_tbPNSt15iterator_traitsISI_E10value_typeEPNSO_ISJ_E10value_typeEPSK_NS1_7vsmem_tEENKUlT_SI_SJ_SK_E_clIPiSD_S10_SD_EESH_SX_SI_SJ_SK_EUlSX_E_NS1_11comp_targetILNS1_3genE3ELNS1_11target_archE908ELNS1_3gpuE7ELNS1_3repE0EEENS1_48merge_mergepath_partition_config_static_selectorELNS0_4arch9wavefront6targetE1EEEvSJ_
	.globl	_ZN7rocprim17ROCPRIM_400000_NS6detail17trampoline_kernelINS0_14default_configENS1_38merge_sort_block_merge_config_selectorIiiEEZZNS1_27merge_sort_block_merge_implIS3_N6thrust23THRUST_200600_302600_NS6detail15normal_iteratorINS8_10device_ptrIiEEEESD_jNS1_19radix_merge_compareILb1ELb1EiNS0_19identity_decomposerEEEEE10hipError_tT0_T1_T2_jT3_P12ihipStream_tbPNSt15iterator_traitsISI_E10value_typeEPNSO_ISJ_E10value_typeEPSK_NS1_7vsmem_tEENKUlT_SI_SJ_SK_E_clIPiSD_S10_SD_EESH_SX_SI_SJ_SK_EUlSX_E_NS1_11comp_targetILNS1_3genE3ELNS1_11target_archE908ELNS1_3gpuE7ELNS1_3repE0EEENS1_48merge_mergepath_partition_config_static_selectorELNS0_4arch9wavefront6targetE1EEEvSJ_
	.p2align	8
	.type	_ZN7rocprim17ROCPRIM_400000_NS6detail17trampoline_kernelINS0_14default_configENS1_38merge_sort_block_merge_config_selectorIiiEEZZNS1_27merge_sort_block_merge_implIS3_N6thrust23THRUST_200600_302600_NS6detail15normal_iteratorINS8_10device_ptrIiEEEESD_jNS1_19radix_merge_compareILb1ELb1EiNS0_19identity_decomposerEEEEE10hipError_tT0_T1_T2_jT3_P12ihipStream_tbPNSt15iterator_traitsISI_E10value_typeEPNSO_ISJ_E10value_typeEPSK_NS1_7vsmem_tEENKUlT_SI_SJ_SK_E_clIPiSD_S10_SD_EESH_SX_SI_SJ_SK_EUlSX_E_NS1_11comp_targetILNS1_3genE3ELNS1_11target_archE908ELNS1_3gpuE7ELNS1_3repE0EEENS1_48merge_mergepath_partition_config_static_selectorELNS0_4arch9wavefront6targetE1EEEvSJ_,@function
_ZN7rocprim17ROCPRIM_400000_NS6detail17trampoline_kernelINS0_14default_configENS1_38merge_sort_block_merge_config_selectorIiiEEZZNS1_27merge_sort_block_merge_implIS3_N6thrust23THRUST_200600_302600_NS6detail15normal_iteratorINS8_10device_ptrIiEEEESD_jNS1_19radix_merge_compareILb1ELb1EiNS0_19identity_decomposerEEEEE10hipError_tT0_T1_T2_jT3_P12ihipStream_tbPNSt15iterator_traitsISI_E10value_typeEPNSO_ISJ_E10value_typeEPSK_NS1_7vsmem_tEENKUlT_SI_SJ_SK_E_clIPiSD_S10_SD_EESH_SX_SI_SJ_SK_EUlSX_E_NS1_11comp_targetILNS1_3genE3ELNS1_11target_archE908ELNS1_3gpuE7ELNS1_3repE0EEENS1_48merge_mergepath_partition_config_static_selectorELNS0_4arch9wavefront6targetE1EEEvSJ_: ; @_ZN7rocprim17ROCPRIM_400000_NS6detail17trampoline_kernelINS0_14default_configENS1_38merge_sort_block_merge_config_selectorIiiEEZZNS1_27merge_sort_block_merge_implIS3_N6thrust23THRUST_200600_302600_NS6detail15normal_iteratorINS8_10device_ptrIiEEEESD_jNS1_19radix_merge_compareILb1ELb1EiNS0_19identity_decomposerEEEEE10hipError_tT0_T1_T2_jT3_P12ihipStream_tbPNSt15iterator_traitsISI_E10value_typeEPNSO_ISJ_E10value_typeEPSK_NS1_7vsmem_tEENKUlT_SI_SJ_SK_E_clIPiSD_S10_SD_EESH_SX_SI_SJ_SK_EUlSX_E_NS1_11comp_targetILNS1_3genE3ELNS1_11target_archE908ELNS1_3gpuE7ELNS1_3repE0EEENS1_48merge_mergepath_partition_config_static_selectorELNS0_4arch9wavefront6targetE1EEEvSJ_
; %bb.0:
	.section	.rodata,"a",@progbits
	.p2align	6, 0x0
	.amdhsa_kernel _ZN7rocprim17ROCPRIM_400000_NS6detail17trampoline_kernelINS0_14default_configENS1_38merge_sort_block_merge_config_selectorIiiEEZZNS1_27merge_sort_block_merge_implIS3_N6thrust23THRUST_200600_302600_NS6detail15normal_iteratorINS8_10device_ptrIiEEEESD_jNS1_19radix_merge_compareILb1ELb1EiNS0_19identity_decomposerEEEEE10hipError_tT0_T1_T2_jT3_P12ihipStream_tbPNSt15iterator_traitsISI_E10value_typeEPNSO_ISJ_E10value_typeEPSK_NS1_7vsmem_tEENKUlT_SI_SJ_SK_E_clIPiSD_S10_SD_EESH_SX_SI_SJ_SK_EUlSX_E_NS1_11comp_targetILNS1_3genE3ELNS1_11target_archE908ELNS1_3gpuE7ELNS1_3repE0EEENS1_48merge_mergepath_partition_config_static_selectorELNS0_4arch9wavefront6targetE1EEEvSJ_
		.amdhsa_group_segment_fixed_size 0
		.amdhsa_private_segment_fixed_size 0
		.amdhsa_kernarg_size 40
		.amdhsa_user_sgpr_count 2
		.amdhsa_user_sgpr_dispatch_ptr 0
		.amdhsa_user_sgpr_queue_ptr 0
		.amdhsa_user_sgpr_kernarg_segment_ptr 1
		.amdhsa_user_sgpr_dispatch_id 0
		.amdhsa_user_sgpr_kernarg_preload_length 0
		.amdhsa_user_sgpr_kernarg_preload_offset 0
		.amdhsa_user_sgpr_private_segment_size 0
		.amdhsa_uses_dynamic_stack 0
		.amdhsa_enable_private_segment 0
		.amdhsa_system_sgpr_workgroup_id_x 1
		.amdhsa_system_sgpr_workgroup_id_y 0
		.amdhsa_system_sgpr_workgroup_id_z 0
		.amdhsa_system_sgpr_workgroup_info 0
		.amdhsa_system_vgpr_workitem_id 0
		.amdhsa_next_free_vgpr 1
		.amdhsa_next_free_sgpr 0
		.amdhsa_accum_offset 4
		.amdhsa_reserve_vcc 0
		.amdhsa_float_round_mode_32 0
		.amdhsa_float_round_mode_16_64 0
		.amdhsa_float_denorm_mode_32 3
		.amdhsa_float_denorm_mode_16_64 3
		.amdhsa_dx10_clamp 1
		.amdhsa_ieee_mode 1
		.amdhsa_fp16_overflow 0
		.amdhsa_tg_split 0
		.amdhsa_exception_fp_ieee_invalid_op 0
		.amdhsa_exception_fp_denorm_src 0
		.amdhsa_exception_fp_ieee_div_zero 0
		.amdhsa_exception_fp_ieee_overflow 0
		.amdhsa_exception_fp_ieee_underflow 0
		.amdhsa_exception_fp_ieee_inexact 0
		.amdhsa_exception_int_div_zero 0
	.end_amdhsa_kernel
	.section	.text._ZN7rocprim17ROCPRIM_400000_NS6detail17trampoline_kernelINS0_14default_configENS1_38merge_sort_block_merge_config_selectorIiiEEZZNS1_27merge_sort_block_merge_implIS3_N6thrust23THRUST_200600_302600_NS6detail15normal_iteratorINS8_10device_ptrIiEEEESD_jNS1_19radix_merge_compareILb1ELb1EiNS0_19identity_decomposerEEEEE10hipError_tT0_T1_T2_jT3_P12ihipStream_tbPNSt15iterator_traitsISI_E10value_typeEPNSO_ISJ_E10value_typeEPSK_NS1_7vsmem_tEENKUlT_SI_SJ_SK_E_clIPiSD_S10_SD_EESH_SX_SI_SJ_SK_EUlSX_E_NS1_11comp_targetILNS1_3genE3ELNS1_11target_archE908ELNS1_3gpuE7ELNS1_3repE0EEENS1_48merge_mergepath_partition_config_static_selectorELNS0_4arch9wavefront6targetE1EEEvSJ_,"axG",@progbits,_ZN7rocprim17ROCPRIM_400000_NS6detail17trampoline_kernelINS0_14default_configENS1_38merge_sort_block_merge_config_selectorIiiEEZZNS1_27merge_sort_block_merge_implIS3_N6thrust23THRUST_200600_302600_NS6detail15normal_iteratorINS8_10device_ptrIiEEEESD_jNS1_19radix_merge_compareILb1ELb1EiNS0_19identity_decomposerEEEEE10hipError_tT0_T1_T2_jT3_P12ihipStream_tbPNSt15iterator_traitsISI_E10value_typeEPNSO_ISJ_E10value_typeEPSK_NS1_7vsmem_tEENKUlT_SI_SJ_SK_E_clIPiSD_S10_SD_EESH_SX_SI_SJ_SK_EUlSX_E_NS1_11comp_targetILNS1_3genE3ELNS1_11target_archE908ELNS1_3gpuE7ELNS1_3repE0EEENS1_48merge_mergepath_partition_config_static_selectorELNS0_4arch9wavefront6targetE1EEEvSJ_,comdat
.Lfunc_end937:
	.size	_ZN7rocprim17ROCPRIM_400000_NS6detail17trampoline_kernelINS0_14default_configENS1_38merge_sort_block_merge_config_selectorIiiEEZZNS1_27merge_sort_block_merge_implIS3_N6thrust23THRUST_200600_302600_NS6detail15normal_iteratorINS8_10device_ptrIiEEEESD_jNS1_19radix_merge_compareILb1ELb1EiNS0_19identity_decomposerEEEEE10hipError_tT0_T1_T2_jT3_P12ihipStream_tbPNSt15iterator_traitsISI_E10value_typeEPNSO_ISJ_E10value_typeEPSK_NS1_7vsmem_tEENKUlT_SI_SJ_SK_E_clIPiSD_S10_SD_EESH_SX_SI_SJ_SK_EUlSX_E_NS1_11comp_targetILNS1_3genE3ELNS1_11target_archE908ELNS1_3gpuE7ELNS1_3repE0EEENS1_48merge_mergepath_partition_config_static_selectorELNS0_4arch9wavefront6targetE1EEEvSJ_, .Lfunc_end937-_ZN7rocprim17ROCPRIM_400000_NS6detail17trampoline_kernelINS0_14default_configENS1_38merge_sort_block_merge_config_selectorIiiEEZZNS1_27merge_sort_block_merge_implIS3_N6thrust23THRUST_200600_302600_NS6detail15normal_iteratorINS8_10device_ptrIiEEEESD_jNS1_19radix_merge_compareILb1ELb1EiNS0_19identity_decomposerEEEEE10hipError_tT0_T1_T2_jT3_P12ihipStream_tbPNSt15iterator_traitsISI_E10value_typeEPNSO_ISJ_E10value_typeEPSK_NS1_7vsmem_tEENKUlT_SI_SJ_SK_E_clIPiSD_S10_SD_EESH_SX_SI_SJ_SK_EUlSX_E_NS1_11comp_targetILNS1_3genE3ELNS1_11target_archE908ELNS1_3gpuE7ELNS1_3repE0EEENS1_48merge_mergepath_partition_config_static_selectorELNS0_4arch9wavefront6targetE1EEEvSJ_
                                        ; -- End function
	.set _ZN7rocprim17ROCPRIM_400000_NS6detail17trampoline_kernelINS0_14default_configENS1_38merge_sort_block_merge_config_selectorIiiEEZZNS1_27merge_sort_block_merge_implIS3_N6thrust23THRUST_200600_302600_NS6detail15normal_iteratorINS8_10device_ptrIiEEEESD_jNS1_19radix_merge_compareILb1ELb1EiNS0_19identity_decomposerEEEEE10hipError_tT0_T1_T2_jT3_P12ihipStream_tbPNSt15iterator_traitsISI_E10value_typeEPNSO_ISJ_E10value_typeEPSK_NS1_7vsmem_tEENKUlT_SI_SJ_SK_E_clIPiSD_S10_SD_EESH_SX_SI_SJ_SK_EUlSX_E_NS1_11comp_targetILNS1_3genE3ELNS1_11target_archE908ELNS1_3gpuE7ELNS1_3repE0EEENS1_48merge_mergepath_partition_config_static_selectorELNS0_4arch9wavefront6targetE1EEEvSJ_.num_vgpr, 0
	.set _ZN7rocprim17ROCPRIM_400000_NS6detail17trampoline_kernelINS0_14default_configENS1_38merge_sort_block_merge_config_selectorIiiEEZZNS1_27merge_sort_block_merge_implIS3_N6thrust23THRUST_200600_302600_NS6detail15normal_iteratorINS8_10device_ptrIiEEEESD_jNS1_19radix_merge_compareILb1ELb1EiNS0_19identity_decomposerEEEEE10hipError_tT0_T1_T2_jT3_P12ihipStream_tbPNSt15iterator_traitsISI_E10value_typeEPNSO_ISJ_E10value_typeEPSK_NS1_7vsmem_tEENKUlT_SI_SJ_SK_E_clIPiSD_S10_SD_EESH_SX_SI_SJ_SK_EUlSX_E_NS1_11comp_targetILNS1_3genE3ELNS1_11target_archE908ELNS1_3gpuE7ELNS1_3repE0EEENS1_48merge_mergepath_partition_config_static_selectorELNS0_4arch9wavefront6targetE1EEEvSJ_.num_agpr, 0
	.set _ZN7rocprim17ROCPRIM_400000_NS6detail17trampoline_kernelINS0_14default_configENS1_38merge_sort_block_merge_config_selectorIiiEEZZNS1_27merge_sort_block_merge_implIS3_N6thrust23THRUST_200600_302600_NS6detail15normal_iteratorINS8_10device_ptrIiEEEESD_jNS1_19radix_merge_compareILb1ELb1EiNS0_19identity_decomposerEEEEE10hipError_tT0_T1_T2_jT3_P12ihipStream_tbPNSt15iterator_traitsISI_E10value_typeEPNSO_ISJ_E10value_typeEPSK_NS1_7vsmem_tEENKUlT_SI_SJ_SK_E_clIPiSD_S10_SD_EESH_SX_SI_SJ_SK_EUlSX_E_NS1_11comp_targetILNS1_3genE3ELNS1_11target_archE908ELNS1_3gpuE7ELNS1_3repE0EEENS1_48merge_mergepath_partition_config_static_selectorELNS0_4arch9wavefront6targetE1EEEvSJ_.numbered_sgpr, 0
	.set _ZN7rocprim17ROCPRIM_400000_NS6detail17trampoline_kernelINS0_14default_configENS1_38merge_sort_block_merge_config_selectorIiiEEZZNS1_27merge_sort_block_merge_implIS3_N6thrust23THRUST_200600_302600_NS6detail15normal_iteratorINS8_10device_ptrIiEEEESD_jNS1_19radix_merge_compareILb1ELb1EiNS0_19identity_decomposerEEEEE10hipError_tT0_T1_T2_jT3_P12ihipStream_tbPNSt15iterator_traitsISI_E10value_typeEPNSO_ISJ_E10value_typeEPSK_NS1_7vsmem_tEENKUlT_SI_SJ_SK_E_clIPiSD_S10_SD_EESH_SX_SI_SJ_SK_EUlSX_E_NS1_11comp_targetILNS1_3genE3ELNS1_11target_archE908ELNS1_3gpuE7ELNS1_3repE0EEENS1_48merge_mergepath_partition_config_static_selectorELNS0_4arch9wavefront6targetE1EEEvSJ_.num_named_barrier, 0
	.set _ZN7rocprim17ROCPRIM_400000_NS6detail17trampoline_kernelINS0_14default_configENS1_38merge_sort_block_merge_config_selectorIiiEEZZNS1_27merge_sort_block_merge_implIS3_N6thrust23THRUST_200600_302600_NS6detail15normal_iteratorINS8_10device_ptrIiEEEESD_jNS1_19radix_merge_compareILb1ELb1EiNS0_19identity_decomposerEEEEE10hipError_tT0_T1_T2_jT3_P12ihipStream_tbPNSt15iterator_traitsISI_E10value_typeEPNSO_ISJ_E10value_typeEPSK_NS1_7vsmem_tEENKUlT_SI_SJ_SK_E_clIPiSD_S10_SD_EESH_SX_SI_SJ_SK_EUlSX_E_NS1_11comp_targetILNS1_3genE3ELNS1_11target_archE908ELNS1_3gpuE7ELNS1_3repE0EEENS1_48merge_mergepath_partition_config_static_selectorELNS0_4arch9wavefront6targetE1EEEvSJ_.private_seg_size, 0
	.set _ZN7rocprim17ROCPRIM_400000_NS6detail17trampoline_kernelINS0_14default_configENS1_38merge_sort_block_merge_config_selectorIiiEEZZNS1_27merge_sort_block_merge_implIS3_N6thrust23THRUST_200600_302600_NS6detail15normal_iteratorINS8_10device_ptrIiEEEESD_jNS1_19radix_merge_compareILb1ELb1EiNS0_19identity_decomposerEEEEE10hipError_tT0_T1_T2_jT3_P12ihipStream_tbPNSt15iterator_traitsISI_E10value_typeEPNSO_ISJ_E10value_typeEPSK_NS1_7vsmem_tEENKUlT_SI_SJ_SK_E_clIPiSD_S10_SD_EESH_SX_SI_SJ_SK_EUlSX_E_NS1_11comp_targetILNS1_3genE3ELNS1_11target_archE908ELNS1_3gpuE7ELNS1_3repE0EEENS1_48merge_mergepath_partition_config_static_selectorELNS0_4arch9wavefront6targetE1EEEvSJ_.uses_vcc, 0
	.set _ZN7rocprim17ROCPRIM_400000_NS6detail17trampoline_kernelINS0_14default_configENS1_38merge_sort_block_merge_config_selectorIiiEEZZNS1_27merge_sort_block_merge_implIS3_N6thrust23THRUST_200600_302600_NS6detail15normal_iteratorINS8_10device_ptrIiEEEESD_jNS1_19radix_merge_compareILb1ELb1EiNS0_19identity_decomposerEEEEE10hipError_tT0_T1_T2_jT3_P12ihipStream_tbPNSt15iterator_traitsISI_E10value_typeEPNSO_ISJ_E10value_typeEPSK_NS1_7vsmem_tEENKUlT_SI_SJ_SK_E_clIPiSD_S10_SD_EESH_SX_SI_SJ_SK_EUlSX_E_NS1_11comp_targetILNS1_3genE3ELNS1_11target_archE908ELNS1_3gpuE7ELNS1_3repE0EEENS1_48merge_mergepath_partition_config_static_selectorELNS0_4arch9wavefront6targetE1EEEvSJ_.uses_flat_scratch, 0
	.set _ZN7rocprim17ROCPRIM_400000_NS6detail17trampoline_kernelINS0_14default_configENS1_38merge_sort_block_merge_config_selectorIiiEEZZNS1_27merge_sort_block_merge_implIS3_N6thrust23THRUST_200600_302600_NS6detail15normal_iteratorINS8_10device_ptrIiEEEESD_jNS1_19radix_merge_compareILb1ELb1EiNS0_19identity_decomposerEEEEE10hipError_tT0_T1_T2_jT3_P12ihipStream_tbPNSt15iterator_traitsISI_E10value_typeEPNSO_ISJ_E10value_typeEPSK_NS1_7vsmem_tEENKUlT_SI_SJ_SK_E_clIPiSD_S10_SD_EESH_SX_SI_SJ_SK_EUlSX_E_NS1_11comp_targetILNS1_3genE3ELNS1_11target_archE908ELNS1_3gpuE7ELNS1_3repE0EEENS1_48merge_mergepath_partition_config_static_selectorELNS0_4arch9wavefront6targetE1EEEvSJ_.has_dyn_sized_stack, 0
	.set _ZN7rocprim17ROCPRIM_400000_NS6detail17trampoline_kernelINS0_14default_configENS1_38merge_sort_block_merge_config_selectorIiiEEZZNS1_27merge_sort_block_merge_implIS3_N6thrust23THRUST_200600_302600_NS6detail15normal_iteratorINS8_10device_ptrIiEEEESD_jNS1_19radix_merge_compareILb1ELb1EiNS0_19identity_decomposerEEEEE10hipError_tT0_T1_T2_jT3_P12ihipStream_tbPNSt15iterator_traitsISI_E10value_typeEPNSO_ISJ_E10value_typeEPSK_NS1_7vsmem_tEENKUlT_SI_SJ_SK_E_clIPiSD_S10_SD_EESH_SX_SI_SJ_SK_EUlSX_E_NS1_11comp_targetILNS1_3genE3ELNS1_11target_archE908ELNS1_3gpuE7ELNS1_3repE0EEENS1_48merge_mergepath_partition_config_static_selectorELNS0_4arch9wavefront6targetE1EEEvSJ_.has_recursion, 0
	.set _ZN7rocprim17ROCPRIM_400000_NS6detail17trampoline_kernelINS0_14default_configENS1_38merge_sort_block_merge_config_selectorIiiEEZZNS1_27merge_sort_block_merge_implIS3_N6thrust23THRUST_200600_302600_NS6detail15normal_iteratorINS8_10device_ptrIiEEEESD_jNS1_19radix_merge_compareILb1ELb1EiNS0_19identity_decomposerEEEEE10hipError_tT0_T1_T2_jT3_P12ihipStream_tbPNSt15iterator_traitsISI_E10value_typeEPNSO_ISJ_E10value_typeEPSK_NS1_7vsmem_tEENKUlT_SI_SJ_SK_E_clIPiSD_S10_SD_EESH_SX_SI_SJ_SK_EUlSX_E_NS1_11comp_targetILNS1_3genE3ELNS1_11target_archE908ELNS1_3gpuE7ELNS1_3repE0EEENS1_48merge_mergepath_partition_config_static_selectorELNS0_4arch9wavefront6targetE1EEEvSJ_.has_indirect_call, 0
	.section	.AMDGPU.csdata,"",@progbits
; Kernel info:
; codeLenInByte = 0
; TotalNumSgprs: 6
; NumVgprs: 0
; NumAgprs: 0
; TotalNumVgprs: 0
; ScratchSize: 0
; MemoryBound: 0
; FloatMode: 240
; IeeeMode: 1
; LDSByteSize: 0 bytes/workgroup (compile time only)
; SGPRBlocks: 0
; VGPRBlocks: 0
; NumSGPRsForWavesPerEU: 6
; NumVGPRsForWavesPerEU: 1
; AccumOffset: 4
; Occupancy: 8
; WaveLimiterHint : 0
; COMPUTE_PGM_RSRC2:SCRATCH_EN: 0
; COMPUTE_PGM_RSRC2:USER_SGPR: 2
; COMPUTE_PGM_RSRC2:TRAP_HANDLER: 0
; COMPUTE_PGM_RSRC2:TGID_X_EN: 1
; COMPUTE_PGM_RSRC2:TGID_Y_EN: 0
; COMPUTE_PGM_RSRC2:TGID_Z_EN: 0
; COMPUTE_PGM_RSRC2:TIDIG_COMP_CNT: 0
; COMPUTE_PGM_RSRC3_GFX90A:ACCUM_OFFSET: 0
; COMPUTE_PGM_RSRC3_GFX90A:TG_SPLIT: 0
	.section	.text._ZN7rocprim17ROCPRIM_400000_NS6detail17trampoline_kernelINS0_14default_configENS1_38merge_sort_block_merge_config_selectorIiiEEZZNS1_27merge_sort_block_merge_implIS3_N6thrust23THRUST_200600_302600_NS6detail15normal_iteratorINS8_10device_ptrIiEEEESD_jNS1_19radix_merge_compareILb1ELb1EiNS0_19identity_decomposerEEEEE10hipError_tT0_T1_T2_jT3_P12ihipStream_tbPNSt15iterator_traitsISI_E10value_typeEPNSO_ISJ_E10value_typeEPSK_NS1_7vsmem_tEENKUlT_SI_SJ_SK_E_clIPiSD_S10_SD_EESH_SX_SI_SJ_SK_EUlSX_E_NS1_11comp_targetILNS1_3genE2ELNS1_11target_archE906ELNS1_3gpuE6ELNS1_3repE0EEENS1_48merge_mergepath_partition_config_static_selectorELNS0_4arch9wavefront6targetE1EEEvSJ_,"axG",@progbits,_ZN7rocprim17ROCPRIM_400000_NS6detail17trampoline_kernelINS0_14default_configENS1_38merge_sort_block_merge_config_selectorIiiEEZZNS1_27merge_sort_block_merge_implIS3_N6thrust23THRUST_200600_302600_NS6detail15normal_iteratorINS8_10device_ptrIiEEEESD_jNS1_19radix_merge_compareILb1ELb1EiNS0_19identity_decomposerEEEEE10hipError_tT0_T1_T2_jT3_P12ihipStream_tbPNSt15iterator_traitsISI_E10value_typeEPNSO_ISJ_E10value_typeEPSK_NS1_7vsmem_tEENKUlT_SI_SJ_SK_E_clIPiSD_S10_SD_EESH_SX_SI_SJ_SK_EUlSX_E_NS1_11comp_targetILNS1_3genE2ELNS1_11target_archE906ELNS1_3gpuE6ELNS1_3repE0EEENS1_48merge_mergepath_partition_config_static_selectorELNS0_4arch9wavefront6targetE1EEEvSJ_,comdat
	.protected	_ZN7rocprim17ROCPRIM_400000_NS6detail17trampoline_kernelINS0_14default_configENS1_38merge_sort_block_merge_config_selectorIiiEEZZNS1_27merge_sort_block_merge_implIS3_N6thrust23THRUST_200600_302600_NS6detail15normal_iteratorINS8_10device_ptrIiEEEESD_jNS1_19radix_merge_compareILb1ELb1EiNS0_19identity_decomposerEEEEE10hipError_tT0_T1_T2_jT3_P12ihipStream_tbPNSt15iterator_traitsISI_E10value_typeEPNSO_ISJ_E10value_typeEPSK_NS1_7vsmem_tEENKUlT_SI_SJ_SK_E_clIPiSD_S10_SD_EESH_SX_SI_SJ_SK_EUlSX_E_NS1_11comp_targetILNS1_3genE2ELNS1_11target_archE906ELNS1_3gpuE6ELNS1_3repE0EEENS1_48merge_mergepath_partition_config_static_selectorELNS0_4arch9wavefront6targetE1EEEvSJ_ ; -- Begin function _ZN7rocprim17ROCPRIM_400000_NS6detail17trampoline_kernelINS0_14default_configENS1_38merge_sort_block_merge_config_selectorIiiEEZZNS1_27merge_sort_block_merge_implIS3_N6thrust23THRUST_200600_302600_NS6detail15normal_iteratorINS8_10device_ptrIiEEEESD_jNS1_19radix_merge_compareILb1ELb1EiNS0_19identity_decomposerEEEEE10hipError_tT0_T1_T2_jT3_P12ihipStream_tbPNSt15iterator_traitsISI_E10value_typeEPNSO_ISJ_E10value_typeEPSK_NS1_7vsmem_tEENKUlT_SI_SJ_SK_E_clIPiSD_S10_SD_EESH_SX_SI_SJ_SK_EUlSX_E_NS1_11comp_targetILNS1_3genE2ELNS1_11target_archE906ELNS1_3gpuE6ELNS1_3repE0EEENS1_48merge_mergepath_partition_config_static_selectorELNS0_4arch9wavefront6targetE1EEEvSJ_
	.globl	_ZN7rocprim17ROCPRIM_400000_NS6detail17trampoline_kernelINS0_14default_configENS1_38merge_sort_block_merge_config_selectorIiiEEZZNS1_27merge_sort_block_merge_implIS3_N6thrust23THRUST_200600_302600_NS6detail15normal_iteratorINS8_10device_ptrIiEEEESD_jNS1_19radix_merge_compareILb1ELb1EiNS0_19identity_decomposerEEEEE10hipError_tT0_T1_T2_jT3_P12ihipStream_tbPNSt15iterator_traitsISI_E10value_typeEPNSO_ISJ_E10value_typeEPSK_NS1_7vsmem_tEENKUlT_SI_SJ_SK_E_clIPiSD_S10_SD_EESH_SX_SI_SJ_SK_EUlSX_E_NS1_11comp_targetILNS1_3genE2ELNS1_11target_archE906ELNS1_3gpuE6ELNS1_3repE0EEENS1_48merge_mergepath_partition_config_static_selectorELNS0_4arch9wavefront6targetE1EEEvSJ_
	.p2align	8
	.type	_ZN7rocprim17ROCPRIM_400000_NS6detail17trampoline_kernelINS0_14default_configENS1_38merge_sort_block_merge_config_selectorIiiEEZZNS1_27merge_sort_block_merge_implIS3_N6thrust23THRUST_200600_302600_NS6detail15normal_iteratorINS8_10device_ptrIiEEEESD_jNS1_19radix_merge_compareILb1ELb1EiNS0_19identity_decomposerEEEEE10hipError_tT0_T1_T2_jT3_P12ihipStream_tbPNSt15iterator_traitsISI_E10value_typeEPNSO_ISJ_E10value_typeEPSK_NS1_7vsmem_tEENKUlT_SI_SJ_SK_E_clIPiSD_S10_SD_EESH_SX_SI_SJ_SK_EUlSX_E_NS1_11comp_targetILNS1_3genE2ELNS1_11target_archE906ELNS1_3gpuE6ELNS1_3repE0EEENS1_48merge_mergepath_partition_config_static_selectorELNS0_4arch9wavefront6targetE1EEEvSJ_,@function
_ZN7rocprim17ROCPRIM_400000_NS6detail17trampoline_kernelINS0_14default_configENS1_38merge_sort_block_merge_config_selectorIiiEEZZNS1_27merge_sort_block_merge_implIS3_N6thrust23THRUST_200600_302600_NS6detail15normal_iteratorINS8_10device_ptrIiEEEESD_jNS1_19radix_merge_compareILb1ELb1EiNS0_19identity_decomposerEEEEE10hipError_tT0_T1_T2_jT3_P12ihipStream_tbPNSt15iterator_traitsISI_E10value_typeEPNSO_ISJ_E10value_typeEPSK_NS1_7vsmem_tEENKUlT_SI_SJ_SK_E_clIPiSD_S10_SD_EESH_SX_SI_SJ_SK_EUlSX_E_NS1_11comp_targetILNS1_3genE2ELNS1_11target_archE906ELNS1_3gpuE6ELNS1_3repE0EEENS1_48merge_mergepath_partition_config_static_selectorELNS0_4arch9wavefront6targetE1EEEvSJ_: ; @_ZN7rocprim17ROCPRIM_400000_NS6detail17trampoline_kernelINS0_14default_configENS1_38merge_sort_block_merge_config_selectorIiiEEZZNS1_27merge_sort_block_merge_implIS3_N6thrust23THRUST_200600_302600_NS6detail15normal_iteratorINS8_10device_ptrIiEEEESD_jNS1_19radix_merge_compareILb1ELb1EiNS0_19identity_decomposerEEEEE10hipError_tT0_T1_T2_jT3_P12ihipStream_tbPNSt15iterator_traitsISI_E10value_typeEPNSO_ISJ_E10value_typeEPSK_NS1_7vsmem_tEENKUlT_SI_SJ_SK_E_clIPiSD_S10_SD_EESH_SX_SI_SJ_SK_EUlSX_E_NS1_11comp_targetILNS1_3genE2ELNS1_11target_archE906ELNS1_3gpuE6ELNS1_3repE0EEENS1_48merge_mergepath_partition_config_static_selectorELNS0_4arch9wavefront6targetE1EEEvSJ_
; %bb.0:
	.section	.rodata,"a",@progbits
	.p2align	6, 0x0
	.amdhsa_kernel _ZN7rocprim17ROCPRIM_400000_NS6detail17trampoline_kernelINS0_14default_configENS1_38merge_sort_block_merge_config_selectorIiiEEZZNS1_27merge_sort_block_merge_implIS3_N6thrust23THRUST_200600_302600_NS6detail15normal_iteratorINS8_10device_ptrIiEEEESD_jNS1_19radix_merge_compareILb1ELb1EiNS0_19identity_decomposerEEEEE10hipError_tT0_T1_T2_jT3_P12ihipStream_tbPNSt15iterator_traitsISI_E10value_typeEPNSO_ISJ_E10value_typeEPSK_NS1_7vsmem_tEENKUlT_SI_SJ_SK_E_clIPiSD_S10_SD_EESH_SX_SI_SJ_SK_EUlSX_E_NS1_11comp_targetILNS1_3genE2ELNS1_11target_archE906ELNS1_3gpuE6ELNS1_3repE0EEENS1_48merge_mergepath_partition_config_static_selectorELNS0_4arch9wavefront6targetE1EEEvSJ_
		.amdhsa_group_segment_fixed_size 0
		.amdhsa_private_segment_fixed_size 0
		.amdhsa_kernarg_size 40
		.amdhsa_user_sgpr_count 2
		.amdhsa_user_sgpr_dispatch_ptr 0
		.amdhsa_user_sgpr_queue_ptr 0
		.amdhsa_user_sgpr_kernarg_segment_ptr 1
		.amdhsa_user_sgpr_dispatch_id 0
		.amdhsa_user_sgpr_kernarg_preload_length 0
		.amdhsa_user_sgpr_kernarg_preload_offset 0
		.amdhsa_user_sgpr_private_segment_size 0
		.amdhsa_uses_dynamic_stack 0
		.amdhsa_enable_private_segment 0
		.amdhsa_system_sgpr_workgroup_id_x 1
		.amdhsa_system_sgpr_workgroup_id_y 0
		.amdhsa_system_sgpr_workgroup_id_z 0
		.amdhsa_system_sgpr_workgroup_info 0
		.amdhsa_system_vgpr_workitem_id 0
		.amdhsa_next_free_vgpr 1
		.amdhsa_next_free_sgpr 0
		.amdhsa_accum_offset 4
		.amdhsa_reserve_vcc 0
		.amdhsa_float_round_mode_32 0
		.amdhsa_float_round_mode_16_64 0
		.amdhsa_float_denorm_mode_32 3
		.amdhsa_float_denorm_mode_16_64 3
		.amdhsa_dx10_clamp 1
		.amdhsa_ieee_mode 1
		.amdhsa_fp16_overflow 0
		.amdhsa_tg_split 0
		.amdhsa_exception_fp_ieee_invalid_op 0
		.amdhsa_exception_fp_denorm_src 0
		.amdhsa_exception_fp_ieee_div_zero 0
		.amdhsa_exception_fp_ieee_overflow 0
		.amdhsa_exception_fp_ieee_underflow 0
		.amdhsa_exception_fp_ieee_inexact 0
		.amdhsa_exception_int_div_zero 0
	.end_amdhsa_kernel
	.section	.text._ZN7rocprim17ROCPRIM_400000_NS6detail17trampoline_kernelINS0_14default_configENS1_38merge_sort_block_merge_config_selectorIiiEEZZNS1_27merge_sort_block_merge_implIS3_N6thrust23THRUST_200600_302600_NS6detail15normal_iteratorINS8_10device_ptrIiEEEESD_jNS1_19radix_merge_compareILb1ELb1EiNS0_19identity_decomposerEEEEE10hipError_tT0_T1_T2_jT3_P12ihipStream_tbPNSt15iterator_traitsISI_E10value_typeEPNSO_ISJ_E10value_typeEPSK_NS1_7vsmem_tEENKUlT_SI_SJ_SK_E_clIPiSD_S10_SD_EESH_SX_SI_SJ_SK_EUlSX_E_NS1_11comp_targetILNS1_3genE2ELNS1_11target_archE906ELNS1_3gpuE6ELNS1_3repE0EEENS1_48merge_mergepath_partition_config_static_selectorELNS0_4arch9wavefront6targetE1EEEvSJ_,"axG",@progbits,_ZN7rocprim17ROCPRIM_400000_NS6detail17trampoline_kernelINS0_14default_configENS1_38merge_sort_block_merge_config_selectorIiiEEZZNS1_27merge_sort_block_merge_implIS3_N6thrust23THRUST_200600_302600_NS6detail15normal_iteratorINS8_10device_ptrIiEEEESD_jNS1_19radix_merge_compareILb1ELb1EiNS0_19identity_decomposerEEEEE10hipError_tT0_T1_T2_jT3_P12ihipStream_tbPNSt15iterator_traitsISI_E10value_typeEPNSO_ISJ_E10value_typeEPSK_NS1_7vsmem_tEENKUlT_SI_SJ_SK_E_clIPiSD_S10_SD_EESH_SX_SI_SJ_SK_EUlSX_E_NS1_11comp_targetILNS1_3genE2ELNS1_11target_archE906ELNS1_3gpuE6ELNS1_3repE0EEENS1_48merge_mergepath_partition_config_static_selectorELNS0_4arch9wavefront6targetE1EEEvSJ_,comdat
.Lfunc_end938:
	.size	_ZN7rocprim17ROCPRIM_400000_NS6detail17trampoline_kernelINS0_14default_configENS1_38merge_sort_block_merge_config_selectorIiiEEZZNS1_27merge_sort_block_merge_implIS3_N6thrust23THRUST_200600_302600_NS6detail15normal_iteratorINS8_10device_ptrIiEEEESD_jNS1_19radix_merge_compareILb1ELb1EiNS0_19identity_decomposerEEEEE10hipError_tT0_T1_T2_jT3_P12ihipStream_tbPNSt15iterator_traitsISI_E10value_typeEPNSO_ISJ_E10value_typeEPSK_NS1_7vsmem_tEENKUlT_SI_SJ_SK_E_clIPiSD_S10_SD_EESH_SX_SI_SJ_SK_EUlSX_E_NS1_11comp_targetILNS1_3genE2ELNS1_11target_archE906ELNS1_3gpuE6ELNS1_3repE0EEENS1_48merge_mergepath_partition_config_static_selectorELNS0_4arch9wavefront6targetE1EEEvSJ_, .Lfunc_end938-_ZN7rocprim17ROCPRIM_400000_NS6detail17trampoline_kernelINS0_14default_configENS1_38merge_sort_block_merge_config_selectorIiiEEZZNS1_27merge_sort_block_merge_implIS3_N6thrust23THRUST_200600_302600_NS6detail15normal_iteratorINS8_10device_ptrIiEEEESD_jNS1_19radix_merge_compareILb1ELb1EiNS0_19identity_decomposerEEEEE10hipError_tT0_T1_T2_jT3_P12ihipStream_tbPNSt15iterator_traitsISI_E10value_typeEPNSO_ISJ_E10value_typeEPSK_NS1_7vsmem_tEENKUlT_SI_SJ_SK_E_clIPiSD_S10_SD_EESH_SX_SI_SJ_SK_EUlSX_E_NS1_11comp_targetILNS1_3genE2ELNS1_11target_archE906ELNS1_3gpuE6ELNS1_3repE0EEENS1_48merge_mergepath_partition_config_static_selectorELNS0_4arch9wavefront6targetE1EEEvSJ_
                                        ; -- End function
	.set _ZN7rocprim17ROCPRIM_400000_NS6detail17trampoline_kernelINS0_14default_configENS1_38merge_sort_block_merge_config_selectorIiiEEZZNS1_27merge_sort_block_merge_implIS3_N6thrust23THRUST_200600_302600_NS6detail15normal_iteratorINS8_10device_ptrIiEEEESD_jNS1_19radix_merge_compareILb1ELb1EiNS0_19identity_decomposerEEEEE10hipError_tT0_T1_T2_jT3_P12ihipStream_tbPNSt15iterator_traitsISI_E10value_typeEPNSO_ISJ_E10value_typeEPSK_NS1_7vsmem_tEENKUlT_SI_SJ_SK_E_clIPiSD_S10_SD_EESH_SX_SI_SJ_SK_EUlSX_E_NS1_11comp_targetILNS1_3genE2ELNS1_11target_archE906ELNS1_3gpuE6ELNS1_3repE0EEENS1_48merge_mergepath_partition_config_static_selectorELNS0_4arch9wavefront6targetE1EEEvSJ_.num_vgpr, 0
	.set _ZN7rocprim17ROCPRIM_400000_NS6detail17trampoline_kernelINS0_14default_configENS1_38merge_sort_block_merge_config_selectorIiiEEZZNS1_27merge_sort_block_merge_implIS3_N6thrust23THRUST_200600_302600_NS6detail15normal_iteratorINS8_10device_ptrIiEEEESD_jNS1_19radix_merge_compareILb1ELb1EiNS0_19identity_decomposerEEEEE10hipError_tT0_T1_T2_jT3_P12ihipStream_tbPNSt15iterator_traitsISI_E10value_typeEPNSO_ISJ_E10value_typeEPSK_NS1_7vsmem_tEENKUlT_SI_SJ_SK_E_clIPiSD_S10_SD_EESH_SX_SI_SJ_SK_EUlSX_E_NS1_11comp_targetILNS1_3genE2ELNS1_11target_archE906ELNS1_3gpuE6ELNS1_3repE0EEENS1_48merge_mergepath_partition_config_static_selectorELNS0_4arch9wavefront6targetE1EEEvSJ_.num_agpr, 0
	.set _ZN7rocprim17ROCPRIM_400000_NS6detail17trampoline_kernelINS0_14default_configENS1_38merge_sort_block_merge_config_selectorIiiEEZZNS1_27merge_sort_block_merge_implIS3_N6thrust23THRUST_200600_302600_NS6detail15normal_iteratorINS8_10device_ptrIiEEEESD_jNS1_19radix_merge_compareILb1ELb1EiNS0_19identity_decomposerEEEEE10hipError_tT0_T1_T2_jT3_P12ihipStream_tbPNSt15iterator_traitsISI_E10value_typeEPNSO_ISJ_E10value_typeEPSK_NS1_7vsmem_tEENKUlT_SI_SJ_SK_E_clIPiSD_S10_SD_EESH_SX_SI_SJ_SK_EUlSX_E_NS1_11comp_targetILNS1_3genE2ELNS1_11target_archE906ELNS1_3gpuE6ELNS1_3repE0EEENS1_48merge_mergepath_partition_config_static_selectorELNS0_4arch9wavefront6targetE1EEEvSJ_.numbered_sgpr, 0
	.set _ZN7rocprim17ROCPRIM_400000_NS6detail17trampoline_kernelINS0_14default_configENS1_38merge_sort_block_merge_config_selectorIiiEEZZNS1_27merge_sort_block_merge_implIS3_N6thrust23THRUST_200600_302600_NS6detail15normal_iteratorINS8_10device_ptrIiEEEESD_jNS1_19radix_merge_compareILb1ELb1EiNS0_19identity_decomposerEEEEE10hipError_tT0_T1_T2_jT3_P12ihipStream_tbPNSt15iterator_traitsISI_E10value_typeEPNSO_ISJ_E10value_typeEPSK_NS1_7vsmem_tEENKUlT_SI_SJ_SK_E_clIPiSD_S10_SD_EESH_SX_SI_SJ_SK_EUlSX_E_NS1_11comp_targetILNS1_3genE2ELNS1_11target_archE906ELNS1_3gpuE6ELNS1_3repE0EEENS1_48merge_mergepath_partition_config_static_selectorELNS0_4arch9wavefront6targetE1EEEvSJ_.num_named_barrier, 0
	.set _ZN7rocprim17ROCPRIM_400000_NS6detail17trampoline_kernelINS0_14default_configENS1_38merge_sort_block_merge_config_selectorIiiEEZZNS1_27merge_sort_block_merge_implIS3_N6thrust23THRUST_200600_302600_NS6detail15normal_iteratorINS8_10device_ptrIiEEEESD_jNS1_19radix_merge_compareILb1ELb1EiNS0_19identity_decomposerEEEEE10hipError_tT0_T1_T2_jT3_P12ihipStream_tbPNSt15iterator_traitsISI_E10value_typeEPNSO_ISJ_E10value_typeEPSK_NS1_7vsmem_tEENKUlT_SI_SJ_SK_E_clIPiSD_S10_SD_EESH_SX_SI_SJ_SK_EUlSX_E_NS1_11comp_targetILNS1_3genE2ELNS1_11target_archE906ELNS1_3gpuE6ELNS1_3repE0EEENS1_48merge_mergepath_partition_config_static_selectorELNS0_4arch9wavefront6targetE1EEEvSJ_.private_seg_size, 0
	.set _ZN7rocprim17ROCPRIM_400000_NS6detail17trampoline_kernelINS0_14default_configENS1_38merge_sort_block_merge_config_selectorIiiEEZZNS1_27merge_sort_block_merge_implIS3_N6thrust23THRUST_200600_302600_NS6detail15normal_iteratorINS8_10device_ptrIiEEEESD_jNS1_19radix_merge_compareILb1ELb1EiNS0_19identity_decomposerEEEEE10hipError_tT0_T1_T2_jT3_P12ihipStream_tbPNSt15iterator_traitsISI_E10value_typeEPNSO_ISJ_E10value_typeEPSK_NS1_7vsmem_tEENKUlT_SI_SJ_SK_E_clIPiSD_S10_SD_EESH_SX_SI_SJ_SK_EUlSX_E_NS1_11comp_targetILNS1_3genE2ELNS1_11target_archE906ELNS1_3gpuE6ELNS1_3repE0EEENS1_48merge_mergepath_partition_config_static_selectorELNS0_4arch9wavefront6targetE1EEEvSJ_.uses_vcc, 0
	.set _ZN7rocprim17ROCPRIM_400000_NS6detail17trampoline_kernelINS0_14default_configENS1_38merge_sort_block_merge_config_selectorIiiEEZZNS1_27merge_sort_block_merge_implIS3_N6thrust23THRUST_200600_302600_NS6detail15normal_iteratorINS8_10device_ptrIiEEEESD_jNS1_19radix_merge_compareILb1ELb1EiNS0_19identity_decomposerEEEEE10hipError_tT0_T1_T2_jT3_P12ihipStream_tbPNSt15iterator_traitsISI_E10value_typeEPNSO_ISJ_E10value_typeEPSK_NS1_7vsmem_tEENKUlT_SI_SJ_SK_E_clIPiSD_S10_SD_EESH_SX_SI_SJ_SK_EUlSX_E_NS1_11comp_targetILNS1_3genE2ELNS1_11target_archE906ELNS1_3gpuE6ELNS1_3repE0EEENS1_48merge_mergepath_partition_config_static_selectorELNS0_4arch9wavefront6targetE1EEEvSJ_.uses_flat_scratch, 0
	.set _ZN7rocprim17ROCPRIM_400000_NS6detail17trampoline_kernelINS0_14default_configENS1_38merge_sort_block_merge_config_selectorIiiEEZZNS1_27merge_sort_block_merge_implIS3_N6thrust23THRUST_200600_302600_NS6detail15normal_iteratorINS8_10device_ptrIiEEEESD_jNS1_19radix_merge_compareILb1ELb1EiNS0_19identity_decomposerEEEEE10hipError_tT0_T1_T2_jT3_P12ihipStream_tbPNSt15iterator_traitsISI_E10value_typeEPNSO_ISJ_E10value_typeEPSK_NS1_7vsmem_tEENKUlT_SI_SJ_SK_E_clIPiSD_S10_SD_EESH_SX_SI_SJ_SK_EUlSX_E_NS1_11comp_targetILNS1_3genE2ELNS1_11target_archE906ELNS1_3gpuE6ELNS1_3repE0EEENS1_48merge_mergepath_partition_config_static_selectorELNS0_4arch9wavefront6targetE1EEEvSJ_.has_dyn_sized_stack, 0
	.set _ZN7rocprim17ROCPRIM_400000_NS6detail17trampoline_kernelINS0_14default_configENS1_38merge_sort_block_merge_config_selectorIiiEEZZNS1_27merge_sort_block_merge_implIS3_N6thrust23THRUST_200600_302600_NS6detail15normal_iteratorINS8_10device_ptrIiEEEESD_jNS1_19radix_merge_compareILb1ELb1EiNS0_19identity_decomposerEEEEE10hipError_tT0_T1_T2_jT3_P12ihipStream_tbPNSt15iterator_traitsISI_E10value_typeEPNSO_ISJ_E10value_typeEPSK_NS1_7vsmem_tEENKUlT_SI_SJ_SK_E_clIPiSD_S10_SD_EESH_SX_SI_SJ_SK_EUlSX_E_NS1_11comp_targetILNS1_3genE2ELNS1_11target_archE906ELNS1_3gpuE6ELNS1_3repE0EEENS1_48merge_mergepath_partition_config_static_selectorELNS0_4arch9wavefront6targetE1EEEvSJ_.has_recursion, 0
	.set _ZN7rocprim17ROCPRIM_400000_NS6detail17trampoline_kernelINS0_14default_configENS1_38merge_sort_block_merge_config_selectorIiiEEZZNS1_27merge_sort_block_merge_implIS3_N6thrust23THRUST_200600_302600_NS6detail15normal_iteratorINS8_10device_ptrIiEEEESD_jNS1_19radix_merge_compareILb1ELb1EiNS0_19identity_decomposerEEEEE10hipError_tT0_T1_T2_jT3_P12ihipStream_tbPNSt15iterator_traitsISI_E10value_typeEPNSO_ISJ_E10value_typeEPSK_NS1_7vsmem_tEENKUlT_SI_SJ_SK_E_clIPiSD_S10_SD_EESH_SX_SI_SJ_SK_EUlSX_E_NS1_11comp_targetILNS1_3genE2ELNS1_11target_archE906ELNS1_3gpuE6ELNS1_3repE0EEENS1_48merge_mergepath_partition_config_static_selectorELNS0_4arch9wavefront6targetE1EEEvSJ_.has_indirect_call, 0
	.section	.AMDGPU.csdata,"",@progbits
; Kernel info:
; codeLenInByte = 0
; TotalNumSgprs: 6
; NumVgprs: 0
; NumAgprs: 0
; TotalNumVgprs: 0
; ScratchSize: 0
; MemoryBound: 0
; FloatMode: 240
; IeeeMode: 1
; LDSByteSize: 0 bytes/workgroup (compile time only)
; SGPRBlocks: 0
; VGPRBlocks: 0
; NumSGPRsForWavesPerEU: 6
; NumVGPRsForWavesPerEU: 1
; AccumOffset: 4
; Occupancy: 8
; WaveLimiterHint : 0
; COMPUTE_PGM_RSRC2:SCRATCH_EN: 0
; COMPUTE_PGM_RSRC2:USER_SGPR: 2
; COMPUTE_PGM_RSRC2:TRAP_HANDLER: 0
; COMPUTE_PGM_RSRC2:TGID_X_EN: 1
; COMPUTE_PGM_RSRC2:TGID_Y_EN: 0
; COMPUTE_PGM_RSRC2:TGID_Z_EN: 0
; COMPUTE_PGM_RSRC2:TIDIG_COMP_CNT: 0
; COMPUTE_PGM_RSRC3_GFX90A:ACCUM_OFFSET: 0
; COMPUTE_PGM_RSRC3_GFX90A:TG_SPLIT: 0
	.section	.text._ZN7rocprim17ROCPRIM_400000_NS6detail17trampoline_kernelINS0_14default_configENS1_38merge_sort_block_merge_config_selectorIiiEEZZNS1_27merge_sort_block_merge_implIS3_N6thrust23THRUST_200600_302600_NS6detail15normal_iteratorINS8_10device_ptrIiEEEESD_jNS1_19radix_merge_compareILb1ELb1EiNS0_19identity_decomposerEEEEE10hipError_tT0_T1_T2_jT3_P12ihipStream_tbPNSt15iterator_traitsISI_E10value_typeEPNSO_ISJ_E10value_typeEPSK_NS1_7vsmem_tEENKUlT_SI_SJ_SK_E_clIPiSD_S10_SD_EESH_SX_SI_SJ_SK_EUlSX_E_NS1_11comp_targetILNS1_3genE9ELNS1_11target_archE1100ELNS1_3gpuE3ELNS1_3repE0EEENS1_48merge_mergepath_partition_config_static_selectorELNS0_4arch9wavefront6targetE1EEEvSJ_,"axG",@progbits,_ZN7rocprim17ROCPRIM_400000_NS6detail17trampoline_kernelINS0_14default_configENS1_38merge_sort_block_merge_config_selectorIiiEEZZNS1_27merge_sort_block_merge_implIS3_N6thrust23THRUST_200600_302600_NS6detail15normal_iteratorINS8_10device_ptrIiEEEESD_jNS1_19radix_merge_compareILb1ELb1EiNS0_19identity_decomposerEEEEE10hipError_tT0_T1_T2_jT3_P12ihipStream_tbPNSt15iterator_traitsISI_E10value_typeEPNSO_ISJ_E10value_typeEPSK_NS1_7vsmem_tEENKUlT_SI_SJ_SK_E_clIPiSD_S10_SD_EESH_SX_SI_SJ_SK_EUlSX_E_NS1_11comp_targetILNS1_3genE9ELNS1_11target_archE1100ELNS1_3gpuE3ELNS1_3repE0EEENS1_48merge_mergepath_partition_config_static_selectorELNS0_4arch9wavefront6targetE1EEEvSJ_,comdat
	.protected	_ZN7rocprim17ROCPRIM_400000_NS6detail17trampoline_kernelINS0_14default_configENS1_38merge_sort_block_merge_config_selectorIiiEEZZNS1_27merge_sort_block_merge_implIS3_N6thrust23THRUST_200600_302600_NS6detail15normal_iteratorINS8_10device_ptrIiEEEESD_jNS1_19radix_merge_compareILb1ELb1EiNS0_19identity_decomposerEEEEE10hipError_tT0_T1_T2_jT3_P12ihipStream_tbPNSt15iterator_traitsISI_E10value_typeEPNSO_ISJ_E10value_typeEPSK_NS1_7vsmem_tEENKUlT_SI_SJ_SK_E_clIPiSD_S10_SD_EESH_SX_SI_SJ_SK_EUlSX_E_NS1_11comp_targetILNS1_3genE9ELNS1_11target_archE1100ELNS1_3gpuE3ELNS1_3repE0EEENS1_48merge_mergepath_partition_config_static_selectorELNS0_4arch9wavefront6targetE1EEEvSJ_ ; -- Begin function _ZN7rocprim17ROCPRIM_400000_NS6detail17trampoline_kernelINS0_14default_configENS1_38merge_sort_block_merge_config_selectorIiiEEZZNS1_27merge_sort_block_merge_implIS3_N6thrust23THRUST_200600_302600_NS6detail15normal_iteratorINS8_10device_ptrIiEEEESD_jNS1_19radix_merge_compareILb1ELb1EiNS0_19identity_decomposerEEEEE10hipError_tT0_T1_T2_jT3_P12ihipStream_tbPNSt15iterator_traitsISI_E10value_typeEPNSO_ISJ_E10value_typeEPSK_NS1_7vsmem_tEENKUlT_SI_SJ_SK_E_clIPiSD_S10_SD_EESH_SX_SI_SJ_SK_EUlSX_E_NS1_11comp_targetILNS1_3genE9ELNS1_11target_archE1100ELNS1_3gpuE3ELNS1_3repE0EEENS1_48merge_mergepath_partition_config_static_selectorELNS0_4arch9wavefront6targetE1EEEvSJ_
	.globl	_ZN7rocprim17ROCPRIM_400000_NS6detail17trampoline_kernelINS0_14default_configENS1_38merge_sort_block_merge_config_selectorIiiEEZZNS1_27merge_sort_block_merge_implIS3_N6thrust23THRUST_200600_302600_NS6detail15normal_iteratorINS8_10device_ptrIiEEEESD_jNS1_19radix_merge_compareILb1ELb1EiNS0_19identity_decomposerEEEEE10hipError_tT0_T1_T2_jT3_P12ihipStream_tbPNSt15iterator_traitsISI_E10value_typeEPNSO_ISJ_E10value_typeEPSK_NS1_7vsmem_tEENKUlT_SI_SJ_SK_E_clIPiSD_S10_SD_EESH_SX_SI_SJ_SK_EUlSX_E_NS1_11comp_targetILNS1_3genE9ELNS1_11target_archE1100ELNS1_3gpuE3ELNS1_3repE0EEENS1_48merge_mergepath_partition_config_static_selectorELNS0_4arch9wavefront6targetE1EEEvSJ_
	.p2align	8
	.type	_ZN7rocprim17ROCPRIM_400000_NS6detail17trampoline_kernelINS0_14default_configENS1_38merge_sort_block_merge_config_selectorIiiEEZZNS1_27merge_sort_block_merge_implIS3_N6thrust23THRUST_200600_302600_NS6detail15normal_iteratorINS8_10device_ptrIiEEEESD_jNS1_19radix_merge_compareILb1ELb1EiNS0_19identity_decomposerEEEEE10hipError_tT0_T1_T2_jT3_P12ihipStream_tbPNSt15iterator_traitsISI_E10value_typeEPNSO_ISJ_E10value_typeEPSK_NS1_7vsmem_tEENKUlT_SI_SJ_SK_E_clIPiSD_S10_SD_EESH_SX_SI_SJ_SK_EUlSX_E_NS1_11comp_targetILNS1_3genE9ELNS1_11target_archE1100ELNS1_3gpuE3ELNS1_3repE0EEENS1_48merge_mergepath_partition_config_static_selectorELNS0_4arch9wavefront6targetE1EEEvSJ_,@function
_ZN7rocprim17ROCPRIM_400000_NS6detail17trampoline_kernelINS0_14default_configENS1_38merge_sort_block_merge_config_selectorIiiEEZZNS1_27merge_sort_block_merge_implIS3_N6thrust23THRUST_200600_302600_NS6detail15normal_iteratorINS8_10device_ptrIiEEEESD_jNS1_19radix_merge_compareILb1ELb1EiNS0_19identity_decomposerEEEEE10hipError_tT0_T1_T2_jT3_P12ihipStream_tbPNSt15iterator_traitsISI_E10value_typeEPNSO_ISJ_E10value_typeEPSK_NS1_7vsmem_tEENKUlT_SI_SJ_SK_E_clIPiSD_S10_SD_EESH_SX_SI_SJ_SK_EUlSX_E_NS1_11comp_targetILNS1_3genE9ELNS1_11target_archE1100ELNS1_3gpuE3ELNS1_3repE0EEENS1_48merge_mergepath_partition_config_static_selectorELNS0_4arch9wavefront6targetE1EEEvSJ_: ; @_ZN7rocprim17ROCPRIM_400000_NS6detail17trampoline_kernelINS0_14default_configENS1_38merge_sort_block_merge_config_selectorIiiEEZZNS1_27merge_sort_block_merge_implIS3_N6thrust23THRUST_200600_302600_NS6detail15normal_iteratorINS8_10device_ptrIiEEEESD_jNS1_19radix_merge_compareILb1ELb1EiNS0_19identity_decomposerEEEEE10hipError_tT0_T1_T2_jT3_P12ihipStream_tbPNSt15iterator_traitsISI_E10value_typeEPNSO_ISJ_E10value_typeEPSK_NS1_7vsmem_tEENKUlT_SI_SJ_SK_E_clIPiSD_S10_SD_EESH_SX_SI_SJ_SK_EUlSX_E_NS1_11comp_targetILNS1_3genE9ELNS1_11target_archE1100ELNS1_3gpuE3ELNS1_3repE0EEENS1_48merge_mergepath_partition_config_static_selectorELNS0_4arch9wavefront6targetE1EEEvSJ_
; %bb.0:
	.section	.rodata,"a",@progbits
	.p2align	6, 0x0
	.amdhsa_kernel _ZN7rocprim17ROCPRIM_400000_NS6detail17trampoline_kernelINS0_14default_configENS1_38merge_sort_block_merge_config_selectorIiiEEZZNS1_27merge_sort_block_merge_implIS3_N6thrust23THRUST_200600_302600_NS6detail15normal_iteratorINS8_10device_ptrIiEEEESD_jNS1_19radix_merge_compareILb1ELb1EiNS0_19identity_decomposerEEEEE10hipError_tT0_T1_T2_jT3_P12ihipStream_tbPNSt15iterator_traitsISI_E10value_typeEPNSO_ISJ_E10value_typeEPSK_NS1_7vsmem_tEENKUlT_SI_SJ_SK_E_clIPiSD_S10_SD_EESH_SX_SI_SJ_SK_EUlSX_E_NS1_11comp_targetILNS1_3genE9ELNS1_11target_archE1100ELNS1_3gpuE3ELNS1_3repE0EEENS1_48merge_mergepath_partition_config_static_selectorELNS0_4arch9wavefront6targetE1EEEvSJ_
		.amdhsa_group_segment_fixed_size 0
		.amdhsa_private_segment_fixed_size 0
		.amdhsa_kernarg_size 40
		.amdhsa_user_sgpr_count 2
		.amdhsa_user_sgpr_dispatch_ptr 0
		.amdhsa_user_sgpr_queue_ptr 0
		.amdhsa_user_sgpr_kernarg_segment_ptr 1
		.amdhsa_user_sgpr_dispatch_id 0
		.amdhsa_user_sgpr_kernarg_preload_length 0
		.amdhsa_user_sgpr_kernarg_preload_offset 0
		.amdhsa_user_sgpr_private_segment_size 0
		.amdhsa_uses_dynamic_stack 0
		.amdhsa_enable_private_segment 0
		.amdhsa_system_sgpr_workgroup_id_x 1
		.amdhsa_system_sgpr_workgroup_id_y 0
		.amdhsa_system_sgpr_workgroup_id_z 0
		.amdhsa_system_sgpr_workgroup_info 0
		.amdhsa_system_vgpr_workitem_id 0
		.amdhsa_next_free_vgpr 1
		.amdhsa_next_free_sgpr 0
		.amdhsa_accum_offset 4
		.amdhsa_reserve_vcc 0
		.amdhsa_float_round_mode_32 0
		.amdhsa_float_round_mode_16_64 0
		.amdhsa_float_denorm_mode_32 3
		.amdhsa_float_denorm_mode_16_64 3
		.amdhsa_dx10_clamp 1
		.amdhsa_ieee_mode 1
		.amdhsa_fp16_overflow 0
		.amdhsa_tg_split 0
		.amdhsa_exception_fp_ieee_invalid_op 0
		.amdhsa_exception_fp_denorm_src 0
		.amdhsa_exception_fp_ieee_div_zero 0
		.amdhsa_exception_fp_ieee_overflow 0
		.amdhsa_exception_fp_ieee_underflow 0
		.amdhsa_exception_fp_ieee_inexact 0
		.amdhsa_exception_int_div_zero 0
	.end_amdhsa_kernel
	.section	.text._ZN7rocprim17ROCPRIM_400000_NS6detail17trampoline_kernelINS0_14default_configENS1_38merge_sort_block_merge_config_selectorIiiEEZZNS1_27merge_sort_block_merge_implIS3_N6thrust23THRUST_200600_302600_NS6detail15normal_iteratorINS8_10device_ptrIiEEEESD_jNS1_19radix_merge_compareILb1ELb1EiNS0_19identity_decomposerEEEEE10hipError_tT0_T1_T2_jT3_P12ihipStream_tbPNSt15iterator_traitsISI_E10value_typeEPNSO_ISJ_E10value_typeEPSK_NS1_7vsmem_tEENKUlT_SI_SJ_SK_E_clIPiSD_S10_SD_EESH_SX_SI_SJ_SK_EUlSX_E_NS1_11comp_targetILNS1_3genE9ELNS1_11target_archE1100ELNS1_3gpuE3ELNS1_3repE0EEENS1_48merge_mergepath_partition_config_static_selectorELNS0_4arch9wavefront6targetE1EEEvSJ_,"axG",@progbits,_ZN7rocprim17ROCPRIM_400000_NS6detail17trampoline_kernelINS0_14default_configENS1_38merge_sort_block_merge_config_selectorIiiEEZZNS1_27merge_sort_block_merge_implIS3_N6thrust23THRUST_200600_302600_NS6detail15normal_iteratorINS8_10device_ptrIiEEEESD_jNS1_19radix_merge_compareILb1ELb1EiNS0_19identity_decomposerEEEEE10hipError_tT0_T1_T2_jT3_P12ihipStream_tbPNSt15iterator_traitsISI_E10value_typeEPNSO_ISJ_E10value_typeEPSK_NS1_7vsmem_tEENKUlT_SI_SJ_SK_E_clIPiSD_S10_SD_EESH_SX_SI_SJ_SK_EUlSX_E_NS1_11comp_targetILNS1_3genE9ELNS1_11target_archE1100ELNS1_3gpuE3ELNS1_3repE0EEENS1_48merge_mergepath_partition_config_static_selectorELNS0_4arch9wavefront6targetE1EEEvSJ_,comdat
.Lfunc_end939:
	.size	_ZN7rocprim17ROCPRIM_400000_NS6detail17trampoline_kernelINS0_14default_configENS1_38merge_sort_block_merge_config_selectorIiiEEZZNS1_27merge_sort_block_merge_implIS3_N6thrust23THRUST_200600_302600_NS6detail15normal_iteratorINS8_10device_ptrIiEEEESD_jNS1_19radix_merge_compareILb1ELb1EiNS0_19identity_decomposerEEEEE10hipError_tT0_T1_T2_jT3_P12ihipStream_tbPNSt15iterator_traitsISI_E10value_typeEPNSO_ISJ_E10value_typeEPSK_NS1_7vsmem_tEENKUlT_SI_SJ_SK_E_clIPiSD_S10_SD_EESH_SX_SI_SJ_SK_EUlSX_E_NS1_11comp_targetILNS1_3genE9ELNS1_11target_archE1100ELNS1_3gpuE3ELNS1_3repE0EEENS1_48merge_mergepath_partition_config_static_selectorELNS0_4arch9wavefront6targetE1EEEvSJ_, .Lfunc_end939-_ZN7rocprim17ROCPRIM_400000_NS6detail17trampoline_kernelINS0_14default_configENS1_38merge_sort_block_merge_config_selectorIiiEEZZNS1_27merge_sort_block_merge_implIS3_N6thrust23THRUST_200600_302600_NS6detail15normal_iteratorINS8_10device_ptrIiEEEESD_jNS1_19radix_merge_compareILb1ELb1EiNS0_19identity_decomposerEEEEE10hipError_tT0_T1_T2_jT3_P12ihipStream_tbPNSt15iterator_traitsISI_E10value_typeEPNSO_ISJ_E10value_typeEPSK_NS1_7vsmem_tEENKUlT_SI_SJ_SK_E_clIPiSD_S10_SD_EESH_SX_SI_SJ_SK_EUlSX_E_NS1_11comp_targetILNS1_3genE9ELNS1_11target_archE1100ELNS1_3gpuE3ELNS1_3repE0EEENS1_48merge_mergepath_partition_config_static_selectorELNS0_4arch9wavefront6targetE1EEEvSJ_
                                        ; -- End function
	.set _ZN7rocprim17ROCPRIM_400000_NS6detail17trampoline_kernelINS0_14default_configENS1_38merge_sort_block_merge_config_selectorIiiEEZZNS1_27merge_sort_block_merge_implIS3_N6thrust23THRUST_200600_302600_NS6detail15normal_iteratorINS8_10device_ptrIiEEEESD_jNS1_19radix_merge_compareILb1ELb1EiNS0_19identity_decomposerEEEEE10hipError_tT0_T1_T2_jT3_P12ihipStream_tbPNSt15iterator_traitsISI_E10value_typeEPNSO_ISJ_E10value_typeEPSK_NS1_7vsmem_tEENKUlT_SI_SJ_SK_E_clIPiSD_S10_SD_EESH_SX_SI_SJ_SK_EUlSX_E_NS1_11comp_targetILNS1_3genE9ELNS1_11target_archE1100ELNS1_3gpuE3ELNS1_3repE0EEENS1_48merge_mergepath_partition_config_static_selectorELNS0_4arch9wavefront6targetE1EEEvSJ_.num_vgpr, 0
	.set _ZN7rocprim17ROCPRIM_400000_NS6detail17trampoline_kernelINS0_14default_configENS1_38merge_sort_block_merge_config_selectorIiiEEZZNS1_27merge_sort_block_merge_implIS3_N6thrust23THRUST_200600_302600_NS6detail15normal_iteratorINS8_10device_ptrIiEEEESD_jNS1_19radix_merge_compareILb1ELb1EiNS0_19identity_decomposerEEEEE10hipError_tT0_T1_T2_jT3_P12ihipStream_tbPNSt15iterator_traitsISI_E10value_typeEPNSO_ISJ_E10value_typeEPSK_NS1_7vsmem_tEENKUlT_SI_SJ_SK_E_clIPiSD_S10_SD_EESH_SX_SI_SJ_SK_EUlSX_E_NS1_11comp_targetILNS1_3genE9ELNS1_11target_archE1100ELNS1_3gpuE3ELNS1_3repE0EEENS1_48merge_mergepath_partition_config_static_selectorELNS0_4arch9wavefront6targetE1EEEvSJ_.num_agpr, 0
	.set _ZN7rocprim17ROCPRIM_400000_NS6detail17trampoline_kernelINS0_14default_configENS1_38merge_sort_block_merge_config_selectorIiiEEZZNS1_27merge_sort_block_merge_implIS3_N6thrust23THRUST_200600_302600_NS6detail15normal_iteratorINS8_10device_ptrIiEEEESD_jNS1_19radix_merge_compareILb1ELb1EiNS0_19identity_decomposerEEEEE10hipError_tT0_T1_T2_jT3_P12ihipStream_tbPNSt15iterator_traitsISI_E10value_typeEPNSO_ISJ_E10value_typeEPSK_NS1_7vsmem_tEENKUlT_SI_SJ_SK_E_clIPiSD_S10_SD_EESH_SX_SI_SJ_SK_EUlSX_E_NS1_11comp_targetILNS1_3genE9ELNS1_11target_archE1100ELNS1_3gpuE3ELNS1_3repE0EEENS1_48merge_mergepath_partition_config_static_selectorELNS0_4arch9wavefront6targetE1EEEvSJ_.numbered_sgpr, 0
	.set _ZN7rocprim17ROCPRIM_400000_NS6detail17trampoline_kernelINS0_14default_configENS1_38merge_sort_block_merge_config_selectorIiiEEZZNS1_27merge_sort_block_merge_implIS3_N6thrust23THRUST_200600_302600_NS6detail15normal_iteratorINS8_10device_ptrIiEEEESD_jNS1_19radix_merge_compareILb1ELb1EiNS0_19identity_decomposerEEEEE10hipError_tT0_T1_T2_jT3_P12ihipStream_tbPNSt15iterator_traitsISI_E10value_typeEPNSO_ISJ_E10value_typeEPSK_NS1_7vsmem_tEENKUlT_SI_SJ_SK_E_clIPiSD_S10_SD_EESH_SX_SI_SJ_SK_EUlSX_E_NS1_11comp_targetILNS1_3genE9ELNS1_11target_archE1100ELNS1_3gpuE3ELNS1_3repE0EEENS1_48merge_mergepath_partition_config_static_selectorELNS0_4arch9wavefront6targetE1EEEvSJ_.num_named_barrier, 0
	.set _ZN7rocprim17ROCPRIM_400000_NS6detail17trampoline_kernelINS0_14default_configENS1_38merge_sort_block_merge_config_selectorIiiEEZZNS1_27merge_sort_block_merge_implIS3_N6thrust23THRUST_200600_302600_NS6detail15normal_iteratorINS8_10device_ptrIiEEEESD_jNS1_19radix_merge_compareILb1ELb1EiNS0_19identity_decomposerEEEEE10hipError_tT0_T1_T2_jT3_P12ihipStream_tbPNSt15iterator_traitsISI_E10value_typeEPNSO_ISJ_E10value_typeEPSK_NS1_7vsmem_tEENKUlT_SI_SJ_SK_E_clIPiSD_S10_SD_EESH_SX_SI_SJ_SK_EUlSX_E_NS1_11comp_targetILNS1_3genE9ELNS1_11target_archE1100ELNS1_3gpuE3ELNS1_3repE0EEENS1_48merge_mergepath_partition_config_static_selectorELNS0_4arch9wavefront6targetE1EEEvSJ_.private_seg_size, 0
	.set _ZN7rocprim17ROCPRIM_400000_NS6detail17trampoline_kernelINS0_14default_configENS1_38merge_sort_block_merge_config_selectorIiiEEZZNS1_27merge_sort_block_merge_implIS3_N6thrust23THRUST_200600_302600_NS6detail15normal_iteratorINS8_10device_ptrIiEEEESD_jNS1_19radix_merge_compareILb1ELb1EiNS0_19identity_decomposerEEEEE10hipError_tT0_T1_T2_jT3_P12ihipStream_tbPNSt15iterator_traitsISI_E10value_typeEPNSO_ISJ_E10value_typeEPSK_NS1_7vsmem_tEENKUlT_SI_SJ_SK_E_clIPiSD_S10_SD_EESH_SX_SI_SJ_SK_EUlSX_E_NS1_11comp_targetILNS1_3genE9ELNS1_11target_archE1100ELNS1_3gpuE3ELNS1_3repE0EEENS1_48merge_mergepath_partition_config_static_selectorELNS0_4arch9wavefront6targetE1EEEvSJ_.uses_vcc, 0
	.set _ZN7rocprim17ROCPRIM_400000_NS6detail17trampoline_kernelINS0_14default_configENS1_38merge_sort_block_merge_config_selectorIiiEEZZNS1_27merge_sort_block_merge_implIS3_N6thrust23THRUST_200600_302600_NS6detail15normal_iteratorINS8_10device_ptrIiEEEESD_jNS1_19radix_merge_compareILb1ELb1EiNS0_19identity_decomposerEEEEE10hipError_tT0_T1_T2_jT3_P12ihipStream_tbPNSt15iterator_traitsISI_E10value_typeEPNSO_ISJ_E10value_typeEPSK_NS1_7vsmem_tEENKUlT_SI_SJ_SK_E_clIPiSD_S10_SD_EESH_SX_SI_SJ_SK_EUlSX_E_NS1_11comp_targetILNS1_3genE9ELNS1_11target_archE1100ELNS1_3gpuE3ELNS1_3repE0EEENS1_48merge_mergepath_partition_config_static_selectorELNS0_4arch9wavefront6targetE1EEEvSJ_.uses_flat_scratch, 0
	.set _ZN7rocprim17ROCPRIM_400000_NS6detail17trampoline_kernelINS0_14default_configENS1_38merge_sort_block_merge_config_selectorIiiEEZZNS1_27merge_sort_block_merge_implIS3_N6thrust23THRUST_200600_302600_NS6detail15normal_iteratorINS8_10device_ptrIiEEEESD_jNS1_19radix_merge_compareILb1ELb1EiNS0_19identity_decomposerEEEEE10hipError_tT0_T1_T2_jT3_P12ihipStream_tbPNSt15iterator_traitsISI_E10value_typeEPNSO_ISJ_E10value_typeEPSK_NS1_7vsmem_tEENKUlT_SI_SJ_SK_E_clIPiSD_S10_SD_EESH_SX_SI_SJ_SK_EUlSX_E_NS1_11comp_targetILNS1_3genE9ELNS1_11target_archE1100ELNS1_3gpuE3ELNS1_3repE0EEENS1_48merge_mergepath_partition_config_static_selectorELNS0_4arch9wavefront6targetE1EEEvSJ_.has_dyn_sized_stack, 0
	.set _ZN7rocprim17ROCPRIM_400000_NS6detail17trampoline_kernelINS0_14default_configENS1_38merge_sort_block_merge_config_selectorIiiEEZZNS1_27merge_sort_block_merge_implIS3_N6thrust23THRUST_200600_302600_NS6detail15normal_iteratorINS8_10device_ptrIiEEEESD_jNS1_19radix_merge_compareILb1ELb1EiNS0_19identity_decomposerEEEEE10hipError_tT0_T1_T2_jT3_P12ihipStream_tbPNSt15iterator_traitsISI_E10value_typeEPNSO_ISJ_E10value_typeEPSK_NS1_7vsmem_tEENKUlT_SI_SJ_SK_E_clIPiSD_S10_SD_EESH_SX_SI_SJ_SK_EUlSX_E_NS1_11comp_targetILNS1_3genE9ELNS1_11target_archE1100ELNS1_3gpuE3ELNS1_3repE0EEENS1_48merge_mergepath_partition_config_static_selectorELNS0_4arch9wavefront6targetE1EEEvSJ_.has_recursion, 0
	.set _ZN7rocprim17ROCPRIM_400000_NS6detail17trampoline_kernelINS0_14default_configENS1_38merge_sort_block_merge_config_selectorIiiEEZZNS1_27merge_sort_block_merge_implIS3_N6thrust23THRUST_200600_302600_NS6detail15normal_iteratorINS8_10device_ptrIiEEEESD_jNS1_19radix_merge_compareILb1ELb1EiNS0_19identity_decomposerEEEEE10hipError_tT0_T1_T2_jT3_P12ihipStream_tbPNSt15iterator_traitsISI_E10value_typeEPNSO_ISJ_E10value_typeEPSK_NS1_7vsmem_tEENKUlT_SI_SJ_SK_E_clIPiSD_S10_SD_EESH_SX_SI_SJ_SK_EUlSX_E_NS1_11comp_targetILNS1_3genE9ELNS1_11target_archE1100ELNS1_3gpuE3ELNS1_3repE0EEENS1_48merge_mergepath_partition_config_static_selectorELNS0_4arch9wavefront6targetE1EEEvSJ_.has_indirect_call, 0
	.section	.AMDGPU.csdata,"",@progbits
; Kernel info:
; codeLenInByte = 0
; TotalNumSgprs: 6
; NumVgprs: 0
; NumAgprs: 0
; TotalNumVgprs: 0
; ScratchSize: 0
; MemoryBound: 0
; FloatMode: 240
; IeeeMode: 1
; LDSByteSize: 0 bytes/workgroup (compile time only)
; SGPRBlocks: 0
; VGPRBlocks: 0
; NumSGPRsForWavesPerEU: 6
; NumVGPRsForWavesPerEU: 1
; AccumOffset: 4
; Occupancy: 8
; WaveLimiterHint : 0
; COMPUTE_PGM_RSRC2:SCRATCH_EN: 0
; COMPUTE_PGM_RSRC2:USER_SGPR: 2
; COMPUTE_PGM_RSRC2:TRAP_HANDLER: 0
; COMPUTE_PGM_RSRC2:TGID_X_EN: 1
; COMPUTE_PGM_RSRC2:TGID_Y_EN: 0
; COMPUTE_PGM_RSRC2:TGID_Z_EN: 0
; COMPUTE_PGM_RSRC2:TIDIG_COMP_CNT: 0
; COMPUTE_PGM_RSRC3_GFX90A:ACCUM_OFFSET: 0
; COMPUTE_PGM_RSRC3_GFX90A:TG_SPLIT: 0
	.section	.text._ZN7rocprim17ROCPRIM_400000_NS6detail17trampoline_kernelINS0_14default_configENS1_38merge_sort_block_merge_config_selectorIiiEEZZNS1_27merge_sort_block_merge_implIS3_N6thrust23THRUST_200600_302600_NS6detail15normal_iteratorINS8_10device_ptrIiEEEESD_jNS1_19radix_merge_compareILb1ELb1EiNS0_19identity_decomposerEEEEE10hipError_tT0_T1_T2_jT3_P12ihipStream_tbPNSt15iterator_traitsISI_E10value_typeEPNSO_ISJ_E10value_typeEPSK_NS1_7vsmem_tEENKUlT_SI_SJ_SK_E_clIPiSD_S10_SD_EESH_SX_SI_SJ_SK_EUlSX_E_NS1_11comp_targetILNS1_3genE8ELNS1_11target_archE1030ELNS1_3gpuE2ELNS1_3repE0EEENS1_48merge_mergepath_partition_config_static_selectorELNS0_4arch9wavefront6targetE1EEEvSJ_,"axG",@progbits,_ZN7rocprim17ROCPRIM_400000_NS6detail17trampoline_kernelINS0_14default_configENS1_38merge_sort_block_merge_config_selectorIiiEEZZNS1_27merge_sort_block_merge_implIS3_N6thrust23THRUST_200600_302600_NS6detail15normal_iteratorINS8_10device_ptrIiEEEESD_jNS1_19radix_merge_compareILb1ELb1EiNS0_19identity_decomposerEEEEE10hipError_tT0_T1_T2_jT3_P12ihipStream_tbPNSt15iterator_traitsISI_E10value_typeEPNSO_ISJ_E10value_typeEPSK_NS1_7vsmem_tEENKUlT_SI_SJ_SK_E_clIPiSD_S10_SD_EESH_SX_SI_SJ_SK_EUlSX_E_NS1_11comp_targetILNS1_3genE8ELNS1_11target_archE1030ELNS1_3gpuE2ELNS1_3repE0EEENS1_48merge_mergepath_partition_config_static_selectorELNS0_4arch9wavefront6targetE1EEEvSJ_,comdat
	.protected	_ZN7rocprim17ROCPRIM_400000_NS6detail17trampoline_kernelINS0_14default_configENS1_38merge_sort_block_merge_config_selectorIiiEEZZNS1_27merge_sort_block_merge_implIS3_N6thrust23THRUST_200600_302600_NS6detail15normal_iteratorINS8_10device_ptrIiEEEESD_jNS1_19radix_merge_compareILb1ELb1EiNS0_19identity_decomposerEEEEE10hipError_tT0_T1_T2_jT3_P12ihipStream_tbPNSt15iterator_traitsISI_E10value_typeEPNSO_ISJ_E10value_typeEPSK_NS1_7vsmem_tEENKUlT_SI_SJ_SK_E_clIPiSD_S10_SD_EESH_SX_SI_SJ_SK_EUlSX_E_NS1_11comp_targetILNS1_3genE8ELNS1_11target_archE1030ELNS1_3gpuE2ELNS1_3repE0EEENS1_48merge_mergepath_partition_config_static_selectorELNS0_4arch9wavefront6targetE1EEEvSJ_ ; -- Begin function _ZN7rocprim17ROCPRIM_400000_NS6detail17trampoline_kernelINS0_14default_configENS1_38merge_sort_block_merge_config_selectorIiiEEZZNS1_27merge_sort_block_merge_implIS3_N6thrust23THRUST_200600_302600_NS6detail15normal_iteratorINS8_10device_ptrIiEEEESD_jNS1_19radix_merge_compareILb1ELb1EiNS0_19identity_decomposerEEEEE10hipError_tT0_T1_T2_jT3_P12ihipStream_tbPNSt15iterator_traitsISI_E10value_typeEPNSO_ISJ_E10value_typeEPSK_NS1_7vsmem_tEENKUlT_SI_SJ_SK_E_clIPiSD_S10_SD_EESH_SX_SI_SJ_SK_EUlSX_E_NS1_11comp_targetILNS1_3genE8ELNS1_11target_archE1030ELNS1_3gpuE2ELNS1_3repE0EEENS1_48merge_mergepath_partition_config_static_selectorELNS0_4arch9wavefront6targetE1EEEvSJ_
	.globl	_ZN7rocprim17ROCPRIM_400000_NS6detail17trampoline_kernelINS0_14default_configENS1_38merge_sort_block_merge_config_selectorIiiEEZZNS1_27merge_sort_block_merge_implIS3_N6thrust23THRUST_200600_302600_NS6detail15normal_iteratorINS8_10device_ptrIiEEEESD_jNS1_19radix_merge_compareILb1ELb1EiNS0_19identity_decomposerEEEEE10hipError_tT0_T1_T2_jT3_P12ihipStream_tbPNSt15iterator_traitsISI_E10value_typeEPNSO_ISJ_E10value_typeEPSK_NS1_7vsmem_tEENKUlT_SI_SJ_SK_E_clIPiSD_S10_SD_EESH_SX_SI_SJ_SK_EUlSX_E_NS1_11comp_targetILNS1_3genE8ELNS1_11target_archE1030ELNS1_3gpuE2ELNS1_3repE0EEENS1_48merge_mergepath_partition_config_static_selectorELNS0_4arch9wavefront6targetE1EEEvSJ_
	.p2align	8
	.type	_ZN7rocprim17ROCPRIM_400000_NS6detail17trampoline_kernelINS0_14default_configENS1_38merge_sort_block_merge_config_selectorIiiEEZZNS1_27merge_sort_block_merge_implIS3_N6thrust23THRUST_200600_302600_NS6detail15normal_iteratorINS8_10device_ptrIiEEEESD_jNS1_19radix_merge_compareILb1ELb1EiNS0_19identity_decomposerEEEEE10hipError_tT0_T1_T2_jT3_P12ihipStream_tbPNSt15iterator_traitsISI_E10value_typeEPNSO_ISJ_E10value_typeEPSK_NS1_7vsmem_tEENKUlT_SI_SJ_SK_E_clIPiSD_S10_SD_EESH_SX_SI_SJ_SK_EUlSX_E_NS1_11comp_targetILNS1_3genE8ELNS1_11target_archE1030ELNS1_3gpuE2ELNS1_3repE0EEENS1_48merge_mergepath_partition_config_static_selectorELNS0_4arch9wavefront6targetE1EEEvSJ_,@function
_ZN7rocprim17ROCPRIM_400000_NS6detail17trampoline_kernelINS0_14default_configENS1_38merge_sort_block_merge_config_selectorIiiEEZZNS1_27merge_sort_block_merge_implIS3_N6thrust23THRUST_200600_302600_NS6detail15normal_iteratorINS8_10device_ptrIiEEEESD_jNS1_19radix_merge_compareILb1ELb1EiNS0_19identity_decomposerEEEEE10hipError_tT0_T1_T2_jT3_P12ihipStream_tbPNSt15iterator_traitsISI_E10value_typeEPNSO_ISJ_E10value_typeEPSK_NS1_7vsmem_tEENKUlT_SI_SJ_SK_E_clIPiSD_S10_SD_EESH_SX_SI_SJ_SK_EUlSX_E_NS1_11comp_targetILNS1_3genE8ELNS1_11target_archE1030ELNS1_3gpuE2ELNS1_3repE0EEENS1_48merge_mergepath_partition_config_static_selectorELNS0_4arch9wavefront6targetE1EEEvSJ_: ; @_ZN7rocprim17ROCPRIM_400000_NS6detail17trampoline_kernelINS0_14default_configENS1_38merge_sort_block_merge_config_selectorIiiEEZZNS1_27merge_sort_block_merge_implIS3_N6thrust23THRUST_200600_302600_NS6detail15normal_iteratorINS8_10device_ptrIiEEEESD_jNS1_19radix_merge_compareILb1ELb1EiNS0_19identity_decomposerEEEEE10hipError_tT0_T1_T2_jT3_P12ihipStream_tbPNSt15iterator_traitsISI_E10value_typeEPNSO_ISJ_E10value_typeEPSK_NS1_7vsmem_tEENKUlT_SI_SJ_SK_E_clIPiSD_S10_SD_EESH_SX_SI_SJ_SK_EUlSX_E_NS1_11comp_targetILNS1_3genE8ELNS1_11target_archE1030ELNS1_3gpuE2ELNS1_3repE0EEENS1_48merge_mergepath_partition_config_static_selectorELNS0_4arch9wavefront6targetE1EEEvSJ_
; %bb.0:
	.section	.rodata,"a",@progbits
	.p2align	6, 0x0
	.amdhsa_kernel _ZN7rocprim17ROCPRIM_400000_NS6detail17trampoline_kernelINS0_14default_configENS1_38merge_sort_block_merge_config_selectorIiiEEZZNS1_27merge_sort_block_merge_implIS3_N6thrust23THRUST_200600_302600_NS6detail15normal_iteratorINS8_10device_ptrIiEEEESD_jNS1_19radix_merge_compareILb1ELb1EiNS0_19identity_decomposerEEEEE10hipError_tT0_T1_T2_jT3_P12ihipStream_tbPNSt15iterator_traitsISI_E10value_typeEPNSO_ISJ_E10value_typeEPSK_NS1_7vsmem_tEENKUlT_SI_SJ_SK_E_clIPiSD_S10_SD_EESH_SX_SI_SJ_SK_EUlSX_E_NS1_11comp_targetILNS1_3genE8ELNS1_11target_archE1030ELNS1_3gpuE2ELNS1_3repE0EEENS1_48merge_mergepath_partition_config_static_selectorELNS0_4arch9wavefront6targetE1EEEvSJ_
		.amdhsa_group_segment_fixed_size 0
		.amdhsa_private_segment_fixed_size 0
		.amdhsa_kernarg_size 40
		.amdhsa_user_sgpr_count 2
		.amdhsa_user_sgpr_dispatch_ptr 0
		.amdhsa_user_sgpr_queue_ptr 0
		.amdhsa_user_sgpr_kernarg_segment_ptr 1
		.amdhsa_user_sgpr_dispatch_id 0
		.amdhsa_user_sgpr_kernarg_preload_length 0
		.amdhsa_user_sgpr_kernarg_preload_offset 0
		.amdhsa_user_sgpr_private_segment_size 0
		.amdhsa_uses_dynamic_stack 0
		.amdhsa_enable_private_segment 0
		.amdhsa_system_sgpr_workgroup_id_x 1
		.amdhsa_system_sgpr_workgroup_id_y 0
		.amdhsa_system_sgpr_workgroup_id_z 0
		.amdhsa_system_sgpr_workgroup_info 0
		.amdhsa_system_vgpr_workitem_id 0
		.amdhsa_next_free_vgpr 1
		.amdhsa_next_free_sgpr 0
		.amdhsa_accum_offset 4
		.amdhsa_reserve_vcc 0
		.amdhsa_float_round_mode_32 0
		.amdhsa_float_round_mode_16_64 0
		.amdhsa_float_denorm_mode_32 3
		.amdhsa_float_denorm_mode_16_64 3
		.amdhsa_dx10_clamp 1
		.amdhsa_ieee_mode 1
		.amdhsa_fp16_overflow 0
		.amdhsa_tg_split 0
		.amdhsa_exception_fp_ieee_invalid_op 0
		.amdhsa_exception_fp_denorm_src 0
		.amdhsa_exception_fp_ieee_div_zero 0
		.amdhsa_exception_fp_ieee_overflow 0
		.amdhsa_exception_fp_ieee_underflow 0
		.amdhsa_exception_fp_ieee_inexact 0
		.amdhsa_exception_int_div_zero 0
	.end_amdhsa_kernel
	.section	.text._ZN7rocprim17ROCPRIM_400000_NS6detail17trampoline_kernelINS0_14default_configENS1_38merge_sort_block_merge_config_selectorIiiEEZZNS1_27merge_sort_block_merge_implIS3_N6thrust23THRUST_200600_302600_NS6detail15normal_iteratorINS8_10device_ptrIiEEEESD_jNS1_19radix_merge_compareILb1ELb1EiNS0_19identity_decomposerEEEEE10hipError_tT0_T1_T2_jT3_P12ihipStream_tbPNSt15iterator_traitsISI_E10value_typeEPNSO_ISJ_E10value_typeEPSK_NS1_7vsmem_tEENKUlT_SI_SJ_SK_E_clIPiSD_S10_SD_EESH_SX_SI_SJ_SK_EUlSX_E_NS1_11comp_targetILNS1_3genE8ELNS1_11target_archE1030ELNS1_3gpuE2ELNS1_3repE0EEENS1_48merge_mergepath_partition_config_static_selectorELNS0_4arch9wavefront6targetE1EEEvSJ_,"axG",@progbits,_ZN7rocprim17ROCPRIM_400000_NS6detail17trampoline_kernelINS0_14default_configENS1_38merge_sort_block_merge_config_selectorIiiEEZZNS1_27merge_sort_block_merge_implIS3_N6thrust23THRUST_200600_302600_NS6detail15normal_iteratorINS8_10device_ptrIiEEEESD_jNS1_19radix_merge_compareILb1ELb1EiNS0_19identity_decomposerEEEEE10hipError_tT0_T1_T2_jT3_P12ihipStream_tbPNSt15iterator_traitsISI_E10value_typeEPNSO_ISJ_E10value_typeEPSK_NS1_7vsmem_tEENKUlT_SI_SJ_SK_E_clIPiSD_S10_SD_EESH_SX_SI_SJ_SK_EUlSX_E_NS1_11comp_targetILNS1_3genE8ELNS1_11target_archE1030ELNS1_3gpuE2ELNS1_3repE0EEENS1_48merge_mergepath_partition_config_static_selectorELNS0_4arch9wavefront6targetE1EEEvSJ_,comdat
.Lfunc_end940:
	.size	_ZN7rocprim17ROCPRIM_400000_NS6detail17trampoline_kernelINS0_14default_configENS1_38merge_sort_block_merge_config_selectorIiiEEZZNS1_27merge_sort_block_merge_implIS3_N6thrust23THRUST_200600_302600_NS6detail15normal_iteratorINS8_10device_ptrIiEEEESD_jNS1_19radix_merge_compareILb1ELb1EiNS0_19identity_decomposerEEEEE10hipError_tT0_T1_T2_jT3_P12ihipStream_tbPNSt15iterator_traitsISI_E10value_typeEPNSO_ISJ_E10value_typeEPSK_NS1_7vsmem_tEENKUlT_SI_SJ_SK_E_clIPiSD_S10_SD_EESH_SX_SI_SJ_SK_EUlSX_E_NS1_11comp_targetILNS1_3genE8ELNS1_11target_archE1030ELNS1_3gpuE2ELNS1_3repE0EEENS1_48merge_mergepath_partition_config_static_selectorELNS0_4arch9wavefront6targetE1EEEvSJ_, .Lfunc_end940-_ZN7rocprim17ROCPRIM_400000_NS6detail17trampoline_kernelINS0_14default_configENS1_38merge_sort_block_merge_config_selectorIiiEEZZNS1_27merge_sort_block_merge_implIS3_N6thrust23THRUST_200600_302600_NS6detail15normal_iteratorINS8_10device_ptrIiEEEESD_jNS1_19radix_merge_compareILb1ELb1EiNS0_19identity_decomposerEEEEE10hipError_tT0_T1_T2_jT3_P12ihipStream_tbPNSt15iterator_traitsISI_E10value_typeEPNSO_ISJ_E10value_typeEPSK_NS1_7vsmem_tEENKUlT_SI_SJ_SK_E_clIPiSD_S10_SD_EESH_SX_SI_SJ_SK_EUlSX_E_NS1_11comp_targetILNS1_3genE8ELNS1_11target_archE1030ELNS1_3gpuE2ELNS1_3repE0EEENS1_48merge_mergepath_partition_config_static_selectorELNS0_4arch9wavefront6targetE1EEEvSJ_
                                        ; -- End function
	.set _ZN7rocprim17ROCPRIM_400000_NS6detail17trampoline_kernelINS0_14default_configENS1_38merge_sort_block_merge_config_selectorIiiEEZZNS1_27merge_sort_block_merge_implIS3_N6thrust23THRUST_200600_302600_NS6detail15normal_iteratorINS8_10device_ptrIiEEEESD_jNS1_19radix_merge_compareILb1ELb1EiNS0_19identity_decomposerEEEEE10hipError_tT0_T1_T2_jT3_P12ihipStream_tbPNSt15iterator_traitsISI_E10value_typeEPNSO_ISJ_E10value_typeEPSK_NS1_7vsmem_tEENKUlT_SI_SJ_SK_E_clIPiSD_S10_SD_EESH_SX_SI_SJ_SK_EUlSX_E_NS1_11comp_targetILNS1_3genE8ELNS1_11target_archE1030ELNS1_3gpuE2ELNS1_3repE0EEENS1_48merge_mergepath_partition_config_static_selectorELNS0_4arch9wavefront6targetE1EEEvSJ_.num_vgpr, 0
	.set _ZN7rocprim17ROCPRIM_400000_NS6detail17trampoline_kernelINS0_14default_configENS1_38merge_sort_block_merge_config_selectorIiiEEZZNS1_27merge_sort_block_merge_implIS3_N6thrust23THRUST_200600_302600_NS6detail15normal_iteratorINS8_10device_ptrIiEEEESD_jNS1_19radix_merge_compareILb1ELb1EiNS0_19identity_decomposerEEEEE10hipError_tT0_T1_T2_jT3_P12ihipStream_tbPNSt15iterator_traitsISI_E10value_typeEPNSO_ISJ_E10value_typeEPSK_NS1_7vsmem_tEENKUlT_SI_SJ_SK_E_clIPiSD_S10_SD_EESH_SX_SI_SJ_SK_EUlSX_E_NS1_11comp_targetILNS1_3genE8ELNS1_11target_archE1030ELNS1_3gpuE2ELNS1_3repE0EEENS1_48merge_mergepath_partition_config_static_selectorELNS0_4arch9wavefront6targetE1EEEvSJ_.num_agpr, 0
	.set _ZN7rocprim17ROCPRIM_400000_NS6detail17trampoline_kernelINS0_14default_configENS1_38merge_sort_block_merge_config_selectorIiiEEZZNS1_27merge_sort_block_merge_implIS3_N6thrust23THRUST_200600_302600_NS6detail15normal_iteratorINS8_10device_ptrIiEEEESD_jNS1_19radix_merge_compareILb1ELb1EiNS0_19identity_decomposerEEEEE10hipError_tT0_T1_T2_jT3_P12ihipStream_tbPNSt15iterator_traitsISI_E10value_typeEPNSO_ISJ_E10value_typeEPSK_NS1_7vsmem_tEENKUlT_SI_SJ_SK_E_clIPiSD_S10_SD_EESH_SX_SI_SJ_SK_EUlSX_E_NS1_11comp_targetILNS1_3genE8ELNS1_11target_archE1030ELNS1_3gpuE2ELNS1_3repE0EEENS1_48merge_mergepath_partition_config_static_selectorELNS0_4arch9wavefront6targetE1EEEvSJ_.numbered_sgpr, 0
	.set _ZN7rocprim17ROCPRIM_400000_NS6detail17trampoline_kernelINS0_14default_configENS1_38merge_sort_block_merge_config_selectorIiiEEZZNS1_27merge_sort_block_merge_implIS3_N6thrust23THRUST_200600_302600_NS6detail15normal_iteratorINS8_10device_ptrIiEEEESD_jNS1_19radix_merge_compareILb1ELb1EiNS0_19identity_decomposerEEEEE10hipError_tT0_T1_T2_jT3_P12ihipStream_tbPNSt15iterator_traitsISI_E10value_typeEPNSO_ISJ_E10value_typeEPSK_NS1_7vsmem_tEENKUlT_SI_SJ_SK_E_clIPiSD_S10_SD_EESH_SX_SI_SJ_SK_EUlSX_E_NS1_11comp_targetILNS1_3genE8ELNS1_11target_archE1030ELNS1_3gpuE2ELNS1_3repE0EEENS1_48merge_mergepath_partition_config_static_selectorELNS0_4arch9wavefront6targetE1EEEvSJ_.num_named_barrier, 0
	.set _ZN7rocprim17ROCPRIM_400000_NS6detail17trampoline_kernelINS0_14default_configENS1_38merge_sort_block_merge_config_selectorIiiEEZZNS1_27merge_sort_block_merge_implIS3_N6thrust23THRUST_200600_302600_NS6detail15normal_iteratorINS8_10device_ptrIiEEEESD_jNS1_19radix_merge_compareILb1ELb1EiNS0_19identity_decomposerEEEEE10hipError_tT0_T1_T2_jT3_P12ihipStream_tbPNSt15iterator_traitsISI_E10value_typeEPNSO_ISJ_E10value_typeEPSK_NS1_7vsmem_tEENKUlT_SI_SJ_SK_E_clIPiSD_S10_SD_EESH_SX_SI_SJ_SK_EUlSX_E_NS1_11comp_targetILNS1_3genE8ELNS1_11target_archE1030ELNS1_3gpuE2ELNS1_3repE0EEENS1_48merge_mergepath_partition_config_static_selectorELNS0_4arch9wavefront6targetE1EEEvSJ_.private_seg_size, 0
	.set _ZN7rocprim17ROCPRIM_400000_NS6detail17trampoline_kernelINS0_14default_configENS1_38merge_sort_block_merge_config_selectorIiiEEZZNS1_27merge_sort_block_merge_implIS3_N6thrust23THRUST_200600_302600_NS6detail15normal_iteratorINS8_10device_ptrIiEEEESD_jNS1_19radix_merge_compareILb1ELb1EiNS0_19identity_decomposerEEEEE10hipError_tT0_T1_T2_jT3_P12ihipStream_tbPNSt15iterator_traitsISI_E10value_typeEPNSO_ISJ_E10value_typeEPSK_NS1_7vsmem_tEENKUlT_SI_SJ_SK_E_clIPiSD_S10_SD_EESH_SX_SI_SJ_SK_EUlSX_E_NS1_11comp_targetILNS1_3genE8ELNS1_11target_archE1030ELNS1_3gpuE2ELNS1_3repE0EEENS1_48merge_mergepath_partition_config_static_selectorELNS0_4arch9wavefront6targetE1EEEvSJ_.uses_vcc, 0
	.set _ZN7rocprim17ROCPRIM_400000_NS6detail17trampoline_kernelINS0_14default_configENS1_38merge_sort_block_merge_config_selectorIiiEEZZNS1_27merge_sort_block_merge_implIS3_N6thrust23THRUST_200600_302600_NS6detail15normal_iteratorINS8_10device_ptrIiEEEESD_jNS1_19radix_merge_compareILb1ELb1EiNS0_19identity_decomposerEEEEE10hipError_tT0_T1_T2_jT3_P12ihipStream_tbPNSt15iterator_traitsISI_E10value_typeEPNSO_ISJ_E10value_typeEPSK_NS1_7vsmem_tEENKUlT_SI_SJ_SK_E_clIPiSD_S10_SD_EESH_SX_SI_SJ_SK_EUlSX_E_NS1_11comp_targetILNS1_3genE8ELNS1_11target_archE1030ELNS1_3gpuE2ELNS1_3repE0EEENS1_48merge_mergepath_partition_config_static_selectorELNS0_4arch9wavefront6targetE1EEEvSJ_.uses_flat_scratch, 0
	.set _ZN7rocprim17ROCPRIM_400000_NS6detail17trampoline_kernelINS0_14default_configENS1_38merge_sort_block_merge_config_selectorIiiEEZZNS1_27merge_sort_block_merge_implIS3_N6thrust23THRUST_200600_302600_NS6detail15normal_iteratorINS8_10device_ptrIiEEEESD_jNS1_19radix_merge_compareILb1ELb1EiNS0_19identity_decomposerEEEEE10hipError_tT0_T1_T2_jT3_P12ihipStream_tbPNSt15iterator_traitsISI_E10value_typeEPNSO_ISJ_E10value_typeEPSK_NS1_7vsmem_tEENKUlT_SI_SJ_SK_E_clIPiSD_S10_SD_EESH_SX_SI_SJ_SK_EUlSX_E_NS1_11comp_targetILNS1_3genE8ELNS1_11target_archE1030ELNS1_3gpuE2ELNS1_3repE0EEENS1_48merge_mergepath_partition_config_static_selectorELNS0_4arch9wavefront6targetE1EEEvSJ_.has_dyn_sized_stack, 0
	.set _ZN7rocprim17ROCPRIM_400000_NS6detail17trampoline_kernelINS0_14default_configENS1_38merge_sort_block_merge_config_selectorIiiEEZZNS1_27merge_sort_block_merge_implIS3_N6thrust23THRUST_200600_302600_NS6detail15normal_iteratorINS8_10device_ptrIiEEEESD_jNS1_19radix_merge_compareILb1ELb1EiNS0_19identity_decomposerEEEEE10hipError_tT0_T1_T2_jT3_P12ihipStream_tbPNSt15iterator_traitsISI_E10value_typeEPNSO_ISJ_E10value_typeEPSK_NS1_7vsmem_tEENKUlT_SI_SJ_SK_E_clIPiSD_S10_SD_EESH_SX_SI_SJ_SK_EUlSX_E_NS1_11comp_targetILNS1_3genE8ELNS1_11target_archE1030ELNS1_3gpuE2ELNS1_3repE0EEENS1_48merge_mergepath_partition_config_static_selectorELNS0_4arch9wavefront6targetE1EEEvSJ_.has_recursion, 0
	.set _ZN7rocprim17ROCPRIM_400000_NS6detail17trampoline_kernelINS0_14default_configENS1_38merge_sort_block_merge_config_selectorIiiEEZZNS1_27merge_sort_block_merge_implIS3_N6thrust23THRUST_200600_302600_NS6detail15normal_iteratorINS8_10device_ptrIiEEEESD_jNS1_19radix_merge_compareILb1ELb1EiNS0_19identity_decomposerEEEEE10hipError_tT0_T1_T2_jT3_P12ihipStream_tbPNSt15iterator_traitsISI_E10value_typeEPNSO_ISJ_E10value_typeEPSK_NS1_7vsmem_tEENKUlT_SI_SJ_SK_E_clIPiSD_S10_SD_EESH_SX_SI_SJ_SK_EUlSX_E_NS1_11comp_targetILNS1_3genE8ELNS1_11target_archE1030ELNS1_3gpuE2ELNS1_3repE0EEENS1_48merge_mergepath_partition_config_static_selectorELNS0_4arch9wavefront6targetE1EEEvSJ_.has_indirect_call, 0
	.section	.AMDGPU.csdata,"",@progbits
; Kernel info:
; codeLenInByte = 0
; TotalNumSgprs: 6
; NumVgprs: 0
; NumAgprs: 0
; TotalNumVgprs: 0
; ScratchSize: 0
; MemoryBound: 0
; FloatMode: 240
; IeeeMode: 1
; LDSByteSize: 0 bytes/workgroup (compile time only)
; SGPRBlocks: 0
; VGPRBlocks: 0
; NumSGPRsForWavesPerEU: 6
; NumVGPRsForWavesPerEU: 1
; AccumOffset: 4
; Occupancy: 8
; WaveLimiterHint : 0
; COMPUTE_PGM_RSRC2:SCRATCH_EN: 0
; COMPUTE_PGM_RSRC2:USER_SGPR: 2
; COMPUTE_PGM_RSRC2:TRAP_HANDLER: 0
; COMPUTE_PGM_RSRC2:TGID_X_EN: 1
; COMPUTE_PGM_RSRC2:TGID_Y_EN: 0
; COMPUTE_PGM_RSRC2:TGID_Z_EN: 0
; COMPUTE_PGM_RSRC2:TIDIG_COMP_CNT: 0
; COMPUTE_PGM_RSRC3_GFX90A:ACCUM_OFFSET: 0
; COMPUTE_PGM_RSRC3_GFX90A:TG_SPLIT: 0
	.section	.text._ZN7rocprim17ROCPRIM_400000_NS6detail17trampoline_kernelINS0_14default_configENS1_38merge_sort_block_merge_config_selectorIiiEEZZNS1_27merge_sort_block_merge_implIS3_N6thrust23THRUST_200600_302600_NS6detail15normal_iteratorINS8_10device_ptrIiEEEESD_jNS1_19radix_merge_compareILb1ELb1EiNS0_19identity_decomposerEEEEE10hipError_tT0_T1_T2_jT3_P12ihipStream_tbPNSt15iterator_traitsISI_E10value_typeEPNSO_ISJ_E10value_typeEPSK_NS1_7vsmem_tEENKUlT_SI_SJ_SK_E_clIPiSD_S10_SD_EESH_SX_SI_SJ_SK_EUlSX_E0_NS1_11comp_targetILNS1_3genE0ELNS1_11target_archE4294967295ELNS1_3gpuE0ELNS1_3repE0EEENS1_38merge_mergepath_config_static_selectorELNS0_4arch9wavefront6targetE1EEEvSJ_,"axG",@progbits,_ZN7rocprim17ROCPRIM_400000_NS6detail17trampoline_kernelINS0_14default_configENS1_38merge_sort_block_merge_config_selectorIiiEEZZNS1_27merge_sort_block_merge_implIS3_N6thrust23THRUST_200600_302600_NS6detail15normal_iteratorINS8_10device_ptrIiEEEESD_jNS1_19radix_merge_compareILb1ELb1EiNS0_19identity_decomposerEEEEE10hipError_tT0_T1_T2_jT3_P12ihipStream_tbPNSt15iterator_traitsISI_E10value_typeEPNSO_ISJ_E10value_typeEPSK_NS1_7vsmem_tEENKUlT_SI_SJ_SK_E_clIPiSD_S10_SD_EESH_SX_SI_SJ_SK_EUlSX_E0_NS1_11comp_targetILNS1_3genE0ELNS1_11target_archE4294967295ELNS1_3gpuE0ELNS1_3repE0EEENS1_38merge_mergepath_config_static_selectorELNS0_4arch9wavefront6targetE1EEEvSJ_,comdat
	.protected	_ZN7rocprim17ROCPRIM_400000_NS6detail17trampoline_kernelINS0_14default_configENS1_38merge_sort_block_merge_config_selectorIiiEEZZNS1_27merge_sort_block_merge_implIS3_N6thrust23THRUST_200600_302600_NS6detail15normal_iteratorINS8_10device_ptrIiEEEESD_jNS1_19radix_merge_compareILb1ELb1EiNS0_19identity_decomposerEEEEE10hipError_tT0_T1_T2_jT3_P12ihipStream_tbPNSt15iterator_traitsISI_E10value_typeEPNSO_ISJ_E10value_typeEPSK_NS1_7vsmem_tEENKUlT_SI_SJ_SK_E_clIPiSD_S10_SD_EESH_SX_SI_SJ_SK_EUlSX_E0_NS1_11comp_targetILNS1_3genE0ELNS1_11target_archE4294967295ELNS1_3gpuE0ELNS1_3repE0EEENS1_38merge_mergepath_config_static_selectorELNS0_4arch9wavefront6targetE1EEEvSJ_ ; -- Begin function _ZN7rocprim17ROCPRIM_400000_NS6detail17trampoline_kernelINS0_14default_configENS1_38merge_sort_block_merge_config_selectorIiiEEZZNS1_27merge_sort_block_merge_implIS3_N6thrust23THRUST_200600_302600_NS6detail15normal_iteratorINS8_10device_ptrIiEEEESD_jNS1_19radix_merge_compareILb1ELb1EiNS0_19identity_decomposerEEEEE10hipError_tT0_T1_T2_jT3_P12ihipStream_tbPNSt15iterator_traitsISI_E10value_typeEPNSO_ISJ_E10value_typeEPSK_NS1_7vsmem_tEENKUlT_SI_SJ_SK_E_clIPiSD_S10_SD_EESH_SX_SI_SJ_SK_EUlSX_E0_NS1_11comp_targetILNS1_3genE0ELNS1_11target_archE4294967295ELNS1_3gpuE0ELNS1_3repE0EEENS1_38merge_mergepath_config_static_selectorELNS0_4arch9wavefront6targetE1EEEvSJ_
	.globl	_ZN7rocprim17ROCPRIM_400000_NS6detail17trampoline_kernelINS0_14default_configENS1_38merge_sort_block_merge_config_selectorIiiEEZZNS1_27merge_sort_block_merge_implIS3_N6thrust23THRUST_200600_302600_NS6detail15normal_iteratorINS8_10device_ptrIiEEEESD_jNS1_19radix_merge_compareILb1ELb1EiNS0_19identity_decomposerEEEEE10hipError_tT0_T1_T2_jT3_P12ihipStream_tbPNSt15iterator_traitsISI_E10value_typeEPNSO_ISJ_E10value_typeEPSK_NS1_7vsmem_tEENKUlT_SI_SJ_SK_E_clIPiSD_S10_SD_EESH_SX_SI_SJ_SK_EUlSX_E0_NS1_11comp_targetILNS1_3genE0ELNS1_11target_archE4294967295ELNS1_3gpuE0ELNS1_3repE0EEENS1_38merge_mergepath_config_static_selectorELNS0_4arch9wavefront6targetE1EEEvSJ_
	.p2align	8
	.type	_ZN7rocprim17ROCPRIM_400000_NS6detail17trampoline_kernelINS0_14default_configENS1_38merge_sort_block_merge_config_selectorIiiEEZZNS1_27merge_sort_block_merge_implIS3_N6thrust23THRUST_200600_302600_NS6detail15normal_iteratorINS8_10device_ptrIiEEEESD_jNS1_19radix_merge_compareILb1ELb1EiNS0_19identity_decomposerEEEEE10hipError_tT0_T1_T2_jT3_P12ihipStream_tbPNSt15iterator_traitsISI_E10value_typeEPNSO_ISJ_E10value_typeEPSK_NS1_7vsmem_tEENKUlT_SI_SJ_SK_E_clIPiSD_S10_SD_EESH_SX_SI_SJ_SK_EUlSX_E0_NS1_11comp_targetILNS1_3genE0ELNS1_11target_archE4294967295ELNS1_3gpuE0ELNS1_3repE0EEENS1_38merge_mergepath_config_static_selectorELNS0_4arch9wavefront6targetE1EEEvSJ_,@function
_ZN7rocprim17ROCPRIM_400000_NS6detail17trampoline_kernelINS0_14default_configENS1_38merge_sort_block_merge_config_selectorIiiEEZZNS1_27merge_sort_block_merge_implIS3_N6thrust23THRUST_200600_302600_NS6detail15normal_iteratorINS8_10device_ptrIiEEEESD_jNS1_19radix_merge_compareILb1ELb1EiNS0_19identity_decomposerEEEEE10hipError_tT0_T1_T2_jT3_P12ihipStream_tbPNSt15iterator_traitsISI_E10value_typeEPNSO_ISJ_E10value_typeEPSK_NS1_7vsmem_tEENKUlT_SI_SJ_SK_E_clIPiSD_S10_SD_EESH_SX_SI_SJ_SK_EUlSX_E0_NS1_11comp_targetILNS1_3genE0ELNS1_11target_archE4294967295ELNS1_3gpuE0ELNS1_3repE0EEENS1_38merge_mergepath_config_static_selectorELNS0_4arch9wavefront6targetE1EEEvSJ_: ; @_ZN7rocprim17ROCPRIM_400000_NS6detail17trampoline_kernelINS0_14default_configENS1_38merge_sort_block_merge_config_selectorIiiEEZZNS1_27merge_sort_block_merge_implIS3_N6thrust23THRUST_200600_302600_NS6detail15normal_iteratorINS8_10device_ptrIiEEEESD_jNS1_19radix_merge_compareILb1ELb1EiNS0_19identity_decomposerEEEEE10hipError_tT0_T1_T2_jT3_P12ihipStream_tbPNSt15iterator_traitsISI_E10value_typeEPNSO_ISJ_E10value_typeEPSK_NS1_7vsmem_tEENKUlT_SI_SJ_SK_E_clIPiSD_S10_SD_EESH_SX_SI_SJ_SK_EUlSX_E0_NS1_11comp_targetILNS1_3genE0ELNS1_11target_archE4294967295ELNS1_3gpuE0ELNS1_3repE0EEENS1_38merge_mergepath_config_static_selectorELNS0_4arch9wavefront6targetE1EEEvSJ_
; %bb.0:
	s_load_dwordx2 s[28:29], s[0:1], 0x40
	s_load_dwordx2 s[16:17], s[0:1], 0x30
	s_add_u32 s24, s0, 64
	s_addc_u32 s25, s1, 0
	s_waitcnt lgkmcnt(0)
	s_mul_i32 s4, s29, s4
	s_add_i32 s3, s4, s3
	s_mul_i32 s3, s3, s28
	s_add_i32 s26, s3, s2
	s_cmp_ge_u32 s26, s16
	s_cbranch_scc1 .LBB941_46
; %bb.1:
	s_load_dwordx8 s[8:15], s[0:1], 0x10
	s_load_dwordx2 s[20:21], s[0:1], 0x8
	s_load_dwordx2 s[4:5], s[0:1], 0x38
	s_mov_b32 s27, 0
	s_mov_b32 s23, s27
	s_waitcnt lgkmcnt(0)
	s_lshr_b32 s30, s14, 10
	s_cmp_lg_u32 s26, s30
	s_cselect_b64 s[18:19], -1, 0
	s_lshl_b64 s[0:1], s[26:27], 2
	s_add_u32 s0, s4, s0
	s_addc_u32 s1, s5, s1
	s_load_dwordx2 s[4:5], s[0:1], 0x0
	s_lshr_b32 s0, s15, 9
	s_and_b32 s0, s0, 0x7ffffe
	s_sub_i32 s0, 0, s0
	s_and_b32 s1, s26, s0
	s_lshl_b32 s3, s1, 10
	s_lshl_b32 s16, s26, 10
	;; [unrolled: 1-line block ×3, first 2 shown]
	s_sub_i32 s6, s16, s3
	s_add_i32 s1, s1, s15
	s_add_i32 s6, s1, s6
	s_waitcnt lgkmcnt(0)
	s_sub_i32 s7, s6, s4
	s_sub_i32 s6, s6, s5
	;; [unrolled: 1-line block ×3, first 2 shown]
	s_min_u32 s22, s14, s7
	s_addk_i32 s6, 0x400
	s_or_b32 s0, s26, s0
	s_min_u32 s3, s14, s1
	s_add_i32 s1, s1, s15
	s_cmp_eq_u32 s0, -1
	s_cselect_b32 s0, s1, s6
	s_cselect_b32 s1, s3, s5
	s_mov_b32 s5, s27
	s_min_u32 s29, s0, s14
	s_sub_i32 s15, s1, s4
	s_lshl_b64 s[0:1], s[4:5], 2
	s_add_u32 s6, s20, s0
	s_addc_u32 s7, s21, s1
	s_lshl_b64 s[4:5], s[22:23], 2
	s_add_u32 s20, s20, s4
	s_addc_u32 s21, s21, s5
	s_cmp_lt_u32 s2, s28
	v_mov_b32_e32 v11, 0
	s_cselect_b32 s2, 12, 18
	global_load_dword v1, v11, s[24:25] offset:14
	s_add_u32 s2, s24, s2
	s_addc_u32 s3, s25, 0
	global_load_ushort v2, v11, s[2:3]
	s_cmp_eq_u32 s26, s30
	v_lshlrev_b32_e32 v10, 2, v0
	s_waitcnt vmcnt(1)
	v_lshrrev_b32_e32 v3, 16, v1
	v_and_b32_e32 v1, 0xffff, v1
	v_mul_lo_u32 v1, v1, v3
	s_waitcnt vmcnt(0)
	v_mul_lo_u32 v1, v1, v2
	v_add_u32_e32 v14, v1, v0
	v_add_u32_e32 v12, v14, v1
	s_cbranch_scc1 .LBB941_3
; %bb.2:
	v_subrev_co_u32_e32 v4, vcc, s15, v0
	v_mov_b32_e32 v5, v11
	v_lshl_add_u64 v[2:3], s[6:7], 0, v[10:11]
	v_lshl_add_u64 v[4:5], v[4:5], 2, s[20:21]
	v_cndmask_b32_e32 v3, v5, v3, vcc
	v_cndmask_b32_e32 v2, v4, v2, vcc
	global_load_dword v2, v[2:3], off
	v_mov_b32_e32 v15, v11
	v_subrev_co_u32_e32 v6, vcc, s15, v14
	v_mov_b32_e32 v7, v11
	v_lshl_add_u64 v[4:5], v[14:15], 2, s[6:7]
	v_lshl_add_u64 v[6:7], v[6:7], 2, s[20:21]
	v_cndmask_b32_e32 v5, v7, v5, vcc
	v_cndmask_b32_e32 v4, v6, v4, vcc
	v_mov_b32_e32 v13, v11
	v_subrev_co_u32_e32 v6, vcc, s15, v12
	v_mov_b32_e32 v7, v11
	global_load_dword v3, v[4:5], off
	v_lshl_add_u64 v[4:5], v[12:13], 2, s[6:7]
	v_lshl_add_u64 v[6:7], v[6:7], 2, s[20:21]
	v_cndmask_b32_e32 v5, v7, v5, vcc
	v_cndmask_b32_e32 v4, v6, v4, vcc
	global_load_dword v4, v[4:5], off
	v_add_u32_e32 v6, v12, v1
	s_mov_b64 s[2:3], -1
	s_sub_i32 s24, s29, s22
	s_cbranch_execz .LBB941_4
	s_branch .LBB941_9
.LBB941_3:
	s_mov_b64 s[2:3], 0
                                        ; implicit-def: $vgpr6
                                        ; implicit-def: $vgpr2_vgpr3_vgpr4_vgpr5
	s_sub_i32 s24, s29, s22
.LBB941_4:
	s_add_i32 s22, s24, s15
	s_waitcnt vmcnt(2)
	v_mov_b32_e32 v2, 0
	v_cmp_gt_u32_e32 vcc, s22, v0
	s_waitcnt vmcnt(1)
	v_mov_b32_e32 v3, v2
	s_waitcnt vmcnt(0)
	v_mov_b32_e32 v4, v2
	v_mov_b32_e32 v5, v2
	s_and_saveexec_b64 s[2:3], vcc
	s_cbranch_execnz .LBB941_47
; %bb.5:
	s_or_b64 exec, exec, s[2:3]
	v_cmp_gt_u32_e32 vcc, s22, v14
	s_and_saveexec_b64 s[2:3], vcc
	s_cbranch_execnz .LBB941_48
.LBB941_6:
	s_or_b64 exec, exec, s[2:3]
	v_cmp_gt_u32_e32 vcc, s22, v12
	s_and_saveexec_b64 s[2:3], vcc
	s_cbranch_execz .LBB941_8
.LBB941_7:
	v_mov_b32_e32 v13, 0
	v_subrev_co_u32_e32 v8, vcc, s15, v12
	v_mov_b32_e32 v9, v13
	v_lshl_add_u64 v[6:7], v[12:13], 2, s[6:7]
	v_lshl_add_u64 v[8:9], v[8:9], 2, s[20:21]
	v_cndmask_b32_e32 v7, v9, v7, vcc
	v_cndmask_b32_e32 v6, v8, v6, vcc
	global_load_dword v4, v[6:7], off
.LBB941_8:
	s_or_b64 exec, exec, s[2:3]
	v_add_u32_e32 v6, v12, v1
	v_cmp_gt_u32_e64 s[2:3], s22, v6
.LBB941_9:
	s_and_saveexec_b64 s[22:23], s[2:3]
	s_cbranch_execz .LBB941_11
; %bb.10:
	v_mov_b32_e32 v7, 0
	v_lshl_add_u64 v[8:9], v[6:7], 2, s[6:7]
	v_subrev_co_u32_e32 v6, vcc, s15, v6
	v_lshl_add_u64 v[6:7], v[6:7], 2, s[20:21]
	s_nop 0
	v_cndmask_b32_e32 v7, v7, v9, vcc
	v_cndmask_b32_e32 v6, v6, v8, vcc
	global_load_dword v5, v[6:7], off
.LBB941_11:
	s_or_b64 exec, exec, s[22:23]
	s_add_u32 s0, s10, s0
	s_addc_u32 s1, s11, s1
	s_add_u32 s2, s10, s4
	v_mov_b32_e32 v11, 0
	s_addc_u32 s3, s11, s5
	s_andn2_b64 vcc, exec, s[18:19]
	s_waitcnt vmcnt(0)
	ds_write2st64_b32 v10, v2, v3 offset1:4
	ds_write2st64_b32 v10, v4, v5 offset0:8 offset1:12
	s_cbranch_vccnz .LBB941_13
; %bb.12:
	v_subrev_co_u32_e32 v8, vcc, s15, v0
	v_mov_b32_e32 v9, v11
	v_lshl_add_u64 v[6:7], s[0:1], 0, v[10:11]
	v_lshl_add_u64 v[8:9], v[8:9], 2, s[2:3]
	v_cndmask_b32_e32 v7, v9, v7, vcc
	v_cndmask_b32_e32 v6, v8, v6, vcc
	v_mov_b32_e32 v15, v11
	v_subrev_co_u32_e32 v16, vcc, s15, v14
	v_mov_b32_e32 v17, v11
	v_lshl_add_u64 v[8:9], v[14:15], 2, s[0:1]
	v_lshl_add_u64 v[16:17], v[16:17], 2, s[2:3]
	v_cndmask_b32_e32 v9, v17, v9, vcc
	v_cndmask_b32_e32 v8, v16, v8, vcc
	v_mov_b32_e32 v13, v11
	v_subrev_co_u32_e32 v16, vcc, s15, v12
	v_mov_b32_e32 v17, v11
	global_load_dword v6, v[6:7], off
	v_lshl_add_u64 v[16:17], v[16:17], 2, s[2:3]
	global_load_dword v7, v[8:9], off
	v_lshl_add_u64 v[8:9], v[12:13], 2, s[0:1]
	v_cndmask_b32_e32 v9, v17, v9, vcc
	v_cndmask_b32_e32 v8, v16, v8, vcc
	v_add_u32_e32 v16, v12, v1
	v_mov_b32_e32 v17, v11
	v_lshl_add_u64 v[18:19], v[16:17], 2, s[0:1]
	v_subrev_co_u32_e32 v16, vcc, s15, v16
	v_lshl_add_u64 v[16:17], v[16:17], 2, s[2:3]
	s_nop 0
	v_cndmask_b32_e32 v17, v17, v19, vcc
	v_cndmask_b32_e32 v16, v16, v18, vcc
	global_load_dword v8, v[8:9], off
	s_add_i32 s20, s24, s15
	global_load_dword v9, v[16:17], off
	s_cbranch_execz .LBB941_14
	s_branch .LBB941_21
.LBB941_13:
                                        ; implicit-def: $vgpr6_vgpr7_vgpr8_vgpr9
                                        ; implicit-def: $sgpr20
.LBB941_14:
	s_add_i32 s20, s24, s15
	s_waitcnt vmcnt(3)
	v_mov_b32_e32 v6, 0
	v_cmp_gt_u32_e32 vcc, s20, v0
	s_waitcnt vmcnt(2)
	v_mov_b32_e32 v7, v6
	s_waitcnt vmcnt(1)
	v_mov_b32_e32 v8, v6
	;; [unrolled: 2-line block ×3, first 2 shown]
	s_and_saveexec_b64 s[4:5], vcc
	s_cbranch_execnz .LBB941_49
; %bb.15:
	s_or_b64 exec, exec, s[4:5]
	v_cmp_gt_u32_e32 vcc, s20, v14
	s_and_saveexec_b64 s[4:5], vcc
	s_cbranch_execnz .LBB941_50
.LBB941_16:
	s_or_b64 exec, exec, s[4:5]
	v_cmp_gt_u32_e32 vcc, s20, v12
	s_and_saveexec_b64 s[4:5], vcc
	s_cbranch_execz .LBB941_18
.LBB941_17:
	v_mov_b32_e32 v13, 0
	v_subrev_co_u32_e32 v16, vcc, s15, v12
	v_mov_b32_e32 v17, v13
	v_lshl_add_u64 v[14:15], v[12:13], 2, s[0:1]
	v_lshl_add_u64 v[16:17], v[16:17], 2, s[2:3]
	v_cndmask_b32_e32 v15, v17, v15, vcc
	v_cndmask_b32_e32 v14, v16, v14, vcc
	global_load_dword v8, v[14:15], off
.LBB941_18:
	s_or_b64 exec, exec, s[4:5]
	v_add_u32_e32 v12, v12, v1
	v_cmp_gt_u32_e32 vcc, s20, v12
	s_and_saveexec_b64 s[4:5], vcc
	s_cbranch_execz .LBB941_20
; %bb.19:
	v_mov_b32_e32 v13, 0
	v_lshl_add_u64 v[14:15], v[12:13], 2, s[0:1]
	v_subrev_co_u32_e32 v12, vcc, s15, v12
	v_lshl_add_u64 v[12:13], v[12:13], 2, s[2:3]
	s_nop 0
	v_cndmask_b32_e32 v13, v13, v15, vcc
	v_cndmask_b32_e32 v12, v12, v14, vcc
	global_load_dword v9, v[12:13], off
.LBB941_20:
	s_or_b64 exec, exec, s[4:5]
.LBB941_21:
	v_min_u32_e32 v11, s20, v10
	v_sub_u32_e64 v1, v11, s24 clamp
	v_min_u32_e32 v12, s15, v11
	v_cmp_lt_u32_e32 vcc, v1, v12
	s_waitcnt lgkmcnt(0)
	s_barrier
	s_and_saveexec_b64 s[0:1], vcc
	s_cbranch_execz .LBB941_25
; %bb.22:
	v_lshlrev_b32_e32 v13, 2, v11
	v_lshl_add_u32 v13, s15, 2, v13
	s_mov_b64 s[2:3], 0
.LBB941_23:                             ; =>This Inner Loop Header: Depth=1
	v_add_u32_e32 v14, v12, v1
	v_lshrrev_b32_e32 v14, 1, v14
	v_not_b32_e32 v15, v14
	v_lshlrev_b32_e32 v16, 2, v14
	v_lshl_add_u32 v15, v15, 2, v13
	ds_read_b32 v16, v16
	ds_read_b32 v15, v15
	v_add_u32_e32 v17, 1, v14
	s_waitcnt lgkmcnt(1)
	v_and_b32_e32 v16, s17, v16
	s_waitcnt lgkmcnt(0)
	v_and_b32_e32 v15, s17, v15
	v_cmp_gt_i32_e32 vcc, v15, v16
	s_nop 1
	v_cndmask_b32_e32 v12, v12, v14, vcc
	v_cndmask_b32_e32 v1, v17, v1, vcc
	v_cmp_ge_u32_e32 vcc, v1, v12
	s_or_b64 s[2:3], vcc, s[2:3]
	s_andn2_b64 exec, exec, s[2:3]
	s_cbranch_execnz .LBB941_23
; %bb.24:
	s_or_b64 exec, exec, s[2:3]
.LBB941_25:
	s_or_b64 exec, exec, s[0:1]
	v_sub_u32_e32 v11, v11, v1
	v_add_u32_e32 v14, s15, v11
	v_cmp_ge_u32_e32 vcc, s15, v1
	v_cmp_ge_u32_e64 s[0:1], s20, v14
	s_or_b64 s[0:1], vcc, s[0:1]
	v_mov_b32_e32 v15, 0
	v_mov_b32_e32 v13, 0
	;; [unrolled: 1-line block ×4, first 2 shown]
	s_and_saveexec_b64 s[10:11], s[0:1]
	s_cbranch_execz .LBB941_31
; %bb.26:
	v_cmp_gt_u32_e32 vcc, s15, v1
                                        ; implicit-def: $vgpr2
	s_and_saveexec_b64 s[0:1], vcc
; %bb.27:
	v_lshlrev_b32_e32 v2, 2, v1
	ds_read_b32 v2, v2
; %bb.28:
	s_or_b64 exec, exec, s[0:1]
	v_cmp_le_u32_e64 s[0:1], s20, v14
	v_cmp_gt_u32_e64 s[2:3], s20, v14
                                        ; implicit-def: $vgpr3
	s_and_saveexec_b64 s[4:5], s[2:3]
; %bb.29:
	v_lshlrev_b32_e32 v3, 2, v14
	ds_read_b32 v3, v3
; %bb.30:
	s_or_b64 exec, exec, s[4:5]
	s_waitcnt lgkmcnt(0)
	v_and_b32_e32 v4, s17, v3
	v_and_b32_e32 v5, s17, v2
	v_cmp_le_i32_e64 s[2:3], v4, v5
	s_and_b64 s[2:3], vcc, s[2:3]
	s_or_b64 vcc, s[0:1], s[2:3]
	v_mov_b32_e32 v4, s20
	v_mov_b32_e32 v5, s15
	v_cndmask_b32_e32 v11, v14, v1, vcc
	v_cndmask_b32_e32 v12, v4, v5, vcc
	v_add_u32_e32 v13, 1, v11
	v_add_u32_e32 v12, -1, v12
	v_min_u32_e32 v12, v13, v12
	v_lshlrev_b32_e32 v12, 2, v12
	ds_read_b32 v12, v12
	v_cndmask_b32_e32 v14, v13, v14, vcc
	v_cndmask_b32_e32 v1, v1, v13, vcc
	v_cmp_gt_u32_e64 s[2:3], s15, v1
	v_cmp_le_u32_e64 s[0:1], s20, v14
	s_waitcnt lgkmcnt(0)
	v_cndmask_b32_e32 v15, v12, v3, vcc
	v_cndmask_b32_e32 v16, v2, v12, vcc
	v_and_b32_e32 v12, s17, v15
	v_and_b32_e32 v13, s17, v16
	v_cmp_le_i32_e64 s[4:5], v12, v13
	s_and_b64 s[2:3], s[2:3], s[4:5]
	s_or_b64 s[0:1], s[0:1], s[2:3]
	v_cndmask_b32_e64 v12, v14, v1, s[0:1]
	v_cndmask_b32_e64 v13, v4, v5, s[0:1]
	v_add_u32_e32 v17, 1, v12
	v_add_u32_e32 v13, -1, v13
	v_min_u32_e32 v13, v17, v13
	v_lshlrev_b32_e32 v13, 2, v13
	ds_read_b32 v13, v13
	v_cndmask_b32_e64 v14, v17, v14, s[0:1]
	v_cndmask_b32_e64 v1, v1, v17, s[0:1]
	v_cmp_gt_u32_e64 s[4:5], s15, v1
	v_cmp_le_u32_e64 s[2:3], s20, v14
	s_waitcnt lgkmcnt(0)
	v_cndmask_b32_e64 v18, v13, v15, s[0:1]
	v_cndmask_b32_e64 v19, v16, v13, s[0:1]
	v_and_b32_e32 v13, s17, v18
	v_and_b32_e32 v17, s17, v19
	v_cmp_le_i32_e64 s[6:7], v13, v17
	s_and_b64 s[4:5], s[4:5], s[6:7]
	s_or_b64 s[2:3], s[2:3], s[4:5]
	v_cndmask_b32_e64 v13, v14, v1, s[2:3]
	v_cndmask_b32_e64 v4, v4, v5, s[2:3]
	v_add_u32_e32 v5, 1, v13
	v_add_u32_e32 v4, -1, v4
	v_min_u32_e32 v4, v5, v4
	v_lshlrev_b32_e32 v4, 2, v4
	ds_read_b32 v17, v4
	v_cndmask_b32_e32 v2, v3, v2, vcc
	v_cndmask_b32_e64 v3, v15, v16, s[0:1]
	v_cndmask_b32_e64 v14, v5, v14, s[2:3]
	;; [unrolled: 1-line block ×3, first 2 shown]
	s_waitcnt lgkmcnt(0)
	v_cndmask_b32_e64 v16, v17, v18, s[2:3]
	v_cndmask_b32_e64 v17, v19, v17, s[2:3]
	v_and_b32_e32 v5, s17, v16
	v_and_b32_e32 v15, s17, v17
	v_cndmask_b32_e64 v4, v18, v19, s[2:3]
	v_cmp_gt_u32_e64 s[0:1], s15, v1
	v_cmp_le_i32_e64 s[2:3], v5, v15
	v_cmp_le_u32_e32 vcc, s20, v14
	s_and_b64 s[0:1], s[0:1], s[2:3]
	s_or_b64 vcc, vcc, s[0:1]
	v_cndmask_b32_e32 v15, v14, v1, vcc
	v_cndmask_b32_e32 v5, v16, v17, vcc
.LBB941_31:
	s_or_b64 exec, exec, s[10:11]
	s_barrier
	s_waitcnt vmcnt(0)
	ds_write2st64_b32 v10, v6, v7 offset1:4
	ds_write2st64_b32 v10, v8, v9 offset0:8 offset1:12
	v_lshlrev_b32_e32 v1, 2, v11
	v_lshrrev_b32_e32 v11, 3, v0
	v_lshlrev_b32_e32 v9, 2, v10
	v_lshlrev_b32_e32 v6, 2, v12
	;; [unrolled: 1-line block ×4, first 2 shown]
	v_lshl_add_u32 v9, v11, 2, v9
	s_waitcnt lgkmcnt(0)
	s_barrier
	ds_read_b32 v1, v1
	ds_read_b32 v6, v6
	;; [unrolled: 1-line block ×4, first 2 shown]
	s_waitcnt lgkmcnt(0)
	s_barrier
	s_barrier
	ds_write2_b32 v9, v2, v3 offset1:1
	ds_write2_b32 v9, v4, v5 offset0:2 offset1:3
	v_and_b32_e32 v2, 28, v11
	v_or_b32_e32 v16, 0x100, v0
	v_add_u32_e32 v4, v2, v10
	v_lshrrev_b32_e32 v2, 3, v16
	v_and_b32_e32 v2, 60, v2
	v_or_b32_e32 v15, 0x200, v0
	s_mov_b32 s17, 0
	v_add_u32_e32 v5, v2, v10
	v_lshrrev_b32_e32 v2, 3, v15
	s_lshl_b64 s[4:5], s[16:17], 2
	v_and_b32_e32 v2, 0x5c, v2
	v_or_b32_e32 v14, 0x300, v0
	s_add_u32 s0, s8, s4
	v_add_u32_e32 v12, v2, v10
	v_lshrrev_b32_e32 v2, 3, v14
	s_addc_u32 s1, s9, s5
	v_and_b32_e32 v2, 0x7c, v2
	v_mov_b32_e32 v11, 0
	v_add_u32_e32 v13, v2, v10
	v_lshl_add_u64 v[2:3], s[0:1], 0, v[10:11]
	s_and_b64 vcc, exec, s[18:19]
	s_waitcnt lgkmcnt(0)
	s_cbranch_vccz .LBB941_33
; %bb.32:
	s_barrier
	ds_read_b32 v11, v4
	ds_read_b32 v17, v5 offset:1024
	ds_read_b32 v18, v12 offset:2048
	;; [unrolled: 1-line block ×3, first 2 shown]
	s_add_u32 s0, s12, s4
	s_addc_u32 s1, s13, s5
	s_waitcnt lgkmcnt(3)
	global_store_dword v[2:3], v11, off
	s_waitcnt lgkmcnt(2)
	global_store_dword v[2:3], v17, off offset:1024
	s_waitcnt lgkmcnt(1)
	global_store_dword v[2:3], v18, off offset:2048
	s_waitcnt lgkmcnt(0)
	global_store_dword v[2:3], v19, off offset:3072
	s_barrier
	ds_write2_b32 v9, v1, v6 offset1:1
	ds_write2_b32 v9, v7, v8 offset0:2 offset1:3
	s_waitcnt lgkmcnt(0)
	s_barrier
	ds_read_b32 v11, v4
	ds_read_b32 v18, v5 offset:1024
	ds_read_b32 v19, v12 offset:2048
	;; [unrolled: 1-line block ×3, first 2 shown]
	s_waitcnt lgkmcnt(3)
	global_store_dword v10, v11, s[0:1]
	s_waitcnt lgkmcnt(2)
	global_store_dword v10, v18, s[0:1] offset:1024
	s_waitcnt lgkmcnt(1)
	global_store_dword v10, v19, s[0:1] offset:2048
	s_mov_b64 s[6:7], -1
	s_cbranch_execz .LBB941_34
	s_branch .LBB941_44
.LBB941_33:
	s_mov_b64 s[6:7], 0
                                        ; implicit-def: $vgpr17
.LBB941_34:
	s_barrier
	s_waitcnt lgkmcnt(0)
	ds_read_b32 v18, v5 offset:1024
	ds_read_b32 v17, v12 offset:2048
	;; [unrolled: 1-line block ×3, first 2 shown]
	s_sub_i32 s8, s14, s16
	v_cmp_gt_u32_e32 vcc, s8, v0
	s_and_saveexec_b64 s[0:1], vcc
	s_cbranch_execnz .LBB941_51
; %bb.35:
	s_or_b64 exec, exec, s[0:1]
	v_cmp_gt_u32_e64 s[0:1], s8, v16
	s_and_saveexec_b64 s[2:3], s[0:1]
	s_cbranch_execnz .LBB941_52
.LBB941_36:
	s_or_b64 exec, exec, s[2:3]
	v_cmp_gt_u32_e64 s[2:3], s8, v15
	s_and_saveexec_b64 s[6:7], s[2:3]
	s_cbranch_execnz .LBB941_53
.LBB941_37:
	s_or_b64 exec, exec, s[6:7]
	v_cmp_gt_u32_e64 s[6:7], s8, v14
	s_and_saveexec_b64 s[8:9], s[6:7]
	s_cbranch_execz .LBB941_39
.LBB941_38:
	s_waitcnt lgkmcnt(0)
	global_store_dword v[2:3], v11, off offset:3072
.LBB941_39:
	s_or_b64 exec, exec, s[8:9]
	s_waitcnt lgkmcnt(0)
	s_barrier
	ds_write2_b32 v9, v1, v6 offset1:1
	ds_write2_b32 v9, v7, v8 offset0:2 offset1:3
	s_waitcnt lgkmcnt(0)
	s_barrier
	ds_read_b32 v3, v5 offset:1024
	ds_read_b32 v2, v12 offset:2048
	;; [unrolled: 1-line block ×3, first 2 shown]
	s_add_u32 s8, s12, s4
	s_addc_u32 s9, s13, s5
	v_mov_b32_e32 v11, 0
	v_lshl_add_u64 v[0:1], s[8:9], 0, v[10:11]
	s_and_saveexec_b64 s[8:9], vcc
	s_cbranch_execnz .LBB941_54
; %bb.40:
	s_or_b64 exec, exec, s[8:9]
	s_and_saveexec_b64 s[8:9], s[0:1]
	s_cbranch_execnz .LBB941_55
.LBB941_41:
	s_or_b64 exec, exec, s[8:9]
	s_and_saveexec_b64 s[0:1], s[2:3]
	s_cbranch_execz .LBB941_43
.LBB941_42:
	s_waitcnt lgkmcnt(1)
	global_store_dword v[0:1], v2, off offset:2048
.LBB941_43:
	s_or_b64 exec, exec, s[0:1]
.LBB941_44:
	s_and_saveexec_b64 s[0:1], s[6:7]
	s_cbranch_execz .LBB941_46
; %bb.45:
	s_add_u32 s0, s12, s4
	s_addc_u32 s1, s13, s5
	s_waitcnt lgkmcnt(0)
	global_store_dword v10, v17, s[0:1] offset:3072
.LBB941_46:
	s_endpgm
.LBB941_47:
	v_mov_b32_e32 v11, v2
	v_subrev_co_u32_e32 v6, vcc, s15, v0
	v_mov_b32_e32 v7, v2
	v_lshl_add_u64 v[4:5], s[6:7], 0, v[10:11]
	v_lshl_add_u64 v[6:7], v[6:7], 2, s[20:21]
	v_cndmask_b32_e32 v5, v7, v5, vcc
	v_cndmask_b32_e32 v4, v6, v4, vcc
	global_load_dword v4, v[4:5], off
	v_mov_b32_e32 v5, v2
	v_mov_b32_e32 v6, v2
	;; [unrolled: 1-line block ×3, first 2 shown]
	s_waitcnt vmcnt(0)
	v_mov_b64_e32 v[2:3], v[4:5]
	v_mov_b64_e32 v[4:5], v[6:7]
	s_or_b64 exec, exec, s[2:3]
	v_cmp_gt_u32_e32 vcc, s22, v14
	s_and_saveexec_b64 s[2:3], vcc
	s_cbranch_execz .LBB941_6
.LBB941_48:
	v_mov_b32_e32 v15, 0
	v_subrev_co_u32_e32 v8, vcc, s15, v14
	v_mov_b32_e32 v9, v15
	v_lshl_add_u64 v[6:7], v[14:15], 2, s[6:7]
	v_lshl_add_u64 v[8:9], v[8:9], 2, s[20:21]
	v_cndmask_b32_e32 v7, v9, v7, vcc
	v_cndmask_b32_e32 v6, v8, v6, vcc
	global_load_dword v3, v[6:7], off
	s_or_b64 exec, exec, s[2:3]
	v_cmp_gt_u32_e32 vcc, s22, v12
	s_and_saveexec_b64 s[2:3], vcc
	s_cbranch_execnz .LBB941_7
	s_branch .LBB941_8
.LBB941_49:
	v_mov_b32_e32 v11, v6
	v_subrev_co_u32_e32 v16, vcc, s15, v0
	v_mov_b32_e32 v17, v6
	v_lshl_add_u64 v[8:9], s[0:1], 0, v[10:11]
	v_lshl_add_u64 v[16:17], v[16:17], 2, s[2:3]
	v_cndmask_b32_e32 v9, v17, v9, vcc
	v_cndmask_b32_e32 v8, v16, v8, vcc
	global_load_dword v16, v[8:9], off
	v_mov_b32_e32 v17, v6
	v_mov_b32_e32 v18, v6
	;; [unrolled: 1-line block ×3, first 2 shown]
	s_waitcnt vmcnt(0)
	v_mov_b64_e32 v[6:7], v[16:17]
	v_mov_b64_e32 v[8:9], v[18:19]
	s_or_b64 exec, exec, s[4:5]
	v_cmp_gt_u32_e32 vcc, s20, v14
	s_and_saveexec_b64 s[4:5], vcc
	s_cbranch_execz .LBB941_16
.LBB941_50:
	v_mov_b32_e32 v15, 0
	v_lshl_add_u64 v[16:17], v[14:15], 2, s[0:1]
	v_subrev_co_u32_e32 v14, vcc, s15, v14
	v_lshl_add_u64 v[14:15], v[14:15], 2, s[2:3]
	s_nop 0
	v_cndmask_b32_e32 v15, v15, v17, vcc
	v_cndmask_b32_e32 v14, v14, v16, vcc
	global_load_dword v7, v[14:15], off
	s_or_b64 exec, exec, s[4:5]
	v_cmp_gt_u32_e32 vcc, s20, v12
	s_and_saveexec_b64 s[4:5], vcc
	s_cbranch_execnz .LBB941_17
	s_branch .LBB941_18
.LBB941_51:
	ds_read_b32 v0, v4
	s_waitcnt lgkmcnt(0)
	global_store_dword v[2:3], v0, off
	s_or_b64 exec, exec, s[0:1]
	v_cmp_gt_u32_e64 s[0:1], s8, v16
	s_and_saveexec_b64 s[2:3], s[0:1]
	s_cbranch_execz .LBB941_36
.LBB941_52:
	s_waitcnt lgkmcnt(2)
	global_store_dword v[2:3], v18, off offset:1024
	s_or_b64 exec, exec, s[2:3]
	v_cmp_gt_u32_e64 s[2:3], s8, v15
	s_and_saveexec_b64 s[6:7], s[2:3]
	s_cbranch_execz .LBB941_37
.LBB941_53:
	s_waitcnt lgkmcnt(1)
	global_store_dword v[2:3], v17, off offset:2048
	s_or_b64 exec, exec, s[6:7]
	v_cmp_gt_u32_e64 s[6:7], s8, v14
	s_and_saveexec_b64 s[8:9], s[6:7]
	s_cbranch_execnz .LBB941_38
	s_branch .LBB941_39
.LBB941_54:
	ds_read_b32 v4, v4
	s_waitcnt lgkmcnt(0)
	global_store_dword v[0:1], v4, off
	s_or_b64 exec, exec, s[8:9]
	s_and_saveexec_b64 s[8:9], s[0:1]
	s_cbranch_execz .LBB941_41
.LBB941_55:
	s_waitcnt lgkmcnt(2)
	global_store_dword v[0:1], v3, off offset:1024
	s_or_b64 exec, exec, s[8:9]
	s_and_saveexec_b64 s[0:1], s[2:3]
	s_cbranch_execnz .LBB941_42
	s_branch .LBB941_43
	.section	.rodata,"a",@progbits
	.p2align	6, 0x0
	.amdhsa_kernel _ZN7rocprim17ROCPRIM_400000_NS6detail17trampoline_kernelINS0_14default_configENS1_38merge_sort_block_merge_config_selectorIiiEEZZNS1_27merge_sort_block_merge_implIS3_N6thrust23THRUST_200600_302600_NS6detail15normal_iteratorINS8_10device_ptrIiEEEESD_jNS1_19radix_merge_compareILb1ELb1EiNS0_19identity_decomposerEEEEE10hipError_tT0_T1_T2_jT3_P12ihipStream_tbPNSt15iterator_traitsISI_E10value_typeEPNSO_ISJ_E10value_typeEPSK_NS1_7vsmem_tEENKUlT_SI_SJ_SK_E_clIPiSD_S10_SD_EESH_SX_SI_SJ_SK_EUlSX_E0_NS1_11comp_targetILNS1_3genE0ELNS1_11target_archE4294967295ELNS1_3gpuE0ELNS1_3repE0EEENS1_38merge_mergepath_config_static_selectorELNS0_4arch9wavefront6targetE1EEEvSJ_
		.amdhsa_group_segment_fixed_size 4224
		.amdhsa_private_segment_fixed_size 0
		.amdhsa_kernarg_size 320
		.amdhsa_user_sgpr_count 2
		.amdhsa_user_sgpr_dispatch_ptr 0
		.amdhsa_user_sgpr_queue_ptr 0
		.amdhsa_user_sgpr_kernarg_segment_ptr 1
		.amdhsa_user_sgpr_dispatch_id 0
		.amdhsa_user_sgpr_kernarg_preload_length 0
		.amdhsa_user_sgpr_kernarg_preload_offset 0
		.amdhsa_user_sgpr_private_segment_size 0
		.amdhsa_uses_dynamic_stack 0
		.amdhsa_enable_private_segment 0
		.amdhsa_system_sgpr_workgroup_id_x 1
		.amdhsa_system_sgpr_workgroup_id_y 1
		.amdhsa_system_sgpr_workgroup_id_z 1
		.amdhsa_system_sgpr_workgroup_info 0
		.amdhsa_system_vgpr_workitem_id 0
		.amdhsa_next_free_vgpr 20
		.amdhsa_next_free_sgpr 31
		.amdhsa_accum_offset 20
		.amdhsa_reserve_vcc 1
		.amdhsa_float_round_mode_32 0
		.amdhsa_float_round_mode_16_64 0
		.amdhsa_float_denorm_mode_32 3
		.amdhsa_float_denorm_mode_16_64 3
		.amdhsa_dx10_clamp 1
		.amdhsa_ieee_mode 1
		.amdhsa_fp16_overflow 0
		.amdhsa_tg_split 0
		.amdhsa_exception_fp_ieee_invalid_op 0
		.amdhsa_exception_fp_denorm_src 0
		.amdhsa_exception_fp_ieee_div_zero 0
		.amdhsa_exception_fp_ieee_overflow 0
		.amdhsa_exception_fp_ieee_underflow 0
		.amdhsa_exception_fp_ieee_inexact 0
		.amdhsa_exception_int_div_zero 0
	.end_amdhsa_kernel
	.section	.text._ZN7rocprim17ROCPRIM_400000_NS6detail17trampoline_kernelINS0_14default_configENS1_38merge_sort_block_merge_config_selectorIiiEEZZNS1_27merge_sort_block_merge_implIS3_N6thrust23THRUST_200600_302600_NS6detail15normal_iteratorINS8_10device_ptrIiEEEESD_jNS1_19radix_merge_compareILb1ELb1EiNS0_19identity_decomposerEEEEE10hipError_tT0_T1_T2_jT3_P12ihipStream_tbPNSt15iterator_traitsISI_E10value_typeEPNSO_ISJ_E10value_typeEPSK_NS1_7vsmem_tEENKUlT_SI_SJ_SK_E_clIPiSD_S10_SD_EESH_SX_SI_SJ_SK_EUlSX_E0_NS1_11comp_targetILNS1_3genE0ELNS1_11target_archE4294967295ELNS1_3gpuE0ELNS1_3repE0EEENS1_38merge_mergepath_config_static_selectorELNS0_4arch9wavefront6targetE1EEEvSJ_,"axG",@progbits,_ZN7rocprim17ROCPRIM_400000_NS6detail17trampoline_kernelINS0_14default_configENS1_38merge_sort_block_merge_config_selectorIiiEEZZNS1_27merge_sort_block_merge_implIS3_N6thrust23THRUST_200600_302600_NS6detail15normal_iteratorINS8_10device_ptrIiEEEESD_jNS1_19radix_merge_compareILb1ELb1EiNS0_19identity_decomposerEEEEE10hipError_tT0_T1_T2_jT3_P12ihipStream_tbPNSt15iterator_traitsISI_E10value_typeEPNSO_ISJ_E10value_typeEPSK_NS1_7vsmem_tEENKUlT_SI_SJ_SK_E_clIPiSD_S10_SD_EESH_SX_SI_SJ_SK_EUlSX_E0_NS1_11comp_targetILNS1_3genE0ELNS1_11target_archE4294967295ELNS1_3gpuE0ELNS1_3repE0EEENS1_38merge_mergepath_config_static_selectorELNS0_4arch9wavefront6targetE1EEEvSJ_,comdat
.Lfunc_end941:
	.size	_ZN7rocprim17ROCPRIM_400000_NS6detail17trampoline_kernelINS0_14default_configENS1_38merge_sort_block_merge_config_selectorIiiEEZZNS1_27merge_sort_block_merge_implIS3_N6thrust23THRUST_200600_302600_NS6detail15normal_iteratorINS8_10device_ptrIiEEEESD_jNS1_19radix_merge_compareILb1ELb1EiNS0_19identity_decomposerEEEEE10hipError_tT0_T1_T2_jT3_P12ihipStream_tbPNSt15iterator_traitsISI_E10value_typeEPNSO_ISJ_E10value_typeEPSK_NS1_7vsmem_tEENKUlT_SI_SJ_SK_E_clIPiSD_S10_SD_EESH_SX_SI_SJ_SK_EUlSX_E0_NS1_11comp_targetILNS1_3genE0ELNS1_11target_archE4294967295ELNS1_3gpuE0ELNS1_3repE0EEENS1_38merge_mergepath_config_static_selectorELNS0_4arch9wavefront6targetE1EEEvSJ_, .Lfunc_end941-_ZN7rocprim17ROCPRIM_400000_NS6detail17trampoline_kernelINS0_14default_configENS1_38merge_sort_block_merge_config_selectorIiiEEZZNS1_27merge_sort_block_merge_implIS3_N6thrust23THRUST_200600_302600_NS6detail15normal_iteratorINS8_10device_ptrIiEEEESD_jNS1_19radix_merge_compareILb1ELb1EiNS0_19identity_decomposerEEEEE10hipError_tT0_T1_T2_jT3_P12ihipStream_tbPNSt15iterator_traitsISI_E10value_typeEPNSO_ISJ_E10value_typeEPSK_NS1_7vsmem_tEENKUlT_SI_SJ_SK_E_clIPiSD_S10_SD_EESH_SX_SI_SJ_SK_EUlSX_E0_NS1_11comp_targetILNS1_3genE0ELNS1_11target_archE4294967295ELNS1_3gpuE0ELNS1_3repE0EEENS1_38merge_mergepath_config_static_selectorELNS0_4arch9wavefront6targetE1EEEvSJ_
                                        ; -- End function
	.set _ZN7rocprim17ROCPRIM_400000_NS6detail17trampoline_kernelINS0_14default_configENS1_38merge_sort_block_merge_config_selectorIiiEEZZNS1_27merge_sort_block_merge_implIS3_N6thrust23THRUST_200600_302600_NS6detail15normal_iteratorINS8_10device_ptrIiEEEESD_jNS1_19radix_merge_compareILb1ELb1EiNS0_19identity_decomposerEEEEE10hipError_tT0_T1_T2_jT3_P12ihipStream_tbPNSt15iterator_traitsISI_E10value_typeEPNSO_ISJ_E10value_typeEPSK_NS1_7vsmem_tEENKUlT_SI_SJ_SK_E_clIPiSD_S10_SD_EESH_SX_SI_SJ_SK_EUlSX_E0_NS1_11comp_targetILNS1_3genE0ELNS1_11target_archE4294967295ELNS1_3gpuE0ELNS1_3repE0EEENS1_38merge_mergepath_config_static_selectorELNS0_4arch9wavefront6targetE1EEEvSJ_.num_vgpr, 20
	.set _ZN7rocprim17ROCPRIM_400000_NS6detail17trampoline_kernelINS0_14default_configENS1_38merge_sort_block_merge_config_selectorIiiEEZZNS1_27merge_sort_block_merge_implIS3_N6thrust23THRUST_200600_302600_NS6detail15normal_iteratorINS8_10device_ptrIiEEEESD_jNS1_19radix_merge_compareILb1ELb1EiNS0_19identity_decomposerEEEEE10hipError_tT0_T1_T2_jT3_P12ihipStream_tbPNSt15iterator_traitsISI_E10value_typeEPNSO_ISJ_E10value_typeEPSK_NS1_7vsmem_tEENKUlT_SI_SJ_SK_E_clIPiSD_S10_SD_EESH_SX_SI_SJ_SK_EUlSX_E0_NS1_11comp_targetILNS1_3genE0ELNS1_11target_archE4294967295ELNS1_3gpuE0ELNS1_3repE0EEENS1_38merge_mergepath_config_static_selectorELNS0_4arch9wavefront6targetE1EEEvSJ_.num_agpr, 0
	.set _ZN7rocprim17ROCPRIM_400000_NS6detail17trampoline_kernelINS0_14default_configENS1_38merge_sort_block_merge_config_selectorIiiEEZZNS1_27merge_sort_block_merge_implIS3_N6thrust23THRUST_200600_302600_NS6detail15normal_iteratorINS8_10device_ptrIiEEEESD_jNS1_19radix_merge_compareILb1ELb1EiNS0_19identity_decomposerEEEEE10hipError_tT0_T1_T2_jT3_P12ihipStream_tbPNSt15iterator_traitsISI_E10value_typeEPNSO_ISJ_E10value_typeEPSK_NS1_7vsmem_tEENKUlT_SI_SJ_SK_E_clIPiSD_S10_SD_EESH_SX_SI_SJ_SK_EUlSX_E0_NS1_11comp_targetILNS1_3genE0ELNS1_11target_archE4294967295ELNS1_3gpuE0ELNS1_3repE0EEENS1_38merge_mergepath_config_static_selectorELNS0_4arch9wavefront6targetE1EEEvSJ_.numbered_sgpr, 31
	.set _ZN7rocprim17ROCPRIM_400000_NS6detail17trampoline_kernelINS0_14default_configENS1_38merge_sort_block_merge_config_selectorIiiEEZZNS1_27merge_sort_block_merge_implIS3_N6thrust23THRUST_200600_302600_NS6detail15normal_iteratorINS8_10device_ptrIiEEEESD_jNS1_19radix_merge_compareILb1ELb1EiNS0_19identity_decomposerEEEEE10hipError_tT0_T1_T2_jT3_P12ihipStream_tbPNSt15iterator_traitsISI_E10value_typeEPNSO_ISJ_E10value_typeEPSK_NS1_7vsmem_tEENKUlT_SI_SJ_SK_E_clIPiSD_S10_SD_EESH_SX_SI_SJ_SK_EUlSX_E0_NS1_11comp_targetILNS1_3genE0ELNS1_11target_archE4294967295ELNS1_3gpuE0ELNS1_3repE0EEENS1_38merge_mergepath_config_static_selectorELNS0_4arch9wavefront6targetE1EEEvSJ_.num_named_barrier, 0
	.set _ZN7rocprim17ROCPRIM_400000_NS6detail17trampoline_kernelINS0_14default_configENS1_38merge_sort_block_merge_config_selectorIiiEEZZNS1_27merge_sort_block_merge_implIS3_N6thrust23THRUST_200600_302600_NS6detail15normal_iteratorINS8_10device_ptrIiEEEESD_jNS1_19radix_merge_compareILb1ELb1EiNS0_19identity_decomposerEEEEE10hipError_tT0_T1_T2_jT3_P12ihipStream_tbPNSt15iterator_traitsISI_E10value_typeEPNSO_ISJ_E10value_typeEPSK_NS1_7vsmem_tEENKUlT_SI_SJ_SK_E_clIPiSD_S10_SD_EESH_SX_SI_SJ_SK_EUlSX_E0_NS1_11comp_targetILNS1_3genE0ELNS1_11target_archE4294967295ELNS1_3gpuE0ELNS1_3repE0EEENS1_38merge_mergepath_config_static_selectorELNS0_4arch9wavefront6targetE1EEEvSJ_.private_seg_size, 0
	.set _ZN7rocprim17ROCPRIM_400000_NS6detail17trampoline_kernelINS0_14default_configENS1_38merge_sort_block_merge_config_selectorIiiEEZZNS1_27merge_sort_block_merge_implIS3_N6thrust23THRUST_200600_302600_NS6detail15normal_iteratorINS8_10device_ptrIiEEEESD_jNS1_19radix_merge_compareILb1ELb1EiNS0_19identity_decomposerEEEEE10hipError_tT0_T1_T2_jT3_P12ihipStream_tbPNSt15iterator_traitsISI_E10value_typeEPNSO_ISJ_E10value_typeEPSK_NS1_7vsmem_tEENKUlT_SI_SJ_SK_E_clIPiSD_S10_SD_EESH_SX_SI_SJ_SK_EUlSX_E0_NS1_11comp_targetILNS1_3genE0ELNS1_11target_archE4294967295ELNS1_3gpuE0ELNS1_3repE0EEENS1_38merge_mergepath_config_static_selectorELNS0_4arch9wavefront6targetE1EEEvSJ_.uses_vcc, 1
	.set _ZN7rocprim17ROCPRIM_400000_NS6detail17trampoline_kernelINS0_14default_configENS1_38merge_sort_block_merge_config_selectorIiiEEZZNS1_27merge_sort_block_merge_implIS3_N6thrust23THRUST_200600_302600_NS6detail15normal_iteratorINS8_10device_ptrIiEEEESD_jNS1_19radix_merge_compareILb1ELb1EiNS0_19identity_decomposerEEEEE10hipError_tT0_T1_T2_jT3_P12ihipStream_tbPNSt15iterator_traitsISI_E10value_typeEPNSO_ISJ_E10value_typeEPSK_NS1_7vsmem_tEENKUlT_SI_SJ_SK_E_clIPiSD_S10_SD_EESH_SX_SI_SJ_SK_EUlSX_E0_NS1_11comp_targetILNS1_3genE0ELNS1_11target_archE4294967295ELNS1_3gpuE0ELNS1_3repE0EEENS1_38merge_mergepath_config_static_selectorELNS0_4arch9wavefront6targetE1EEEvSJ_.uses_flat_scratch, 0
	.set _ZN7rocprim17ROCPRIM_400000_NS6detail17trampoline_kernelINS0_14default_configENS1_38merge_sort_block_merge_config_selectorIiiEEZZNS1_27merge_sort_block_merge_implIS3_N6thrust23THRUST_200600_302600_NS6detail15normal_iteratorINS8_10device_ptrIiEEEESD_jNS1_19radix_merge_compareILb1ELb1EiNS0_19identity_decomposerEEEEE10hipError_tT0_T1_T2_jT3_P12ihipStream_tbPNSt15iterator_traitsISI_E10value_typeEPNSO_ISJ_E10value_typeEPSK_NS1_7vsmem_tEENKUlT_SI_SJ_SK_E_clIPiSD_S10_SD_EESH_SX_SI_SJ_SK_EUlSX_E0_NS1_11comp_targetILNS1_3genE0ELNS1_11target_archE4294967295ELNS1_3gpuE0ELNS1_3repE0EEENS1_38merge_mergepath_config_static_selectorELNS0_4arch9wavefront6targetE1EEEvSJ_.has_dyn_sized_stack, 0
	.set _ZN7rocprim17ROCPRIM_400000_NS6detail17trampoline_kernelINS0_14default_configENS1_38merge_sort_block_merge_config_selectorIiiEEZZNS1_27merge_sort_block_merge_implIS3_N6thrust23THRUST_200600_302600_NS6detail15normal_iteratorINS8_10device_ptrIiEEEESD_jNS1_19radix_merge_compareILb1ELb1EiNS0_19identity_decomposerEEEEE10hipError_tT0_T1_T2_jT3_P12ihipStream_tbPNSt15iterator_traitsISI_E10value_typeEPNSO_ISJ_E10value_typeEPSK_NS1_7vsmem_tEENKUlT_SI_SJ_SK_E_clIPiSD_S10_SD_EESH_SX_SI_SJ_SK_EUlSX_E0_NS1_11comp_targetILNS1_3genE0ELNS1_11target_archE4294967295ELNS1_3gpuE0ELNS1_3repE0EEENS1_38merge_mergepath_config_static_selectorELNS0_4arch9wavefront6targetE1EEEvSJ_.has_recursion, 0
	.set _ZN7rocprim17ROCPRIM_400000_NS6detail17trampoline_kernelINS0_14default_configENS1_38merge_sort_block_merge_config_selectorIiiEEZZNS1_27merge_sort_block_merge_implIS3_N6thrust23THRUST_200600_302600_NS6detail15normal_iteratorINS8_10device_ptrIiEEEESD_jNS1_19radix_merge_compareILb1ELb1EiNS0_19identity_decomposerEEEEE10hipError_tT0_T1_T2_jT3_P12ihipStream_tbPNSt15iterator_traitsISI_E10value_typeEPNSO_ISJ_E10value_typeEPSK_NS1_7vsmem_tEENKUlT_SI_SJ_SK_E_clIPiSD_S10_SD_EESH_SX_SI_SJ_SK_EUlSX_E0_NS1_11comp_targetILNS1_3genE0ELNS1_11target_archE4294967295ELNS1_3gpuE0ELNS1_3repE0EEENS1_38merge_mergepath_config_static_selectorELNS0_4arch9wavefront6targetE1EEEvSJ_.has_indirect_call, 0
	.section	.AMDGPU.csdata,"",@progbits
; Kernel info:
; codeLenInByte = 2952
; TotalNumSgprs: 37
; NumVgprs: 20
; NumAgprs: 0
; TotalNumVgprs: 20
; ScratchSize: 0
; MemoryBound: 0
; FloatMode: 240
; IeeeMode: 1
; LDSByteSize: 4224 bytes/workgroup (compile time only)
; SGPRBlocks: 4
; VGPRBlocks: 2
; NumSGPRsForWavesPerEU: 37
; NumVGPRsForWavesPerEU: 20
; AccumOffset: 20
; Occupancy: 8
; WaveLimiterHint : 1
; COMPUTE_PGM_RSRC2:SCRATCH_EN: 0
; COMPUTE_PGM_RSRC2:USER_SGPR: 2
; COMPUTE_PGM_RSRC2:TRAP_HANDLER: 0
; COMPUTE_PGM_RSRC2:TGID_X_EN: 1
; COMPUTE_PGM_RSRC2:TGID_Y_EN: 1
; COMPUTE_PGM_RSRC2:TGID_Z_EN: 1
; COMPUTE_PGM_RSRC2:TIDIG_COMP_CNT: 0
; COMPUTE_PGM_RSRC3_GFX90A:ACCUM_OFFSET: 4
; COMPUTE_PGM_RSRC3_GFX90A:TG_SPLIT: 0
	.section	.text._ZN7rocprim17ROCPRIM_400000_NS6detail17trampoline_kernelINS0_14default_configENS1_38merge_sort_block_merge_config_selectorIiiEEZZNS1_27merge_sort_block_merge_implIS3_N6thrust23THRUST_200600_302600_NS6detail15normal_iteratorINS8_10device_ptrIiEEEESD_jNS1_19radix_merge_compareILb1ELb1EiNS0_19identity_decomposerEEEEE10hipError_tT0_T1_T2_jT3_P12ihipStream_tbPNSt15iterator_traitsISI_E10value_typeEPNSO_ISJ_E10value_typeEPSK_NS1_7vsmem_tEENKUlT_SI_SJ_SK_E_clIPiSD_S10_SD_EESH_SX_SI_SJ_SK_EUlSX_E0_NS1_11comp_targetILNS1_3genE10ELNS1_11target_archE1201ELNS1_3gpuE5ELNS1_3repE0EEENS1_38merge_mergepath_config_static_selectorELNS0_4arch9wavefront6targetE1EEEvSJ_,"axG",@progbits,_ZN7rocprim17ROCPRIM_400000_NS6detail17trampoline_kernelINS0_14default_configENS1_38merge_sort_block_merge_config_selectorIiiEEZZNS1_27merge_sort_block_merge_implIS3_N6thrust23THRUST_200600_302600_NS6detail15normal_iteratorINS8_10device_ptrIiEEEESD_jNS1_19radix_merge_compareILb1ELb1EiNS0_19identity_decomposerEEEEE10hipError_tT0_T1_T2_jT3_P12ihipStream_tbPNSt15iterator_traitsISI_E10value_typeEPNSO_ISJ_E10value_typeEPSK_NS1_7vsmem_tEENKUlT_SI_SJ_SK_E_clIPiSD_S10_SD_EESH_SX_SI_SJ_SK_EUlSX_E0_NS1_11comp_targetILNS1_3genE10ELNS1_11target_archE1201ELNS1_3gpuE5ELNS1_3repE0EEENS1_38merge_mergepath_config_static_selectorELNS0_4arch9wavefront6targetE1EEEvSJ_,comdat
	.protected	_ZN7rocprim17ROCPRIM_400000_NS6detail17trampoline_kernelINS0_14default_configENS1_38merge_sort_block_merge_config_selectorIiiEEZZNS1_27merge_sort_block_merge_implIS3_N6thrust23THRUST_200600_302600_NS6detail15normal_iteratorINS8_10device_ptrIiEEEESD_jNS1_19radix_merge_compareILb1ELb1EiNS0_19identity_decomposerEEEEE10hipError_tT0_T1_T2_jT3_P12ihipStream_tbPNSt15iterator_traitsISI_E10value_typeEPNSO_ISJ_E10value_typeEPSK_NS1_7vsmem_tEENKUlT_SI_SJ_SK_E_clIPiSD_S10_SD_EESH_SX_SI_SJ_SK_EUlSX_E0_NS1_11comp_targetILNS1_3genE10ELNS1_11target_archE1201ELNS1_3gpuE5ELNS1_3repE0EEENS1_38merge_mergepath_config_static_selectorELNS0_4arch9wavefront6targetE1EEEvSJ_ ; -- Begin function _ZN7rocprim17ROCPRIM_400000_NS6detail17trampoline_kernelINS0_14default_configENS1_38merge_sort_block_merge_config_selectorIiiEEZZNS1_27merge_sort_block_merge_implIS3_N6thrust23THRUST_200600_302600_NS6detail15normal_iteratorINS8_10device_ptrIiEEEESD_jNS1_19radix_merge_compareILb1ELb1EiNS0_19identity_decomposerEEEEE10hipError_tT0_T1_T2_jT3_P12ihipStream_tbPNSt15iterator_traitsISI_E10value_typeEPNSO_ISJ_E10value_typeEPSK_NS1_7vsmem_tEENKUlT_SI_SJ_SK_E_clIPiSD_S10_SD_EESH_SX_SI_SJ_SK_EUlSX_E0_NS1_11comp_targetILNS1_3genE10ELNS1_11target_archE1201ELNS1_3gpuE5ELNS1_3repE0EEENS1_38merge_mergepath_config_static_selectorELNS0_4arch9wavefront6targetE1EEEvSJ_
	.globl	_ZN7rocprim17ROCPRIM_400000_NS6detail17trampoline_kernelINS0_14default_configENS1_38merge_sort_block_merge_config_selectorIiiEEZZNS1_27merge_sort_block_merge_implIS3_N6thrust23THRUST_200600_302600_NS6detail15normal_iteratorINS8_10device_ptrIiEEEESD_jNS1_19radix_merge_compareILb1ELb1EiNS0_19identity_decomposerEEEEE10hipError_tT0_T1_T2_jT3_P12ihipStream_tbPNSt15iterator_traitsISI_E10value_typeEPNSO_ISJ_E10value_typeEPSK_NS1_7vsmem_tEENKUlT_SI_SJ_SK_E_clIPiSD_S10_SD_EESH_SX_SI_SJ_SK_EUlSX_E0_NS1_11comp_targetILNS1_3genE10ELNS1_11target_archE1201ELNS1_3gpuE5ELNS1_3repE0EEENS1_38merge_mergepath_config_static_selectorELNS0_4arch9wavefront6targetE1EEEvSJ_
	.p2align	8
	.type	_ZN7rocprim17ROCPRIM_400000_NS6detail17trampoline_kernelINS0_14default_configENS1_38merge_sort_block_merge_config_selectorIiiEEZZNS1_27merge_sort_block_merge_implIS3_N6thrust23THRUST_200600_302600_NS6detail15normal_iteratorINS8_10device_ptrIiEEEESD_jNS1_19radix_merge_compareILb1ELb1EiNS0_19identity_decomposerEEEEE10hipError_tT0_T1_T2_jT3_P12ihipStream_tbPNSt15iterator_traitsISI_E10value_typeEPNSO_ISJ_E10value_typeEPSK_NS1_7vsmem_tEENKUlT_SI_SJ_SK_E_clIPiSD_S10_SD_EESH_SX_SI_SJ_SK_EUlSX_E0_NS1_11comp_targetILNS1_3genE10ELNS1_11target_archE1201ELNS1_3gpuE5ELNS1_3repE0EEENS1_38merge_mergepath_config_static_selectorELNS0_4arch9wavefront6targetE1EEEvSJ_,@function
_ZN7rocprim17ROCPRIM_400000_NS6detail17trampoline_kernelINS0_14default_configENS1_38merge_sort_block_merge_config_selectorIiiEEZZNS1_27merge_sort_block_merge_implIS3_N6thrust23THRUST_200600_302600_NS6detail15normal_iteratorINS8_10device_ptrIiEEEESD_jNS1_19radix_merge_compareILb1ELb1EiNS0_19identity_decomposerEEEEE10hipError_tT0_T1_T2_jT3_P12ihipStream_tbPNSt15iterator_traitsISI_E10value_typeEPNSO_ISJ_E10value_typeEPSK_NS1_7vsmem_tEENKUlT_SI_SJ_SK_E_clIPiSD_S10_SD_EESH_SX_SI_SJ_SK_EUlSX_E0_NS1_11comp_targetILNS1_3genE10ELNS1_11target_archE1201ELNS1_3gpuE5ELNS1_3repE0EEENS1_38merge_mergepath_config_static_selectorELNS0_4arch9wavefront6targetE1EEEvSJ_: ; @_ZN7rocprim17ROCPRIM_400000_NS6detail17trampoline_kernelINS0_14default_configENS1_38merge_sort_block_merge_config_selectorIiiEEZZNS1_27merge_sort_block_merge_implIS3_N6thrust23THRUST_200600_302600_NS6detail15normal_iteratorINS8_10device_ptrIiEEEESD_jNS1_19radix_merge_compareILb1ELb1EiNS0_19identity_decomposerEEEEE10hipError_tT0_T1_T2_jT3_P12ihipStream_tbPNSt15iterator_traitsISI_E10value_typeEPNSO_ISJ_E10value_typeEPSK_NS1_7vsmem_tEENKUlT_SI_SJ_SK_E_clIPiSD_S10_SD_EESH_SX_SI_SJ_SK_EUlSX_E0_NS1_11comp_targetILNS1_3genE10ELNS1_11target_archE1201ELNS1_3gpuE5ELNS1_3repE0EEENS1_38merge_mergepath_config_static_selectorELNS0_4arch9wavefront6targetE1EEEvSJ_
; %bb.0:
	.section	.rodata,"a",@progbits
	.p2align	6, 0x0
	.amdhsa_kernel _ZN7rocprim17ROCPRIM_400000_NS6detail17trampoline_kernelINS0_14default_configENS1_38merge_sort_block_merge_config_selectorIiiEEZZNS1_27merge_sort_block_merge_implIS3_N6thrust23THRUST_200600_302600_NS6detail15normal_iteratorINS8_10device_ptrIiEEEESD_jNS1_19radix_merge_compareILb1ELb1EiNS0_19identity_decomposerEEEEE10hipError_tT0_T1_T2_jT3_P12ihipStream_tbPNSt15iterator_traitsISI_E10value_typeEPNSO_ISJ_E10value_typeEPSK_NS1_7vsmem_tEENKUlT_SI_SJ_SK_E_clIPiSD_S10_SD_EESH_SX_SI_SJ_SK_EUlSX_E0_NS1_11comp_targetILNS1_3genE10ELNS1_11target_archE1201ELNS1_3gpuE5ELNS1_3repE0EEENS1_38merge_mergepath_config_static_selectorELNS0_4arch9wavefront6targetE1EEEvSJ_
		.amdhsa_group_segment_fixed_size 0
		.amdhsa_private_segment_fixed_size 0
		.amdhsa_kernarg_size 64
		.amdhsa_user_sgpr_count 2
		.amdhsa_user_sgpr_dispatch_ptr 0
		.amdhsa_user_sgpr_queue_ptr 0
		.amdhsa_user_sgpr_kernarg_segment_ptr 1
		.amdhsa_user_sgpr_dispatch_id 0
		.amdhsa_user_sgpr_kernarg_preload_length 0
		.amdhsa_user_sgpr_kernarg_preload_offset 0
		.amdhsa_user_sgpr_private_segment_size 0
		.amdhsa_uses_dynamic_stack 0
		.amdhsa_enable_private_segment 0
		.amdhsa_system_sgpr_workgroup_id_x 1
		.amdhsa_system_sgpr_workgroup_id_y 0
		.amdhsa_system_sgpr_workgroup_id_z 0
		.amdhsa_system_sgpr_workgroup_info 0
		.amdhsa_system_vgpr_workitem_id 0
		.amdhsa_next_free_vgpr 1
		.amdhsa_next_free_sgpr 0
		.amdhsa_accum_offset 4
		.amdhsa_reserve_vcc 0
		.amdhsa_float_round_mode_32 0
		.amdhsa_float_round_mode_16_64 0
		.amdhsa_float_denorm_mode_32 3
		.amdhsa_float_denorm_mode_16_64 3
		.amdhsa_dx10_clamp 1
		.amdhsa_ieee_mode 1
		.amdhsa_fp16_overflow 0
		.amdhsa_tg_split 0
		.amdhsa_exception_fp_ieee_invalid_op 0
		.amdhsa_exception_fp_denorm_src 0
		.amdhsa_exception_fp_ieee_div_zero 0
		.amdhsa_exception_fp_ieee_overflow 0
		.amdhsa_exception_fp_ieee_underflow 0
		.amdhsa_exception_fp_ieee_inexact 0
		.amdhsa_exception_int_div_zero 0
	.end_amdhsa_kernel
	.section	.text._ZN7rocprim17ROCPRIM_400000_NS6detail17trampoline_kernelINS0_14default_configENS1_38merge_sort_block_merge_config_selectorIiiEEZZNS1_27merge_sort_block_merge_implIS3_N6thrust23THRUST_200600_302600_NS6detail15normal_iteratorINS8_10device_ptrIiEEEESD_jNS1_19radix_merge_compareILb1ELb1EiNS0_19identity_decomposerEEEEE10hipError_tT0_T1_T2_jT3_P12ihipStream_tbPNSt15iterator_traitsISI_E10value_typeEPNSO_ISJ_E10value_typeEPSK_NS1_7vsmem_tEENKUlT_SI_SJ_SK_E_clIPiSD_S10_SD_EESH_SX_SI_SJ_SK_EUlSX_E0_NS1_11comp_targetILNS1_3genE10ELNS1_11target_archE1201ELNS1_3gpuE5ELNS1_3repE0EEENS1_38merge_mergepath_config_static_selectorELNS0_4arch9wavefront6targetE1EEEvSJ_,"axG",@progbits,_ZN7rocprim17ROCPRIM_400000_NS6detail17trampoline_kernelINS0_14default_configENS1_38merge_sort_block_merge_config_selectorIiiEEZZNS1_27merge_sort_block_merge_implIS3_N6thrust23THRUST_200600_302600_NS6detail15normal_iteratorINS8_10device_ptrIiEEEESD_jNS1_19radix_merge_compareILb1ELb1EiNS0_19identity_decomposerEEEEE10hipError_tT0_T1_T2_jT3_P12ihipStream_tbPNSt15iterator_traitsISI_E10value_typeEPNSO_ISJ_E10value_typeEPSK_NS1_7vsmem_tEENKUlT_SI_SJ_SK_E_clIPiSD_S10_SD_EESH_SX_SI_SJ_SK_EUlSX_E0_NS1_11comp_targetILNS1_3genE10ELNS1_11target_archE1201ELNS1_3gpuE5ELNS1_3repE0EEENS1_38merge_mergepath_config_static_selectorELNS0_4arch9wavefront6targetE1EEEvSJ_,comdat
.Lfunc_end942:
	.size	_ZN7rocprim17ROCPRIM_400000_NS6detail17trampoline_kernelINS0_14default_configENS1_38merge_sort_block_merge_config_selectorIiiEEZZNS1_27merge_sort_block_merge_implIS3_N6thrust23THRUST_200600_302600_NS6detail15normal_iteratorINS8_10device_ptrIiEEEESD_jNS1_19radix_merge_compareILb1ELb1EiNS0_19identity_decomposerEEEEE10hipError_tT0_T1_T2_jT3_P12ihipStream_tbPNSt15iterator_traitsISI_E10value_typeEPNSO_ISJ_E10value_typeEPSK_NS1_7vsmem_tEENKUlT_SI_SJ_SK_E_clIPiSD_S10_SD_EESH_SX_SI_SJ_SK_EUlSX_E0_NS1_11comp_targetILNS1_3genE10ELNS1_11target_archE1201ELNS1_3gpuE5ELNS1_3repE0EEENS1_38merge_mergepath_config_static_selectorELNS0_4arch9wavefront6targetE1EEEvSJ_, .Lfunc_end942-_ZN7rocprim17ROCPRIM_400000_NS6detail17trampoline_kernelINS0_14default_configENS1_38merge_sort_block_merge_config_selectorIiiEEZZNS1_27merge_sort_block_merge_implIS3_N6thrust23THRUST_200600_302600_NS6detail15normal_iteratorINS8_10device_ptrIiEEEESD_jNS1_19radix_merge_compareILb1ELb1EiNS0_19identity_decomposerEEEEE10hipError_tT0_T1_T2_jT3_P12ihipStream_tbPNSt15iterator_traitsISI_E10value_typeEPNSO_ISJ_E10value_typeEPSK_NS1_7vsmem_tEENKUlT_SI_SJ_SK_E_clIPiSD_S10_SD_EESH_SX_SI_SJ_SK_EUlSX_E0_NS1_11comp_targetILNS1_3genE10ELNS1_11target_archE1201ELNS1_3gpuE5ELNS1_3repE0EEENS1_38merge_mergepath_config_static_selectorELNS0_4arch9wavefront6targetE1EEEvSJ_
                                        ; -- End function
	.set _ZN7rocprim17ROCPRIM_400000_NS6detail17trampoline_kernelINS0_14default_configENS1_38merge_sort_block_merge_config_selectorIiiEEZZNS1_27merge_sort_block_merge_implIS3_N6thrust23THRUST_200600_302600_NS6detail15normal_iteratorINS8_10device_ptrIiEEEESD_jNS1_19radix_merge_compareILb1ELb1EiNS0_19identity_decomposerEEEEE10hipError_tT0_T1_T2_jT3_P12ihipStream_tbPNSt15iterator_traitsISI_E10value_typeEPNSO_ISJ_E10value_typeEPSK_NS1_7vsmem_tEENKUlT_SI_SJ_SK_E_clIPiSD_S10_SD_EESH_SX_SI_SJ_SK_EUlSX_E0_NS1_11comp_targetILNS1_3genE10ELNS1_11target_archE1201ELNS1_3gpuE5ELNS1_3repE0EEENS1_38merge_mergepath_config_static_selectorELNS0_4arch9wavefront6targetE1EEEvSJ_.num_vgpr, 0
	.set _ZN7rocprim17ROCPRIM_400000_NS6detail17trampoline_kernelINS0_14default_configENS1_38merge_sort_block_merge_config_selectorIiiEEZZNS1_27merge_sort_block_merge_implIS3_N6thrust23THRUST_200600_302600_NS6detail15normal_iteratorINS8_10device_ptrIiEEEESD_jNS1_19radix_merge_compareILb1ELb1EiNS0_19identity_decomposerEEEEE10hipError_tT0_T1_T2_jT3_P12ihipStream_tbPNSt15iterator_traitsISI_E10value_typeEPNSO_ISJ_E10value_typeEPSK_NS1_7vsmem_tEENKUlT_SI_SJ_SK_E_clIPiSD_S10_SD_EESH_SX_SI_SJ_SK_EUlSX_E0_NS1_11comp_targetILNS1_3genE10ELNS1_11target_archE1201ELNS1_3gpuE5ELNS1_3repE0EEENS1_38merge_mergepath_config_static_selectorELNS0_4arch9wavefront6targetE1EEEvSJ_.num_agpr, 0
	.set _ZN7rocprim17ROCPRIM_400000_NS6detail17trampoline_kernelINS0_14default_configENS1_38merge_sort_block_merge_config_selectorIiiEEZZNS1_27merge_sort_block_merge_implIS3_N6thrust23THRUST_200600_302600_NS6detail15normal_iteratorINS8_10device_ptrIiEEEESD_jNS1_19radix_merge_compareILb1ELb1EiNS0_19identity_decomposerEEEEE10hipError_tT0_T1_T2_jT3_P12ihipStream_tbPNSt15iterator_traitsISI_E10value_typeEPNSO_ISJ_E10value_typeEPSK_NS1_7vsmem_tEENKUlT_SI_SJ_SK_E_clIPiSD_S10_SD_EESH_SX_SI_SJ_SK_EUlSX_E0_NS1_11comp_targetILNS1_3genE10ELNS1_11target_archE1201ELNS1_3gpuE5ELNS1_3repE0EEENS1_38merge_mergepath_config_static_selectorELNS0_4arch9wavefront6targetE1EEEvSJ_.numbered_sgpr, 0
	.set _ZN7rocprim17ROCPRIM_400000_NS6detail17trampoline_kernelINS0_14default_configENS1_38merge_sort_block_merge_config_selectorIiiEEZZNS1_27merge_sort_block_merge_implIS3_N6thrust23THRUST_200600_302600_NS6detail15normal_iteratorINS8_10device_ptrIiEEEESD_jNS1_19radix_merge_compareILb1ELb1EiNS0_19identity_decomposerEEEEE10hipError_tT0_T1_T2_jT3_P12ihipStream_tbPNSt15iterator_traitsISI_E10value_typeEPNSO_ISJ_E10value_typeEPSK_NS1_7vsmem_tEENKUlT_SI_SJ_SK_E_clIPiSD_S10_SD_EESH_SX_SI_SJ_SK_EUlSX_E0_NS1_11comp_targetILNS1_3genE10ELNS1_11target_archE1201ELNS1_3gpuE5ELNS1_3repE0EEENS1_38merge_mergepath_config_static_selectorELNS0_4arch9wavefront6targetE1EEEvSJ_.num_named_barrier, 0
	.set _ZN7rocprim17ROCPRIM_400000_NS6detail17trampoline_kernelINS0_14default_configENS1_38merge_sort_block_merge_config_selectorIiiEEZZNS1_27merge_sort_block_merge_implIS3_N6thrust23THRUST_200600_302600_NS6detail15normal_iteratorINS8_10device_ptrIiEEEESD_jNS1_19radix_merge_compareILb1ELb1EiNS0_19identity_decomposerEEEEE10hipError_tT0_T1_T2_jT3_P12ihipStream_tbPNSt15iterator_traitsISI_E10value_typeEPNSO_ISJ_E10value_typeEPSK_NS1_7vsmem_tEENKUlT_SI_SJ_SK_E_clIPiSD_S10_SD_EESH_SX_SI_SJ_SK_EUlSX_E0_NS1_11comp_targetILNS1_3genE10ELNS1_11target_archE1201ELNS1_3gpuE5ELNS1_3repE0EEENS1_38merge_mergepath_config_static_selectorELNS0_4arch9wavefront6targetE1EEEvSJ_.private_seg_size, 0
	.set _ZN7rocprim17ROCPRIM_400000_NS6detail17trampoline_kernelINS0_14default_configENS1_38merge_sort_block_merge_config_selectorIiiEEZZNS1_27merge_sort_block_merge_implIS3_N6thrust23THRUST_200600_302600_NS6detail15normal_iteratorINS8_10device_ptrIiEEEESD_jNS1_19radix_merge_compareILb1ELb1EiNS0_19identity_decomposerEEEEE10hipError_tT0_T1_T2_jT3_P12ihipStream_tbPNSt15iterator_traitsISI_E10value_typeEPNSO_ISJ_E10value_typeEPSK_NS1_7vsmem_tEENKUlT_SI_SJ_SK_E_clIPiSD_S10_SD_EESH_SX_SI_SJ_SK_EUlSX_E0_NS1_11comp_targetILNS1_3genE10ELNS1_11target_archE1201ELNS1_3gpuE5ELNS1_3repE0EEENS1_38merge_mergepath_config_static_selectorELNS0_4arch9wavefront6targetE1EEEvSJ_.uses_vcc, 0
	.set _ZN7rocprim17ROCPRIM_400000_NS6detail17trampoline_kernelINS0_14default_configENS1_38merge_sort_block_merge_config_selectorIiiEEZZNS1_27merge_sort_block_merge_implIS3_N6thrust23THRUST_200600_302600_NS6detail15normal_iteratorINS8_10device_ptrIiEEEESD_jNS1_19radix_merge_compareILb1ELb1EiNS0_19identity_decomposerEEEEE10hipError_tT0_T1_T2_jT3_P12ihipStream_tbPNSt15iterator_traitsISI_E10value_typeEPNSO_ISJ_E10value_typeEPSK_NS1_7vsmem_tEENKUlT_SI_SJ_SK_E_clIPiSD_S10_SD_EESH_SX_SI_SJ_SK_EUlSX_E0_NS1_11comp_targetILNS1_3genE10ELNS1_11target_archE1201ELNS1_3gpuE5ELNS1_3repE0EEENS1_38merge_mergepath_config_static_selectorELNS0_4arch9wavefront6targetE1EEEvSJ_.uses_flat_scratch, 0
	.set _ZN7rocprim17ROCPRIM_400000_NS6detail17trampoline_kernelINS0_14default_configENS1_38merge_sort_block_merge_config_selectorIiiEEZZNS1_27merge_sort_block_merge_implIS3_N6thrust23THRUST_200600_302600_NS6detail15normal_iteratorINS8_10device_ptrIiEEEESD_jNS1_19radix_merge_compareILb1ELb1EiNS0_19identity_decomposerEEEEE10hipError_tT0_T1_T2_jT3_P12ihipStream_tbPNSt15iterator_traitsISI_E10value_typeEPNSO_ISJ_E10value_typeEPSK_NS1_7vsmem_tEENKUlT_SI_SJ_SK_E_clIPiSD_S10_SD_EESH_SX_SI_SJ_SK_EUlSX_E0_NS1_11comp_targetILNS1_3genE10ELNS1_11target_archE1201ELNS1_3gpuE5ELNS1_3repE0EEENS1_38merge_mergepath_config_static_selectorELNS0_4arch9wavefront6targetE1EEEvSJ_.has_dyn_sized_stack, 0
	.set _ZN7rocprim17ROCPRIM_400000_NS6detail17trampoline_kernelINS0_14default_configENS1_38merge_sort_block_merge_config_selectorIiiEEZZNS1_27merge_sort_block_merge_implIS3_N6thrust23THRUST_200600_302600_NS6detail15normal_iteratorINS8_10device_ptrIiEEEESD_jNS1_19radix_merge_compareILb1ELb1EiNS0_19identity_decomposerEEEEE10hipError_tT0_T1_T2_jT3_P12ihipStream_tbPNSt15iterator_traitsISI_E10value_typeEPNSO_ISJ_E10value_typeEPSK_NS1_7vsmem_tEENKUlT_SI_SJ_SK_E_clIPiSD_S10_SD_EESH_SX_SI_SJ_SK_EUlSX_E0_NS1_11comp_targetILNS1_3genE10ELNS1_11target_archE1201ELNS1_3gpuE5ELNS1_3repE0EEENS1_38merge_mergepath_config_static_selectorELNS0_4arch9wavefront6targetE1EEEvSJ_.has_recursion, 0
	.set _ZN7rocprim17ROCPRIM_400000_NS6detail17trampoline_kernelINS0_14default_configENS1_38merge_sort_block_merge_config_selectorIiiEEZZNS1_27merge_sort_block_merge_implIS3_N6thrust23THRUST_200600_302600_NS6detail15normal_iteratorINS8_10device_ptrIiEEEESD_jNS1_19radix_merge_compareILb1ELb1EiNS0_19identity_decomposerEEEEE10hipError_tT0_T1_T2_jT3_P12ihipStream_tbPNSt15iterator_traitsISI_E10value_typeEPNSO_ISJ_E10value_typeEPSK_NS1_7vsmem_tEENKUlT_SI_SJ_SK_E_clIPiSD_S10_SD_EESH_SX_SI_SJ_SK_EUlSX_E0_NS1_11comp_targetILNS1_3genE10ELNS1_11target_archE1201ELNS1_3gpuE5ELNS1_3repE0EEENS1_38merge_mergepath_config_static_selectorELNS0_4arch9wavefront6targetE1EEEvSJ_.has_indirect_call, 0
	.section	.AMDGPU.csdata,"",@progbits
; Kernel info:
; codeLenInByte = 0
; TotalNumSgprs: 6
; NumVgprs: 0
; NumAgprs: 0
; TotalNumVgprs: 0
; ScratchSize: 0
; MemoryBound: 0
; FloatMode: 240
; IeeeMode: 1
; LDSByteSize: 0 bytes/workgroup (compile time only)
; SGPRBlocks: 0
; VGPRBlocks: 0
; NumSGPRsForWavesPerEU: 6
; NumVGPRsForWavesPerEU: 1
; AccumOffset: 4
; Occupancy: 8
; WaveLimiterHint : 0
; COMPUTE_PGM_RSRC2:SCRATCH_EN: 0
; COMPUTE_PGM_RSRC2:USER_SGPR: 2
; COMPUTE_PGM_RSRC2:TRAP_HANDLER: 0
; COMPUTE_PGM_RSRC2:TGID_X_EN: 1
; COMPUTE_PGM_RSRC2:TGID_Y_EN: 0
; COMPUTE_PGM_RSRC2:TGID_Z_EN: 0
; COMPUTE_PGM_RSRC2:TIDIG_COMP_CNT: 0
; COMPUTE_PGM_RSRC3_GFX90A:ACCUM_OFFSET: 0
; COMPUTE_PGM_RSRC3_GFX90A:TG_SPLIT: 0
	.section	.text._ZN7rocprim17ROCPRIM_400000_NS6detail17trampoline_kernelINS0_14default_configENS1_38merge_sort_block_merge_config_selectorIiiEEZZNS1_27merge_sort_block_merge_implIS3_N6thrust23THRUST_200600_302600_NS6detail15normal_iteratorINS8_10device_ptrIiEEEESD_jNS1_19radix_merge_compareILb1ELb1EiNS0_19identity_decomposerEEEEE10hipError_tT0_T1_T2_jT3_P12ihipStream_tbPNSt15iterator_traitsISI_E10value_typeEPNSO_ISJ_E10value_typeEPSK_NS1_7vsmem_tEENKUlT_SI_SJ_SK_E_clIPiSD_S10_SD_EESH_SX_SI_SJ_SK_EUlSX_E0_NS1_11comp_targetILNS1_3genE5ELNS1_11target_archE942ELNS1_3gpuE9ELNS1_3repE0EEENS1_38merge_mergepath_config_static_selectorELNS0_4arch9wavefront6targetE1EEEvSJ_,"axG",@progbits,_ZN7rocprim17ROCPRIM_400000_NS6detail17trampoline_kernelINS0_14default_configENS1_38merge_sort_block_merge_config_selectorIiiEEZZNS1_27merge_sort_block_merge_implIS3_N6thrust23THRUST_200600_302600_NS6detail15normal_iteratorINS8_10device_ptrIiEEEESD_jNS1_19radix_merge_compareILb1ELb1EiNS0_19identity_decomposerEEEEE10hipError_tT0_T1_T2_jT3_P12ihipStream_tbPNSt15iterator_traitsISI_E10value_typeEPNSO_ISJ_E10value_typeEPSK_NS1_7vsmem_tEENKUlT_SI_SJ_SK_E_clIPiSD_S10_SD_EESH_SX_SI_SJ_SK_EUlSX_E0_NS1_11comp_targetILNS1_3genE5ELNS1_11target_archE942ELNS1_3gpuE9ELNS1_3repE0EEENS1_38merge_mergepath_config_static_selectorELNS0_4arch9wavefront6targetE1EEEvSJ_,comdat
	.protected	_ZN7rocprim17ROCPRIM_400000_NS6detail17trampoline_kernelINS0_14default_configENS1_38merge_sort_block_merge_config_selectorIiiEEZZNS1_27merge_sort_block_merge_implIS3_N6thrust23THRUST_200600_302600_NS6detail15normal_iteratorINS8_10device_ptrIiEEEESD_jNS1_19radix_merge_compareILb1ELb1EiNS0_19identity_decomposerEEEEE10hipError_tT0_T1_T2_jT3_P12ihipStream_tbPNSt15iterator_traitsISI_E10value_typeEPNSO_ISJ_E10value_typeEPSK_NS1_7vsmem_tEENKUlT_SI_SJ_SK_E_clIPiSD_S10_SD_EESH_SX_SI_SJ_SK_EUlSX_E0_NS1_11comp_targetILNS1_3genE5ELNS1_11target_archE942ELNS1_3gpuE9ELNS1_3repE0EEENS1_38merge_mergepath_config_static_selectorELNS0_4arch9wavefront6targetE1EEEvSJ_ ; -- Begin function _ZN7rocprim17ROCPRIM_400000_NS6detail17trampoline_kernelINS0_14default_configENS1_38merge_sort_block_merge_config_selectorIiiEEZZNS1_27merge_sort_block_merge_implIS3_N6thrust23THRUST_200600_302600_NS6detail15normal_iteratorINS8_10device_ptrIiEEEESD_jNS1_19radix_merge_compareILb1ELb1EiNS0_19identity_decomposerEEEEE10hipError_tT0_T1_T2_jT3_P12ihipStream_tbPNSt15iterator_traitsISI_E10value_typeEPNSO_ISJ_E10value_typeEPSK_NS1_7vsmem_tEENKUlT_SI_SJ_SK_E_clIPiSD_S10_SD_EESH_SX_SI_SJ_SK_EUlSX_E0_NS1_11comp_targetILNS1_3genE5ELNS1_11target_archE942ELNS1_3gpuE9ELNS1_3repE0EEENS1_38merge_mergepath_config_static_selectorELNS0_4arch9wavefront6targetE1EEEvSJ_
	.globl	_ZN7rocprim17ROCPRIM_400000_NS6detail17trampoline_kernelINS0_14default_configENS1_38merge_sort_block_merge_config_selectorIiiEEZZNS1_27merge_sort_block_merge_implIS3_N6thrust23THRUST_200600_302600_NS6detail15normal_iteratorINS8_10device_ptrIiEEEESD_jNS1_19radix_merge_compareILb1ELb1EiNS0_19identity_decomposerEEEEE10hipError_tT0_T1_T2_jT3_P12ihipStream_tbPNSt15iterator_traitsISI_E10value_typeEPNSO_ISJ_E10value_typeEPSK_NS1_7vsmem_tEENKUlT_SI_SJ_SK_E_clIPiSD_S10_SD_EESH_SX_SI_SJ_SK_EUlSX_E0_NS1_11comp_targetILNS1_3genE5ELNS1_11target_archE942ELNS1_3gpuE9ELNS1_3repE0EEENS1_38merge_mergepath_config_static_selectorELNS0_4arch9wavefront6targetE1EEEvSJ_
	.p2align	8
	.type	_ZN7rocprim17ROCPRIM_400000_NS6detail17trampoline_kernelINS0_14default_configENS1_38merge_sort_block_merge_config_selectorIiiEEZZNS1_27merge_sort_block_merge_implIS3_N6thrust23THRUST_200600_302600_NS6detail15normal_iteratorINS8_10device_ptrIiEEEESD_jNS1_19radix_merge_compareILb1ELb1EiNS0_19identity_decomposerEEEEE10hipError_tT0_T1_T2_jT3_P12ihipStream_tbPNSt15iterator_traitsISI_E10value_typeEPNSO_ISJ_E10value_typeEPSK_NS1_7vsmem_tEENKUlT_SI_SJ_SK_E_clIPiSD_S10_SD_EESH_SX_SI_SJ_SK_EUlSX_E0_NS1_11comp_targetILNS1_3genE5ELNS1_11target_archE942ELNS1_3gpuE9ELNS1_3repE0EEENS1_38merge_mergepath_config_static_selectorELNS0_4arch9wavefront6targetE1EEEvSJ_,@function
_ZN7rocprim17ROCPRIM_400000_NS6detail17trampoline_kernelINS0_14default_configENS1_38merge_sort_block_merge_config_selectorIiiEEZZNS1_27merge_sort_block_merge_implIS3_N6thrust23THRUST_200600_302600_NS6detail15normal_iteratorINS8_10device_ptrIiEEEESD_jNS1_19radix_merge_compareILb1ELb1EiNS0_19identity_decomposerEEEEE10hipError_tT0_T1_T2_jT3_P12ihipStream_tbPNSt15iterator_traitsISI_E10value_typeEPNSO_ISJ_E10value_typeEPSK_NS1_7vsmem_tEENKUlT_SI_SJ_SK_E_clIPiSD_S10_SD_EESH_SX_SI_SJ_SK_EUlSX_E0_NS1_11comp_targetILNS1_3genE5ELNS1_11target_archE942ELNS1_3gpuE9ELNS1_3repE0EEENS1_38merge_mergepath_config_static_selectorELNS0_4arch9wavefront6targetE1EEEvSJ_: ; @_ZN7rocprim17ROCPRIM_400000_NS6detail17trampoline_kernelINS0_14default_configENS1_38merge_sort_block_merge_config_selectorIiiEEZZNS1_27merge_sort_block_merge_implIS3_N6thrust23THRUST_200600_302600_NS6detail15normal_iteratorINS8_10device_ptrIiEEEESD_jNS1_19radix_merge_compareILb1ELb1EiNS0_19identity_decomposerEEEEE10hipError_tT0_T1_T2_jT3_P12ihipStream_tbPNSt15iterator_traitsISI_E10value_typeEPNSO_ISJ_E10value_typeEPSK_NS1_7vsmem_tEENKUlT_SI_SJ_SK_E_clIPiSD_S10_SD_EESH_SX_SI_SJ_SK_EUlSX_E0_NS1_11comp_targetILNS1_3genE5ELNS1_11target_archE942ELNS1_3gpuE9ELNS1_3repE0EEENS1_38merge_mergepath_config_static_selectorELNS0_4arch9wavefront6targetE1EEEvSJ_
; %bb.0:
	.section	.rodata,"a",@progbits
	.p2align	6, 0x0
	.amdhsa_kernel _ZN7rocprim17ROCPRIM_400000_NS6detail17trampoline_kernelINS0_14default_configENS1_38merge_sort_block_merge_config_selectorIiiEEZZNS1_27merge_sort_block_merge_implIS3_N6thrust23THRUST_200600_302600_NS6detail15normal_iteratorINS8_10device_ptrIiEEEESD_jNS1_19radix_merge_compareILb1ELb1EiNS0_19identity_decomposerEEEEE10hipError_tT0_T1_T2_jT3_P12ihipStream_tbPNSt15iterator_traitsISI_E10value_typeEPNSO_ISJ_E10value_typeEPSK_NS1_7vsmem_tEENKUlT_SI_SJ_SK_E_clIPiSD_S10_SD_EESH_SX_SI_SJ_SK_EUlSX_E0_NS1_11comp_targetILNS1_3genE5ELNS1_11target_archE942ELNS1_3gpuE9ELNS1_3repE0EEENS1_38merge_mergepath_config_static_selectorELNS0_4arch9wavefront6targetE1EEEvSJ_
		.amdhsa_group_segment_fixed_size 0
		.amdhsa_private_segment_fixed_size 0
		.amdhsa_kernarg_size 64
		.amdhsa_user_sgpr_count 2
		.amdhsa_user_sgpr_dispatch_ptr 0
		.amdhsa_user_sgpr_queue_ptr 0
		.amdhsa_user_sgpr_kernarg_segment_ptr 1
		.amdhsa_user_sgpr_dispatch_id 0
		.amdhsa_user_sgpr_kernarg_preload_length 0
		.amdhsa_user_sgpr_kernarg_preload_offset 0
		.amdhsa_user_sgpr_private_segment_size 0
		.amdhsa_uses_dynamic_stack 0
		.amdhsa_enable_private_segment 0
		.amdhsa_system_sgpr_workgroup_id_x 1
		.amdhsa_system_sgpr_workgroup_id_y 0
		.amdhsa_system_sgpr_workgroup_id_z 0
		.amdhsa_system_sgpr_workgroup_info 0
		.amdhsa_system_vgpr_workitem_id 0
		.amdhsa_next_free_vgpr 1
		.amdhsa_next_free_sgpr 0
		.amdhsa_accum_offset 4
		.amdhsa_reserve_vcc 0
		.amdhsa_float_round_mode_32 0
		.amdhsa_float_round_mode_16_64 0
		.amdhsa_float_denorm_mode_32 3
		.amdhsa_float_denorm_mode_16_64 3
		.amdhsa_dx10_clamp 1
		.amdhsa_ieee_mode 1
		.amdhsa_fp16_overflow 0
		.amdhsa_tg_split 0
		.amdhsa_exception_fp_ieee_invalid_op 0
		.amdhsa_exception_fp_denorm_src 0
		.amdhsa_exception_fp_ieee_div_zero 0
		.amdhsa_exception_fp_ieee_overflow 0
		.amdhsa_exception_fp_ieee_underflow 0
		.amdhsa_exception_fp_ieee_inexact 0
		.amdhsa_exception_int_div_zero 0
	.end_amdhsa_kernel
	.section	.text._ZN7rocprim17ROCPRIM_400000_NS6detail17trampoline_kernelINS0_14default_configENS1_38merge_sort_block_merge_config_selectorIiiEEZZNS1_27merge_sort_block_merge_implIS3_N6thrust23THRUST_200600_302600_NS6detail15normal_iteratorINS8_10device_ptrIiEEEESD_jNS1_19radix_merge_compareILb1ELb1EiNS0_19identity_decomposerEEEEE10hipError_tT0_T1_T2_jT3_P12ihipStream_tbPNSt15iterator_traitsISI_E10value_typeEPNSO_ISJ_E10value_typeEPSK_NS1_7vsmem_tEENKUlT_SI_SJ_SK_E_clIPiSD_S10_SD_EESH_SX_SI_SJ_SK_EUlSX_E0_NS1_11comp_targetILNS1_3genE5ELNS1_11target_archE942ELNS1_3gpuE9ELNS1_3repE0EEENS1_38merge_mergepath_config_static_selectorELNS0_4arch9wavefront6targetE1EEEvSJ_,"axG",@progbits,_ZN7rocprim17ROCPRIM_400000_NS6detail17trampoline_kernelINS0_14default_configENS1_38merge_sort_block_merge_config_selectorIiiEEZZNS1_27merge_sort_block_merge_implIS3_N6thrust23THRUST_200600_302600_NS6detail15normal_iteratorINS8_10device_ptrIiEEEESD_jNS1_19radix_merge_compareILb1ELb1EiNS0_19identity_decomposerEEEEE10hipError_tT0_T1_T2_jT3_P12ihipStream_tbPNSt15iterator_traitsISI_E10value_typeEPNSO_ISJ_E10value_typeEPSK_NS1_7vsmem_tEENKUlT_SI_SJ_SK_E_clIPiSD_S10_SD_EESH_SX_SI_SJ_SK_EUlSX_E0_NS1_11comp_targetILNS1_3genE5ELNS1_11target_archE942ELNS1_3gpuE9ELNS1_3repE0EEENS1_38merge_mergepath_config_static_selectorELNS0_4arch9wavefront6targetE1EEEvSJ_,comdat
.Lfunc_end943:
	.size	_ZN7rocprim17ROCPRIM_400000_NS6detail17trampoline_kernelINS0_14default_configENS1_38merge_sort_block_merge_config_selectorIiiEEZZNS1_27merge_sort_block_merge_implIS3_N6thrust23THRUST_200600_302600_NS6detail15normal_iteratorINS8_10device_ptrIiEEEESD_jNS1_19radix_merge_compareILb1ELb1EiNS0_19identity_decomposerEEEEE10hipError_tT0_T1_T2_jT3_P12ihipStream_tbPNSt15iterator_traitsISI_E10value_typeEPNSO_ISJ_E10value_typeEPSK_NS1_7vsmem_tEENKUlT_SI_SJ_SK_E_clIPiSD_S10_SD_EESH_SX_SI_SJ_SK_EUlSX_E0_NS1_11comp_targetILNS1_3genE5ELNS1_11target_archE942ELNS1_3gpuE9ELNS1_3repE0EEENS1_38merge_mergepath_config_static_selectorELNS0_4arch9wavefront6targetE1EEEvSJ_, .Lfunc_end943-_ZN7rocprim17ROCPRIM_400000_NS6detail17trampoline_kernelINS0_14default_configENS1_38merge_sort_block_merge_config_selectorIiiEEZZNS1_27merge_sort_block_merge_implIS3_N6thrust23THRUST_200600_302600_NS6detail15normal_iteratorINS8_10device_ptrIiEEEESD_jNS1_19radix_merge_compareILb1ELb1EiNS0_19identity_decomposerEEEEE10hipError_tT0_T1_T2_jT3_P12ihipStream_tbPNSt15iterator_traitsISI_E10value_typeEPNSO_ISJ_E10value_typeEPSK_NS1_7vsmem_tEENKUlT_SI_SJ_SK_E_clIPiSD_S10_SD_EESH_SX_SI_SJ_SK_EUlSX_E0_NS1_11comp_targetILNS1_3genE5ELNS1_11target_archE942ELNS1_3gpuE9ELNS1_3repE0EEENS1_38merge_mergepath_config_static_selectorELNS0_4arch9wavefront6targetE1EEEvSJ_
                                        ; -- End function
	.set _ZN7rocprim17ROCPRIM_400000_NS6detail17trampoline_kernelINS0_14default_configENS1_38merge_sort_block_merge_config_selectorIiiEEZZNS1_27merge_sort_block_merge_implIS3_N6thrust23THRUST_200600_302600_NS6detail15normal_iteratorINS8_10device_ptrIiEEEESD_jNS1_19radix_merge_compareILb1ELb1EiNS0_19identity_decomposerEEEEE10hipError_tT0_T1_T2_jT3_P12ihipStream_tbPNSt15iterator_traitsISI_E10value_typeEPNSO_ISJ_E10value_typeEPSK_NS1_7vsmem_tEENKUlT_SI_SJ_SK_E_clIPiSD_S10_SD_EESH_SX_SI_SJ_SK_EUlSX_E0_NS1_11comp_targetILNS1_3genE5ELNS1_11target_archE942ELNS1_3gpuE9ELNS1_3repE0EEENS1_38merge_mergepath_config_static_selectorELNS0_4arch9wavefront6targetE1EEEvSJ_.num_vgpr, 0
	.set _ZN7rocprim17ROCPRIM_400000_NS6detail17trampoline_kernelINS0_14default_configENS1_38merge_sort_block_merge_config_selectorIiiEEZZNS1_27merge_sort_block_merge_implIS3_N6thrust23THRUST_200600_302600_NS6detail15normal_iteratorINS8_10device_ptrIiEEEESD_jNS1_19radix_merge_compareILb1ELb1EiNS0_19identity_decomposerEEEEE10hipError_tT0_T1_T2_jT3_P12ihipStream_tbPNSt15iterator_traitsISI_E10value_typeEPNSO_ISJ_E10value_typeEPSK_NS1_7vsmem_tEENKUlT_SI_SJ_SK_E_clIPiSD_S10_SD_EESH_SX_SI_SJ_SK_EUlSX_E0_NS1_11comp_targetILNS1_3genE5ELNS1_11target_archE942ELNS1_3gpuE9ELNS1_3repE0EEENS1_38merge_mergepath_config_static_selectorELNS0_4arch9wavefront6targetE1EEEvSJ_.num_agpr, 0
	.set _ZN7rocprim17ROCPRIM_400000_NS6detail17trampoline_kernelINS0_14default_configENS1_38merge_sort_block_merge_config_selectorIiiEEZZNS1_27merge_sort_block_merge_implIS3_N6thrust23THRUST_200600_302600_NS6detail15normal_iteratorINS8_10device_ptrIiEEEESD_jNS1_19radix_merge_compareILb1ELb1EiNS0_19identity_decomposerEEEEE10hipError_tT0_T1_T2_jT3_P12ihipStream_tbPNSt15iterator_traitsISI_E10value_typeEPNSO_ISJ_E10value_typeEPSK_NS1_7vsmem_tEENKUlT_SI_SJ_SK_E_clIPiSD_S10_SD_EESH_SX_SI_SJ_SK_EUlSX_E0_NS1_11comp_targetILNS1_3genE5ELNS1_11target_archE942ELNS1_3gpuE9ELNS1_3repE0EEENS1_38merge_mergepath_config_static_selectorELNS0_4arch9wavefront6targetE1EEEvSJ_.numbered_sgpr, 0
	.set _ZN7rocprim17ROCPRIM_400000_NS6detail17trampoline_kernelINS0_14default_configENS1_38merge_sort_block_merge_config_selectorIiiEEZZNS1_27merge_sort_block_merge_implIS3_N6thrust23THRUST_200600_302600_NS6detail15normal_iteratorINS8_10device_ptrIiEEEESD_jNS1_19radix_merge_compareILb1ELb1EiNS0_19identity_decomposerEEEEE10hipError_tT0_T1_T2_jT3_P12ihipStream_tbPNSt15iterator_traitsISI_E10value_typeEPNSO_ISJ_E10value_typeEPSK_NS1_7vsmem_tEENKUlT_SI_SJ_SK_E_clIPiSD_S10_SD_EESH_SX_SI_SJ_SK_EUlSX_E0_NS1_11comp_targetILNS1_3genE5ELNS1_11target_archE942ELNS1_3gpuE9ELNS1_3repE0EEENS1_38merge_mergepath_config_static_selectorELNS0_4arch9wavefront6targetE1EEEvSJ_.num_named_barrier, 0
	.set _ZN7rocprim17ROCPRIM_400000_NS6detail17trampoline_kernelINS0_14default_configENS1_38merge_sort_block_merge_config_selectorIiiEEZZNS1_27merge_sort_block_merge_implIS3_N6thrust23THRUST_200600_302600_NS6detail15normal_iteratorINS8_10device_ptrIiEEEESD_jNS1_19radix_merge_compareILb1ELb1EiNS0_19identity_decomposerEEEEE10hipError_tT0_T1_T2_jT3_P12ihipStream_tbPNSt15iterator_traitsISI_E10value_typeEPNSO_ISJ_E10value_typeEPSK_NS1_7vsmem_tEENKUlT_SI_SJ_SK_E_clIPiSD_S10_SD_EESH_SX_SI_SJ_SK_EUlSX_E0_NS1_11comp_targetILNS1_3genE5ELNS1_11target_archE942ELNS1_3gpuE9ELNS1_3repE0EEENS1_38merge_mergepath_config_static_selectorELNS0_4arch9wavefront6targetE1EEEvSJ_.private_seg_size, 0
	.set _ZN7rocprim17ROCPRIM_400000_NS6detail17trampoline_kernelINS0_14default_configENS1_38merge_sort_block_merge_config_selectorIiiEEZZNS1_27merge_sort_block_merge_implIS3_N6thrust23THRUST_200600_302600_NS6detail15normal_iteratorINS8_10device_ptrIiEEEESD_jNS1_19radix_merge_compareILb1ELb1EiNS0_19identity_decomposerEEEEE10hipError_tT0_T1_T2_jT3_P12ihipStream_tbPNSt15iterator_traitsISI_E10value_typeEPNSO_ISJ_E10value_typeEPSK_NS1_7vsmem_tEENKUlT_SI_SJ_SK_E_clIPiSD_S10_SD_EESH_SX_SI_SJ_SK_EUlSX_E0_NS1_11comp_targetILNS1_3genE5ELNS1_11target_archE942ELNS1_3gpuE9ELNS1_3repE0EEENS1_38merge_mergepath_config_static_selectorELNS0_4arch9wavefront6targetE1EEEvSJ_.uses_vcc, 0
	.set _ZN7rocprim17ROCPRIM_400000_NS6detail17trampoline_kernelINS0_14default_configENS1_38merge_sort_block_merge_config_selectorIiiEEZZNS1_27merge_sort_block_merge_implIS3_N6thrust23THRUST_200600_302600_NS6detail15normal_iteratorINS8_10device_ptrIiEEEESD_jNS1_19radix_merge_compareILb1ELb1EiNS0_19identity_decomposerEEEEE10hipError_tT0_T1_T2_jT3_P12ihipStream_tbPNSt15iterator_traitsISI_E10value_typeEPNSO_ISJ_E10value_typeEPSK_NS1_7vsmem_tEENKUlT_SI_SJ_SK_E_clIPiSD_S10_SD_EESH_SX_SI_SJ_SK_EUlSX_E0_NS1_11comp_targetILNS1_3genE5ELNS1_11target_archE942ELNS1_3gpuE9ELNS1_3repE0EEENS1_38merge_mergepath_config_static_selectorELNS0_4arch9wavefront6targetE1EEEvSJ_.uses_flat_scratch, 0
	.set _ZN7rocprim17ROCPRIM_400000_NS6detail17trampoline_kernelINS0_14default_configENS1_38merge_sort_block_merge_config_selectorIiiEEZZNS1_27merge_sort_block_merge_implIS3_N6thrust23THRUST_200600_302600_NS6detail15normal_iteratorINS8_10device_ptrIiEEEESD_jNS1_19radix_merge_compareILb1ELb1EiNS0_19identity_decomposerEEEEE10hipError_tT0_T1_T2_jT3_P12ihipStream_tbPNSt15iterator_traitsISI_E10value_typeEPNSO_ISJ_E10value_typeEPSK_NS1_7vsmem_tEENKUlT_SI_SJ_SK_E_clIPiSD_S10_SD_EESH_SX_SI_SJ_SK_EUlSX_E0_NS1_11comp_targetILNS1_3genE5ELNS1_11target_archE942ELNS1_3gpuE9ELNS1_3repE0EEENS1_38merge_mergepath_config_static_selectorELNS0_4arch9wavefront6targetE1EEEvSJ_.has_dyn_sized_stack, 0
	.set _ZN7rocprim17ROCPRIM_400000_NS6detail17trampoline_kernelINS0_14default_configENS1_38merge_sort_block_merge_config_selectorIiiEEZZNS1_27merge_sort_block_merge_implIS3_N6thrust23THRUST_200600_302600_NS6detail15normal_iteratorINS8_10device_ptrIiEEEESD_jNS1_19radix_merge_compareILb1ELb1EiNS0_19identity_decomposerEEEEE10hipError_tT0_T1_T2_jT3_P12ihipStream_tbPNSt15iterator_traitsISI_E10value_typeEPNSO_ISJ_E10value_typeEPSK_NS1_7vsmem_tEENKUlT_SI_SJ_SK_E_clIPiSD_S10_SD_EESH_SX_SI_SJ_SK_EUlSX_E0_NS1_11comp_targetILNS1_3genE5ELNS1_11target_archE942ELNS1_3gpuE9ELNS1_3repE0EEENS1_38merge_mergepath_config_static_selectorELNS0_4arch9wavefront6targetE1EEEvSJ_.has_recursion, 0
	.set _ZN7rocprim17ROCPRIM_400000_NS6detail17trampoline_kernelINS0_14default_configENS1_38merge_sort_block_merge_config_selectorIiiEEZZNS1_27merge_sort_block_merge_implIS3_N6thrust23THRUST_200600_302600_NS6detail15normal_iteratorINS8_10device_ptrIiEEEESD_jNS1_19radix_merge_compareILb1ELb1EiNS0_19identity_decomposerEEEEE10hipError_tT0_T1_T2_jT3_P12ihipStream_tbPNSt15iterator_traitsISI_E10value_typeEPNSO_ISJ_E10value_typeEPSK_NS1_7vsmem_tEENKUlT_SI_SJ_SK_E_clIPiSD_S10_SD_EESH_SX_SI_SJ_SK_EUlSX_E0_NS1_11comp_targetILNS1_3genE5ELNS1_11target_archE942ELNS1_3gpuE9ELNS1_3repE0EEENS1_38merge_mergepath_config_static_selectorELNS0_4arch9wavefront6targetE1EEEvSJ_.has_indirect_call, 0
	.section	.AMDGPU.csdata,"",@progbits
; Kernel info:
; codeLenInByte = 0
; TotalNumSgprs: 6
; NumVgprs: 0
; NumAgprs: 0
; TotalNumVgprs: 0
; ScratchSize: 0
; MemoryBound: 0
; FloatMode: 240
; IeeeMode: 1
; LDSByteSize: 0 bytes/workgroup (compile time only)
; SGPRBlocks: 0
; VGPRBlocks: 0
; NumSGPRsForWavesPerEU: 6
; NumVGPRsForWavesPerEU: 1
; AccumOffset: 4
; Occupancy: 8
; WaveLimiterHint : 0
; COMPUTE_PGM_RSRC2:SCRATCH_EN: 0
; COMPUTE_PGM_RSRC2:USER_SGPR: 2
; COMPUTE_PGM_RSRC2:TRAP_HANDLER: 0
; COMPUTE_PGM_RSRC2:TGID_X_EN: 1
; COMPUTE_PGM_RSRC2:TGID_Y_EN: 0
; COMPUTE_PGM_RSRC2:TGID_Z_EN: 0
; COMPUTE_PGM_RSRC2:TIDIG_COMP_CNT: 0
; COMPUTE_PGM_RSRC3_GFX90A:ACCUM_OFFSET: 0
; COMPUTE_PGM_RSRC3_GFX90A:TG_SPLIT: 0
	.section	.text._ZN7rocprim17ROCPRIM_400000_NS6detail17trampoline_kernelINS0_14default_configENS1_38merge_sort_block_merge_config_selectorIiiEEZZNS1_27merge_sort_block_merge_implIS3_N6thrust23THRUST_200600_302600_NS6detail15normal_iteratorINS8_10device_ptrIiEEEESD_jNS1_19radix_merge_compareILb1ELb1EiNS0_19identity_decomposerEEEEE10hipError_tT0_T1_T2_jT3_P12ihipStream_tbPNSt15iterator_traitsISI_E10value_typeEPNSO_ISJ_E10value_typeEPSK_NS1_7vsmem_tEENKUlT_SI_SJ_SK_E_clIPiSD_S10_SD_EESH_SX_SI_SJ_SK_EUlSX_E0_NS1_11comp_targetILNS1_3genE4ELNS1_11target_archE910ELNS1_3gpuE8ELNS1_3repE0EEENS1_38merge_mergepath_config_static_selectorELNS0_4arch9wavefront6targetE1EEEvSJ_,"axG",@progbits,_ZN7rocprim17ROCPRIM_400000_NS6detail17trampoline_kernelINS0_14default_configENS1_38merge_sort_block_merge_config_selectorIiiEEZZNS1_27merge_sort_block_merge_implIS3_N6thrust23THRUST_200600_302600_NS6detail15normal_iteratorINS8_10device_ptrIiEEEESD_jNS1_19radix_merge_compareILb1ELb1EiNS0_19identity_decomposerEEEEE10hipError_tT0_T1_T2_jT3_P12ihipStream_tbPNSt15iterator_traitsISI_E10value_typeEPNSO_ISJ_E10value_typeEPSK_NS1_7vsmem_tEENKUlT_SI_SJ_SK_E_clIPiSD_S10_SD_EESH_SX_SI_SJ_SK_EUlSX_E0_NS1_11comp_targetILNS1_3genE4ELNS1_11target_archE910ELNS1_3gpuE8ELNS1_3repE0EEENS1_38merge_mergepath_config_static_selectorELNS0_4arch9wavefront6targetE1EEEvSJ_,comdat
	.protected	_ZN7rocprim17ROCPRIM_400000_NS6detail17trampoline_kernelINS0_14default_configENS1_38merge_sort_block_merge_config_selectorIiiEEZZNS1_27merge_sort_block_merge_implIS3_N6thrust23THRUST_200600_302600_NS6detail15normal_iteratorINS8_10device_ptrIiEEEESD_jNS1_19radix_merge_compareILb1ELb1EiNS0_19identity_decomposerEEEEE10hipError_tT0_T1_T2_jT3_P12ihipStream_tbPNSt15iterator_traitsISI_E10value_typeEPNSO_ISJ_E10value_typeEPSK_NS1_7vsmem_tEENKUlT_SI_SJ_SK_E_clIPiSD_S10_SD_EESH_SX_SI_SJ_SK_EUlSX_E0_NS1_11comp_targetILNS1_3genE4ELNS1_11target_archE910ELNS1_3gpuE8ELNS1_3repE0EEENS1_38merge_mergepath_config_static_selectorELNS0_4arch9wavefront6targetE1EEEvSJ_ ; -- Begin function _ZN7rocprim17ROCPRIM_400000_NS6detail17trampoline_kernelINS0_14default_configENS1_38merge_sort_block_merge_config_selectorIiiEEZZNS1_27merge_sort_block_merge_implIS3_N6thrust23THRUST_200600_302600_NS6detail15normal_iteratorINS8_10device_ptrIiEEEESD_jNS1_19radix_merge_compareILb1ELb1EiNS0_19identity_decomposerEEEEE10hipError_tT0_T1_T2_jT3_P12ihipStream_tbPNSt15iterator_traitsISI_E10value_typeEPNSO_ISJ_E10value_typeEPSK_NS1_7vsmem_tEENKUlT_SI_SJ_SK_E_clIPiSD_S10_SD_EESH_SX_SI_SJ_SK_EUlSX_E0_NS1_11comp_targetILNS1_3genE4ELNS1_11target_archE910ELNS1_3gpuE8ELNS1_3repE0EEENS1_38merge_mergepath_config_static_selectorELNS0_4arch9wavefront6targetE1EEEvSJ_
	.globl	_ZN7rocprim17ROCPRIM_400000_NS6detail17trampoline_kernelINS0_14default_configENS1_38merge_sort_block_merge_config_selectorIiiEEZZNS1_27merge_sort_block_merge_implIS3_N6thrust23THRUST_200600_302600_NS6detail15normal_iteratorINS8_10device_ptrIiEEEESD_jNS1_19radix_merge_compareILb1ELb1EiNS0_19identity_decomposerEEEEE10hipError_tT0_T1_T2_jT3_P12ihipStream_tbPNSt15iterator_traitsISI_E10value_typeEPNSO_ISJ_E10value_typeEPSK_NS1_7vsmem_tEENKUlT_SI_SJ_SK_E_clIPiSD_S10_SD_EESH_SX_SI_SJ_SK_EUlSX_E0_NS1_11comp_targetILNS1_3genE4ELNS1_11target_archE910ELNS1_3gpuE8ELNS1_3repE0EEENS1_38merge_mergepath_config_static_selectorELNS0_4arch9wavefront6targetE1EEEvSJ_
	.p2align	8
	.type	_ZN7rocprim17ROCPRIM_400000_NS6detail17trampoline_kernelINS0_14default_configENS1_38merge_sort_block_merge_config_selectorIiiEEZZNS1_27merge_sort_block_merge_implIS3_N6thrust23THRUST_200600_302600_NS6detail15normal_iteratorINS8_10device_ptrIiEEEESD_jNS1_19radix_merge_compareILb1ELb1EiNS0_19identity_decomposerEEEEE10hipError_tT0_T1_T2_jT3_P12ihipStream_tbPNSt15iterator_traitsISI_E10value_typeEPNSO_ISJ_E10value_typeEPSK_NS1_7vsmem_tEENKUlT_SI_SJ_SK_E_clIPiSD_S10_SD_EESH_SX_SI_SJ_SK_EUlSX_E0_NS1_11comp_targetILNS1_3genE4ELNS1_11target_archE910ELNS1_3gpuE8ELNS1_3repE0EEENS1_38merge_mergepath_config_static_selectorELNS0_4arch9wavefront6targetE1EEEvSJ_,@function
_ZN7rocprim17ROCPRIM_400000_NS6detail17trampoline_kernelINS0_14default_configENS1_38merge_sort_block_merge_config_selectorIiiEEZZNS1_27merge_sort_block_merge_implIS3_N6thrust23THRUST_200600_302600_NS6detail15normal_iteratorINS8_10device_ptrIiEEEESD_jNS1_19radix_merge_compareILb1ELb1EiNS0_19identity_decomposerEEEEE10hipError_tT0_T1_T2_jT3_P12ihipStream_tbPNSt15iterator_traitsISI_E10value_typeEPNSO_ISJ_E10value_typeEPSK_NS1_7vsmem_tEENKUlT_SI_SJ_SK_E_clIPiSD_S10_SD_EESH_SX_SI_SJ_SK_EUlSX_E0_NS1_11comp_targetILNS1_3genE4ELNS1_11target_archE910ELNS1_3gpuE8ELNS1_3repE0EEENS1_38merge_mergepath_config_static_selectorELNS0_4arch9wavefront6targetE1EEEvSJ_: ; @_ZN7rocprim17ROCPRIM_400000_NS6detail17trampoline_kernelINS0_14default_configENS1_38merge_sort_block_merge_config_selectorIiiEEZZNS1_27merge_sort_block_merge_implIS3_N6thrust23THRUST_200600_302600_NS6detail15normal_iteratorINS8_10device_ptrIiEEEESD_jNS1_19radix_merge_compareILb1ELb1EiNS0_19identity_decomposerEEEEE10hipError_tT0_T1_T2_jT3_P12ihipStream_tbPNSt15iterator_traitsISI_E10value_typeEPNSO_ISJ_E10value_typeEPSK_NS1_7vsmem_tEENKUlT_SI_SJ_SK_E_clIPiSD_S10_SD_EESH_SX_SI_SJ_SK_EUlSX_E0_NS1_11comp_targetILNS1_3genE4ELNS1_11target_archE910ELNS1_3gpuE8ELNS1_3repE0EEENS1_38merge_mergepath_config_static_selectorELNS0_4arch9wavefront6targetE1EEEvSJ_
; %bb.0:
	.section	.rodata,"a",@progbits
	.p2align	6, 0x0
	.amdhsa_kernel _ZN7rocprim17ROCPRIM_400000_NS6detail17trampoline_kernelINS0_14default_configENS1_38merge_sort_block_merge_config_selectorIiiEEZZNS1_27merge_sort_block_merge_implIS3_N6thrust23THRUST_200600_302600_NS6detail15normal_iteratorINS8_10device_ptrIiEEEESD_jNS1_19radix_merge_compareILb1ELb1EiNS0_19identity_decomposerEEEEE10hipError_tT0_T1_T2_jT3_P12ihipStream_tbPNSt15iterator_traitsISI_E10value_typeEPNSO_ISJ_E10value_typeEPSK_NS1_7vsmem_tEENKUlT_SI_SJ_SK_E_clIPiSD_S10_SD_EESH_SX_SI_SJ_SK_EUlSX_E0_NS1_11comp_targetILNS1_3genE4ELNS1_11target_archE910ELNS1_3gpuE8ELNS1_3repE0EEENS1_38merge_mergepath_config_static_selectorELNS0_4arch9wavefront6targetE1EEEvSJ_
		.amdhsa_group_segment_fixed_size 0
		.amdhsa_private_segment_fixed_size 0
		.amdhsa_kernarg_size 64
		.amdhsa_user_sgpr_count 2
		.amdhsa_user_sgpr_dispatch_ptr 0
		.amdhsa_user_sgpr_queue_ptr 0
		.amdhsa_user_sgpr_kernarg_segment_ptr 1
		.amdhsa_user_sgpr_dispatch_id 0
		.amdhsa_user_sgpr_kernarg_preload_length 0
		.amdhsa_user_sgpr_kernarg_preload_offset 0
		.amdhsa_user_sgpr_private_segment_size 0
		.amdhsa_uses_dynamic_stack 0
		.amdhsa_enable_private_segment 0
		.amdhsa_system_sgpr_workgroup_id_x 1
		.amdhsa_system_sgpr_workgroup_id_y 0
		.amdhsa_system_sgpr_workgroup_id_z 0
		.amdhsa_system_sgpr_workgroup_info 0
		.amdhsa_system_vgpr_workitem_id 0
		.amdhsa_next_free_vgpr 1
		.amdhsa_next_free_sgpr 0
		.amdhsa_accum_offset 4
		.amdhsa_reserve_vcc 0
		.amdhsa_float_round_mode_32 0
		.amdhsa_float_round_mode_16_64 0
		.amdhsa_float_denorm_mode_32 3
		.amdhsa_float_denorm_mode_16_64 3
		.amdhsa_dx10_clamp 1
		.amdhsa_ieee_mode 1
		.amdhsa_fp16_overflow 0
		.amdhsa_tg_split 0
		.amdhsa_exception_fp_ieee_invalid_op 0
		.amdhsa_exception_fp_denorm_src 0
		.amdhsa_exception_fp_ieee_div_zero 0
		.amdhsa_exception_fp_ieee_overflow 0
		.amdhsa_exception_fp_ieee_underflow 0
		.amdhsa_exception_fp_ieee_inexact 0
		.amdhsa_exception_int_div_zero 0
	.end_amdhsa_kernel
	.section	.text._ZN7rocprim17ROCPRIM_400000_NS6detail17trampoline_kernelINS0_14default_configENS1_38merge_sort_block_merge_config_selectorIiiEEZZNS1_27merge_sort_block_merge_implIS3_N6thrust23THRUST_200600_302600_NS6detail15normal_iteratorINS8_10device_ptrIiEEEESD_jNS1_19radix_merge_compareILb1ELb1EiNS0_19identity_decomposerEEEEE10hipError_tT0_T1_T2_jT3_P12ihipStream_tbPNSt15iterator_traitsISI_E10value_typeEPNSO_ISJ_E10value_typeEPSK_NS1_7vsmem_tEENKUlT_SI_SJ_SK_E_clIPiSD_S10_SD_EESH_SX_SI_SJ_SK_EUlSX_E0_NS1_11comp_targetILNS1_3genE4ELNS1_11target_archE910ELNS1_3gpuE8ELNS1_3repE0EEENS1_38merge_mergepath_config_static_selectorELNS0_4arch9wavefront6targetE1EEEvSJ_,"axG",@progbits,_ZN7rocprim17ROCPRIM_400000_NS6detail17trampoline_kernelINS0_14default_configENS1_38merge_sort_block_merge_config_selectorIiiEEZZNS1_27merge_sort_block_merge_implIS3_N6thrust23THRUST_200600_302600_NS6detail15normal_iteratorINS8_10device_ptrIiEEEESD_jNS1_19radix_merge_compareILb1ELb1EiNS0_19identity_decomposerEEEEE10hipError_tT0_T1_T2_jT3_P12ihipStream_tbPNSt15iterator_traitsISI_E10value_typeEPNSO_ISJ_E10value_typeEPSK_NS1_7vsmem_tEENKUlT_SI_SJ_SK_E_clIPiSD_S10_SD_EESH_SX_SI_SJ_SK_EUlSX_E0_NS1_11comp_targetILNS1_3genE4ELNS1_11target_archE910ELNS1_3gpuE8ELNS1_3repE0EEENS1_38merge_mergepath_config_static_selectorELNS0_4arch9wavefront6targetE1EEEvSJ_,comdat
.Lfunc_end944:
	.size	_ZN7rocprim17ROCPRIM_400000_NS6detail17trampoline_kernelINS0_14default_configENS1_38merge_sort_block_merge_config_selectorIiiEEZZNS1_27merge_sort_block_merge_implIS3_N6thrust23THRUST_200600_302600_NS6detail15normal_iteratorINS8_10device_ptrIiEEEESD_jNS1_19radix_merge_compareILb1ELb1EiNS0_19identity_decomposerEEEEE10hipError_tT0_T1_T2_jT3_P12ihipStream_tbPNSt15iterator_traitsISI_E10value_typeEPNSO_ISJ_E10value_typeEPSK_NS1_7vsmem_tEENKUlT_SI_SJ_SK_E_clIPiSD_S10_SD_EESH_SX_SI_SJ_SK_EUlSX_E0_NS1_11comp_targetILNS1_3genE4ELNS1_11target_archE910ELNS1_3gpuE8ELNS1_3repE0EEENS1_38merge_mergepath_config_static_selectorELNS0_4arch9wavefront6targetE1EEEvSJ_, .Lfunc_end944-_ZN7rocprim17ROCPRIM_400000_NS6detail17trampoline_kernelINS0_14default_configENS1_38merge_sort_block_merge_config_selectorIiiEEZZNS1_27merge_sort_block_merge_implIS3_N6thrust23THRUST_200600_302600_NS6detail15normal_iteratorINS8_10device_ptrIiEEEESD_jNS1_19radix_merge_compareILb1ELb1EiNS0_19identity_decomposerEEEEE10hipError_tT0_T1_T2_jT3_P12ihipStream_tbPNSt15iterator_traitsISI_E10value_typeEPNSO_ISJ_E10value_typeEPSK_NS1_7vsmem_tEENKUlT_SI_SJ_SK_E_clIPiSD_S10_SD_EESH_SX_SI_SJ_SK_EUlSX_E0_NS1_11comp_targetILNS1_3genE4ELNS1_11target_archE910ELNS1_3gpuE8ELNS1_3repE0EEENS1_38merge_mergepath_config_static_selectorELNS0_4arch9wavefront6targetE1EEEvSJ_
                                        ; -- End function
	.set _ZN7rocprim17ROCPRIM_400000_NS6detail17trampoline_kernelINS0_14default_configENS1_38merge_sort_block_merge_config_selectorIiiEEZZNS1_27merge_sort_block_merge_implIS3_N6thrust23THRUST_200600_302600_NS6detail15normal_iteratorINS8_10device_ptrIiEEEESD_jNS1_19radix_merge_compareILb1ELb1EiNS0_19identity_decomposerEEEEE10hipError_tT0_T1_T2_jT3_P12ihipStream_tbPNSt15iterator_traitsISI_E10value_typeEPNSO_ISJ_E10value_typeEPSK_NS1_7vsmem_tEENKUlT_SI_SJ_SK_E_clIPiSD_S10_SD_EESH_SX_SI_SJ_SK_EUlSX_E0_NS1_11comp_targetILNS1_3genE4ELNS1_11target_archE910ELNS1_3gpuE8ELNS1_3repE0EEENS1_38merge_mergepath_config_static_selectorELNS0_4arch9wavefront6targetE1EEEvSJ_.num_vgpr, 0
	.set _ZN7rocprim17ROCPRIM_400000_NS6detail17trampoline_kernelINS0_14default_configENS1_38merge_sort_block_merge_config_selectorIiiEEZZNS1_27merge_sort_block_merge_implIS3_N6thrust23THRUST_200600_302600_NS6detail15normal_iteratorINS8_10device_ptrIiEEEESD_jNS1_19radix_merge_compareILb1ELb1EiNS0_19identity_decomposerEEEEE10hipError_tT0_T1_T2_jT3_P12ihipStream_tbPNSt15iterator_traitsISI_E10value_typeEPNSO_ISJ_E10value_typeEPSK_NS1_7vsmem_tEENKUlT_SI_SJ_SK_E_clIPiSD_S10_SD_EESH_SX_SI_SJ_SK_EUlSX_E0_NS1_11comp_targetILNS1_3genE4ELNS1_11target_archE910ELNS1_3gpuE8ELNS1_3repE0EEENS1_38merge_mergepath_config_static_selectorELNS0_4arch9wavefront6targetE1EEEvSJ_.num_agpr, 0
	.set _ZN7rocprim17ROCPRIM_400000_NS6detail17trampoline_kernelINS0_14default_configENS1_38merge_sort_block_merge_config_selectorIiiEEZZNS1_27merge_sort_block_merge_implIS3_N6thrust23THRUST_200600_302600_NS6detail15normal_iteratorINS8_10device_ptrIiEEEESD_jNS1_19radix_merge_compareILb1ELb1EiNS0_19identity_decomposerEEEEE10hipError_tT0_T1_T2_jT3_P12ihipStream_tbPNSt15iterator_traitsISI_E10value_typeEPNSO_ISJ_E10value_typeEPSK_NS1_7vsmem_tEENKUlT_SI_SJ_SK_E_clIPiSD_S10_SD_EESH_SX_SI_SJ_SK_EUlSX_E0_NS1_11comp_targetILNS1_3genE4ELNS1_11target_archE910ELNS1_3gpuE8ELNS1_3repE0EEENS1_38merge_mergepath_config_static_selectorELNS0_4arch9wavefront6targetE1EEEvSJ_.numbered_sgpr, 0
	.set _ZN7rocprim17ROCPRIM_400000_NS6detail17trampoline_kernelINS0_14default_configENS1_38merge_sort_block_merge_config_selectorIiiEEZZNS1_27merge_sort_block_merge_implIS3_N6thrust23THRUST_200600_302600_NS6detail15normal_iteratorINS8_10device_ptrIiEEEESD_jNS1_19radix_merge_compareILb1ELb1EiNS0_19identity_decomposerEEEEE10hipError_tT0_T1_T2_jT3_P12ihipStream_tbPNSt15iterator_traitsISI_E10value_typeEPNSO_ISJ_E10value_typeEPSK_NS1_7vsmem_tEENKUlT_SI_SJ_SK_E_clIPiSD_S10_SD_EESH_SX_SI_SJ_SK_EUlSX_E0_NS1_11comp_targetILNS1_3genE4ELNS1_11target_archE910ELNS1_3gpuE8ELNS1_3repE0EEENS1_38merge_mergepath_config_static_selectorELNS0_4arch9wavefront6targetE1EEEvSJ_.num_named_barrier, 0
	.set _ZN7rocprim17ROCPRIM_400000_NS6detail17trampoline_kernelINS0_14default_configENS1_38merge_sort_block_merge_config_selectorIiiEEZZNS1_27merge_sort_block_merge_implIS3_N6thrust23THRUST_200600_302600_NS6detail15normal_iteratorINS8_10device_ptrIiEEEESD_jNS1_19radix_merge_compareILb1ELb1EiNS0_19identity_decomposerEEEEE10hipError_tT0_T1_T2_jT3_P12ihipStream_tbPNSt15iterator_traitsISI_E10value_typeEPNSO_ISJ_E10value_typeEPSK_NS1_7vsmem_tEENKUlT_SI_SJ_SK_E_clIPiSD_S10_SD_EESH_SX_SI_SJ_SK_EUlSX_E0_NS1_11comp_targetILNS1_3genE4ELNS1_11target_archE910ELNS1_3gpuE8ELNS1_3repE0EEENS1_38merge_mergepath_config_static_selectorELNS0_4arch9wavefront6targetE1EEEvSJ_.private_seg_size, 0
	.set _ZN7rocprim17ROCPRIM_400000_NS6detail17trampoline_kernelINS0_14default_configENS1_38merge_sort_block_merge_config_selectorIiiEEZZNS1_27merge_sort_block_merge_implIS3_N6thrust23THRUST_200600_302600_NS6detail15normal_iteratorINS8_10device_ptrIiEEEESD_jNS1_19radix_merge_compareILb1ELb1EiNS0_19identity_decomposerEEEEE10hipError_tT0_T1_T2_jT3_P12ihipStream_tbPNSt15iterator_traitsISI_E10value_typeEPNSO_ISJ_E10value_typeEPSK_NS1_7vsmem_tEENKUlT_SI_SJ_SK_E_clIPiSD_S10_SD_EESH_SX_SI_SJ_SK_EUlSX_E0_NS1_11comp_targetILNS1_3genE4ELNS1_11target_archE910ELNS1_3gpuE8ELNS1_3repE0EEENS1_38merge_mergepath_config_static_selectorELNS0_4arch9wavefront6targetE1EEEvSJ_.uses_vcc, 0
	.set _ZN7rocprim17ROCPRIM_400000_NS6detail17trampoline_kernelINS0_14default_configENS1_38merge_sort_block_merge_config_selectorIiiEEZZNS1_27merge_sort_block_merge_implIS3_N6thrust23THRUST_200600_302600_NS6detail15normal_iteratorINS8_10device_ptrIiEEEESD_jNS1_19radix_merge_compareILb1ELb1EiNS0_19identity_decomposerEEEEE10hipError_tT0_T1_T2_jT3_P12ihipStream_tbPNSt15iterator_traitsISI_E10value_typeEPNSO_ISJ_E10value_typeEPSK_NS1_7vsmem_tEENKUlT_SI_SJ_SK_E_clIPiSD_S10_SD_EESH_SX_SI_SJ_SK_EUlSX_E0_NS1_11comp_targetILNS1_3genE4ELNS1_11target_archE910ELNS1_3gpuE8ELNS1_3repE0EEENS1_38merge_mergepath_config_static_selectorELNS0_4arch9wavefront6targetE1EEEvSJ_.uses_flat_scratch, 0
	.set _ZN7rocprim17ROCPRIM_400000_NS6detail17trampoline_kernelINS0_14default_configENS1_38merge_sort_block_merge_config_selectorIiiEEZZNS1_27merge_sort_block_merge_implIS3_N6thrust23THRUST_200600_302600_NS6detail15normal_iteratorINS8_10device_ptrIiEEEESD_jNS1_19radix_merge_compareILb1ELb1EiNS0_19identity_decomposerEEEEE10hipError_tT0_T1_T2_jT3_P12ihipStream_tbPNSt15iterator_traitsISI_E10value_typeEPNSO_ISJ_E10value_typeEPSK_NS1_7vsmem_tEENKUlT_SI_SJ_SK_E_clIPiSD_S10_SD_EESH_SX_SI_SJ_SK_EUlSX_E0_NS1_11comp_targetILNS1_3genE4ELNS1_11target_archE910ELNS1_3gpuE8ELNS1_3repE0EEENS1_38merge_mergepath_config_static_selectorELNS0_4arch9wavefront6targetE1EEEvSJ_.has_dyn_sized_stack, 0
	.set _ZN7rocprim17ROCPRIM_400000_NS6detail17trampoline_kernelINS0_14default_configENS1_38merge_sort_block_merge_config_selectorIiiEEZZNS1_27merge_sort_block_merge_implIS3_N6thrust23THRUST_200600_302600_NS6detail15normal_iteratorINS8_10device_ptrIiEEEESD_jNS1_19radix_merge_compareILb1ELb1EiNS0_19identity_decomposerEEEEE10hipError_tT0_T1_T2_jT3_P12ihipStream_tbPNSt15iterator_traitsISI_E10value_typeEPNSO_ISJ_E10value_typeEPSK_NS1_7vsmem_tEENKUlT_SI_SJ_SK_E_clIPiSD_S10_SD_EESH_SX_SI_SJ_SK_EUlSX_E0_NS1_11comp_targetILNS1_3genE4ELNS1_11target_archE910ELNS1_3gpuE8ELNS1_3repE0EEENS1_38merge_mergepath_config_static_selectorELNS0_4arch9wavefront6targetE1EEEvSJ_.has_recursion, 0
	.set _ZN7rocprim17ROCPRIM_400000_NS6detail17trampoline_kernelINS0_14default_configENS1_38merge_sort_block_merge_config_selectorIiiEEZZNS1_27merge_sort_block_merge_implIS3_N6thrust23THRUST_200600_302600_NS6detail15normal_iteratorINS8_10device_ptrIiEEEESD_jNS1_19radix_merge_compareILb1ELb1EiNS0_19identity_decomposerEEEEE10hipError_tT0_T1_T2_jT3_P12ihipStream_tbPNSt15iterator_traitsISI_E10value_typeEPNSO_ISJ_E10value_typeEPSK_NS1_7vsmem_tEENKUlT_SI_SJ_SK_E_clIPiSD_S10_SD_EESH_SX_SI_SJ_SK_EUlSX_E0_NS1_11comp_targetILNS1_3genE4ELNS1_11target_archE910ELNS1_3gpuE8ELNS1_3repE0EEENS1_38merge_mergepath_config_static_selectorELNS0_4arch9wavefront6targetE1EEEvSJ_.has_indirect_call, 0
	.section	.AMDGPU.csdata,"",@progbits
; Kernel info:
; codeLenInByte = 0
; TotalNumSgprs: 6
; NumVgprs: 0
; NumAgprs: 0
; TotalNumVgprs: 0
; ScratchSize: 0
; MemoryBound: 0
; FloatMode: 240
; IeeeMode: 1
; LDSByteSize: 0 bytes/workgroup (compile time only)
; SGPRBlocks: 0
; VGPRBlocks: 0
; NumSGPRsForWavesPerEU: 6
; NumVGPRsForWavesPerEU: 1
; AccumOffset: 4
; Occupancy: 8
; WaveLimiterHint : 0
; COMPUTE_PGM_RSRC2:SCRATCH_EN: 0
; COMPUTE_PGM_RSRC2:USER_SGPR: 2
; COMPUTE_PGM_RSRC2:TRAP_HANDLER: 0
; COMPUTE_PGM_RSRC2:TGID_X_EN: 1
; COMPUTE_PGM_RSRC2:TGID_Y_EN: 0
; COMPUTE_PGM_RSRC2:TGID_Z_EN: 0
; COMPUTE_PGM_RSRC2:TIDIG_COMP_CNT: 0
; COMPUTE_PGM_RSRC3_GFX90A:ACCUM_OFFSET: 0
; COMPUTE_PGM_RSRC3_GFX90A:TG_SPLIT: 0
	.section	.text._ZN7rocprim17ROCPRIM_400000_NS6detail17trampoline_kernelINS0_14default_configENS1_38merge_sort_block_merge_config_selectorIiiEEZZNS1_27merge_sort_block_merge_implIS3_N6thrust23THRUST_200600_302600_NS6detail15normal_iteratorINS8_10device_ptrIiEEEESD_jNS1_19radix_merge_compareILb1ELb1EiNS0_19identity_decomposerEEEEE10hipError_tT0_T1_T2_jT3_P12ihipStream_tbPNSt15iterator_traitsISI_E10value_typeEPNSO_ISJ_E10value_typeEPSK_NS1_7vsmem_tEENKUlT_SI_SJ_SK_E_clIPiSD_S10_SD_EESH_SX_SI_SJ_SK_EUlSX_E0_NS1_11comp_targetILNS1_3genE3ELNS1_11target_archE908ELNS1_3gpuE7ELNS1_3repE0EEENS1_38merge_mergepath_config_static_selectorELNS0_4arch9wavefront6targetE1EEEvSJ_,"axG",@progbits,_ZN7rocprim17ROCPRIM_400000_NS6detail17trampoline_kernelINS0_14default_configENS1_38merge_sort_block_merge_config_selectorIiiEEZZNS1_27merge_sort_block_merge_implIS3_N6thrust23THRUST_200600_302600_NS6detail15normal_iteratorINS8_10device_ptrIiEEEESD_jNS1_19radix_merge_compareILb1ELb1EiNS0_19identity_decomposerEEEEE10hipError_tT0_T1_T2_jT3_P12ihipStream_tbPNSt15iterator_traitsISI_E10value_typeEPNSO_ISJ_E10value_typeEPSK_NS1_7vsmem_tEENKUlT_SI_SJ_SK_E_clIPiSD_S10_SD_EESH_SX_SI_SJ_SK_EUlSX_E0_NS1_11comp_targetILNS1_3genE3ELNS1_11target_archE908ELNS1_3gpuE7ELNS1_3repE0EEENS1_38merge_mergepath_config_static_selectorELNS0_4arch9wavefront6targetE1EEEvSJ_,comdat
	.protected	_ZN7rocprim17ROCPRIM_400000_NS6detail17trampoline_kernelINS0_14default_configENS1_38merge_sort_block_merge_config_selectorIiiEEZZNS1_27merge_sort_block_merge_implIS3_N6thrust23THRUST_200600_302600_NS6detail15normal_iteratorINS8_10device_ptrIiEEEESD_jNS1_19radix_merge_compareILb1ELb1EiNS0_19identity_decomposerEEEEE10hipError_tT0_T1_T2_jT3_P12ihipStream_tbPNSt15iterator_traitsISI_E10value_typeEPNSO_ISJ_E10value_typeEPSK_NS1_7vsmem_tEENKUlT_SI_SJ_SK_E_clIPiSD_S10_SD_EESH_SX_SI_SJ_SK_EUlSX_E0_NS1_11comp_targetILNS1_3genE3ELNS1_11target_archE908ELNS1_3gpuE7ELNS1_3repE0EEENS1_38merge_mergepath_config_static_selectorELNS0_4arch9wavefront6targetE1EEEvSJ_ ; -- Begin function _ZN7rocprim17ROCPRIM_400000_NS6detail17trampoline_kernelINS0_14default_configENS1_38merge_sort_block_merge_config_selectorIiiEEZZNS1_27merge_sort_block_merge_implIS3_N6thrust23THRUST_200600_302600_NS6detail15normal_iteratorINS8_10device_ptrIiEEEESD_jNS1_19radix_merge_compareILb1ELb1EiNS0_19identity_decomposerEEEEE10hipError_tT0_T1_T2_jT3_P12ihipStream_tbPNSt15iterator_traitsISI_E10value_typeEPNSO_ISJ_E10value_typeEPSK_NS1_7vsmem_tEENKUlT_SI_SJ_SK_E_clIPiSD_S10_SD_EESH_SX_SI_SJ_SK_EUlSX_E0_NS1_11comp_targetILNS1_3genE3ELNS1_11target_archE908ELNS1_3gpuE7ELNS1_3repE0EEENS1_38merge_mergepath_config_static_selectorELNS0_4arch9wavefront6targetE1EEEvSJ_
	.globl	_ZN7rocprim17ROCPRIM_400000_NS6detail17trampoline_kernelINS0_14default_configENS1_38merge_sort_block_merge_config_selectorIiiEEZZNS1_27merge_sort_block_merge_implIS3_N6thrust23THRUST_200600_302600_NS6detail15normal_iteratorINS8_10device_ptrIiEEEESD_jNS1_19radix_merge_compareILb1ELb1EiNS0_19identity_decomposerEEEEE10hipError_tT0_T1_T2_jT3_P12ihipStream_tbPNSt15iterator_traitsISI_E10value_typeEPNSO_ISJ_E10value_typeEPSK_NS1_7vsmem_tEENKUlT_SI_SJ_SK_E_clIPiSD_S10_SD_EESH_SX_SI_SJ_SK_EUlSX_E0_NS1_11comp_targetILNS1_3genE3ELNS1_11target_archE908ELNS1_3gpuE7ELNS1_3repE0EEENS1_38merge_mergepath_config_static_selectorELNS0_4arch9wavefront6targetE1EEEvSJ_
	.p2align	8
	.type	_ZN7rocprim17ROCPRIM_400000_NS6detail17trampoline_kernelINS0_14default_configENS1_38merge_sort_block_merge_config_selectorIiiEEZZNS1_27merge_sort_block_merge_implIS3_N6thrust23THRUST_200600_302600_NS6detail15normal_iteratorINS8_10device_ptrIiEEEESD_jNS1_19radix_merge_compareILb1ELb1EiNS0_19identity_decomposerEEEEE10hipError_tT0_T1_T2_jT3_P12ihipStream_tbPNSt15iterator_traitsISI_E10value_typeEPNSO_ISJ_E10value_typeEPSK_NS1_7vsmem_tEENKUlT_SI_SJ_SK_E_clIPiSD_S10_SD_EESH_SX_SI_SJ_SK_EUlSX_E0_NS1_11comp_targetILNS1_3genE3ELNS1_11target_archE908ELNS1_3gpuE7ELNS1_3repE0EEENS1_38merge_mergepath_config_static_selectorELNS0_4arch9wavefront6targetE1EEEvSJ_,@function
_ZN7rocprim17ROCPRIM_400000_NS6detail17trampoline_kernelINS0_14default_configENS1_38merge_sort_block_merge_config_selectorIiiEEZZNS1_27merge_sort_block_merge_implIS3_N6thrust23THRUST_200600_302600_NS6detail15normal_iteratorINS8_10device_ptrIiEEEESD_jNS1_19radix_merge_compareILb1ELb1EiNS0_19identity_decomposerEEEEE10hipError_tT0_T1_T2_jT3_P12ihipStream_tbPNSt15iterator_traitsISI_E10value_typeEPNSO_ISJ_E10value_typeEPSK_NS1_7vsmem_tEENKUlT_SI_SJ_SK_E_clIPiSD_S10_SD_EESH_SX_SI_SJ_SK_EUlSX_E0_NS1_11comp_targetILNS1_3genE3ELNS1_11target_archE908ELNS1_3gpuE7ELNS1_3repE0EEENS1_38merge_mergepath_config_static_selectorELNS0_4arch9wavefront6targetE1EEEvSJ_: ; @_ZN7rocprim17ROCPRIM_400000_NS6detail17trampoline_kernelINS0_14default_configENS1_38merge_sort_block_merge_config_selectorIiiEEZZNS1_27merge_sort_block_merge_implIS3_N6thrust23THRUST_200600_302600_NS6detail15normal_iteratorINS8_10device_ptrIiEEEESD_jNS1_19radix_merge_compareILb1ELb1EiNS0_19identity_decomposerEEEEE10hipError_tT0_T1_T2_jT3_P12ihipStream_tbPNSt15iterator_traitsISI_E10value_typeEPNSO_ISJ_E10value_typeEPSK_NS1_7vsmem_tEENKUlT_SI_SJ_SK_E_clIPiSD_S10_SD_EESH_SX_SI_SJ_SK_EUlSX_E0_NS1_11comp_targetILNS1_3genE3ELNS1_11target_archE908ELNS1_3gpuE7ELNS1_3repE0EEENS1_38merge_mergepath_config_static_selectorELNS0_4arch9wavefront6targetE1EEEvSJ_
; %bb.0:
	.section	.rodata,"a",@progbits
	.p2align	6, 0x0
	.amdhsa_kernel _ZN7rocprim17ROCPRIM_400000_NS6detail17trampoline_kernelINS0_14default_configENS1_38merge_sort_block_merge_config_selectorIiiEEZZNS1_27merge_sort_block_merge_implIS3_N6thrust23THRUST_200600_302600_NS6detail15normal_iteratorINS8_10device_ptrIiEEEESD_jNS1_19radix_merge_compareILb1ELb1EiNS0_19identity_decomposerEEEEE10hipError_tT0_T1_T2_jT3_P12ihipStream_tbPNSt15iterator_traitsISI_E10value_typeEPNSO_ISJ_E10value_typeEPSK_NS1_7vsmem_tEENKUlT_SI_SJ_SK_E_clIPiSD_S10_SD_EESH_SX_SI_SJ_SK_EUlSX_E0_NS1_11comp_targetILNS1_3genE3ELNS1_11target_archE908ELNS1_3gpuE7ELNS1_3repE0EEENS1_38merge_mergepath_config_static_selectorELNS0_4arch9wavefront6targetE1EEEvSJ_
		.amdhsa_group_segment_fixed_size 0
		.amdhsa_private_segment_fixed_size 0
		.amdhsa_kernarg_size 64
		.amdhsa_user_sgpr_count 2
		.amdhsa_user_sgpr_dispatch_ptr 0
		.amdhsa_user_sgpr_queue_ptr 0
		.amdhsa_user_sgpr_kernarg_segment_ptr 1
		.amdhsa_user_sgpr_dispatch_id 0
		.amdhsa_user_sgpr_kernarg_preload_length 0
		.amdhsa_user_sgpr_kernarg_preload_offset 0
		.amdhsa_user_sgpr_private_segment_size 0
		.amdhsa_uses_dynamic_stack 0
		.amdhsa_enable_private_segment 0
		.amdhsa_system_sgpr_workgroup_id_x 1
		.amdhsa_system_sgpr_workgroup_id_y 0
		.amdhsa_system_sgpr_workgroup_id_z 0
		.amdhsa_system_sgpr_workgroup_info 0
		.amdhsa_system_vgpr_workitem_id 0
		.amdhsa_next_free_vgpr 1
		.amdhsa_next_free_sgpr 0
		.amdhsa_accum_offset 4
		.amdhsa_reserve_vcc 0
		.amdhsa_float_round_mode_32 0
		.amdhsa_float_round_mode_16_64 0
		.amdhsa_float_denorm_mode_32 3
		.amdhsa_float_denorm_mode_16_64 3
		.amdhsa_dx10_clamp 1
		.amdhsa_ieee_mode 1
		.amdhsa_fp16_overflow 0
		.amdhsa_tg_split 0
		.amdhsa_exception_fp_ieee_invalid_op 0
		.amdhsa_exception_fp_denorm_src 0
		.amdhsa_exception_fp_ieee_div_zero 0
		.amdhsa_exception_fp_ieee_overflow 0
		.amdhsa_exception_fp_ieee_underflow 0
		.amdhsa_exception_fp_ieee_inexact 0
		.amdhsa_exception_int_div_zero 0
	.end_amdhsa_kernel
	.section	.text._ZN7rocprim17ROCPRIM_400000_NS6detail17trampoline_kernelINS0_14default_configENS1_38merge_sort_block_merge_config_selectorIiiEEZZNS1_27merge_sort_block_merge_implIS3_N6thrust23THRUST_200600_302600_NS6detail15normal_iteratorINS8_10device_ptrIiEEEESD_jNS1_19radix_merge_compareILb1ELb1EiNS0_19identity_decomposerEEEEE10hipError_tT0_T1_T2_jT3_P12ihipStream_tbPNSt15iterator_traitsISI_E10value_typeEPNSO_ISJ_E10value_typeEPSK_NS1_7vsmem_tEENKUlT_SI_SJ_SK_E_clIPiSD_S10_SD_EESH_SX_SI_SJ_SK_EUlSX_E0_NS1_11comp_targetILNS1_3genE3ELNS1_11target_archE908ELNS1_3gpuE7ELNS1_3repE0EEENS1_38merge_mergepath_config_static_selectorELNS0_4arch9wavefront6targetE1EEEvSJ_,"axG",@progbits,_ZN7rocprim17ROCPRIM_400000_NS6detail17trampoline_kernelINS0_14default_configENS1_38merge_sort_block_merge_config_selectorIiiEEZZNS1_27merge_sort_block_merge_implIS3_N6thrust23THRUST_200600_302600_NS6detail15normal_iteratorINS8_10device_ptrIiEEEESD_jNS1_19radix_merge_compareILb1ELb1EiNS0_19identity_decomposerEEEEE10hipError_tT0_T1_T2_jT3_P12ihipStream_tbPNSt15iterator_traitsISI_E10value_typeEPNSO_ISJ_E10value_typeEPSK_NS1_7vsmem_tEENKUlT_SI_SJ_SK_E_clIPiSD_S10_SD_EESH_SX_SI_SJ_SK_EUlSX_E0_NS1_11comp_targetILNS1_3genE3ELNS1_11target_archE908ELNS1_3gpuE7ELNS1_3repE0EEENS1_38merge_mergepath_config_static_selectorELNS0_4arch9wavefront6targetE1EEEvSJ_,comdat
.Lfunc_end945:
	.size	_ZN7rocprim17ROCPRIM_400000_NS6detail17trampoline_kernelINS0_14default_configENS1_38merge_sort_block_merge_config_selectorIiiEEZZNS1_27merge_sort_block_merge_implIS3_N6thrust23THRUST_200600_302600_NS6detail15normal_iteratorINS8_10device_ptrIiEEEESD_jNS1_19radix_merge_compareILb1ELb1EiNS0_19identity_decomposerEEEEE10hipError_tT0_T1_T2_jT3_P12ihipStream_tbPNSt15iterator_traitsISI_E10value_typeEPNSO_ISJ_E10value_typeEPSK_NS1_7vsmem_tEENKUlT_SI_SJ_SK_E_clIPiSD_S10_SD_EESH_SX_SI_SJ_SK_EUlSX_E0_NS1_11comp_targetILNS1_3genE3ELNS1_11target_archE908ELNS1_3gpuE7ELNS1_3repE0EEENS1_38merge_mergepath_config_static_selectorELNS0_4arch9wavefront6targetE1EEEvSJ_, .Lfunc_end945-_ZN7rocprim17ROCPRIM_400000_NS6detail17trampoline_kernelINS0_14default_configENS1_38merge_sort_block_merge_config_selectorIiiEEZZNS1_27merge_sort_block_merge_implIS3_N6thrust23THRUST_200600_302600_NS6detail15normal_iteratorINS8_10device_ptrIiEEEESD_jNS1_19radix_merge_compareILb1ELb1EiNS0_19identity_decomposerEEEEE10hipError_tT0_T1_T2_jT3_P12ihipStream_tbPNSt15iterator_traitsISI_E10value_typeEPNSO_ISJ_E10value_typeEPSK_NS1_7vsmem_tEENKUlT_SI_SJ_SK_E_clIPiSD_S10_SD_EESH_SX_SI_SJ_SK_EUlSX_E0_NS1_11comp_targetILNS1_3genE3ELNS1_11target_archE908ELNS1_3gpuE7ELNS1_3repE0EEENS1_38merge_mergepath_config_static_selectorELNS0_4arch9wavefront6targetE1EEEvSJ_
                                        ; -- End function
	.set _ZN7rocprim17ROCPRIM_400000_NS6detail17trampoline_kernelINS0_14default_configENS1_38merge_sort_block_merge_config_selectorIiiEEZZNS1_27merge_sort_block_merge_implIS3_N6thrust23THRUST_200600_302600_NS6detail15normal_iteratorINS8_10device_ptrIiEEEESD_jNS1_19radix_merge_compareILb1ELb1EiNS0_19identity_decomposerEEEEE10hipError_tT0_T1_T2_jT3_P12ihipStream_tbPNSt15iterator_traitsISI_E10value_typeEPNSO_ISJ_E10value_typeEPSK_NS1_7vsmem_tEENKUlT_SI_SJ_SK_E_clIPiSD_S10_SD_EESH_SX_SI_SJ_SK_EUlSX_E0_NS1_11comp_targetILNS1_3genE3ELNS1_11target_archE908ELNS1_3gpuE7ELNS1_3repE0EEENS1_38merge_mergepath_config_static_selectorELNS0_4arch9wavefront6targetE1EEEvSJ_.num_vgpr, 0
	.set _ZN7rocprim17ROCPRIM_400000_NS6detail17trampoline_kernelINS0_14default_configENS1_38merge_sort_block_merge_config_selectorIiiEEZZNS1_27merge_sort_block_merge_implIS3_N6thrust23THRUST_200600_302600_NS6detail15normal_iteratorINS8_10device_ptrIiEEEESD_jNS1_19radix_merge_compareILb1ELb1EiNS0_19identity_decomposerEEEEE10hipError_tT0_T1_T2_jT3_P12ihipStream_tbPNSt15iterator_traitsISI_E10value_typeEPNSO_ISJ_E10value_typeEPSK_NS1_7vsmem_tEENKUlT_SI_SJ_SK_E_clIPiSD_S10_SD_EESH_SX_SI_SJ_SK_EUlSX_E0_NS1_11comp_targetILNS1_3genE3ELNS1_11target_archE908ELNS1_3gpuE7ELNS1_3repE0EEENS1_38merge_mergepath_config_static_selectorELNS0_4arch9wavefront6targetE1EEEvSJ_.num_agpr, 0
	.set _ZN7rocprim17ROCPRIM_400000_NS6detail17trampoline_kernelINS0_14default_configENS1_38merge_sort_block_merge_config_selectorIiiEEZZNS1_27merge_sort_block_merge_implIS3_N6thrust23THRUST_200600_302600_NS6detail15normal_iteratorINS8_10device_ptrIiEEEESD_jNS1_19radix_merge_compareILb1ELb1EiNS0_19identity_decomposerEEEEE10hipError_tT0_T1_T2_jT3_P12ihipStream_tbPNSt15iterator_traitsISI_E10value_typeEPNSO_ISJ_E10value_typeEPSK_NS1_7vsmem_tEENKUlT_SI_SJ_SK_E_clIPiSD_S10_SD_EESH_SX_SI_SJ_SK_EUlSX_E0_NS1_11comp_targetILNS1_3genE3ELNS1_11target_archE908ELNS1_3gpuE7ELNS1_3repE0EEENS1_38merge_mergepath_config_static_selectorELNS0_4arch9wavefront6targetE1EEEvSJ_.numbered_sgpr, 0
	.set _ZN7rocprim17ROCPRIM_400000_NS6detail17trampoline_kernelINS0_14default_configENS1_38merge_sort_block_merge_config_selectorIiiEEZZNS1_27merge_sort_block_merge_implIS3_N6thrust23THRUST_200600_302600_NS6detail15normal_iteratorINS8_10device_ptrIiEEEESD_jNS1_19radix_merge_compareILb1ELb1EiNS0_19identity_decomposerEEEEE10hipError_tT0_T1_T2_jT3_P12ihipStream_tbPNSt15iterator_traitsISI_E10value_typeEPNSO_ISJ_E10value_typeEPSK_NS1_7vsmem_tEENKUlT_SI_SJ_SK_E_clIPiSD_S10_SD_EESH_SX_SI_SJ_SK_EUlSX_E0_NS1_11comp_targetILNS1_3genE3ELNS1_11target_archE908ELNS1_3gpuE7ELNS1_3repE0EEENS1_38merge_mergepath_config_static_selectorELNS0_4arch9wavefront6targetE1EEEvSJ_.num_named_barrier, 0
	.set _ZN7rocprim17ROCPRIM_400000_NS6detail17trampoline_kernelINS0_14default_configENS1_38merge_sort_block_merge_config_selectorIiiEEZZNS1_27merge_sort_block_merge_implIS3_N6thrust23THRUST_200600_302600_NS6detail15normal_iteratorINS8_10device_ptrIiEEEESD_jNS1_19radix_merge_compareILb1ELb1EiNS0_19identity_decomposerEEEEE10hipError_tT0_T1_T2_jT3_P12ihipStream_tbPNSt15iterator_traitsISI_E10value_typeEPNSO_ISJ_E10value_typeEPSK_NS1_7vsmem_tEENKUlT_SI_SJ_SK_E_clIPiSD_S10_SD_EESH_SX_SI_SJ_SK_EUlSX_E0_NS1_11comp_targetILNS1_3genE3ELNS1_11target_archE908ELNS1_3gpuE7ELNS1_3repE0EEENS1_38merge_mergepath_config_static_selectorELNS0_4arch9wavefront6targetE1EEEvSJ_.private_seg_size, 0
	.set _ZN7rocprim17ROCPRIM_400000_NS6detail17trampoline_kernelINS0_14default_configENS1_38merge_sort_block_merge_config_selectorIiiEEZZNS1_27merge_sort_block_merge_implIS3_N6thrust23THRUST_200600_302600_NS6detail15normal_iteratorINS8_10device_ptrIiEEEESD_jNS1_19radix_merge_compareILb1ELb1EiNS0_19identity_decomposerEEEEE10hipError_tT0_T1_T2_jT3_P12ihipStream_tbPNSt15iterator_traitsISI_E10value_typeEPNSO_ISJ_E10value_typeEPSK_NS1_7vsmem_tEENKUlT_SI_SJ_SK_E_clIPiSD_S10_SD_EESH_SX_SI_SJ_SK_EUlSX_E0_NS1_11comp_targetILNS1_3genE3ELNS1_11target_archE908ELNS1_3gpuE7ELNS1_3repE0EEENS1_38merge_mergepath_config_static_selectorELNS0_4arch9wavefront6targetE1EEEvSJ_.uses_vcc, 0
	.set _ZN7rocprim17ROCPRIM_400000_NS6detail17trampoline_kernelINS0_14default_configENS1_38merge_sort_block_merge_config_selectorIiiEEZZNS1_27merge_sort_block_merge_implIS3_N6thrust23THRUST_200600_302600_NS6detail15normal_iteratorINS8_10device_ptrIiEEEESD_jNS1_19radix_merge_compareILb1ELb1EiNS0_19identity_decomposerEEEEE10hipError_tT0_T1_T2_jT3_P12ihipStream_tbPNSt15iterator_traitsISI_E10value_typeEPNSO_ISJ_E10value_typeEPSK_NS1_7vsmem_tEENKUlT_SI_SJ_SK_E_clIPiSD_S10_SD_EESH_SX_SI_SJ_SK_EUlSX_E0_NS1_11comp_targetILNS1_3genE3ELNS1_11target_archE908ELNS1_3gpuE7ELNS1_3repE0EEENS1_38merge_mergepath_config_static_selectorELNS0_4arch9wavefront6targetE1EEEvSJ_.uses_flat_scratch, 0
	.set _ZN7rocprim17ROCPRIM_400000_NS6detail17trampoline_kernelINS0_14default_configENS1_38merge_sort_block_merge_config_selectorIiiEEZZNS1_27merge_sort_block_merge_implIS3_N6thrust23THRUST_200600_302600_NS6detail15normal_iteratorINS8_10device_ptrIiEEEESD_jNS1_19radix_merge_compareILb1ELb1EiNS0_19identity_decomposerEEEEE10hipError_tT0_T1_T2_jT3_P12ihipStream_tbPNSt15iterator_traitsISI_E10value_typeEPNSO_ISJ_E10value_typeEPSK_NS1_7vsmem_tEENKUlT_SI_SJ_SK_E_clIPiSD_S10_SD_EESH_SX_SI_SJ_SK_EUlSX_E0_NS1_11comp_targetILNS1_3genE3ELNS1_11target_archE908ELNS1_3gpuE7ELNS1_3repE0EEENS1_38merge_mergepath_config_static_selectorELNS0_4arch9wavefront6targetE1EEEvSJ_.has_dyn_sized_stack, 0
	.set _ZN7rocprim17ROCPRIM_400000_NS6detail17trampoline_kernelINS0_14default_configENS1_38merge_sort_block_merge_config_selectorIiiEEZZNS1_27merge_sort_block_merge_implIS3_N6thrust23THRUST_200600_302600_NS6detail15normal_iteratorINS8_10device_ptrIiEEEESD_jNS1_19radix_merge_compareILb1ELb1EiNS0_19identity_decomposerEEEEE10hipError_tT0_T1_T2_jT3_P12ihipStream_tbPNSt15iterator_traitsISI_E10value_typeEPNSO_ISJ_E10value_typeEPSK_NS1_7vsmem_tEENKUlT_SI_SJ_SK_E_clIPiSD_S10_SD_EESH_SX_SI_SJ_SK_EUlSX_E0_NS1_11comp_targetILNS1_3genE3ELNS1_11target_archE908ELNS1_3gpuE7ELNS1_3repE0EEENS1_38merge_mergepath_config_static_selectorELNS0_4arch9wavefront6targetE1EEEvSJ_.has_recursion, 0
	.set _ZN7rocprim17ROCPRIM_400000_NS6detail17trampoline_kernelINS0_14default_configENS1_38merge_sort_block_merge_config_selectorIiiEEZZNS1_27merge_sort_block_merge_implIS3_N6thrust23THRUST_200600_302600_NS6detail15normal_iteratorINS8_10device_ptrIiEEEESD_jNS1_19radix_merge_compareILb1ELb1EiNS0_19identity_decomposerEEEEE10hipError_tT0_T1_T2_jT3_P12ihipStream_tbPNSt15iterator_traitsISI_E10value_typeEPNSO_ISJ_E10value_typeEPSK_NS1_7vsmem_tEENKUlT_SI_SJ_SK_E_clIPiSD_S10_SD_EESH_SX_SI_SJ_SK_EUlSX_E0_NS1_11comp_targetILNS1_3genE3ELNS1_11target_archE908ELNS1_3gpuE7ELNS1_3repE0EEENS1_38merge_mergepath_config_static_selectorELNS0_4arch9wavefront6targetE1EEEvSJ_.has_indirect_call, 0
	.section	.AMDGPU.csdata,"",@progbits
; Kernel info:
; codeLenInByte = 0
; TotalNumSgprs: 6
; NumVgprs: 0
; NumAgprs: 0
; TotalNumVgprs: 0
; ScratchSize: 0
; MemoryBound: 0
; FloatMode: 240
; IeeeMode: 1
; LDSByteSize: 0 bytes/workgroup (compile time only)
; SGPRBlocks: 0
; VGPRBlocks: 0
; NumSGPRsForWavesPerEU: 6
; NumVGPRsForWavesPerEU: 1
; AccumOffset: 4
; Occupancy: 8
; WaveLimiterHint : 0
; COMPUTE_PGM_RSRC2:SCRATCH_EN: 0
; COMPUTE_PGM_RSRC2:USER_SGPR: 2
; COMPUTE_PGM_RSRC2:TRAP_HANDLER: 0
; COMPUTE_PGM_RSRC2:TGID_X_EN: 1
; COMPUTE_PGM_RSRC2:TGID_Y_EN: 0
; COMPUTE_PGM_RSRC2:TGID_Z_EN: 0
; COMPUTE_PGM_RSRC2:TIDIG_COMP_CNT: 0
; COMPUTE_PGM_RSRC3_GFX90A:ACCUM_OFFSET: 0
; COMPUTE_PGM_RSRC3_GFX90A:TG_SPLIT: 0
	.section	.text._ZN7rocprim17ROCPRIM_400000_NS6detail17trampoline_kernelINS0_14default_configENS1_38merge_sort_block_merge_config_selectorIiiEEZZNS1_27merge_sort_block_merge_implIS3_N6thrust23THRUST_200600_302600_NS6detail15normal_iteratorINS8_10device_ptrIiEEEESD_jNS1_19radix_merge_compareILb1ELb1EiNS0_19identity_decomposerEEEEE10hipError_tT0_T1_T2_jT3_P12ihipStream_tbPNSt15iterator_traitsISI_E10value_typeEPNSO_ISJ_E10value_typeEPSK_NS1_7vsmem_tEENKUlT_SI_SJ_SK_E_clIPiSD_S10_SD_EESH_SX_SI_SJ_SK_EUlSX_E0_NS1_11comp_targetILNS1_3genE2ELNS1_11target_archE906ELNS1_3gpuE6ELNS1_3repE0EEENS1_38merge_mergepath_config_static_selectorELNS0_4arch9wavefront6targetE1EEEvSJ_,"axG",@progbits,_ZN7rocprim17ROCPRIM_400000_NS6detail17trampoline_kernelINS0_14default_configENS1_38merge_sort_block_merge_config_selectorIiiEEZZNS1_27merge_sort_block_merge_implIS3_N6thrust23THRUST_200600_302600_NS6detail15normal_iteratorINS8_10device_ptrIiEEEESD_jNS1_19radix_merge_compareILb1ELb1EiNS0_19identity_decomposerEEEEE10hipError_tT0_T1_T2_jT3_P12ihipStream_tbPNSt15iterator_traitsISI_E10value_typeEPNSO_ISJ_E10value_typeEPSK_NS1_7vsmem_tEENKUlT_SI_SJ_SK_E_clIPiSD_S10_SD_EESH_SX_SI_SJ_SK_EUlSX_E0_NS1_11comp_targetILNS1_3genE2ELNS1_11target_archE906ELNS1_3gpuE6ELNS1_3repE0EEENS1_38merge_mergepath_config_static_selectorELNS0_4arch9wavefront6targetE1EEEvSJ_,comdat
	.protected	_ZN7rocprim17ROCPRIM_400000_NS6detail17trampoline_kernelINS0_14default_configENS1_38merge_sort_block_merge_config_selectorIiiEEZZNS1_27merge_sort_block_merge_implIS3_N6thrust23THRUST_200600_302600_NS6detail15normal_iteratorINS8_10device_ptrIiEEEESD_jNS1_19radix_merge_compareILb1ELb1EiNS0_19identity_decomposerEEEEE10hipError_tT0_T1_T2_jT3_P12ihipStream_tbPNSt15iterator_traitsISI_E10value_typeEPNSO_ISJ_E10value_typeEPSK_NS1_7vsmem_tEENKUlT_SI_SJ_SK_E_clIPiSD_S10_SD_EESH_SX_SI_SJ_SK_EUlSX_E0_NS1_11comp_targetILNS1_3genE2ELNS1_11target_archE906ELNS1_3gpuE6ELNS1_3repE0EEENS1_38merge_mergepath_config_static_selectorELNS0_4arch9wavefront6targetE1EEEvSJ_ ; -- Begin function _ZN7rocprim17ROCPRIM_400000_NS6detail17trampoline_kernelINS0_14default_configENS1_38merge_sort_block_merge_config_selectorIiiEEZZNS1_27merge_sort_block_merge_implIS3_N6thrust23THRUST_200600_302600_NS6detail15normal_iteratorINS8_10device_ptrIiEEEESD_jNS1_19radix_merge_compareILb1ELb1EiNS0_19identity_decomposerEEEEE10hipError_tT0_T1_T2_jT3_P12ihipStream_tbPNSt15iterator_traitsISI_E10value_typeEPNSO_ISJ_E10value_typeEPSK_NS1_7vsmem_tEENKUlT_SI_SJ_SK_E_clIPiSD_S10_SD_EESH_SX_SI_SJ_SK_EUlSX_E0_NS1_11comp_targetILNS1_3genE2ELNS1_11target_archE906ELNS1_3gpuE6ELNS1_3repE0EEENS1_38merge_mergepath_config_static_selectorELNS0_4arch9wavefront6targetE1EEEvSJ_
	.globl	_ZN7rocprim17ROCPRIM_400000_NS6detail17trampoline_kernelINS0_14default_configENS1_38merge_sort_block_merge_config_selectorIiiEEZZNS1_27merge_sort_block_merge_implIS3_N6thrust23THRUST_200600_302600_NS6detail15normal_iteratorINS8_10device_ptrIiEEEESD_jNS1_19radix_merge_compareILb1ELb1EiNS0_19identity_decomposerEEEEE10hipError_tT0_T1_T2_jT3_P12ihipStream_tbPNSt15iterator_traitsISI_E10value_typeEPNSO_ISJ_E10value_typeEPSK_NS1_7vsmem_tEENKUlT_SI_SJ_SK_E_clIPiSD_S10_SD_EESH_SX_SI_SJ_SK_EUlSX_E0_NS1_11comp_targetILNS1_3genE2ELNS1_11target_archE906ELNS1_3gpuE6ELNS1_3repE0EEENS1_38merge_mergepath_config_static_selectorELNS0_4arch9wavefront6targetE1EEEvSJ_
	.p2align	8
	.type	_ZN7rocprim17ROCPRIM_400000_NS6detail17trampoline_kernelINS0_14default_configENS1_38merge_sort_block_merge_config_selectorIiiEEZZNS1_27merge_sort_block_merge_implIS3_N6thrust23THRUST_200600_302600_NS6detail15normal_iteratorINS8_10device_ptrIiEEEESD_jNS1_19radix_merge_compareILb1ELb1EiNS0_19identity_decomposerEEEEE10hipError_tT0_T1_T2_jT3_P12ihipStream_tbPNSt15iterator_traitsISI_E10value_typeEPNSO_ISJ_E10value_typeEPSK_NS1_7vsmem_tEENKUlT_SI_SJ_SK_E_clIPiSD_S10_SD_EESH_SX_SI_SJ_SK_EUlSX_E0_NS1_11comp_targetILNS1_3genE2ELNS1_11target_archE906ELNS1_3gpuE6ELNS1_3repE0EEENS1_38merge_mergepath_config_static_selectorELNS0_4arch9wavefront6targetE1EEEvSJ_,@function
_ZN7rocprim17ROCPRIM_400000_NS6detail17trampoline_kernelINS0_14default_configENS1_38merge_sort_block_merge_config_selectorIiiEEZZNS1_27merge_sort_block_merge_implIS3_N6thrust23THRUST_200600_302600_NS6detail15normal_iteratorINS8_10device_ptrIiEEEESD_jNS1_19radix_merge_compareILb1ELb1EiNS0_19identity_decomposerEEEEE10hipError_tT0_T1_T2_jT3_P12ihipStream_tbPNSt15iterator_traitsISI_E10value_typeEPNSO_ISJ_E10value_typeEPSK_NS1_7vsmem_tEENKUlT_SI_SJ_SK_E_clIPiSD_S10_SD_EESH_SX_SI_SJ_SK_EUlSX_E0_NS1_11comp_targetILNS1_3genE2ELNS1_11target_archE906ELNS1_3gpuE6ELNS1_3repE0EEENS1_38merge_mergepath_config_static_selectorELNS0_4arch9wavefront6targetE1EEEvSJ_: ; @_ZN7rocprim17ROCPRIM_400000_NS6detail17trampoline_kernelINS0_14default_configENS1_38merge_sort_block_merge_config_selectorIiiEEZZNS1_27merge_sort_block_merge_implIS3_N6thrust23THRUST_200600_302600_NS6detail15normal_iteratorINS8_10device_ptrIiEEEESD_jNS1_19radix_merge_compareILb1ELb1EiNS0_19identity_decomposerEEEEE10hipError_tT0_T1_T2_jT3_P12ihipStream_tbPNSt15iterator_traitsISI_E10value_typeEPNSO_ISJ_E10value_typeEPSK_NS1_7vsmem_tEENKUlT_SI_SJ_SK_E_clIPiSD_S10_SD_EESH_SX_SI_SJ_SK_EUlSX_E0_NS1_11comp_targetILNS1_3genE2ELNS1_11target_archE906ELNS1_3gpuE6ELNS1_3repE0EEENS1_38merge_mergepath_config_static_selectorELNS0_4arch9wavefront6targetE1EEEvSJ_
; %bb.0:
	.section	.rodata,"a",@progbits
	.p2align	6, 0x0
	.amdhsa_kernel _ZN7rocprim17ROCPRIM_400000_NS6detail17trampoline_kernelINS0_14default_configENS1_38merge_sort_block_merge_config_selectorIiiEEZZNS1_27merge_sort_block_merge_implIS3_N6thrust23THRUST_200600_302600_NS6detail15normal_iteratorINS8_10device_ptrIiEEEESD_jNS1_19radix_merge_compareILb1ELb1EiNS0_19identity_decomposerEEEEE10hipError_tT0_T1_T2_jT3_P12ihipStream_tbPNSt15iterator_traitsISI_E10value_typeEPNSO_ISJ_E10value_typeEPSK_NS1_7vsmem_tEENKUlT_SI_SJ_SK_E_clIPiSD_S10_SD_EESH_SX_SI_SJ_SK_EUlSX_E0_NS1_11comp_targetILNS1_3genE2ELNS1_11target_archE906ELNS1_3gpuE6ELNS1_3repE0EEENS1_38merge_mergepath_config_static_selectorELNS0_4arch9wavefront6targetE1EEEvSJ_
		.amdhsa_group_segment_fixed_size 0
		.amdhsa_private_segment_fixed_size 0
		.amdhsa_kernarg_size 64
		.amdhsa_user_sgpr_count 2
		.amdhsa_user_sgpr_dispatch_ptr 0
		.amdhsa_user_sgpr_queue_ptr 0
		.amdhsa_user_sgpr_kernarg_segment_ptr 1
		.amdhsa_user_sgpr_dispatch_id 0
		.amdhsa_user_sgpr_kernarg_preload_length 0
		.amdhsa_user_sgpr_kernarg_preload_offset 0
		.amdhsa_user_sgpr_private_segment_size 0
		.amdhsa_uses_dynamic_stack 0
		.amdhsa_enable_private_segment 0
		.amdhsa_system_sgpr_workgroup_id_x 1
		.amdhsa_system_sgpr_workgroup_id_y 0
		.amdhsa_system_sgpr_workgroup_id_z 0
		.amdhsa_system_sgpr_workgroup_info 0
		.amdhsa_system_vgpr_workitem_id 0
		.amdhsa_next_free_vgpr 1
		.amdhsa_next_free_sgpr 0
		.amdhsa_accum_offset 4
		.amdhsa_reserve_vcc 0
		.amdhsa_float_round_mode_32 0
		.amdhsa_float_round_mode_16_64 0
		.amdhsa_float_denorm_mode_32 3
		.amdhsa_float_denorm_mode_16_64 3
		.amdhsa_dx10_clamp 1
		.amdhsa_ieee_mode 1
		.amdhsa_fp16_overflow 0
		.amdhsa_tg_split 0
		.amdhsa_exception_fp_ieee_invalid_op 0
		.amdhsa_exception_fp_denorm_src 0
		.amdhsa_exception_fp_ieee_div_zero 0
		.amdhsa_exception_fp_ieee_overflow 0
		.amdhsa_exception_fp_ieee_underflow 0
		.amdhsa_exception_fp_ieee_inexact 0
		.amdhsa_exception_int_div_zero 0
	.end_amdhsa_kernel
	.section	.text._ZN7rocprim17ROCPRIM_400000_NS6detail17trampoline_kernelINS0_14default_configENS1_38merge_sort_block_merge_config_selectorIiiEEZZNS1_27merge_sort_block_merge_implIS3_N6thrust23THRUST_200600_302600_NS6detail15normal_iteratorINS8_10device_ptrIiEEEESD_jNS1_19radix_merge_compareILb1ELb1EiNS0_19identity_decomposerEEEEE10hipError_tT0_T1_T2_jT3_P12ihipStream_tbPNSt15iterator_traitsISI_E10value_typeEPNSO_ISJ_E10value_typeEPSK_NS1_7vsmem_tEENKUlT_SI_SJ_SK_E_clIPiSD_S10_SD_EESH_SX_SI_SJ_SK_EUlSX_E0_NS1_11comp_targetILNS1_3genE2ELNS1_11target_archE906ELNS1_3gpuE6ELNS1_3repE0EEENS1_38merge_mergepath_config_static_selectorELNS0_4arch9wavefront6targetE1EEEvSJ_,"axG",@progbits,_ZN7rocprim17ROCPRIM_400000_NS6detail17trampoline_kernelINS0_14default_configENS1_38merge_sort_block_merge_config_selectorIiiEEZZNS1_27merge_sort_block_merge_implIS3_N6thrust23THRUST_200600_302600_NS6detail15normal_iteratorINS8_10device_ptrIiEEEESD_jNS1_19radix_merge_compareILb1ELb1EiNS0_19identity_decomposerEEEEE10hipError_tT0_T1_T2_jT3_P12ihipStream_tbPNSt15iterator_traitsISI_E10value_typeEPNSO_ISJ_E10value_typeEPSK_NS1_7vsmem_tEENKUlT_SI_SJ_SK_E_clIPiSD_S10_SD_EESH_SX_SI_SJ_SK_EUlSX_E0_NS1_11comp_targetILNS1_3genE2ELNS1_11target_archE906ELNS1_3gpuE6ELNS1_3repE0EEENS1_38merge_mergepath_config_static_selectorELNS0_4arch9wavefront6targetE1EEEvSJ_,comdat
.Lfunc_end946:
	.size	_ZN7rocprim17ROCPRIM_400000_NS6detail17trampoline_kernelINS0_14default_configENS1_38merge_sort_block_merge_config_selectorIiiEEZZNS1_27merge_sort_block_merge_implIS3_N6thrust23THRUST_200600_302600_NS6detail15normal_iteratorINS8_10device_ptrIiEEEESD_jNS1_19radix_merge_compareILb1ELb1EiNS0_19identity_decomposerEEEEE10hipError_tT0_T1_T2_jT3_P12ihipStream_tbPNSt15iterator_traitsISI_E10value_typeEPNSO_ISJ_E10value_typeEPSK_NS1_7vsmem_tEENKUlT_SI_SJ_SK_E_clIPiSD_S10_SD_EESH_SX_SI_SJ_SK_EUlSX_E0_NS1_11comp_targetILNS1_3genE2ELNS1_11target_archE906ELNS1_3gpuE6ELNS1_3repE0EEENS1_38merge_mergepath_config_static_selectorELNS0_4arch9wavefront6targetE1EEEvSJ_, .Lfunc_end946-_ZN7rocprim17ROCPRIM_400000_NS6detail17trampoline_kernelINS0_14default_configENS1_38merge_sort_block_merge_config_selectorIiiEEZZNS1_27merge_sort_block_merge_implIS3_N6thrust23THRUST_200600_302600_NS6detail15normal_iteratorINS8_10device_ptrIiEEEESD_jNS1_19radix_merge_compareILb1ELb1EiNS0_19identity_decomposerEEEEE10hipError_tT0_T1_T2_jT3_P12ihipStream_tbPNSt15iterator_traitsISI_E10value_typeEPNSO_ISJ_E10value_typeEPSK_NS1_7vsmem_tEENKUlT_SI_SJ_SK_E_clIPiSD_S10_SD_EESH_SX_SI_SJ_SK_EUlSX_E0_NS1_11comp_targetILNS1_3genE2ELNS1_11target_archE906ELNS1_3gpuE6ELNS1_3repE0EEENS1_38merge_mergepath_config_static_selectorELNS0_4arch9wavefront6targetE1EEEvSJ_
                                        ; -- End function
	.set _ZN7rocprim17ROCPRIM_400000_NS6detail17trampoline_kernelINS0_14default_configENS1_38merge_sort_block_merge_config_selectorIiiEEZZNS1_27merge_sort_block_merge_implIS3_N6thrust23THRUST_200600_302600_NS6detail15normal_iteratorINS8_10device_ptrIiEEEESD_jNS1_19radix_merge_compareILb1ELb1EiNS0_19identity_decomposerEEEEE10hipError_tT0_T1_T2_jT3_P12ihipStream_tbPNSt15iterator_traitsISI_E10value_typeEPNSO_ISJ_E10value_typeEPSK_NS1_7vsmem_tEENKUlT_SI_SJ_SK_E_clIPiSD_S10_SD_EESH_SX_SI_SJ_SK_EUlSX_E0_NS1_11comp_targetILNS1_3genE2ELNS1_11target_archE906ELNS1_3gpuE6ELNS1_3repE0EEENS1_38merge_mergepath_config_static_selectorELNS0_4arch9wavefront6targetE1EEEvSJ_.num_vgpr, 0
	.set _ZN7rocprim17ROCPRIM_400000_NS6detail17trampoline_kernelINS0_14default_configENS1_38merge_sort_block_merge_config_selectorIiiEEZZNS1_27merge_sort_block_merge_implIS3_N6thrust23THRUST_200600_302600_NS6detail15normal_iteratorINS8_10device_ptrIiEEEESD_jNS1_19radix_merge_compareILb1ELb1EiNS0_19identity_decomposerEEEEE10hipError_tT0_T1_T2_jT3_P12ihipStream_tbPNSt15iterator_traitsISI_E10value_typeEPNSO_ISJ_E10value_typeEPSK_NS1_7vsmem_tEENKUlT_SI_SJ_SK_E_clIPiSD_S10_SD_EESH_SX_SI_SJ_SK_EUlSX_E0_NS1_11comp_targetILNS1_3genE2ELNS1_11target_archE906ELNS1_3gpuE6ELNS1_3repE0EEENS1_38merge_mergepath_config_static_selectorELNS0_4arch9wavefront6targetE1EEEvSJ_.num_agpr, 0
	.set _ZN7rocprim17ROCPRIM_400000_NS6detail17trampoline_kernelINS0_14default_configENS1_38merge_sort_block_merge_config_selectorIiiEEZZNS1_27merge_sort_block_merge_implIS3_N6thrust23THRUST_200600_302600_NS6detail15normal_iteratorINS8_10device_ptrIiEEEESD_jNS1_19radix_merge_compareILb1ELb1EiNS0_19identity_decomposerEEEEE10hipError_tT0_T1_T2_jT3_P12ihipStream_tbPNSt15iterator_traitsISI_E10value_typeEPNSO_ISJ_E10value_typeEPSK_NS1_7vsmem_tEENKUlT_SI_SJ_SK_E_clIPiSD_S10_SD_EESH_SX_SI_SJ_SK_EUlSX_E0_NS1_11comp_targetILNS1_3genE2ELNS1_11target_archE906ELNS1_3gpuE6ELNS1_3repE0EEENS1_38merge_mergepath_config_static_selectorELNS0_4arch9wavefront6targetE1EEEvSJ_.numbered_sgpr, 0
	.set _ZN7rocprim17ROCPRIM_400000_NS6detail17trampoline_kernelINS0_14default_configENS1_38merge_sort_block_merge_config_selectorIiiEEZZNS1_27merge_sort_block_merge_implIS3_N6thrust23THRUST_200600_302600_NS6detail15normal_iteratorINS8_10device_ptrIiEEEESD_jNS1_19radix_merge_compareILb1ELb1EiNS0_19identity_decomposerEEEEE10hipError_tT0_T1_T2_jT3_P12ihipStream_tbPNSt15iterator_traitsISI_E10value_typeEPNSO_ISJ_E10value_typeEPSK_NS1_7vsmem_tEENKUlT_SI_SJ_SK_E_clIPiSD_S10_SD_EESH_SX_SI_SJ_SK_EUlSX_E0_NS1_11comp_targetILNS1_3genE2ELNS1_11target_archE906ELNS1_3gpuE6ELNS1_3repE0EEENS1_38merge_mergepath_config_static_selectorELNS0_4arch9wavefront6targetE1EEEvSJ_.num_named_barrier, 0
	.set _ZN7rocprim17ROCPRIM_400000_NS6detail17trampoline_kernelINS0_14default_configENS1_38merge_sort_block_merge_config_selectorIiiEEZZNS1_27merge_sort_block_merge_implIS3_N6thrust23THRUST_200600_302600_NS6detail15normal_iteratorINS8_10device_ptrIiEEEESD_jNS1_19radix_merge_compareILb1ELb1EiNS0_19identity_decomposerEEEEE10hipError_tT0_T1_T2_jT3_P12ihipStream_tbPNSt15iterator_traitsISI_E10value_typeEPNSO_ISJ_E10value_typeEPSK_NS1_7vsmem_tEENKUlT_SI_SJ_SK_E_clIPiSD_S10_SD_EESH_SX_SI_SJ_SK_EUlSX_E0_NS1_11comp_targetILNS1_3genE2ELNS1_11target_archE906ELNS1_3gpuE6ELNS1_3repE0EEENS1_38merge_mergepath_config_static_selectorELNS0_4arch9wavefront6targetE1EEEvSJ_.private_seg_size, 0
	.set _ZN7rocprim17ROCPRIM_400000_NS6detail17trampoline_kernelINS0_14default_configENS1_38merge_sort_block_merge_config_selectorIiiEEZZNS1_27merge_sort_block_merge_implIS3_N6thrust23THRUST_200600_302600_NS6detail15normal_iteratorINS8_10device_ptrIiEEEESD_jNS1_19radix_merge_compareILb1ELb1EiNS0_19identity_decomposerEEEEE10hipError_tT0_T1_T2_jT3_P12ihipStream_tbPNSt15iterator_traitsISI_E10value_typeEPNSO_ISJ_E10value_typeEPSK_NS1_7vsmem_tEENKUlT_SI_SJ_SK_E_clIPiSD_S10_SD_EESH_SX_SI_SJ_SK_EUlSX_E0_NS1_11comp_targetILNS1_3genE2ELNS1_11target_archE906ELNS1_3gpuE6ELNS1_3repE0EEENS1_38merge_mergepath_config_static_selectorELNS0_4arch9wavefront6targetE1EEEvSJ_.uses_vcc, 0
	.set _ZN7rocprim17ROCPRIM_400000_NS6detail17trampoline_kernelINS0_14default_configENS1_38merge_sort_block_merge_config_selectorIiiEEZZNS1_27merge_sort_block_merge_implIS3_N6thrust23THRUST_200600_302600_NS6detail15normal_iteratorINS8_10device_ptrIiEEEESD_jNS1_19radix_merge_compareILb1ELb1EiNS0_19identity_decomposerEEEEE10hipError_tT0_T1_T2_jT3_P12ihipStream_tbPNSt15iterator_traitsISI_E10value_typeEPNSO_ISJ_E10value_typeEPSK_NS1_7vsmem_tEENKUlT_SI_SJ_SK_E_clIPiSD_S10_SD_EESH_SX_SI_SJ_SK_EUlSX_E0_NS1_11comp_targetILNS1_3genE2ELNS1_11target_archE906ELNS1_3gpuE6ELNS1_3repE0EEENS1_38merge_mergepath_config_static_selectorELNS0_4arch9wavefront6targetE1EEEvSJ_.uses_flat_scratch, 0
	.set _ZN7rocprim17ROCPRIM_400000_NS6detail17trampoline_kernelINS0_14default_configENS1_38merge_sort_block_merge_config_selectorIiiEEZZNS1_27merge_sort_block_merge_implIS3_N6thrust23THRUST_200600_302600_NS6detail15normal_iteratorINS8_10device_ptrIiEEEESD_jNS1_19radix_merge_compareILb1ELb1EiNS0_19identity_decomposerEEEEE10hipError_tT0_T1_T2_jT3_P12ihipStream_tbPNSt15iterator_traitsISI_E10value_typeEPNSO_ISJ_E10value_typeEPSK_NS1_7vsmem_tEENKUlT_SI_SJ_SK_E_clIPiSD_S10_SD_EESH_SX_SI_SJ_SK_EUlSX_E0_NS1_11comp_targetILNS1_3genE2ELNS1_11target_archE906ELNS1_3gpuE6ELNS1_3repE0EEENS1_38merge_mergepath_config_static_selectorELNS0_4arch9wavefront6targetE1EEEvSJ_.has_dyn_sized_stack, 0
	.set _ZN7rocprim17ROCPRIM_400000_NS6detail17trampoline_kernelINS0_14default_configENS1_38merge_sort_block_merge_config_selectorIiiEEZZNS1_27merge_sort_block_merge_implIS3_N6thrust23THRUST_200600_302600_NS6detail15normal_iteratorINS8_10device_ptrIiEEEESD_jNS1_19radix_merge_compareILb1ELb1EiNS0_19identity_decomposerEEEEE10hipError_tT0_T1_T2_jT3_P12ihipStream_tbPNSt15iterator_traitsISI_E10value_typeEPNSO_ISJ_E10value_typeEPSK_NS1_7vsmem_tEENKUlT_SI_SJ_SK_E_clIPiSD_S10_SD_EESH_SX_SI_SJ_SK_EUlSX_E0_NS1_11comp_targetILNS1_3genE2ELNS1_11target_archE906ELNS1_3gpuE6ELNS1_3repE0EEENS1_38merge_mergepath_config_static_selectorELNS0_4arch9wavefront6targetE1EEEvSJ_.has_recursion, 0
	.set _ZN7rocprim17ROCPRIM_400000_NS6detail17trampoline_kernelINS0_14default_configENS1_38merge_sort_block_merge_config_selectorIiiEEZZNS1_27merge_sort_block_merge_implIS3_N6thrust23THRUST_200600_302600_NS6detail15normal_iteratorINS8_10device_ptrIiEEEESD_jNS1_19radix_merge_compareILb1ELb1EiNS0_19identity_decomposerEEEEE10hipError_tT0_T1_T2_jT3_P12ihipStream_tbPNSt15iterator_traitsISI_E10value_typeEPNSO_ISJ_E10value_typeEPSK_NS1_7vsmem_tEENKUlT_SI_SJ_SK_E_clIPiSD_S10_SD_EESH_SX_SI_SJ_SK_EUlSX_E0_NS1_11comp_targetILNS1_3genE2ELNS1_11target_archE906ELNS1_3gpuE6ELNS1_3repE0EEENS1_38merge_mergepath_config_static_selectorELNS0_4arch9wavefront6targetE1EEEvSJ_.has_indirect_call, 0
	.section	.AMDGPU.csdata,"",@progbits
; Kernel info:
; codeLenInByte = 0
; TotalNumSgprs: 6
; NumVgprs: 0
; NumAgprs: 0
; TotalNumVgprs: 0
; ScratchSize: 0
; MemoryBound: 0
; FloatMode: 240
; IeeeMode: 1
; LDSByteSize: 0 bytes/workgroup (compile time only)
; SGPRBlocks: 0
; VGPRBlocks: 0
; NumSGPRsForWavesPerEU: 6
; NumVGPRsForWavesPerEU: 1
; AccumOffset: 4
; Occupancy: 8
; WaveLimiterHint : 0
; COMPUTE_PGM_RSRC2:SCRATCH_EN: 0
; COMPUTE_PGM_RSRC2:USER_SGPR: 2
; COMPUTE_PGM_RSRC2:TRAP_HANDLER: 0
; COMPUTE_PGM_RSRC2:TGID_X_EN: 1
; COMPUTE_PGM_RSRC2:TGID_Y_EN: 0
; COMPUTE_PGM_RSRC2:TGID_Z_EN: 0
; COMPUTE_PGM_RSRC2:TIDIG_COMP_CNT: 0
; COMPUTE_PGM_RSRC3_GFX90A:ACCUM_OFFSET: 0
; COMPUTE_PGM_RSRC3_GFX90A:TG_SPLIT: 0
	.section	.text._ZN7rocprim17ROCPRIM_400000_NS6detail17trampoline_kernelINS0_14default_configENS1_38merge_sort_block_merge_config_selectorIiiEEZZNS1_27merge_sort_block_merge_implIS3_N6thrust23THRUST_200600_302600_NS6detail15normal_iteratorINS8_10device_ptrIiEEEESD_jNS1_19radix_merge_compareILb1ELb1EiNS0_19identity_decomposerEEEEE10hipError_tT0_T1_T2_jT3_P12ihipStream_tbPNSt15iterator_traitsISI_E10value_typeEPNSO_ISJ_E10value_typeEPSK_NS1_7vsmem_tEENKUlT_SI_SJ_SK_E_clIPiSD_S10_SD_EESH_SX_SI_SJ_SK_EUlSX_E0_NS1_11comp_targetILNS1_3genE9ELNS1_11target_archE1100ELNS1_3gpuE3ELNS1_3repE0EEENS1_38merge_mergepath_config_static_selectorELNS0_4arch9wavefront6targetE1EEEvSJ_,"axG",@progbits,_ZN7rocprim17ROCPRIM_400000_NS6detail17trampoline_kernelINS0_14default_configENS1_38merge_sort_block_merge_config_selectorIiiEEZZNS1_27merge_sort_block_merge_implIS3_N6thrust23THRUST_200600_302600_NS6detail15normal_iteratorINS8_10device_ptrIiEEEESD_jNS1_19radix_merge_compareILb1ELb1EiNS0_19identity_decomposerEEEEE10hipError_tT0_T1_T2_jT3_P12ihipStream_tbPNSt15iterator_traitsISI_E10value_typeEPNSO_ISJ_E10value_typeEPSK_NS1_7vsmem_tEENKUlT_SI_SJ_SK_E_clIPiSD_S10_SD_EESH_SX_SI_SJ_SK_EUlSX_E0_NS1_11comp_targetILNS1_3genE9ELNS1_11target_archE1100ELNS1_3gpuE3ELNS1_3repE0EEENS1_38merge_mergepath_config_static_selectorELNS0_4arch9wavefront6targetE1EEEvSJ_,comdat
	.protected	_ZN7rocprim17ROCPRIM_400000_NS6detail17trampoline_kernelINS0_14default_configENS1_38merge_sort_block_merge_config_selectorIiiEEZZNS1_27merge_sort_block_merge_implIS3_N6thrust23THRUST_200600_302600_NS6detail15normal_iteratorINS8_10device_ptrIiEEEESD_jNS1_19radix_merge_compareILb1ELb1EiNS0_19identity_decomposerEEEEE10hipError_tT0_T1_T2_jT3_P12ihipStream_tbPNSt15iterator_traitsISI_E10value_typeEPNSO_ISJ_E10value_typeEPSK_NS1_7vsmem_tEENKUlT_SI_SJ_SK_E_clIPiSD_S10_SD_EESH_SX_SI_SJ_SK_EUlSX_E0_NS1_11comp_targetILNS1_3genE9ELNS1_11target_archE1100ELNS1_3gpuE3ELNS1_3repE0EEENS1_38merge_mergepath_config_static_selectorELNS0_4arch9wavefront6targetE1EEEvSJ_ ; -- Begin function _ZN7rocprim17ROCPRIM_400000_NS6detail17trampoline_kernelINS0_14default_configENS1_38merge_sort_block_merge_config_selectorIiiEEZZNS1_27merge_sort_block_merge_implIS3_N6thrust23THRUST_200600_302600_NS6detail15normal_iteratorINS8_10device_ptrIiEEEESD_jNS1_19radix_merge_compareILb1ELb1EiNS0_19identity_decomposerEEEEE10hipError_tT0_T1_T2_jT3_P12ihipStream_tbPNSt15iterator_traitsISI_E10value_typeEPNSO_ISJ_E10value_typeEPSK_NS1_7vsmem_tEENKUlT_SI_SJ_SK_E_clIPiSD_S10_SD_EESH_SX_SI_SJ_SK_EUlSX_E0_NS1_11comp_targetILNS1_3genE9ELNS1_11target_archE1100ELNS1_3gpuE3ELNS1_3repE0EEENS1_38merge_mergepath_config_static_selectorELNS0_4arch9wavefront6targetE1EEEvSJ_
	.globl	_ZN7rocprim17ROCPRIM_400000_NS6detail17trampoline_kernelINS0_14default_configENS1_38merge_sort_block_merge_config_selectorIiiEEZZNS1_27merge_sort_block_merge_implIS3_N6thrust23THRUST_200600_302600_NS6detail15normal_iteratorINS8_10device_ptrIiEEEESD_jNS1_19radix_merge_compareILb1ELb1EiNS0_19identity_decomposerEEEEE10hipError_tT0_T1_T2_jT3_P12ihipStream_tbPNSt15iterator_traitsISI_E10value_typeEPNSO_ISJ_E10value_typeEPSK_NS1_7vsmem_tEENKUlT_SI_SJ_SK_E_clIPiSD_S10_SD_EESH_SX_SI_SJ_SK_EUlSX_E0_NS1_11comp_targetILNS1_3genE9ELNS1_11target_archE1100ELNS1_3gpuE3ELNS1_3repE0EEENS1_38merge_mergepath_config_static_selectorELNS0_4arch9wavefront6targetE1EEEvSJ_
	.p2align	8
	.type	_ZN7rocprim17ROCPRIM_400000_NS6detail17trampoline_kernelINS0_14default_configENS1_38merge_sort_block_merge_config_selectorIiiEEZZNS1_27merge_sort_block_merge_implIS3_N6thrust23THRUST_200600_302600_NS6detail15normal_iteratorINS8_10device_ptrIiEEEESD_jNS1_19radix_merge_compareILb1ELb1EiNS0_19identity_decomposerEEEEE10hipError_tT0_T1_T2_jT3_P12ihipStream_tbPNSt15iterator_traitsISI_E10value_typeEPNSO_ISJ_E10value_typeEPSK_NS1_7vsmem_tEENKUlT_SI_SJ_SK_E_clIPiSD_S10_SD_EESH_SX_SI_SJ_SK_EUlSX_E0_NS1_11comp_targetILNS1_3genE9ELNS1_11target_archE1100ELNS1_3gpuE3ELNS1_3repE0EEENS1_38merge_mergepath_config_static_selectorELNS0_4arch9wavefront6targetE1EEEvSJ_,@function
_ZN7rocprim17ROCPRIM_400000_NS6detail17trampoline_kernelINS0_14default_configENS1_38merge_sort_block_merge_config_selectorIiiEEZZNS1_27merge_sort_block_merge_implIS3_N6thrust23THRUST_200600_302600_NS6detail15normal_iteratorINS8_10device_ptrIiEEEESD_jNS1_19radix_merge_compareILb1ELb1EiNS0_19identity_decomposerEEEEE10hipError_tT0_T1_T2_jT3_P12ihipStream_tbPNSt15iterator_traitsISI_E10value_typeEPNSO_ISJ_E10value_typeEPSK_NS1_7vsmem_tEENKUlT_SI_SJ_SK_E_clIPiSD_S10_SD_EESH_SX_SI_SJ_SK_EUlSX_E0_NS1_11comp_targetILNS1_3genE9ELNS1_11target_archE1100ELNS1_3gpuE3ELNS1_3repE0EEENS1_38merge_mergepath_config_static_selectorELNS0_4arch9wavefront6targetE1EEEvSJ_: ; @_ZN7rocprim17ROCPRIM_400000_NS6detail17trampoline_kernelINS0_14default_configENS1_38merge_sort_block_merge_config_selectorIiiEEZZNS1_27merge_sort_block_merge_implIS3_N6thrust23THRUST_200600_302600_NS6detail15normal_iteratorINS8_10device_ptrIiEEEESD_jNS1_19radix_merge_compareILb1ELb1EiNS0_19identity_decomposerEEEEE10hipError_tT0_T1_T2_jT3_P12ihipStream_tbPNSt15iterator_traitsISI_E10value_typeEPNSO_ISJ_E10value_typeEPSK_NS1_7vsmem_tEENKUlT_SI_SJ_SK_E_clIPiSD_S10_SD_EESH_SX_SI_SJ_SK_EUlSX_E0_NS1_11comp_targetILNS1_3genE9ELNS1_11target_archE1100ELNS1_3gpuE3ELNS1_3repE0EEENS1_38merge_mergepath_config_static_selectorELNS0_4arch9wavefront6targetE1EEEvSJ_
; %bb.0:
	.section	.rodata,"a",@progbits
	.p2align	6, 0x0
	.amdhsa_kernel _ZN7rocprim17ROCPRIM_400000_NS6detail17trampoline_kernelINS0_14default_configENS1_38merge_sort_block_merge_config_selectorIiiEEZZNS1_27merge_sort_block_merge_implIS3_N6thrust23THRUST_200600_302600_NS6detail15normal_iteratorINS8_10device_ptrIiEEEESD_jNS1_19radix_merge_compareILb1ELb1EiNS0_19identity_decomposerEEEEE10hipError_tT0_T1_T2_jT3_P12ihipStream_tbPNSt15iterator_traitsISI_E10value_typeEPNSO_ISJ_E10value_typeEPSK_NS1_7vsmem_tEENKUlT_SI_SJ_SK_E_clIPiSD_S10_SD_EESH_SX_SI_SJ_SK_EUlSX_E0_NS1_11comp_targetILNS1_3genE9ELNS1_11target_archE1100ELNS1_3gpuE3ELNS1_3repE0EEENS1_38merge_mergepath_config_static_selectorELNS0_4arch9wavefront6targetE1EEEvSJ_
		.amdhsa_group_segment_fixed_size 0
		.amdhsa_private_segment_fixed_size 0
		.amdhsa_kernarg_size 64
		.amdhsa_user_sgpr_count 2
		.amdhsa_user_sgpr_dispatch_ptr 0
		.amdhsa_user_sgpr_queue_ptr 0
		.amdhsa_user_sgpr_kernarg_segment_ptr 1
		.amdhsa_user_sgpr_dispatch_id 0
		.amdhsa_user_sgpr_kernarg_preload_length 0
		.amdhsa_user_sgpr_kernarg_preload_offset 0
		.amdhsa_user_sgpr_private_segment_size 0
		.amdhsa_uses_dynamic_stack 0
		.amdhsa_enable_private_segment 0
		.amdhsa_system_sgpr_workgroup_id_x 1
		.amdhsa_system_sgpr_workgroup_id_y 0
		.amdhsa_system_sgpr_workgroup_id_z 0
		.amdhsa_system_sgpr_workgroup_info 0
		.amdhsa_system_vgpr_workitem_id 0
		.amdhsa_next_free_vgpr 1
		.amdhsa_next_free_sgpr 0
		.amdhsa_accum_offset 4
		.amdhsa_reserve_vcc 0
		.amdhsa_float_round_mode_32 0
		.amdhsa_float_round_mode_16_64 0
		.amdhsa_float_denorm_mode_32 3
		.amdhsa_float_denorm_mode_16_64 3
		.amdhsa_dx10_clamp 1
		.amdhsa_ieee_mode 1
		.amdhsa_fp16_overflow 0
		.amdhsa_tg_split 0
		.amdhsa_exception_fp_ieee_invalid_op 0
		.amdhsa_exception_fp_denorm_src 0
		.amdhsa_exception_fp_ieee_div_zero 0
		.amdhsa_exception_fp_ieee_overflow 0
		.amdhsa_exception_fp_ieee_underflow 0
		.amdhsa_exception_fp_ieee_inexact 0
		.amdhsa_exception_int_div_zero 0
	.end_amdhsa_kernel
	.section	.text._ZN7rocprim17ROCPRIM_400000_NS6detail17trampoline_kernelINS0_14default_configENS1_38merge_sort_block_merge_config_selectorIiiEEZZNS1_27merge_sort_block_merge_implIS3_N6thrust23THRUST_200600_302600_NS6detail15normal_iteratorINS8_10device_ptrIiEEEESD_jNS1_19radix_merge_compareILb1ELb1EiNS0_19identity_decomposerEEEEE10hipError_tT0_T1_T2_jT3_P12ihipStream_tbPNSt15iterator_traitsISI_E10value_typeEPNSO_ISJ_E10value_typeEPSK_NS1_7vsmem_tEENKUlT_SI_SJ_SK_E_clIPiSD_S10_SD_EESH_SX_SI_SJ_SK_EUlSX_E0_NS1_11comp_targetILNS1_3genE9ELNS1_11target_archE1100ELNS1_3gpuE3ELNS1_3repE0EEENS1_38merge_mergepath_config_static_selectorELNS0_4arch9wavefront6targetE1EEEvSJ_,"axG",@progbits,_ZN7rocprim17ROCPRIM_400000_NS6detail17trampoline_kernelINS0_14default_configENS1_38merge_sort_block_merge_config_selectorIiiEEZZNS1_27merge_sort_block_merge_implIS3_N6thrust23THRUST_200600_302600_NS6detail15normal_iteratorINS8_10device_ptrIiEEEESD_jNS1_19radix_merge_compareILb1ELb1EiNS0_19identity_decomposerEEEEE10hipError_tT0_T1_T2_jT3_P12ihipStream_tbPNSt15iterator_traitsISI_E10value_typeEPNSO_ISJ_E10value_typeEPSK_NS1_7vsmem_tEENKUlT_SI_SJ_SK_E_clIPiSD_S10_SD_EESH_SX_SI_SJ_SK_EUlSX_E0_NS1_11comp_targetILNS1_3genE9ELNS1_11target_archE1100ELNS1_3gpuE3ELNS1_3repE0EEENS1_38merge_mergepath_config_static_selectorELNS0_4arch9wavefront6targetE1EEEvSJ_,comdat
.Lfunc_end947:
	.size	_ZN7rocprim17ROCPRIM_400000_NS6detail17trampoline_kernelINS0_14default_configENS1_38merge_sort_block_merge_config_selectorIiiEEZZNS1_27merge_sort_block_merge_implIS3_N6thrust23THRUST_200600_302600_NS6detail15normal_iteratorINS8_10device_ptrIiEEEESD_jNS1_19radix_merge_compareILb1ELb1EiNS0_19identity_decomposerEEEEE10hipError_tT0_T1_T2_jT3_P12ihipStream_tbPNSt15iterator_traitsISI_E10value_typeEPNSO_ISJ_E10value_typeEPSK_NS1_7vsmem_tEENKUlT_SI_SJ_SK_E_clIPiSD_S10_SD_EESH_SX_SI_SJ_SK_EUlSX_E0_NS1_11comp_targetILNS1_3genE9ELNS1_11target_archE1100ELNS1_3gpuE3ELNS1_3repE0EEENS1_38merge_mergepath_config_static_selectorELNS0_4arch9wavefront6targetE1EEEvSJ_, .Lfunc_end947-_ZN7rocprim17ROCPRIM_400000_NS6detail17trampoline_kernelINS0_14default_configENS1_38merge_sort_block_merge_config_selectorIiiEEZZNS1_27merge_sort_block_merge_implIS3_N6thrust23THRUST_200600_302600_NS6detail15normal_iteratorINS8_10device_ptrIiEEEESD_jNS1_19radix_merge_compareILb1ELb1EiNS0_19identity_decomposerEEEEE10hipError_tT0_T1_T2_jT3_P12ihipStream_tbPNSt15iterator_traitsISI_E10value_typeEPNSO_ISJ_E10value_typeEPSK_NS1_7vsmem_tEENKUlT_SI_SJ_SK_E_clIPiSD_S10_SD_EESH_SX_SI_SJ_SK_EUlSX_E0_NS1_11comp_targetILNS1_3genE9ELNS1_11target_archE1100ELNS1_3gpuE3ELNS1_3repE0EEENS1_38merge_mergepath_config_static_selectorELNS0_4arch9wavefront6targetE1EEEvSJ_
                                        ; -- End function
	.set _ZN7rocprim17ROCPRIM_400000_NS6detail17trampoline_kernelINS0_14default_configENS1_38merge_sort_block_merge_config_selectorIiiEEZZNS1_27merge_sort_block_merge_implIS3_N6thrust23THRUST_200600_302600_NS6detail15normal_iteratorINS8_10device_ptrIiEEEESD_jNS1_19radix_merge_compareILb1ELb1EiNS0_19identity_decomposerEEEEE10hipError_tT0_T1_T2_jT3_P12ihipStream_tbPNSt15iterator_traitsISI_E10value_typeEPNSO_ISJ_E10value_typeEPSK_NS1_7vsmem_tEENKUlT_SI_SJ_SK_E_clIPiSD_S10_SD_EESH_SX_SI_SJ_SK_EUlSX_E0_NS1_11comp_targetILNS1_3genE9ELNS1_11target_archE1100ELNS1_3gpuE3ELNS1_3repE0EEENS1_38merge_mergepath_config_static_selectorELNS0_4arch9wavefront6targetE1EEEvSJ_.num_vgpr, 0
	.set _ZN7rocprim17ROCPRIM_400000_NS6detail17trampoline_kernelINS0_14default_configENS1_38merge_sort_block_merge_config_selectorIiiEEZZNS1_27merge_sort_block_merge_implIS3_N6thrust23THRUST_200600_302600_NS6detail15normal_iteratorINS8_10device_ptrIiEEEESD_jNS1_19radix_merge_compareILb1ELb1EiNS0_19identity_decomposerEEEEE10hipError_tT0_T1_T2_jT3_P12ihipStream_tbPNSt15iterator_traitsISI_E10value_typeEPNSO_ISJ_E10value_typeEPSK_NS1_7vsmem_tEENKUlT_SI_SJ_SK_E_clIPiSD_S10_SD_EESH_SX_SI_SJ_SK_EUlSX_E0_NS1_11comp_targetILNS1_3genE9ELNS1_11target_archE1100ELNS1_3gpuE3ELNS1_3repE0EEENS1_38merge_mergepath_config_static_selectorELNS0_4arch9wavefront6targetE1EEEvSJ_.num_agpr, 0
	.set _ZN7rocprim17ROCPRIM_400000_NS6detail17trampoline_kernelINS0_14default_configENS1_38merge_sort_block_merge_config_selectorIiiEEZZNS1_27merge_sort_block_merge_implIS3_N6thrust23THRUST_200600_302600_NS6detail15normal_iteratorINS8_10device_ptrIiEEEESD_jNS1_19radix_merge_compareILb1ELb1EiNS0_19identity_decomposerEEEEE10hipError_tT0_T1_T2_jT3_P12ihipStream_tbPNSt15iterator_traitsISI_E10value_typeEPNSO_ISJ_E10value_typeEPSK_NS1_7vsmem_tEENKUlT_SI_SJ_SK_E_clIPiSD_S10_SD_EESH_SX_SI_SJ_SK_EUlSX_E0_NS1_11comp_targetILNS1_3genE9ELNS1_11target_archE1100ELNS1_3gpuE3ELNS1_3repE0EEENS1_38merge_mergepath_config_static_selectorELNS0_4arch9wavefront6targetE1EEEvSJ_.numbered_sgpr, 0
	.set _ZN7rocprim17ROCPRIM_400000_NS6detail17trampoline_kernelINS0_14default_configENS1_38merge_sort_block_merge_config_selectorIiiEEZZNS1_27merge_sort_block_merge_implIS3_N6thrust23THRUST_200600_302600_NS6detail15normal_iteratorINS8_10device_ptrIiEEEESD_jNS1_19radix_merge_compareILb1ELb1EiNS0_19identity_decomposerEEEEE10hipError_tT0_T1_T2_jT3_P12ihipStream_tbPNSt15iterator_traitsISI_E10value_typeEPNSO_ISJ_E10value_typeEPSK_NS1_7vsmem_tEENKUlT_SI_SJ_SK_E_clIPiSD_S10_SD_EESH_SX_SI_SJ_SK_EUlSX_E0_NS1_11comp_targetILNS1_3genE9ELNS1_11target_archE1100ELNS1_3gpuE3ELNS1_3repE0EEENS1_38merge_mergepath_config_static_selectorELNS0_4arch9wavefront6targetE1EEEvSJ_.num_named_barrier, 0
	.set _ZN7rocprim17ROCPRIM_400000_NS6detail17trampoline_kernelINS0_14default_configENS1_38merge_sort_block_merge_config_selectorIiiEEZZNS1_27merge_sort_block_merge_implIS3_N6thrust23THRUST_200600_302600_NS6detail15normal_iteratorINS8_10device_ptrIiEEEESD_jNS1_19radix_merge_compareILb1ELb1EiNS0_19identity_decomposerEEEEE10hipError_tT0_T1_T2_jT3_P12ihipStream_tbPNSt15iterator_traitsISI_E10value_typeEPNSO_ISJ_E10value_typeEPSK_NS1_7vsmem_tEENKUlT_SI_SJ_SK_E_clIPiSD_S10_SD_EESH_SX_SI_SJ_SK_EUlSX_E0_NS1_11comp_targetILNS1_3genE9ELNS1_11target_archE1100ELNS1_3gpuE3ELNS1_3repE0EEENS1_38merge_mergepath_config_static_selectorELNS0_4arch9wavefront6targetE1EEEvSJ_.private_seg_size, 0
	.set _ZN7rocprim17ROCPRIM_400000_NS6detail17trampoline_kernelINS0_14default_configENS1_38merge_sort_block_merge_config_selectorIiiEEZZNS1_27merge_sort_block_merge_implIS3_N6thrust23THRUST_200600_302600_NS6detail15normal_iteratorINS8_10device_ptrIiEEEESD_jNS1_19radix_merge_compareILb1ELb1EiNS0_19identity_decomposerEEEEE10hipError_tT0_T1_T2_jT3_P12ihipStream_tbPNSt15iterator_traitsISI_E10value_typeEPNSO_ISJ_E10value_typeEPSK_NS1_7vsmem_tEENKUlT_SI_SJ_SK_E_clIPiSD_S10_SD_EESH_SX_SI_SJ_SK_EUlSX_E0_NS1_11comp_targetILNS1_3genE9ELNS1_11target_archE1100ELNS1_3gpuE3ELNS1_3repE0EEENS1_38merge_mergepath_config_static_selectorELNS0_4arch9wavefront6targetE1EEEvSJ_.uses_vcc, 0
	.set _ZN7rocprim17ROCPRIM_400000_NS6detail17trampoline_kernelINS0_14default_configENS1_38merge_sort_block_merge_config_selectorIiiEEZZNS1_27merge_sort_block_merge_implIS3_N6thrust23THRUST_200600_302600_NS6detail15normal_iteratorINS8_10device_ptrIiEEEESD_jNS1_19radix_merge_compareILb1ELb1EiNS0_19identity_decomposerEEEEE10hipError_tT0_T1_T2_jT3_P12ihipStream_tbPNSt15iterator_traitsISI_E10value_typeEPNSO_ISJ_E10value_typeEPSK_NS1_7vsmem_tEENKUlT_SI_SJ_SK_E_clIPiSD_S10_SD_EESH_SX_SI_SJ_SK_EUlSX_E0_NS1_11comp_targetILNS1_3genE9ELNS1_11target_archE1100ELNS1_3gpuE3ELNS1_3repE0EEENS1_38merge_mergepath_config_static_selectorELNS0_4arch9wavefront6targetE1EEEvSJ_.uses_flat_scratch, 0
	.set _ZN7rocprim17ROCPRIM_400000_NS6detail17trampoline_kernelINS0_14default_configENS1_38merge_sort_block_merge_config_selectorIiiEEZZNS1_27merge_sort_block_merge_implIS3_N6thrust23THRUST_200600_302600_NS6detail15normal_iteratorINS8_10device_ptrIiEEEESD_jNS1_19radix_merge_compareILb1ELb1EiNS0_19identity_decomposerEEEEE10hipError_tT0_T1_T2_jT3_P12ihipStream_tbPNSt15iterator_traitsISI_E10value_typeEPNSO_ISJ_E10value_typeEPSK_NS1_7vsmem_tEENKUlT_SI_SJ_SK_E_clIPiSD_S10_SD_EESH_SX_SI_SJ_SK_EUlSX_E0_NS1_11comp_targetILNS1_3genE9ELNS1_11target_archE1100ELNS1_3gpuE3ELNS1_3repE0EEENS1_38merge_mergepath_config_static_selectorELNS0_4arch9wavefront6targetE1EEEvSJ_.has_dyn_sized_stack, 0
	.set _ZN7rocprim17ROCPRIM_400000_NS6detail17trampoline_kernelINS0_14default_configENS1_38merge_sort_block_merge_config_selectorIiiEEZZNS1_27merge_sort_block_merge_implIS3_N6thrust23THRUST_200600_302600_NS6detail15normal_iteratorINS8_10device_ptrIiEEEESD_jNS1_19radix_merge_compareILb1ELb1EiNS0_19identity_decomposerEEEEE10hipError_tT0_T1_T2_jT3_P12ihipStream_tbPNSt15iterator_traitsISI_E10value_typeEPNSO_ISJ_E10value_typeEPSK_NS1_7vsmem_tEENKUlT_SI_SJ_SK_E_clIPiSD_S10_SD_EESH_SX_SI_SJ_SK_EUlSX_E0_NS1_11comp_targetILNS1_3genE9ELNS1_11target_archE1100ELNS1_3gpuE3ELNS1_3repE0EEENS1_38merge_mergepath_config_static_selectorELNS0_4arch9wavefront6targetE1EEEvSJ_.has_recursion, 0
	.set _ZN7rocprim17ROCPRIM_400000_NS6detail17trampoline_kernelINS0_14default_configENS1_38merge_sort_block_merge_config_selectorIiiEEZZNS1_27merge_sort_block_merge_implIS3_N6thrust23THRUST_200600_302600_NS6detail15normal_iteratorINS8_10device_ptrIiEEEESD_jNS1_19radix_merge_compareILb1ELb1EiNS0_19identity_decomposerEEEEE10hipError_tT0_T1_T2_jT3_P12ihipStream_tbPNSt15iterator_traitsISI_E10value_typeEPNSO_ISJ_E10value_typeEPSK_NS1_7vsmem_tEENKUlT_SI_SJ_SK_E_clIPiSD_S10_SD_EESH_SX_SI_SJ_SK_EUlSX_E0_NS1_11comp_targetILNS1_3genE9ELNS1_11target_archE1100ELNS1_3gpuE3ELNS1_3repE0EEENS1_38merge_mergepath_config_static_selectorELNS0_4arch9wavefront6targetE1EEEvSJ_.has_indirect_call, 0
	.section	.AMDGPU.csdata,"",@progbits
; Kernel info:
; codeLenInByte = 0
; TotalNumSgprs: 6
; NumVgprs: 0
; NumAgprs: 0
; TotalNumVgprs: 0
; ScratchSize: 0
; MemoryBound: 0
; FloatMode: 240
; IeeeMode: 1
; LDSByteSize: 0 bytes/workgroup (compile time only)
; SGPRBlocks: 0
; VGPRBlocks: 0
; NumSGPRsForWavesPerEU: 6
; NumVGPRsForWavesPerEU: 1
; AccumOffset: 4
; Occupancy: 8
; WaveLimiterHint : 0
; COMPUTE_PGM_RSRC2:SCRATCH_EN: 0
; COMPUTE_PGM_RSRC2:USER_SGPR: 2
; COMPUTE_PGM_RSRC2:TRAP_HANDLER: 0
; COMPUTE_PGM_RSRC2:TGID_X_EN: 1
; COMPUTE_PGM_RSRC2:TGID_Y_EN: 0
; COMPUTE_PGM_RSRC2:TGID_Z_EN: 0
; COMPUTE_PGM_RSRC2:TIDIG_COMP_CNT: 0
; COMPUTE_PGM_RSRC3_GFX90A:ACCUM_OFFSET: 0
; COMPUTE_PGM_RSRC3_GFX90A:TG_SPLIT: 0
	.section	.text._ZN7rocprim17ROCPRIM_400000_NS6detail17trampoline_kernelINS0_14default_configENS1_38merge_sort_block_merge_config_selectorIiiEEZZNS1_27merge_sort_block_merge_implIS3_N6thrust23THRUST_200600_302600_NS6detail15normal_iteratorINS8_10device_ptrIiEEEESD_jNS1_19radix_merge_compareILb1ELb1EiNS0_19identity_decomposerEEEEE10hipError_tT0_T1_T2_jT3_P12ihipStream_tbPNSt15iterator_traitsISI_E10value_typeEPNSO_ISJ_E10value_typeEPSK_NS1_7vsmem_tEENKUlT_SI_SJ_SK_E_clIPiSD_S10_SD_EESH_SX_SI_SJ_SK_EUlSX_E0_NS1_11comp_targetILNS1_3genE8ELNS1_11target_archE1030ELNS1_3gpuE2ELNS1_3repE0EEENS1_38merge_mergepath_config_static_selectorELNS0_4arch9wavefront6targetE1EEEvSJ_,"axG",@progbits,_ZN7rocprim17ROCPRIM_400000_NS6detail17trampoline_kernelINS0_14default_configENS1_38merge_sort_block_merge_config_selectorIiiEEZZNS1_27merge_sort_block_merge_implIS3_N6thrust23THRUST_200600_302600_NS6detail15normal_iteratorINS8_10device_ptrIiEEEESD_jNS1_19radix_merge_compareILb1ELb1EiNS0_19identity_decomposerEEEEE10hipError_tT0_T1_T2_jT3_P12ihipStream_tbPNSt15iterator_traitsISI_E10value_typeEPNSO_ISJ_E10value_typeEPSK_NS1_7vsmem_tEENKUlT_SI_SJ_SK_E_clIPiSD_S10_SD_EESH_SX_SI_SJ_SK_EUlSX_E0_NS1_11comp_targetILNS1_3genE8ELNS1_11target_archE1030ELNS1_3gpuE2ELNS1_3repE0EEENS1_38merge_mergepath_config_static_selectorELNS0_4arch9wavefront6targetE1EEEvSJ_,comdat
	.protected	_ZN7rocprim17ROCPRIM_400000_NS6detail17trampoline_kernelINS0_14default_configENS1_38merge_sort_block_merge_config_selectorIiiEEZZNS1_27merge_sort_block_merge_implIS3_N6thrust23THRUST_200600_302600_NS6detail15normal_iteratorINS8_10device_ptrIiEEEESD_jNS1_19radix_merge_compareILb1ELb1EiNS0_19identity_decomposerEEEEE10hipError_tT0_T1_T2_jT3_P12ihipStream_tbPNSt15iterator_traitsISI_E10value_typeEPNSO_ISJ_E10value_typeEPSK_NS1_7vsmem_tEENKUlT_SI_SJ_SK_E_clIPiSD_S10_SD_EESH_SX_SI_SJ_SK_EUlSX_E0_NS1_11comp_targetILNS1_3genE8ELNS1_11target_archE1030ELNS1_3gpuE2ELNS1_3repE0EEENS1_38merge_mergepath_config_static_selectorELNS0_4arch9wavefront6targetE1EEEvSJ_ ; -- Begin function _ZN7rocprim17ROCPRIM_400000_NS6detail17trampoline_kernelINS0_14default_configENS1_38merge_sort_block_merge_config_selectorIiiEEZZNS1_27merge_sort_block_merge_implIS3_N6thrust23THRUST_200600_302600_NS6detail15normal_iteratorINS8_10device_ptrIiEEEESD_jNS1_19radix_merge_compareILb1ELb1EiNS0_19identity_decomposerEEEEE10hipError_tT0_T1_T2_jT3_P12ihipStream_tbPNSt15iterator_traitsISI_E10value_typeEPNSO_ISJ_E10value_typeEPSK_NS1_7vsmem_tEENKUlT_SI_SJ_SK_E_clIPiSD_S10_SD_EESH_SX_SI_SJ_SK_EUlSX_E0_NS1_11comp_targetILNS1_3genE8ELNS1_11target_archE1030ELNS1_3gpuE2ELNS1_3repE0EEENS1_38merge_mergepath_config_static_selectorELNS0_4arch9wavefront6targetE1EEEvSJ_
	.globl	_ZN7rocprim17ROCPRIM_400000_NS6detail17trampoline_kernelINS0_14default_configENS1_38merge_sort_block_merge_config_selectorIiiEEZZNS1_27merge_sort_block_merge_implIS3_N6thrust23THRUST_200600_302600_NS6detail15normal_iteratorINS8_10device_ptrIiEEEESD_jNS1_19radix_merge_compareILb1ELb1EiNS0_19identity_decomposerEEEEE10hipError_tT0_T1_T2_jT3_P12ihipStream_tbPNSt15iterator_traitsISI_E10value_typeEPNSO_ISJ_E10value_typeEPSK_NS1_7vsmem_tEENKUlT_SI_SJ_SK_E_clIPiSD_S10_SD_EESH_SX_SI_SJ_SK_EUlSX_E0_NS1_11comp_targetILNS1_3genE8ELNS1_11target_archE1030ELNS1_3gpuE2ELNS1_3repE0EEENS1_38merge_mergepath_config_static_selectorELNS0_4arch9wavefront6targetE1EEEvSJ_
	.p2align	8
	.type	_ZN7rocprim17ROCPRIM_400000_NS6detail17trampoline_kernelINS0_14default_configENS1_38merge_sort_block_merge_config_selectorIiiEEZZNS1_27merge_sort_block_merge_implIS3_N6thrust23THRUST_200600_302600_NS6detail15normal_iteratorINS8_10device_ptrIiEEEESD_jNS1_19radix_merge_compareILb1ELb1EiNS0_19identity_decomposerEEEEE10hipError_tT0_T1_T2_jT3_P12ihipStream_tbPNSt15iterator_traitsISI_E10value_typeEPNSO_ISJ_E10value_typeEPSK_NS1_7vsmem_tEENKUlT_SI_SJ_SK_E_clIPiSD_S10_SD_EESH_SX_SI_SJ_SK_EUlSX_E0_NS1_11comp_targetILNS1_3genE8ELNS1_11target_archE1030ELNS1_3gpuE2ELNS1_3repE0EEENS1_38merge_mergepath_config_static_selectorELNS0_4arch9wavefront6targetE1EEEvSJ_,@function
_ZN7rocprim17ROCPRIM_400000_NS6detail17trampoline_kernelINS0_14default_configENS1_38merge_sort_block_merge_config_selectorIiiEEZZNS1_27merge_sort_block_merge_implIS3_N6thrust23THRUST_200600_302600_NS6detail15normal_iteratorINS8_10device_ptrIiEEEESD_jNS1_19radix_merge_compareILb1ELb1EiNS0_19identity_decomposerEEEEE10hipError_tT0_T1_T2_jT3_P12ihipStream_tbPNSt15iterator_traitsISI_E10value_typeEPNSO_ISJ_E10value_typeEPSK_NS1_7vsmem_tEENKUlT_SI_SJ_SK_E_clIPiSD_S10_SD_EESH_SX_SI_SJ_SK_EUlSX_E0_NS1_11comp_targetILNS1_3genE8ELNS1_11target_archE1030ELNS1_3gpuE2ELNS1_3repE0EEENS1_38merge_mergepath_config_static_selectorELNS0_4arch9wavefront6targetE1EEEvSJ_: ; @_ZN7rocprim17ROCPRIM_400000_NS6detail17trampoline_kernelINS0_14default_configENS1_38merge_sort_block_merge_config_selectorIiiEEZZNS1_27merge_sort_block_merge_implIS3_N6thrust23THRUST_200600_302600_NS6detail15normal_iteratorINS8_10device_ptrIiEEEESD_jNS1_19radix_merge_compareILb1ELb1EiNS0_19identity_decomposerEEEEE10hipError_tT0_T1_T2_jT3_P12ihipStream_tbPNSt15iterator_traitsISI_E10value_typeEPNSO_ISJ_E10value_typeEPSK_NS1_7vsmem_tEENKUlT_SI_SJ_SK_E_clIPiSD_S10_SD_EESH_SX_SI_SJ_SK_EUlSX_E0_NS1_11comp_targetILNS1_3genE8ELNS1_11target_archE1030ELNS1_3gpuE2ELNS1_3repE0EEENS1_38merge_mergepath_config_static_selectorELNS0_4arch9wavefront6targetE1EEEvSJ_
; %bb.0:
	.section	.rodata,"a",@progbits
	.p2align	6, 0x0
	.amdhsa_kernel _ZN7rocprim17ROCPRIM_400000_NS6detail17trampoline_kernelINS0_14default_configENS1_38merge_sort_block_merge_config_selectorIiiEEZZNS1_27merge_sort_block_merge_implIS3_N6thrust23THRUST_200600_302600_NS6detail15normal_iteratorINS8_10device_ptrIiEEEESD_jNS1_19radix_merge_compareILb1ELb1EiNS0_19identity_decomposerEEEEE10hipError_tT0_T1_T2_jT3_P12ihipStream_tbPNSt15iterator_traitsISI_E10value_typeEPNSO_ISJ_E10value_typeEPSK_NS1_7vsmem_tEENKUlT_SI_SJ_SK_E_clIPiSD_S10_SD_EESH_SX_SI_SJ_SK_EUlSX_E0_NS1_11comp_targetILNS1_3genE8ELNS1_11target_archE1030ELNS1_3gpuE2ELNS1_3repE0EEENS1_38merge_mergepath_config_static_selectorELNS0_4arch9wavefront6targetE1EEEvSJ_
		.amdhsa_group_segment_fixed_size 0
		.amdhsa_private_segment_fixed_size 0
		.amdhsa_kernarg_size 64
		.amdhsa_user_sgpr_count 2
		.amdhsa_user_sgpr_dispatch_ptr 0
		.amdhsa_user_sgpr_queue_ptr 0
		.amdhsa_user_sgpr_kernarg_segment_ptr 1
		.amdhsa_user_sgpr_dispatch_id 0
		.amdhsa_user_sgpr_kernarg_preload_length 0
		.amdhsa_user_sgpr_kernarg_preload_offset 0
		.amdhsa_user_sgpr_private_segment_size 0
		.amdhsa_uses_dynamic_stack 0
		.amdhsa_enable_private_segment 0
		.amdhsa_system_sgpr_workgroup_id_x 1
		.amdhsa_system_sgpr_workgroup_id_y 0
		.amdhsa_system_sgpr_workgroup_id_z 0
		.amdhsa_system_sgpr_workgroup_info 0
		.amdhsa_system_vgpr_workitem_id 0
		.amdhsa_next_free_vgpr 1
		.amdhsa_next_free_sgpr 0
		.amdhsa_accum_offset 4
		.amdhsa_reserve_vcc 0
		.amdhsa_float_round_mode_32 0
		.amdhsa_float_round_mode_16_64 0
		.amdhsa_float_denorm_mode_32 3
		.amdhsa_float_denorm_mode_16_64 3
		.amdhsa_dx10_clamp 1
		.amdhsa_ieee_mode 1
		.amdhsa_fp16_overflow 0
		.amdhsa_tg_split 0
		.amdhsa_exception_fp_ieee_invalid_op 0
		.amdhsa_exception_fp_denorm_src 0
		.amdhsa_exception_fp_ieee_div_zero 0
		.amdhsa_exception_fp_ieee_overflow 0
		.amdhsa_exception_fp_ieee_underflow 0
		.amdhsa_exception_fp_ieee_inexact 0
		.amdhsa_exception_int_div_zero 0
	.end_amdhsa_kernel
	.section	.text._ZN7rocprim17ROCPRIM_400000_NS6detail17trampoline_kernelINS0_14default_configENS1_38merge_sort_block_merge_config_selectorIiiEEZZNS1_27merge_sort_block_merge_implIS3_N6thrust23THRUST_200600_302600_NS6detail15normal_iteratorINS8_10device_ptrIiEEEESD_jNS1_19radix_merge_compareILb1ELb1EiNS0_19identity_decomposerEEEEE10hipError_tT0_T1_T2_jT3_P12ihipStream_tbPNSt15iterator_traitsISI_E10value_typeEPNSO_ISJ_E10value_typeEPSK_NS1_7vsmem_tEENKUlT_SI_SJ_SK_E_clIPiSD_S10_SD_EESH_SX_SI_SJ_SK_EUlSX_E0_NS1_11comp_targetILNS1_3genE8ELNS1_11target_archE1030ELNS1_3gpuE2ELNS1_3repE0EEENS1_38merge_mergepath_config_static_selectorELNS0_4arch9wavefront6targetE1EEEvSJ_,"axG",@progbits,_ZN7rocprim17ROCPRIM_400000_NS6detail17trampoline_kernelINS0_14default_configENS1_38merge_sort_block_merge_config_selectorIiiEEZZNS1_27merge_sort_block_merge_implIS3_N6thrust23THRUST_200600_302600_NS6detail15normal_iteratorINS8_10device_ptrIiEEEESD_jNS1_19radix_merge_compareILb1ELb1EiNS0_19identity_decomposerEEEEE10hipError_tT0_T1_T2_jT3_P12ihipStream_tbPNSt15iterator_traitsISI_E10value_typeEPNSO_ISJ_E10value_typeEPSK_NS1_7vsmem_tEENKUlT_SI_SJ_SK_E_clIPiSD_S10_SD_EESH_SX_SI_SJ_SK_EUlSX_E0_NS1_11comp_targetILNS1_3genE8ELNS1_11target_archE1030ELNS1_3gpuE2ELNS1_3repE0EEENS1_38merge_mergepath_config_static_selectorELNS0_4arch9wavefront6targetE1EEEvSJ_,comdat
.Lfunc_end948:
	.size	_ZN7rocprim17ROCPRIM_400000_NS6detail17trampoline_kernelINS0_14default_configENS1_38merge_sort_block_merge_config_selectorIiiEEZZNS1_27merge_sort_block_merge_implIS3_N6thrust23THRUST_200600_302600_NS6detail15normal_iteratorINS8_10device_ptrIiEEEESD_jNS1_19radix_merge_compareILb1ELb1EiNS0_19identity_decomposerEEEEE10hipError_tT0_T1_T2_jT3_P12ihipStream_tbPNSt15iterator_traitsISI_E10value_typeEPNSO_ISJ_E10value_typeEPSK_NS1_7vsmem_tEENKUlT_SI_SJ_SK_E_clIPiSD_S10_SD_EESH_SX_SI_SJ_SK_EUlSX_E0_NS1_11comp_targetILNS1_3genE8ELNS1_11target_archE1030ELNS1_3gpuE2ELNS1_3repE0EEENS1_38merge_mergepath_config_static_selectorELNS0_4arch9wavefront6targetE1EEEvSJ_, .Lfunc_end948-_ZN7rocprim17ROCPRIM_400000_NS6detail17trampoline_kernelINS0_14default_configENS1_38merge_sort_block_merge_config_selectorIiiEEZZNS1_27merge_sort_block_merge_implIS3_N6thrust23THRUST_200600_302600_NS6detail15normal_iteratorINS8_10device_ptrIiEEEESD_jNS1_19radix_merge_compareILb1ELb1EiNS0_19identity_decomposerEEEEE10hipError_tT0_T1_T2_jT3_P12ihipStream_tbPNSt15iterator_traitsISI_E10value_typeEPNSO_ISJ_E10value_typeEPSK_NS1_7vsmem_tEENKUlT_SI_SJ_SK_E_clIPiSD_S10_SD_EESH_SX_SI_SJ_SK_EUlSX_E0_NS1_11comp_targetILNS1_3genE8ELNS1_11target_archE1030ELNS1_3gpuE2ELNS1_3repE0EEENS1_38merge_mergepath_config_static_selectorELNS0_4arch9wavefront6targetE1EEEvSJ_
                                        ; -- End function
	.set _ZN7rocprim17ROCPRIM_400000_NS6detail17trampoline_kernelINS0_14default_configENS1_38merge_sort_block_merge_config_selectorIiiEEZZNS1_27merge_sort_block_merge_implIS3_N6thrust23THRUST_200600_302600_NS6detail15normal_iteratorINS8_10device_ptrIiEEEESD_jNS1_19radix_merge_compareILb1ELb1EiNS0_19identity_decomposerEEEEE10hipError_tT0_T1_T2_jT3_P12ihipStream_tbPNSt15iterator_traitsISI_E10value_typeEPNSO_ISJ_E10value_typeEPSK_NS1_7vsmem_tEENKUlT_SI_SJ_SK_E_clIPiSD_S10_SD_EESH_SX_SI_SJ_SK_EUlSX_E0_NS1_11comp_targetILNS1_3genE8ELNS1_11target_archE1030ELNS1_3gpuE2ELNS1_3repE0EEENS1_38merge_mergepath_config_static_selectorELNS0_4arch9wavefront6targetE1EEEvSJ_.num_vgpr, 0
	.set _ZN7rocprim17ROCPRIM_400000_NS6detail17trampoline_kernelINS0_14default_configENS1_38merge_sort_block_merge_config_selectorIiiEEZZNS1_27merge_sort_block_merge_implIS3_N6thrust23THRUST_200600_302600_NS6detail15normal_iteratorINS8_10device_ptrIiEEEESD_jNS1_19radix_merge_compareILb1ELb1EiNS0_19identity_decomposerEEEEE10hipError_tT0_T1_T2_jT3_P12ihipStream_tbPNSt15iterator_traitsISI_E10value_typeEPNSO_ISJ_E10value_typeEPSK_NS1_7vsmem_tEENKUlT_SI_SJ_SK_E_clIPiSD_S10_SD_EESH_SX_SI_SJ_SK_EUlSX_E0_NS1_11comp_targetILNS1_3genE8ELNS1_11target_archE1030ELNS1_3gpuE2ELNS1_3repE0EEENS1_38merge_mergepath_config_static_selectorELNS0_4arch9wavefront6targetE1EEEvSJ_.num_agpr, 0
	.set _ZN7rocprim17ROCPRIM_400000_NS6detail17trampoline_kernelINS0_14default_configENS1_38merge_sort_block_merge_config_selectorIiiEEZZNS1_27merge_sort_block_merge_implIS3_N6thrust23THRUST_200600_302600_NS6detail15normal_iteratorINS8_10device_ptrIiEEEESD_jNS1_19radix_merge_compareILb1ELb1EiNS0_19identity_decomposerEEEEE10hipError_tT0_T1_T2_jT3_P12ihipStream_tbPNSt15iterator_traitsISI_E10value_typeEPNSO_ISJ_E10value_typeEPSK_NS1_7vsmem_tEENKUlT_SI_SJ_SK_E_clIPiSD_S10_SD_EESH_SX_SI_SJ_SK_EUlSX_E0_NS1_11comp_targetILNS1_3genE8ELNS1_11target_archE1030ELNS1_3gpuE2ELNS1_3repE0EEENS1_38merge_mergepath_config_static_selectorELNS0_4arch9wavefront6targetE1EEEvSJ_.numbered_sgpr, 0
	.set _ZN7rocprim17ROCPRIM_400000_NS6detail17trampoline_kernelINS0_14default_configENS1_38merge_sort_block_merge_config_selectorIiiEEZZNS1_27merge_sort_block_merge_implIS3_N6thrust23THRUST_200600_302600_NS6detail15normal_iteratorINS8_10device_ptrIiEEEESD_jNS1_19radix_merge_compareILb1ELb1EiNS0_19identity_decomposerEEEEE10hipError_tT0_T1_T2_jT3_P12ihipStream_tbPNSt15iterator_traitsISI_E10value_typeEPNSO_ISJ_E10value_typeEPSK_NS1_7vsmem_tEENKUlT_SI_SJ_SK_E_clIPiSD_S10_SD_EESH_SX_SI_SJ_SK_EUlSX_E0_NS1_11comp_targetILNS1_3genE8ELNS1_11target_archE1030ELNS1_3gpuE2ELNS1_3repE0EEENS1_38merge_mergepath_config_static_selectorELNS0_4arch9wavefront6targetE1EEEvSJ_.num_named_barrier, 0
	.set _ZN7rocprim17ROCPRIM_400000_NS6detail17trampoline_kernelINS0_14default_configENS1_38merge_sort_block_merge_config_selectorIiiEEZZNS1_27merge_sort_block_merge_implIS3_N6thrust23THRUST_200600_302600_NS6detail15normal_iteratorINS8_10device_ptrIiEEEESD_jNS1_19radix_merge_compareILb1ELb1EiNS0_19identity_decomposerEEEEE10hipError_tT0_T1_T2_jT3_P12ihipStream_tbPNSt15iterator_traitsISI_E10value_typeEPNSO_ISJ_E10value_typeEPSK_NS1_7vsmem_tEENKUlT_SI_SJ_SK_E_clIPiSD_S10_SD_EESH_SX_SI_SJ_SK_EUlSX_E0_NS1_11comp_targetILNS1_3genE8ELNS1_11target_archE1030ELNS1_3gpuE2ELNS1_3repE0EEENS1_38merge_mergepath_config_static_selectorELNS0_4arch9wavefront6targetE1EEEvSJ_.private_seg_size, 0
	.set _ZN7rocprim17ROCPRIM_400000_NS6detail17trampoline_kernelINS0_14default_configENS1_38merge_sort_block_merge_config_selectorIiiEEZZNS1_27merge_sort_block_merge_implIS3_N6thrust23THRUST_200600_302600_NS6detail15normal_iteratorINS8_10device_ptrIiEEEESD_jNS1_19radix_merge_compareILb1ELb1EiNS0_19identity_decomposerEEEEE10hipError_tT0_T1_T2_jT3_P12ihipStream_tbPNSt15iterator_traitsISI_E10value_typeEPNSO_ISJ_E10value_typeEPSK_NS1_7vsmem_tEENKUlT_SI_SJ_SK_E_clIPiSD_S10_SD_EESH_SX_SI_SJ_SK_EUlSX_E0_NS1_11comp_targetILNS1_3genE8ELNS1_11target_archE1030ELNS1_3gpuE2ELNS1_3repE0EEENS1_38merge_mergepath_config_static_selectorELNS0_4arch9wavefront6targetE1EEEvSJ_.uses_vcc, 0
	.set _ZN7rocprim17ROCPRIM_400000_NS6detail17trampoline_kernelINS0_14default_configENS1_38merge_sort_block_merge_config_selectorIiiEEZZNS1_27merge_sort_block_merge_implIS3_N6thrust23THRUST_200600_302600_NS6detail15normal_iteratorINS8_10device_ptrIiEEEESD_jNS1_19radix_merge_compareILb1ELb1EiNS0_19identity_decomposerEEEEE10hipError_tT0_T1_T2_jT3_P12ihipStream_tbPNSt15iterator_traitsISI_E10value_typeEPNSO_ISJ_E10value_typeEPSK_NS1_7vsmem_tEENKUlT_SI_SJ_SK_E_clIPiSD_S10_SD_EESH_SX_SI_SJ_SK_EUlSX_E0_NS1_11comp_targetILNS1_3genE8ELNS1_11target_archE1030ELNS1_3gpuE2ELNS1_3repE0EEENS1_38merge_mergepath_config_static_selectorELNS0_4arch9wavefront6targetE1EEEvSJ_.uses_flat_scratch, 0
	.set _ZN7rocprim17ROCPRIM_400000_NS6detail17trampoline_kernelINS0_14default_configENS1_38merge_sort_block_merge_config_selectorIiiEEZZNS1_27merge_sort_block_merge_implIS3_N6thrust23THRUST_200600_302600_NS6detail15normal_iteratorINS8_10device_ptrIiEEEESD_jNS1_19radix_merge_compareILb1ELb1EiNS0_19identity_decomposerEEEEE10hipError_tT0_T1_T2_jT3_P12ihipStream_tbPNSt15iterator_traitsISI_E10value_typeEPNSO_ISJ_E10value_typeEPSK_NS1_7vsmem_tEENKUlT_SI_SJ_SK_E_clIPiSD_S10_SD_EESH_SX_SI_SJ_SK_EUlSX_E0_NS1_11comp_targetILNS1_3genE8ELNS1_11target_archE1030ELNS1_3gpuE2ELNS1_3repE0EEENS1_38merge_mergepath_config_static_selectorELNS0_4arch9wavefront6targetE1EEEvSJ_.has_dyn_sized_stack, 0
	.set _ZN7rocprim17ROCPRIM_400000_NS6detail17trampoline_kernelINS0_14default_configENS1_38merge_sort_block_merge_config_selectorIiiEEZZNS1_27merge_sort_block_merge_implIS3_N6thrust23THRUST_200600_302600_NS6detail15normal_iteratorINS8_10device_ptrIiEEEESD_jNS1_19radix_merge_compareILb1ELb1EiNS0_19identity_decomposerEEEEE10hipError_tT0_T1_T2_jT3_P12ihipStream_tbPNSt15iterator_traitsISI_E10value_typeEPNSO_ISJ_E10value_typeEPSK_NS1_7vsmem_tEENKUlT_SI_SJ_SK_E_clIPiSD_S10_SD_EESH_SX_SI_SJ_SK_EUlSX_E0_NS1_11comp_targetILNS1_3genE8ELNS1_11target_archE1030ELNS1_3gpuE2ELNS1_3repE0EEENS1_38merge_mergepath_config_static_selectorELNS0_4arch9wavefront6targetE1EEEvSJ_.has_recursion, 0
	.set _ZN7rocprim17ROCPRIM_400000_NS6detail17trampoline_kernelINS0_14default_configENS1_38merge_sort_block_merge_config_selectorIiiEEZZNS1_27merge_sort_block_merge_implIS3_N6thrust23THRUST_200600_302600_NS6detail15normal_iteratorINS8_10device_ptrIiEEEESD_jNS1_19radix_merge_compareILb1ELb1EiNS0_19identity_decomposerEEEEE10hipError_tT0_T1_T2_jT3_P12ihipStream_tbPNSt15iterator_traitsISI_E10value_typeEPNSO_ISJ_E10value_typeEPSK_NS1_7vsmem_tEENKUlT_SI_SJ_SK_E_clIPiSD_S10_SD_EESH_SX_SI_SJ_SK_EUlSX_E0_NS1_11comp_targetILNS1_3genE8ELNS1_11target_archE1030ELNS1_3gpuE2ELNS1_3repE0EEENS1_38merge_mergepath_config_static_selectorELNS0_4arch9wavefront6targetE1EEEvSJ_.has_indirect_call, 0
	.section	.AMDGPU.csdata,"",@progbits
; Kernel info:
; codeLenInByte = 0
; TotalNumSgprs: 6
; NumVgprs: 0
; NumAgprs: 0
; TotalNumVgprs: 0
; ScratchSize: 0
; MemoryBound: 0
; FloatMode: 240
; IeeeMode: 1
; LDSByteSize: 0 bytes/workgroup (compile time only)
; SGPRBlocks: 0
; VGPRBlocks: 0
; NumSGPRsForWavesPerEU: 6
; NumVGPRsForWavesPerEU: 1
; AccumOffset: 4
; Occupancy: 8
; WaveLimiterHint : 0
; COMPUTE_PGM_RSRC2:SCRATCH_EN: 0
; COMPUTE_PGM_RSRC2:USER_SGPR: 2
; COMPUTE_PGM_RSRC2:TRAP_HANDLER: 0
; COMPUTE_PGM_RSRC2:TGID_X_EN: 1
; COMPUTE_PGM_RSRC2:TGID_Y_EN: 0
; COMPUTE_PGM_RSRC2:TGID_Z_EN: 0
; COMPUTE_PGM_RSRC2:TIDIG_COMP_CNT: 0
; COMPUTE_PGM_RSRC3_GFX90A:ACCUM_OFFSET: 0
; COMPUTE_PGM_RSRC3_GFX90A:TG_SPLIT: 0
	.section	.text._ZN7rocprim17ROCPRIM_400000_NS6detail17trampoline_kernelINS0_14default_configENS1_38merge_sort_block_merge_config_selectorIiiEEZZNS1_27merge_sort_block_merge_implIS3_N6thrust23THRUST_200600_302600_NS6detail15normal_iteratorINS8_10device_ptrIiEEEESD_jNS1_19radix_merge_compareILb1ELb1EiNS0_19identity_decomposerEEEEE10hipError_tT0_T1_T2_jT3_P12ihipStream_tbPNSt15iterator_traitsISI_E10value_typeEPNSO_ISJ_E10value_typeEPSK_NS1_7vsmem_tEENKUlT_SI_SJ_SK_E_clIPiSD_S10_SD_EESH_SX_SI_SJ_SK_EUlSX_E1_NS1_11comp_targetILNS1_3genE0ELNS1_11target_archE4294967295ELNS1_3gpuE0ELNS1_3repE0EEENS1_36merge_oddeven_config_static_selectorELNS0_4arch9wavefront6targetE1EEEvSJ_,"axG",@progbits,_ZN7rocprim17ROCPRIM_400000_NS6detail17trampoline_kernelINS0_14default_configENS1_38merge_sort_block_merge_config_selectorIiiEEZZNS1_27merge_sort_block_merge_implIS3_N6thrust23THRUST_200600_302600_NS6detail15normal_iteratorINS8_10device_ptrIiEEEESD_jNS1_19radix_merge_compareILb1ELb1EiNS0_19identity_decomposerEEEEE10hipError_tT0_T1_T2_jT3_P12ihipStream_tbPNSt15iterator_traitsISI_E10value_typeEPNSO_ISJ_E10value_typeEPSK_NS1_7vsmem_tEENKUlT_SI_SJ_SK_E_clIPiSD_S10_SD_EESH_SX_SI_SJ_SK_EUlSX_E1_NS1_11comp_targetILNS1_3genE0ELNS1_11target_archE4294967295ELNS1_3gpuE0ELNS1_3repE0EEENS1_36merge_oddeven_config_static_selectorELNS0_4arch9wavefront6targetE1EEEvSJ_,comdat
	.protected	_ZN7rocprim17ROCPRIM_400000_NS6detail17trampoline_kernelINS0_14default_configENS1_38merge_sort_block_merge_config_selectorIiiEEZZNS1_27merge_sort_block_merge_implIS3_N6thrust23THRUST_200600_302600_NS6detail15normal_iteratorINS8_10device_ptrIiEEEESD_jNS1_19radix_merge_compareILb1ELb1EiNS0_19identity_decomposerEEEEE10hipError_tT0_T1_T2_jT3_P12ihipStream_tbPNSt15iterator_traitsISI_E10value_typeEPNSO_ISJ_E10value_typeEPSK_NS1_7vsmem_tEENKUlT_SI_SJ_SK_E_clIPiSD_S10_SD_EESH_SX_SI_SJ_SK_EUlSX_E1_NS1_11comp_targetILNS1_3genE0ELNS1_11target_archE4294967295ELNS1_3gpuE0ELNS1_3repE0EEENS1_36merge_oddeven_config_static_selectorELNS0_4arch9wavefront6targetE1EEEvSJ_ ; -- Begin function _ZN7rocprim17ROCPRIM_400000_NS6detail17trampoline_kernelINS0_14default_configENS1_38merge_sort_block_merge_config_selectorIiiEEZZNS1_27merge_sort_block_merge_implIS3_N6thrust23THRUST_200600_302600_NS6detail15normal_iteratorINS8_10device_ptrIiEEEESD_jNS1_19radix_merge_compareILb1ELb1EiNS0_19identity_decomposerEEEEE10hipError_tT0_T1_T2_jT3_P12ihipStream_tbPNSt15iterator_traitsISI_E10value_typeEPNSO_ISJ_E10value_typeEPSK_NS1_7vsmem_tEENKUlT_SI_SJ_SK_E_clIPiSD_S10_SD_EESH_SX_SI_SJ_SK_EUlSX_E1_NS1_11comp_targetILNS1_3genE0ELNS1_11target_archE4294967295ELNS1_3gpuE0ELNS1_3repE0EEENS1_36merge_oddeven_config_static_selectorELNS0_4arch9wavefront6targetE1EEEvSJ_
	.globl	_ZN7rocprim17ROCPRIM_400000_NS6detail17trampoline_kernelINS0_14default_configENS1_38merge_sort_block_merge_config_selectorIiiEEZZNS1_27merge_sort_block_merge_implIS3_N6thrust23THRUST_200600_302600_NS6detail15normal_iteratorINS8_10device_ptrIiEEEESD_jNS1_19radix_merge_compareILb1ELb1EiNS0_19identity_decomposerEEEEE10hipError_tT0_T1_T2_jT3_P12ihipStream_tbPNSt15iterator_traitsISI_E10value_typeEPNSO_ISJ_E10value_typeEPSK_NS1_7vsmem_tEENKUlT_SI_SJ_SK_E_clIPiSD_S10_SD_EESH_SX_SI_SJ_SK_EUlSX_E1_NS1_11comp_targetILNS1_3genE0ELNS1_11target_archE4294967295ELNS1_3gpuE0ELNS1_3repE0EEENS1_36merge_oddeven_config_static_selectorELNS0_4arch9wavefront6targetE1EEEvSJ_
	.p2align	8
	.type	_ZN7rocprim17ROCPRIM_400000_NS6detail17trampoline_kernelINS0_14default_configENS1_38merge_sort_block_merge_config_selectorIiiEEZZNS1_27merge_sort_block_merge_implIS3_N6thrust23THRUST_200600_302600_NS6detail15normal_iteratorINS8_10device_ptrIiEEEESD_jNS1_19radix_merge_compareILb1ELb1EiNS0_19identity_decomposerEEEEE10hipError_tT0_T1_T2_jT3_P12ihipStream_tbPNSt15iterator_traitsISI_E10value_typeEPNSO_ISJ_E10value_typeEPSK_NS1_7vsmem_tEENKUlT_SI_SJ_SK_E_clIPiSD_S10_SD_EESH_SX_SI_SJ_SK_EUlSX_E1_NS1_11comp_targetILNS1_3genE0ELNS1_11target_archE4294967295ELNS1_3gpuE0ELNS1_3repE0EEENS1_36merge_oddeven_config_static_selectorELNS0_4arch9wavefront6targetE1EEEvSJ_,@function
_ZN7rocprim17ROCPRIM_400000_NS6detail17trampoline_kernelINS0_14default_configENS1_38merge_sort_block_merge_config_selectorIiiEEZZNS1_27merge_sort_block_merge_implIS3_N6thrust23THRUST_200600_302600_NS6detail15normal_iteratorINS8_10device_ptrIiEEEESD_jNS1_19radix_merge_compareILb1ELb1EiNS0_19identity_decomposerEEEEE10hipError_tT0_T1_T2_jT3_P12ihipStream_tbPNSt15iterator_traitsISI_E10value_typeEPNSO_ISJ_E10value_typeEPSK_NS1_7vsmem_tEENKUlT_SI_SJ_SK_E_clIPiSD_S10_SD_EESH_SX_SI_SJ_SK_EUlSX_E1_NS1_11comp_targetILNS1_3genE0ELNS1_11target_archE4294967295ELNS1_3gpuE0ELNS1_3repE0EEENS1_36merge_oddeven_config_static_selectorELNS0_4arch9wavefront6targetE1EEEvSJ_: ; @_ZN7rocprim17ROCPRIM_400000_NS6detail17trampoline_kernelINS0_14default_configENS1_38merge_sort_block_merge_config_selectorIiiEEZZNS1_27merge_sort_block_merge_implIS3_N6thrust23THRUST_200600_302600_NS6detail15normal_iteratorINS8_10device_ptrIiEEEESD_jNS1_19radix_merge_compareILb1ELb1EiNS0_19identity_decomposerEEEEE10hipError_tT0_T1_T2_jT3_P12ihipStream_tbPNSt15iterator_traitsISI_E10value_typeEPNSO_ISJ_E10value_typeEPSK_NS1_7vsmem_tEENKUlT_SI_SJ_SK_E_clIPiSD_S10_SD_EESH_SX_SI_SJ_SK_EUlSX_E1_NS1_11comp_targetILNS1_3genE0ELNS1_11target_archE4294967295ELNS1_3gpuE0ELNS1_3repE0EEENS1_36merge_oddeven_config_static_selectorELNS0_4arch9wavefront6targetE1EEEvSJ_
; %bb.0:
	s_load_dword s20, s[0:1], 0x20
	s_waitcnt lgkmcnt(0)
	s_lshr_b32 s3, s20, 8
	s_cmp_eq_u32 s2, s3
	s_cselect_b64 s[16:17], -1, 0
	s_cmp_lg_u32 s2, s3
	s_cselect_b64 s[4:5], -1, 0
	s_lshl_b32 s18, s2, 8
	s_sub_i32 s3, s20, s18
	v_cmp_gt_u32_e64 s[6:7], s3, v0
	s_or_b64 s[4:5], s[4:5], s[6:7]
	s_and_saveexec_b64 s[8:9], s[4:5]
	s_cbranch_execz .LBB949_24
; %bb.1:
	s_load_dwordx8 s[8:15], s[0:1], 0x0
	s_mov_b32 s19, 0
	s_lshl_b64 s[4:5], s[18:19], 2
	v_lshlrev_b32_e32 v1, 2, v0
	s_load_dword s19, s[0:1], 0x24
	s_waitcnt lgkmcnt(0)
	s_add_u32 s22, s8, s4
	s_addc_u32 s23, s9, s5
	s_add_u32 s4, s12, s4
	s_addc_u32 s5, s13, s5
	global_load_dword v2, v1, s[4:5]
	global_load_dword v3, v1, s[22:23]
	s_lshr_b32 s3, s19, 8
	s_sub_i32 s4, 0, s3
	s_and_b32 s2, s2, s4
	s_and_b32 s3, s2, s3
	s_lshl_b32 s21, s2, 8
	s_sub_i32 s12, 0, s19
	s_cmp_eq_u32 s3, 0
	s_cselect_b64 s[4:5], -1, 0
	s_and_b64 s[2:3], s[4:5], exec
	s_cselect_b32 s12, s19, s12
	s_add_i32 s12, s12, s21
	s_mov_b64 s[2:3], -1
	s_cmp_gt_u32 s20, s12
	v_add_u32_e32 v0, s18, v0
	s_cbranch_scc1 .LBB949_9
; %bb.2:
	s_and_b64 vcc, exec, s[16:17]
	s_cbranch_vccz .LBB949_6
; %bb.3:
	v_cmp_gt_u32_e32 vcc, s20, v0
	s_and_saveexec_b64 s[2:3], vcc
	s_cbranch_execz .LBB949_5
; %bb.4:
	v_mov_b32_e32 v1, 0
	v_lshlrev_b64 v[4:5], 2, v[0:1]
	v_lshl_add_u64 v[6:7], s[10:11], 0, v[4:5]
	v_lshl_add_u64 v[4:5], s[14:15], 0, v[4:5]
	s_waitcnt vmcnt(0)
	global_store_dword v[6:7], v3, off
	global_store_dword v[4:5], v2, off
.LBB949_5:
	s_or_b64 exec, exec, s[2:3]
	s_mov_b64 s[2:3], 0
.LBB949_6:
	s_andn2_b64 vcc, exec, s[2:3]
	s_cbranch_vccnz .LBB949_8
; %bb.7:
	v_mov_b32_e32 v1, 0
	v_lshlrev_b64 v[4:5], 2, v[0:1]
	v_lshl_add_u64 v[6:7], s[10:11], 0, v[4:5]
	v_lshl_add_u64 v[4:5], s[14:15], 0, v[4:5]
	s_waitcnt vmcnt(0)
	global_store_dword v[6:7], v3, off
	global_store_dword v[4:5], v2, off
.LBB949_8:
	s_mov_b64 s[2:3], 0
.LBB949_9:
	s_andn2_b64 vcc, exec, s[2:3]
	s_cbranch_vccnz .LBB949_24
; %bb.10:
	s_load_dword s13, s[0:1], 0x28
	s_min_u32 s18, s12, s20
	s_add_i32 s0, s18, s19
	s_min_u32 s19, s0, s20
	s_min_u32 s0, s21, s18
	s_add_i32 s21, s21, s18
	v_subrev_u32_e32 v0, s21, v0
	v_add_u32_e32 v4, s0, v0
	s_waitcnt vmcnt(0) lgkmcnt(0)
	v_and_b32_e32 v5, s13, v3
	s_mov_b64 s[0:1], -1
	s_and_b64 vcc, exec, s[16:17]
	s_cbranch_vccz .LBB949_18
; %bb.11:
	s_and_saveexec_b64 s[0:1], s[6:7]
	s_cbranch_execz .LBB949_17
; %bb.12:
	s_cmp_ge_u32 s12, s19
	v_mov_b32_e32 v6, s18
	s_cbranch_scc1 .LBB949_16
; %bb.13:
	s_mov_b64 s[2:3], 0
	v_mov_b32_e32 v7, s19
	v_mov_b32_e32 v6, s18
	;; [unrolled: 1-line block ×3, first 2 shown]
.LBB949_14:                             ; =>This Inner Loop Header: Depth=1
	v_add_u32_e32 v0, v6, v7
	v_lshrrev_b32_e32 v0, 1, v0
	v_lshl_add_u64 v[8:9], v[0:1], 2, s[8:9]
	global_load_dword v8, v[8:9], off
	v_add_u32_e32 v9, 1, v0
	s_waitcnt vmcnt(0)
	v_and_b32_e32 v8, s13, v8
	v_cmp_gt_i32_e32 vcc, v8, v5
	s_nop 1
	v_cndmask_b32_e64 v10, 0, 1, vcc
	v_cmp_le_i32_e32 vcc, v5, v8
	s_nop 1
	v_cndmask_b32_e64 v8, 0, 1, vcc
	v_cndmask_b32_e64 v8, v8, v10, s[4:5]
	v_and_b32_e32 v8, 1, v8
	v_cmp_eq_u32_e32 vcc, 1, v8
	s_nop 1
	v_cndmask_b32_e32 v7, v0, v7, vcc
	v_cndmask_b32_e32 v6, v6, v9, vcc
	v_cmp_ge_u32_e32 vcc, v6, v7
	s_or_b64 s[2:3], vcc, s[2:3]
	s_andn2_b64 exec, exec, s[2:3]
	s_cbranch_execnz .LBB949_14
; %bb.15:
	s_or_b64 exec, exec, s[2:3]
.LBB949_16:
	v_add_u32_e32 v0, v6, v4
	v_mov_b32_e32 v1, 0
	v_lshlrev_b64 v[0:1], 2, v[0:1]
	v_lshl_add_u64 v[6:7], s[10:11], 0, v[0:1]
	v_lshl_add_u64 v[0:1], s[14:15], 0, v[0:1]
	global_store_dword v[6:7], v3, off
	global_store_dword v[0:1], v2, off
.LBB949_17:
	s_or_b64 exec, exec, s[0:1]
	s_mov_b64 s[0:1], 0
.LBB949_18:
	s_andn2_b64 vcc, exec, s[0:1]
	s_cbranch_vccnz .LBB949_24
; %bb.19:
	s_cmp_ge_u32 s12, s19
	v_mov_b32_e32 v6, s18
	s_cbranch_scc1 .LBB949_23
; %bb.20:
	s_mov_b64 s[0:1], 0
	v_mov_b32_e32 v7, s19
	v_mov_b32_e32 v6, s18
	;; [unrolled: 1-line block ×3, first 2 shown]
.LBB949_21:                             ; =>This Inner Loop Header: Depth=1
	v_add_u32_e32 v0, v6, v7
	v_lshrrev_b32_e32 v0, 1, v0
	v_lshl_add_u64 v[8:9], v[0:1], 2, s[8:9]
	global_load_dword v8, v[8:9], off
	v_add_u32_e32 v9, 1, v0
	s_waitcnt vmcnt(0)
	v_and_b32_e32 v8, s13, v8
	v_cmp_gt_i32_e32 vcc, v8, v5
	s_nop 1
	v_cndmask_b32_e64 v10, 0, 1, vcc
	v_cmp_le_i32_e32 vcc, v5, v8
	s_nop 1
	v_cndmask_b32_e64 v8, 0, 1, vcc
	v_cndmask_b32_e64 v8, v8, v10, s[4:5]
	v_and_b32_e32 v8, 1, v8
	v_cmp_eq_u32_e32 vcc, 1, v8
	s_nop 1
	v_cndmask_b32_e32 v7, v0, v7, vcc
	v_cndmask_b32_e32 v6, v6, v9, vcc
	v_cmp_ge_u32_e32 vcc, v6, v7
	s_or_b64 s[0:1], vcc, s[0:1]
	s_andn2_b64 exec, exec, s[0:1]
	s_cbranch_execnz .LBB949_21
; %bb.22:
	s_or_b64 exec, exec, s[0:1]
.LBB949_23:
	v_add_u32_e32 v0, v6, v4
	v_mov_b32_e32 v1, 0
	v_lshlrev_b64 v[0:1], 2, v[0:1]
	v_lshl_add_u64 v[4:5], s[10:11], 0, v[0:1]
	v_lshl_add_u64 v[0:1], s[14:15], 0, v[0:1]
	global_store_dword v[4:5], v3, off
	global_store_dword v[0:1], v2, off
.LBB949_24:
	s_endpgm
	.section	.rodata,"a",@progbits
	.p2align	6, 0x0
	.amdhsa_kernel _ZN7rocprim17ROCPRIM_400000_NS6detail17trampoline_kernelINS0_14default_configENS1_38merge_sort_block_merge_config_selectorIiiEEZZNS1_27merge_sort_block_merge_implIS3_N6thrust23THRUST_200600_302600_NS6detail15normal_iteratorINS8_10device_ptrIiEEEESD_jNS1_19radix_merge_compareILb1ELb1EiNS0_19identity_decomposerEEEEE10hipError_tT0_T1_T2_jT3_P12ihipStream_tbPNSt15iterator_traitsISI_E10value_typeEPNSO_ISJ_E10value_typeEPSK_NS1_7vsmem_tEENKUlT_SI_SJ_SK_E_clIPiSD_S10_SD_EESH_SX_SI_SJ_SK_EUlSX_E1_NS1_11comp_targetILNS1_3genE0ELNS1_11target_archE4294967295ELNS1_3gpuE0ELNS1_3repE0EEENS1_36merge_oddeven_config_static_selectorELNS0_4arch9wavefront6targetE1EEEvSJ_
		.amdhsa_group_segment_fixed_size 0
		.amdhsa_private_segment_fixed_size 0
		.amdhsa_kernarg_size 48
		.amdhsa_user_sgpr_count 2
		.amdhsa_user_sgpr_dispatch_ptr 0
		.amdhsa_user_sgpr_queue_ptr 0
		.amdhsa_user_sgpr_kernarg_segment_ptr 1
		.amdhsa_user_sgpr_dispatch_id 0
		.amdhsa_user_sgpr_kernarg_preload_length 0
		.amdhsa_user_sgpr_kernarg_preload_offset 0
		.amdhsa_user_sgpr_private_segment_size 0
		.amdhsa_uses_dynamic_stack 0
		.amdhsa_enable_private_segment 0
		.amdhsa_system_sgpr_workgroup_id_x 1
		.amdhsa_system_sgpr_workgroup_id_y 0
		.amdhsa_system_sgpr_workgroup_id_z 0
		.amdhsa_system_sgpr_workgroup_info 0
		.amdhsa_system_vgpr_workitem_id 0
		.amdhsa_next_free_vgpr 11
		.amdhsa_next_free_sgpr 24
		.amdhsa_accum_offset 12
		.amdhsa_reserve_vcc 1
		.amdhsa_float_round_mode_32 0
		.amdhsa_float_round_mode_16_64 0
		.amdhsa_float_denorm_mode_32 3
		.amdhsa_float_denorm_mode_16_64 3
		.amdhsa_dx10_clamp 1
		.amdhsa_ieee_mode 1
		.amdhsa_fp16_overflow 0
		.amdhsa_tg_split 0
		.amdhsa_exception_fp_ieee_invalid_op 0
		.amdhsa_exception_fp_denorm_src 0
		.amdhsa_exception_fp_ieee_div_zero 0
		.amdhsa_exception_fp_ieee_overflow 0
		.amdhsa_exception_fp_ieee_underflow 0
		.amdhsa_exception_fp_ieee_inexact 0
		.amdhsa_exception_int_div_zero 0
	.end_amdhsa_kernel
	.section	.text._ZN7rocprim17ROCPRIM_400000_NS6detail17trampoline_kernelINS0_14default_configENS1_38merge_sort_block_merge_config_selectorIiiEEZZNS1_27merge_sort_block_merge_implIS3_N6thrust23THRUST_200600_302600_NS6detail15normal_iteratorINS8_10device_ptrIiEEEESD_jNS1_19radix_merge_compareILb1ELb1EiNS0_19identity_decomposerEEEEE10hipError_tT0_T1_T2_jT3_P12ihipStream_tbPNSt15iterator_traitsISI_E10value_typeEPNSO_ISJ_E10value_typeEPSK_NS1_7vsmem_tEENKUlT_SI_SJ_SK_E_clIPiSD_S10_SD_EESH_SX_SI_SJ_SK_EUlSX_E1_NS1_11comp_targetILNS1_3genE0ELNS1_11target_archE4294967295ELNS1_3gpuE0ELNS1_3repE0EEENS1_36merge_oddeven_config_static_selectorELNS0_4arch9wavefront6targetE1EEEvSJ_,"axG",@progbits,_ZN7rocprim17ROCPRIM_400000_NS6detail17trampoline_kernelINS0_14default_configENS1_38merge_sort_block_merge_config_selectorIiiEEZZNS1_27merge_sort_block_merge_implIS3_N6thrust23THRUST_200600_302600_NS6detail15normal_iteratorINS8_10device_ptrIiEEEESD_jNS1_19radix_merge_compareILb1ELb1EiNS0_19identity_decomposerEEEEE10hipError_tT0_T1_T2_jT3_P12ihipStream_tbPNSt15iterator_traitsISI_E10value_typeEPNSO_ISJ_E10value_typeEPSK_NS1_7vsmem_tEENKUlT_SI_SJ_SK_E_clIPiSD_S10_SD_EESH_SX_SI_SJ_SK_EUlSX_E1_NS1_11comp_targetILNS1_3genE0ELNS1_11target_archE4294967295ELNS1_3gpuE0ELNS1_3repE0EEENS1_36merge_oddeven_config_static_selectorELNS0_4arch9wavefront6targetE1EEEvSJ_,comdat
.Lfunc_end949:
	.size	_ZN7rocprim17ROCPRIM_400000_NS6detail17trampoline_kernelINS0_14default_configENS1_38merge_sort_block_merge_config_selectorIiiEEZZNS1_27merge_sort_block_merge_implIS3_N6thrust23THRUST_200600_302600_NS6detail15normal_iteratorINS8_10device_ptrIiEEEESD_jNS1_19radix_merge_compareILb1ELb1EiNS0_19identity_decomposerEEEEE10hipError_tT0_T1_T2_jT3_P12ihipStream_tbPNSt15iterator_traitsISI_E10value_typeEPNSO_ISJ_E10value_typeEPSK_NS1_7vsmem_tEENKUlT_SI_SJ_SK_E_clIPiSD_S10_SD_EESH_SX_SI_SJ_SK_EUlSX_E1_NS1_11comp_targetILNS1_3genE0ELNS1_11target_archE4294967295ELNS1_3gpuE0ELNS1_3repE0EEENS1_36merge_oddeven_config_static_selectorELNS0_4arch9wavefront6targetE1EEEvSJ_, .Lfunc_end949-_ZN7rocprim17ROCPRIM_400000_NS6detail17trampoline_kernelINS0_14default_configENS1_38merge_sort_block_merge_config_selectorIiiEEZZNS1_27merge_sort_block_merge_implIS3_N6thrust23THRUST_200600_302600_NS6detail15normal_iteratorINS8_10device_ptrIiEEEESD_jNS1_19radix_merge_compareILb1ELb1EiNS0_19identity_decomposerEEEEE10hipError_tT0_T1_T2_jT3_P12ihipStream_tbPNSt15iterator_traitsISI_E10value_typeEPNSO_ISJ_E10value_typeEPSK_NS1_7vsmem_tEENKUlT_SI_SJ_SK_E_clIPiSD_S10_SD_EESH_SX_SI_SJ_SK_EUlSX_E1_NS1_11comp_targetILNS1_3genE0ELNS1_11target_archE4294967295ELNS1_3gpuE0ELNS1_3repE0EEENS1_36merge_oddeven_config_static_selectorELNS0_4arch9wavefront6targetE1EEEvSJ_
                                        ; -- End function
	.set _ZN7rocprim17ROCPRIM_400000_NS6detail17trampoline_kernelINS0_14default_configENS1_38merge_sort_block_merge_config_selectorIiiEEZZNS1_27merge_sort_block_merge_implIS3_N6thrust23THRUST_200600_302600_NS6detail15normal_iteratorINS8_10device_ptrIiEEEESD_jNS1_19radix_merge_compareILb1ELb1EiNS0_19identity_decomposerEEEEE10hipError_tT0_T1_T2_jT3_P12ihipStream_tbPNSt15iterator_traitsISI_E10value_typeEPNSO_ISJ_E10value_typeEPSK_NS1_7vsmem_tEENKUlT_SI_SJ_SK_E_clIPiSD_S10_SD_EESH_SX_SI_SJ_SK_EUlSX_E1_NS1_11comp_targetILNS1_3genE0ELNS1_11target_archE4294967295ELNS1_3gpuE0ELNS1_3repE0EEENS1_36merge_oddeven_config_static_selectorELNS0_4arch9wavefront6targetE1EEEvSJ_.num_vgpr, 11
	.set _ZN7rocprim17ROCPRIM_400000_NS6detail17trampoline_kernelINS0_14default_configENS1_38merge_sort_block_merge_config_selectorIiiEEZZNS1_27merge_sort_block_merge_implIS3_N6thrust23THRUST_200600_302600_NS6detail15normal_iteratorINS8_10device_ptrIiEEEESD_jNS1_19radix_merge_compareILb1ELb1EiNS0_19identity_decomposerEEEEE10hipError_tT0_T1_T2_jT3_P12ihipStream_tbPNSt15iterator_traitsISI_E10value_typeEPNSO_ISJ_E10value_typeEPSK_NS1_7vsmem_tEENKUlT_SI_SJ_SK_E_clIPiSD_S10_SD_EESH_SX_SI_SJ_SK_EUlSX_E1_NS1_11comp_targetILNS1_3genE0ELNS1_11target_archE4294967295ELNS1_3gpuE0ELNS1_3repE0EEENS1_36merge_oddeven_config_static_selectorELNS0_4arch9wavefront6targetE1EEEvSJ_.num_agpr, 0
	.set _ZN7rocprim17ROCPRIM_400000_NS6detail17trampoline_kernelINS0_14default_configENS1_38merge_sort_block_merge_config_selectorIiiEEZZNS1_27merge_sort_block_merge_implIS3_N6thrust23THRUST_200600_302600_NS6detail15normal_iteratorINS8_10device_ptrIiEEEESD_jNS1_19radix_merge_compareILb1ELb1EiNS0_19identity_decomposerEEEEE10hipError_tT0_T1_T2_jT3_P12ihipStream_tbPNSt15iterator_traitsISI_E10value_typeEPNSO_ISJ_E10value_typeEPSK_NS1_7vsmem_tEENKUlT_SI_SJ_SK_E_clIPiSD_S10_SD_EESH_SX_SI_SJ_SK_EUlSX_E1_NS1_11comp_targetILNS1_3genE0ELNS1_11target_archE4294967295ELNS1_3gpuE0ELNS1_3repE0EEENS1_36merge_oddeven_config_static_selectorELNS0_4arch9wavefront6targetE1EEEvSJ_.numbered_sgpr, 24
	.set _ZN7rocprim17ROCPRIM_400000_NS6detail17trampoline_kernelINS0_14default_configENS1_38merge_sort_block_merge_config_selectorIiiEEZZNS1_27merge_sort_block_merge_implIS3_N6thrust23THRUST_200600_302600_NS6detail15normal_iteratorINS8_10device_ptrIiEEEESD_jNS1_19radix_merge_compareILb1ELb1EiNS0_19identity_decomposerEEEEE10hipError_tT0_T1_T2_jT3_P12ihipStream_tbPNSt15iterator_traitsISI_E10value_typeEPNSO_ISJ_E10value_typeEPSK_NS1_7vsmem_tEENKUlT_SI_SJ_SK_E_clIPiSD_S10_SD_EESH_SX_SI_SJ_SK_EUlSX_E1_NS1_11comp_targetILNS1_3genE0ELNS1_11target_archE4294967295ELNS1_3gpuE0ELNS1_3repE0EEENS1_36merge_oddeven_config_static_selectorELNS0_4arch9wavefront6targetE1EEEvSJ_.num_named_barrier, 0
	.set _ZN7rocprim17ROCPRIM_400000_NS6detail17trampoline_kernelINS0_14default_configENS1_38merge_sort_block_merge_config_selectorIiiEEZZNS1_27merge_sort_block_merge_implIS3_N6thrust23THRUST_200600_302600_NS6detail15normal_iteratorINS8_10device_ptrIiEEEESD_jNS1_19radix_merge_compareILb1ELb1EiNS0_19identity_decomposerEEEEE10hipError_tT0_T1_T2_jT3_P12ihipStream_tbPNSt15iterator_traitsISI_E10value_typeEPNSO_ISJ_E10value_typeEPSK_NS1_7vsmem_tEENKUlT_SI_SJ_SK_E_clIPiSD_S10_SD_EESH_SX_SI_SJ_SK_EUlSX_E1_NS1_11comp_targetILNS1_3genE0ELNS1_11target_archE4294967295ELNS1_3gpuE0ELNS1_3repE0EEENS1_36merge_oddeven_config_static_selectorELNS0_4arch9wavefront6targetE1EEEvSJ_.private_seg_size, 0
	.set _ZN7rocprim17ROCPRIM_400000_NS6detail17trampoline_kernelINS0_14default_configENS1_38merge_sort_block_merge_config_selectorIiiEEZZNS1_27merge_sort_block_merge_implIS3_N6thrust23THRUST_200600_302600_NS6detail15normal_iteratorINS8_10device_ptrIiEEEESD_jNS1_19radix_merge_compareILb1ELb1EiNS0_19identity_decomposerEEEEE10hipError_tT0_T1_T2_jT3_P12ihipStream_tbPNSt15iterator_traitsISI_E10value_typeEPNSO_ISJ_E10value_typeEPSK_NS1_7vsmem_tEENKUlT_SI_SJ_SK_E_clIPiSD_S10_SD_EESH_SX_SI_SJ_SK_EUlSX_E1_NS1_11comp_targetILNS1_3genE0ELNS1_11target_archE4294967295ELNS1_3gpuE0ELNS1_3repE0EEENS1_36merge_oddeven_config_static_selectorELNS0_4arch9wavefront6targetE1EEEvSJ_.uses_vcc, 1
	.set _ZN7rocprim17ROCPRIM_400000_NS6detail17trampoline_kernelINS0_14default_configENS1_38merge_sort_block_merge_config_selectorIiiEEZZNS1_27merge_sort_block_merge_implIS3_N6thrust23THRUST_200600_302600_NS6detail15normal_iteratorINS8_10device_ptrIiEEEESD_jNS1_19radix_merge_compareILb1ELb1EiNS0_19identity_decomposerEEEEE10hipError_tT0_T1_T2_jT3_P12ihipStream_tbPNSt15iterator_traitsISI_E10value_typeEPNSO_ISJ_E10value_typeEPSK_NS1_7vsmem_tEENKUlT_SI_SJ_SK_E_clIPiSD_S10_SD_EESH_SX_SI_SJ_SK_EUlSX_E1_NS1_11comp_targetILNS1_3genE0ELNS1_11target_archE4294967295ELNS1_3gpuE0ELNS1_3repE0EEENS1_36merge_oddeven_config_static_selectorELNS0_4arch9wavefront6targetE1EEEvSJ_.uses_flat_scratch, 0
	.set _ZN7rocprim17ROCPRIM_400000_NS6detail17trampoline_kernelINS0_14default_configENS1_38merge_sort_block_merge_config_selectorIiiEEZZNS1_27merge_sort_block_merge_implIS3_N6thrust23THRUST_200600_302600_NS6detail15normal_iteratorINS8_10device_ptrIiEEEESD_jNS1_19radix_merge_compareILb1ELb1EiNS0_19identity_decomposerEEEEE10hipError_tT0_T1_T2_jT3_P12ihipStream_tbPNSt15iterator_traitsISI_E10value_typeEPNSO_ISJ_E10value_typeEPSK_NS1_7vsmem_tEENKUlT_SI_SJ_SK_E_clIPiSD_S10_SD_EESH_SX_SI_SJ_SK_EUlSX_E1_NS1_11comp_targetILNS1_3genE0ELNS1_11target_archE4294967295ELNS1_3gpuE0ELNS1_3repE0EEENS1_36merge_oddeven_config_static_selectorELNS0_4arch9wavefront6targetE1EEEvSJ_.has_dyn_sized_stack, 0
	.set _ZN7rocprim17ROCPRIM_400000_NS6detail17trampoline_kernelINS0_14default_configENS1_38merge_sort_block_merge_config_selectorIiiEEZZNS1_27merge_sort_block_merge_implIS3_N6thrust23THRUST_200600_302600_NS6detail15normal_iteratorINS8_10device_ptrIiEEEESD_jNS1_19radix_merge_compareILb1ELb1EiNS0_19identity_decomposerEEEEE10hipError_tT0_T1_T2_jT3_P12ihipStream_tbPNSt15iterator_traitsISI_E10value_typeEPNSO_ISJ_E10value_typeEPSK_NS1_7vsmem_tEENKUlT_SI_SJ_SK_E_clIPiSD_S10_SD_EESH_SX_SI_SJ_SK_EUlSX_E1_NS1_11comp_targetILNS1_3genE0ELNS1_11target_archE4294967295ELNS1_3gpuE0ELNS1_3repE0EEENS1_36merge_oddeven_config_static_selectorELNS0_4arch9wavefront6targetE1EEEvSJ_.has_recursion, 0
	.set _ZN7rocprim17ROCPRIM_400000_NS6detail17trampoline_kernelINS0_14default_configENS1_38merge_sort_block_merge_config_selectorIiiEEZZNS1_27merge_sort_block_merge_implIS3_N6thrust23THRUST_200600_302600_NS6detail15normal_iteratorINS8_10device_ptrIiEEEESD_jNS1_19radix_merge_compareILb1ELb1EiNS0_19identity_decomposerEEEEE10hipError_tT0_T1_T2_jT3_P12ihipStream_tbPNSt15iterator_traitsISI_E10value_typeEPNSO_ISJ_E10value_typeEPSK_NS1_7vsmem_tEENKUlT_SI_SJ_SK_E_clIPiSD_S10_SD_EESH_SX_SI_SJ_SK_EUlSX_E1_NS1_11comp_targetILNS1_3genE0ELNS1_11target_archE4294967295ELNS1_3gpuE0ELNS1_3repE0EEENS1_36merge_oddeven_config_static_selectorELNS0_4arch9wavefront6targetE1EEEvSJ_.has_indirect_call, 0
	.section	.AMDGPU.csdata,"",@progbits
; Kernel info:
; codeLenInByte = 796
; TotalNumSgprs: 30
; NumVgprs: 11
; NumAgprs: 0
; TotalNumVgprs: 11
; ScratchSize: 0
; MemoryBound: 0
; FloatMode: 240
; IeeeMode: 1
; LDSByteSize: 0 bytes/workgroup (compile time only)
; SGPRBlocks: 3
; VGPRBlocks: 1
; NumSGPRsForWavesPerEU: 30
; NumVGPRsForWavesPerEU: 11
; AccumOffset: 12
; Occupancy: 8
; WaveLimiterHint : 0
; COMPUTE_PGM_RSRC2:SCRATCH_EN: 0
; COMPUTE_PGM_RSRC2:USER_SGPR: 2
; COMPUTE_PGM_RSRC2:TRAP_HANDLER: 0
; COMPUTE_PGM_RSRC2:TGID_X_EN: 1
; COMPUTE_PGM_RSRC2:TGID_Y_EN: 0
; COMPUTE_PGM_RSRC2:TGID_Z_EN: 0
; COMPUTE_PGM_RSRC2:TIDIG_COMP_CNT: 0
; COMPUTE_PGM_RSRC3_GFX90A:ACCUM_OFFSET: 2
; COMPUTE_PGM_RSRC3_GFX90A:TG_SPLIT: 0
	.section	.text._ZN7rocprim17ROCPRIM_400000_NS6detail17trampoline_kernelINS0_14default_configENS1_38merge_sort_block_merge_config_selectorIiiEEZZNS1_27merge_sort_block_merge_implIS3_N6thrust23THRUST_200600_302600_NS6detail15normal_iteratorINS8_10device_ptrIiEEEESD_jNS1_19radix_merge_compareILb1ELb1EiNS0_19identity_decomposerEEEEE10hipError_tT0_T1_T2_jT3_P12ihipStream_tbPNSt15iterator_traitsISI_E10value_typeEPNSO_ISJ_E10value_typeEPSK_NS1_7vsmem_tEENKUlT_SI_SJ_SK_E_clIPiSD_S10_SD_EESH_SX_SI_SJ_SK_EUlSX_E1_NS1_11comp_targetILNS1_3genE10ELNS1_11target_archE1201ELNS1_3gpuE5ELNS1_3repE0EEENS1_36merge_oddeven_config_static_selectorELNS0_4arch9wavefront6targetE1EEEvSJ_,"axG",@progbits,_ZN7rocprim17ROCPRIM_400000_NS6detail17trampoline_kernelINS0_14default_configENS1_38merge_sort_block_merge_config_selectorIiiEEZZNS1_27merge_sort_block_merge_implIS3_N6thrust23THRUST_200600_302600_NS6detail15normal_iteratorINS8_10device_ptrIiEEEESD_jNS1_19radix_merge_compareILb1ELb1EiNS0_19identity_decomposerEEEEE10hipError_tT0_T1_T2_jT3_P12ihipStream_tbPNSt15iterator_traitsISI_E10value_typeEPNSO_ISJ_E10value_typeEPSK_NS1_7vsmem_tEENKUlT_SI_SJ_SK_E_clIPiSD_S10_SD_EESH_SX_SI_SJ_SK_EUlSX_E1_NS1_11comp_targetILNS1_3genE10ELNS1_11target_archE1201ELNS1_3gpuE5ELNS1_3repE0EEENS1_36merge_oddeven_config_static_selectorELNS0_4arch9wavefront6targetE1EEEvSJ_,comdat
	.protected	_ZN7rocprim17ROCPRIM_400000_NS6detail17trampoline_kernelINS0_14default_configENS1_38merge_sort_block_merge_config_selectorIiiEEZZNS1_27merge_sort_block_merge_implIS3_N6thrust23THRUST_200600_302600_NS6detail15normal_iteratorINS8_10device_ptrIiEEEESD_jNS1_19radix_merge_compareILb1ELb1EiNS0_19identity_decomposerEEEEE10hipError_tT0_T1_T2_jT3_P12ihipStream_tbPNSt15iterator_traitsISI_E10value_typeEPNSO_ISJ_E10value_typeEPSK_NS1_7vsmem_tEENKUlT_SI_SJ_SK_E_clIPiSD_S10_SD_EESH_SX_SI_SJ_SK_EUlSX_E1_NS1_11comp_targetILNS1_3genE10ELNS1_11target_archE1201ELNS1_3gpuE5ELNS1_3repE0EEENS1_36merge_oddeven_config_static_selectorELNS0_4arch9wavefront6targetE1EEEvSJ_ ; -- Begin function _ZN7rocprim17ROCPRIM_400000_NS6detail17trampoline_kernelINS0_14default_configENS1_38merge_sort_block_merge_config_selectorIiiEEZZNS1_27merge_sort_block_merge_implIS3_N6thrust23THRUST_200600_302600_NS6detail15normal_iteratorINS8_10device_ptrIiEEEESD_jNS1_19radix_merge_compareILb1ELb1EiNS0_19identity_decomposerEEEEE10hipError_tT0_T1_T2_jT3_P12ihipStream_tbPNSt15iterator_traitsISI_E10value_typeEPNSO_ISJ_E10value_typeEPSK_NS1_7vsmem_tEENKUlT_SI_SJ_SK_E_clIPiSD_S10_SD_EESH_SX_SI_SJ_SK_EUlSX_E1_NS1_11comp_targetILNS1_3genE10ELNS1_11target_archE1201ELNS1_3gpuE5ELNS1_3repE0EEENS1_36merge_oddeven_config_static_selectorELNS0_4arch9wavefront6targetE1EEEvSJ_
	.globl	_ZN7rocprim17ROCPRIM_400000_NS6detail17trampoline_kernelINS0_14default_configENS1_38merge_sort_block_merge_config_selectorIiiEEZZNS1_27merge_sort_block_merge_implIS3_N6thrust23THRUST_200600_302600_NS6detail15normal_iteratorINS8_10device_ptrIiEEEESD_jNS1_19radix_merge_compareILb1ELb1EiNS0_19identity_decomposerEEEEE10hipError_tT0_T1_T2_jT3_P12ihipStream_tbPNSt15iterator_traitsISI_E10value_typeEPNSO_ISJ_E10value_typeEPSK_NS1_7vsmem_tEENKUlT_SI_SJ_SK_E_clIPiSD_S10_SD_EESH_SX_SI_SJ_SK_EUlSX_E1_NS1_11comp_targetILNS1_3genE10ELNS1_11target_archE1201ELNS1_3gpuE5ELNS1_3repE0EEENS1_36merge_oddeven_config_static_selectorELNS0_4arch9wavefront6targetE1EEEvSJ_
	.p2align	8
	.type	_ZN7rocprim17ROCPRIM_400000_NS6detail17trampoline_kernelINS0_14default_configENS1_38merge_sort_block_merge_config_selectorIiiEEZZNS1_27merge_sort_block_merge_implIS3_N6thrust23THRUST_200600_302600_NS6detail15normal_iteratorINS8_10device_ptrIiEEEESD_jNS1_19radix_merge_compareILb1ELb1EiNS0_19identity_decomposerEEEEE10hipError_tT0_T1_T2_jT3_P12ihipStream_tbPNSt15iterator_traitsISI_E10value_typeEPNSO_ISJ_E10value_typeEPSK_NS1_7vsmem_tEENKUlT_SI_SJ_SK_E_clIPiSD_S10_SD_EESH_SX_SI_SJ_SK_EUlSX_E1_NS1_11comp_targetILNS1_3genE10ELNS1_11target_archE1201ELNS1_3gpuE5ELNS1_3repE0EEENS1_36merge_oddeven_config_static_selectorELNS0_4arch9wavefront6targetE1EEEvSJ_,@function
_ZN7rocprim17ROCPRIM_400000_NS6detail17trampoline_kernelINS0_14default_configENS1_38merge_sort_block_merge_config_selectorIiiEEZZNS1_27merge_sort_block_merge_implIS3_N6thrust23THRUST_200600_302600_NS6detail15normal_iteratorINS8_10device_ptrIiEEEESD_jNS1_19radix_merge_compareILb1ELb1EiNS0_19identity_decomposerEEEEE10hipError_tT0_T1_T2_jT3_P12ihipStream_tbPNSt15iterator_traitsISI_E10value_typeEPNSO_ISJ_E10value_typeEPSK_NS1_7vsmem_tEENKUlT_SI_SJ_SK_E_clIPiSD_S10_SD_EESH_SX_SI_SJ_SK_EUlSX_E1_NS1_11comp_targetILNS1_3genE10ELNS1_11target_archE1201ELNS1_3gpuE5ELNS1_3repE0EEENS1_36merge_oddeven_config_static_selectorELNS0_4arch9wavefront6targetE1EEEvSJ_: ; @_ZN7rocprim17ROCPRIM_400000_NS6detail17trampoline_kernelINS0_14default_configENS1_38merge_sort_block_merge_config_selectorIiiEEZZNS1_27merge_sort_block_merge_implIS3_N6thrust23THRUST_200600_302600_NS6detail15normal_iteratorINS8_10device_ptrIiEEEESD_jNS1_19radix_merge_compareILb1ELb1EiNS0_19identity_decomposerEEEEE10hipError_tT0_T1_T2_jT3_P12ihipStream_tbPNSt15iterator_traitsISI_E10value_typeEPNSO_ISJ_E10value_typeEPSK_NS1_7vsmem_tEENKUlT_SI_SJ_SK_E_clIPiSD_S10_SD_EESH_SX_SI_SJ_SK_EUlSX_E1_NS1_11comp_targetILNS1_3genE10ELNS1_11target_archE1201ELNS1_3gpuE5ELNS1_3repE0EEENS1_36merge_oddeven_config_static_selectorELNS0_4arch9wavefront6targetE1EEEvSJ_
; %bb.0:
	.section	.rodata,"a",@progbits
	.p2align	6, 0x0
	.amdhsa_kernel _ZN7rocprim17ROCPRIM_400000_NS6detail17trampoline_kernelINS0_14default_configENS1_38merge_sort_block_merge_config_selectorIiiEEZZNS1_27merge_sort_block_merge_implIS3_N6thrust23THRUST_200600_302600_NS6detail15normal_iteratorINS8_10device_ptrIiEEEESD_jNS1_19radix_merge_compareILb1ELb1EiNS0_19identity_decomposerEEEEE10hipError_tT0_T1_T2_jT3_P12ihipStream_tbPNSt15iterator_traitsISI_E10value_typeEPNSO_ISJ_E10value_typeEPSK_NS1_7vsmem_tEENKUlT_SI_SJ_SK_E_clIPiSD_S10_SD_EESH_SX_SI_SJ_SK_EUlSX_E1_NS1_11comp_targetILNS1_3genE10ELNS1_11target_archE1201ELNS1_3gpuE5ELNS1_3repE0EEENS1_36merge_oddeven_config_static_selectorELNS0_4arch9wavefront6targetE1EEEvSJ_
		.amdhsa_group_segment_fixed_size 0
		.amdhsa_private_segment_fixed_size 0
		.amdhsa_kernarg_size 48
		.amdhsa_user_sgpr_count 2
		.amdhsa_user_sgpr_dispatch_ptr 0
		.amdhsa_user_sgpr_queue_ptr 0
		.amdhsa_user_sgpr_kernarg_segment_ptr 1
		.amdhsa_user_sgpr_dispatch_id 0
		.amdhsa_user_sgpr_kernarg_preload_length 0
		.amdhsa_user_sgpr_kernarg_preload_offset 0
		.amdhsa_user_sgpr_private_segment_size 0
		.amdhsa_uses_dynamic_stack 0
		.amdhsa_enable_private_segment 0
		.amdhsa_system_sgpr_workgroup_id_x 1
		.amdhsa_system_sgpr_workgroup_id_y 0
		.amdhsa_system_sgpr_workgroup_id_z 0
		.amdhsa_system_sgpr_workgroup_info 0
		.amdhsa_system_vgpr_workitem_id 0
		.amdhsa_next_free_vgpr 1
		.amdhsa_next_free_sgpr 0
		.amdhsa_accum_offset 4
		.amdhsa_reserve_vcc 0
		.amdhsa_float_round_mode_32 0
		.amdhsa_float_round_mode_16_64 0
		.amdhsa_float_denorm_mode_32 3
		.amdhsa_float_denorm_mode_16_64 3
		.amdhsa_dx10_clamp 1
		.amdhsa_ieee_mode 1
		.amdhsa_fp16_overflow 0
		.amdhsa_tg_split 0
		.amdhsa_exception_fp_ieee_invalid_op 0
		.amdhsa_exception_fp_denorm_src 0
		.amdhsa_exception_fp_ieee_div_zero 0
		.amdhsa_exception_fp_ieee_overflow 0
		.amdhsa_exception_fp_ieee_underflow 0
		.amdhsa_exception_fp_ieee_inexact 0
		.amdhsa_exception_int_div_zero 0
	.end_amdhsa_kernel
	.section	.text._ZN7rocprim17ROCPRIM_400000_NS6detail17trampoline_kernelINS0_14default_configENS1_38merge_sort_block_merge_config_selectorIiiEEZZNS1_27merge_sort_block_merge_implIS3_N6thrust23THRUST_200600_302600_NS6detail15normal_iteratorINS8_10device_ptrIiEEEESD_jNS1_19radix_merge_compareILb1ELb1EiNS0_19identity_decomposerEEEEE10hipError_tT0_T1_T2_jT3_P12ihipStream_tbPNSt15iterator_traitsISI_E10value_typeEPNSO_ISJ_E10value_typeEPSK_NS1_7vsmem_tEENKUlT_SI_SJ_SK_E_clIPiSD_S10_SD_EESH_SX_SI_SJ_SK_EUlSX_E1_NS1_11comp_targetILNS1_3genE10ELNS1_11target_archE1201ELNS1_3gpuE5ELNS1_3repE0EEENS1_36merge_oddeven_config_static_selectorELNS0_4arch9wavefront6targetE1EEEvSJ_,"axG",@progbits,_ZN7rocprim17ROCPRIM_400000_NS6detail17trampoline_kernelINS0_14default_configENS1_38merge_sort_block_merge_config_selectorIiiEEZZNS1_27merge_sort_block_merge_implIS3_N6thrust23THRUST_200600_302600_NS6detail15normal_iteratorINS8_10device_ptrIiEEEESD_jNS1_19radix_merge_compareILb1ELb1EiNS0_19identity_decomposerEEEEE10hipError_tT0_T1_T2_jT3_P12ihipStream_tbPNSt15iterator_traitsISI_E10value_typeEPNSO_ISJ_E10value_typeEPSK_NS1_7vsmem_tEENKUlT_SI_SJ_SK_E_clIPiSD_S10_SD_EESH_SX_SI_SJ_SK_EUlSX_E1_NS1_11comp_targetILNS1_3genE10ELNS1_11target_archE1201ELNS1_3gpuE5ELNS1_3repE0EEENS1_36merge_oddeven_config_static_selectorELNS0_4arch9wavefront6targetE1EEEvSJ_,comdat
.Lfunc_end950:
	.size	_ZN7rocprim17ROCPRIM_400000_NS6detail17trampoline_kernelINS0_14default_configENS1_38merge_sort_block_merge_config_selectorIiiEEZZNS1_27merge_sort_block_merge_implIS3_N6thrust23THRUST_200600_302600_NS6detail15normal_iteratorINS8_10device_ptrIiEEEESD_jNS1_19radix_merge_compareILb1ELb1EiNS0_19identity_decomposerEEEEE10hipError_tT0_T1_T2_jT3_P12ihipStream_tbPNSt15iterator_traitsISI_E10value_typeEPNSO_ISJ_E10value_typeEPSK_NS1_7vsmem_tEENKUlT_SI_SJ_SK_E_clIPiSD_S10_SD_EESH_SX_SI_SJ_SK_EUlSX_E1_NS1_11comp_targetILNS1_3genE10ELNS1_11target_archE1201ELNS1_3gpuE5ELNS1_3repE0EEENS1_36merge_oddeven_config_static_selectorELNS0_4arch9wavefront6targetE1EEEvSJ_, .Lfunc_end950-_ZN7rocprim17ROCPRIM_400000_NS6detail17trampoline_kernelINS0_14default_configENS1_38merge_sort_block_merge_config_selectorIiiEEZZNS1_27merge_sort_block_merge_implIS3_N6thrust23THRUST_200600_302600_NS6detail15normal_iteratorINS8_10device_ptrIiEEEESD_jNS1_19radix_merge_compareILb1ELb1EiNS0_19identity_decomposerEEEEE10hipError_tT0_T1_T2_jT3_P12ihipStream_tbPNSt15iterator_traitsISI_E10value_typeEPNSO_ISJ_E10value_typeEPSK_NS1_7vsmem_tEENKUlT_SI_SJ_SK_E_clIPiSD_S10_SD_EESH_SX_SI_SJ_SK_EUlSX_E1_NS1_11comp_targetILNS1_3genE10ELNS1_11target_archE1201ELNS1_3gpuE5ELNS1_3repE0EEENS1_36merge_oddeven_config_static_selectorELNS0_4arch9wavefront6targetE1EEEvSJ_
                                        ; -- End function
	.set _ZN7rocprim17ROCPRIM_400000_NS6detail17trampoline_kernelINS0_14default_configENS1_38merge_sort_block_merge_config_selectorIiiEEZZNS1_27merge_sort_block_merge_implIS3_N6thrust23THRUST_200600_302600_NS6detail15normal_iteratorINS8_10device_ptrIiEEEESD_jNS1_19radix_merge_compareILb1ELb1EiNS0_19identity_decomposerEEEEE10hipError_tT0_T1_T2_jT3_P12ihipStream_tbPNSt15iterator_traitsISI_E10value_typeEPNSO_ISJ_E10value_typeEPSK_NS1_7vsmem_tEENKUlT_SI_SJ_SK_E_clIPiSD_S10_SD_EESH_SX_SI_SJ_SK_EUlSX_E1_NS1_11comp_targetILNS1_3genE10ELNS1_11target_archE1201ELNS1_3gpuE5ELNS1_3repE0EEENS1_36merge_oddeven_config_static_selectorELNS0_4arch9wavefront6targetE1EEEvSJ_.num_vgpr, 0
	.set _ZN7rocprim17ROCPRIM_400000_NS6detail17trampoline_kernelINS0_14default_configENS1_38merge_sort_block_merge_config_selectorIiiEEZZNS1_27merge_sort_block_merge_implIS3_N6thrust23THRUST_200600_302600_NS6detail15normal_iteratorINS8_10device_ptrIiEEEESD_jNS1_19radix_merge_compareILb1ELb1EiNS0_19identity_decomposerEEEEE10hipError_tT0_T1_T2_jT3_P12ihipStream_tbPNSt15iterator_traitsISI_E10value_typeEPNSO_ISJ_E10value_typeEPSK_NS1_7vsmem_tEENKUlT_SI_SJ_SK_E_clIPiSD_S10_SD_EESH_SX_SI_SJ_SK_EUlSX_E1_NS1_11comp_targetILNS1_3genE10ELNS1_11target_archE1201ELNS1_3gpuE5ELNS1_3repE0EEENS1_36merge_oddeven_config_static_selectorELNS0_4arch9wavefront6targetE1EEEvSJ_.num_agpr, 0
	.set _ZN7rocprim17ROCPRIM_400000_NS6detail17trampoline_kernelINS0_14default_configENS1_38merge_sort_block_merge_config_selectorIiiEEZZNS1_27merge_sort_block_merge_implIS3_N6thrust23THRUST_200600_302600_NS6detail15normal_iteratorINS8_10device_ptrIiEEEESD_jNS1_19radix_merge_compareILb1ELb1EiNS0_19identity_decomposerEEEEE10hipError_tT0_T1_T2_jT3_P12ihipStream_tbPNSt15iterator_traitsISI_E10value_typeEPNSO_ISJ_E10value_typeEPSK_NS1_7vsmem_tEENKUlT_SI_SJ_SK_E_clIPiSD_S10_SD_EESH_SX_SI_SJ_SK_EUlSX_E1_NS1_11comp_targetILNS1_3genE10ELNS1_11target_archE1201ELNS1_3gpuE5ELNS1_3repE0EEENS1_36merge_oddeven_config_static_selectorELNS0_4arch9wavefront6targetE1EEEvSJ_.numbered_sgpr, 0
	.set _ZN7rocprim17ROCPRIM_400000_NS6detail17trampoline_kernelINS0_14default_configENS1_38merge_sort_block_merge_config_selectorIiiEEZZNS1_27merge_sort_block_merge_implIS3_N6thrust23THRUST_200600_302600_NS6detail15normal_iteratorINS8_10device_ptrIiEEEESD_jNS1_19radix_merge_compareILb1ELb1EiNS0_19identity_decomposerEEEEE10hipError_tT0_T1_T2_jT3_P12ihipStream_tbPNSt15iterator_traitsISI_E10value_typeEPNSO_ISJ_E10value_typeEPSK_NS1_7vsmem_tEENKUlT_SI_SJ_SK_E_clIPiSD_S10_SD_EESH_SX_SI_SJ_SK_EUlSX_E1_NS1_11comp_targetILNS1_3genE10ELNS1_11target_archE1201ELNS1_3gpuE5ELNS1_3repE0EEENS1_36merge_oddeven_config_static_selectorELNS0_4arch9wavefront6targetE1EEEvSJ_.num_named_barrier, 0
	.set _ZN7rocprim17ROCPRIM_400000_NS6detail17trampoline_kernelINS0_14default_configENS1_38merge_sort_block_merge_config_selectorIiiEEZZNS1_27merge_sort_block_merge_implIS3_N6thrust23THRUST_200600_302600_NS6detail15normal_iteratorINS8_10device_ptrIiEEEESD_jNS1_19radix_merge_compareILb1ELb1EiNS0_19identity_decomposerEEEEE10hipError_tT0_T1_T2_jT3_P12ihipStream_tbPNSt15iterator_traitsISI_E10value_typeEPNSO_ISJ_E10value_typeEPSK_NS1_7vsmem_tEENKUlT_SI_SJ_SK_E_clIPiSD_S10_SD_EESH_SX_SI_SJ_SK_EUlSX_E1_NS1_11comp_targetILNS1_3genE10ELNS1_11target_archE1201ELNS1_3gpuE5ELNS1_3repE0EEENS1_36merge_oddeven_config_static_selectorELNS0_4arch9wavefront6targetE1EEEvSJ_.private_seg_size, 0
	.set _ZN7rocprim17ROCPRIM_400000_NS6detail17trampoline_kernelINS0_14default_configENS1_38merge_sort_block_merge_config_selectorIiiEEZZNS1_27merge_sort_block_merge_implIS3_N6thrust23THRUST_200600_302600_NS6detail15normal_iteratorINS8_10device_ptrIiEEEESD_jNS1_19radix_merge_compareILb1ELb1EiNS0_19identity_decomposerEEEEE10hipError_tT0_T1_T2_jT3_P12ihipStream_tbPNSt15iterator_traitsISI_E10value_typeEPNSO_ISJ_E10value_typeEPSK_NS1_7vsmem_tEENKUlT_SI_SJ_SK_E_clIPiSD_S10_SD_EESH_SX_SI_SJ_SK_EUlSX_E1_NS1_11comp_targetILNS1_3genE10ELNS1_11target_archE1201ELNS1_3gpuE5ELNS1_3repE0EEENS1_36merge_oddeven_config_static_selectorELNS0_4arch9wavefront6targetE1EEEvSJ_.uses_vcc, 0
	.set _ZN7rocprim17ROCPRIM_400000_NS6detail17trampoline_kernelINS0_14default_configENS1_38merge_sort_block_merge_config_selectorIiiEEZZNS1_27merge_sort_block_merge_implIS3_N6thrust23THRUST_200600_302600_NS6detail15normal_iteratorINS8_10device_ptrIiEEEESD_jNS1_19radix_merge_compareILb1ELb1EiNS0_19identity_decomposerEEEEE10hipError_tT0_T1_T2_jT3_P12ihipStream_tbPNSt15iterator_traitsISI_E10value_typeEPNSO_ISJ_E10value_typeEPSK_NS1_7vsmem_tEENKUlT_SI_SJ_SK_E_clIPiSD_S10_SD_EESH_SX_SI_SJ_SK_EUlSX_E1_NS1_11comp_targetILNS1_3genE10ELNS1_11target_archE1201ELNS1_3gpuE5ELNS1_3repE0EEENS1_36merge_oddeven_config_static_selectorELNS0_4arch9wavefront6targetE1EEEvSJ_.uses_flat_scratch, 0
	.set _ZN7rocprim17ROCPRIM_400000_NS6detail17trampoline_kernelINS0_14default_configENS1_38merge_sort_block_merge_config_selectorIiiEEZZNS1_27merge_sort_block_merge_implIS3_N6thrust23THRUST_200600_302600_NS6detail15normal_iteratorINS8_10device_ptrIiEEEESD_jNS1_19radix_merge_compareILb1ELb1EiNS0_19identity_decomposerEEEEE10hipError_tT0_T1_T2_jT3_P12ihipStream_tbPNSt15iterator_traitsISI_E10value_typeEPNSO_ISJ_E10value_typeEPSK_NS1_7vsmem_tEENKUlT_SI_SJ_SK_E_clIPiSD_S10_SD_EESH_SX_SI_SJ_SK_EUlSX_E1_NS1_11comp_targetILNS1_3genE10ELNS1_11target_archE1201ELNS1_3gpuE5ELNS1_3repE0EEENS1_36merge_oddeven_config_static_selectorELNS0_4arch9wavefront6targetE1EEEvSJ_.has_dyn_sized_stack, 0
	.set _ZN7rocprim17ROCPRIM_400000_NS6detail17trampoline_kernelINS0_14default_configENS1_38merge_sort_block_merge_config_selectorIiiEEZZNS1_27merge_sort_block_merge_implIS3_N6thrust23THRUST_200600_302600_NS6detail15normal_iteratorINS8_10device_ptrIiEEEESD_jNS1_19radix_merge_compareILb1ELb1EiNS0_19identity_decomposerEEEEE10hipError_tT0_T1_T2_jT3_P12ihipStream_tbPNSt15iterator_traitsISI_E10value_typeEPNSO_ISJ_E10value_typeEPSK_NS1_7vsmem_tEENKUlT_SI_SJ_SK_E_clIPiSD_S10_SD_EESH_SX_SI_SJ_SK_EUlSX_E1_NS1_11comp_targetILNS1_3genE10ELNS1_11target_archE1201ELNS1_3gpuE5ELNS1_3repE0EEENS1_36merge_oddeven_config_static_selectorELNS0_4arch9wavefront6targetE1EEEvSJ_.has_recursion, 0
	.set _ZN7rocprim17ROCPRIM_400000_NS6detail17trampoline_kernelINS0_14default_configENS1_38merge_sort_block_merge_config_selectorIiiEEZZNS1_27merge_sort_block_merge_implIS3_N6thrust23THRUST_200600_302600_NS6detail15normal_iteratorINS8_10device_ptrIiEEEESD_jNS1_19radix_merge_compareILb1ELb1EiNS0_19identity_decomposerEEEEE10hipError_tT0_T1_T2_jT3_P12ihipStream_tbPNSt15iterator_traitsISI_E10value_typeEPNSO_ISJ_E10value_typeEPSK_NS1_7vsmem_tEENKUlT_SI_SJ_SK_E_clIPiSD_S10_SD_EESH_SX_SI_SJ_SK_EUlSX_E1_NS1_11comp_targetILNS1_3genE10ELNS1_11target_archE1201ELNS1_3gpuE5ELNS1_3repE0EEENS1_36merge_oddeven_config_static_selectorELNS0_4arch9wavefront6targetE1EEEvSJ_.has_indirect_call, 0
	.section	.AMDGPU.csdata,"",@progbits
; Kernel info:
; codeLenInByte = 0
; TotalNumSgprs: 6
; NumVgprs: 0
; NumAgprs: 0
; TotalNumVgprs: 0
; ScratchSize: 0
; MemoryBound: 0
; FloatMode: 240
; IeeeMode: 1
; LDSByteSize: 0 bytes/workgroup (compile time only)
; SGPRBlocks: 0
; VGPRBlocks: 0
; NumSGPRsForWavesPerEU: 6
; NumVGPRsForWavesPerEU: 1
; AccumOffset: 4
; Occupancy: 8
; WaveLimiterHint : 0
; COMPUTE_PGM_RSRC2:SCRATCH_EN: 0
; COMPUTE_PGM_RSRC2:USER_SGPR: 2
; COMPUTE_PGM_RSRC2:TRAP_HANDLER: 0
; COMPUTE_PGM_RSRC2:TGID_X_EN: 1
; COMPUTE_PGM_RSRC2:TGID_Y_EN: 0
; COMPUTE_PGM_RSRC2:TGID_Z_EN: 0
; COMPUTE_PGM_RSRC2:TIDIG_COMP_CNT: 0
; COMPUTE_PGM_RSRC3_GFX90A:ACCUM_OFFSET: 0
; COMPUTE_PGM_RSRC3_GFX90A:TG_SPLIT: 0
	.section	.text._ZN7rocprim17ROCPRIM_400000_NS6detail17trampoline_kernelINS0_14default_configENS1_38merge_sort_block_merge_config_selectorIiiEEZZNS1_27merge_sort_block_merge_implIS3_N6thrust23THRUST_200600_302600_NS6detail15normal_iteratorINS8_10device_ptrIiEEEESD_jNS1_19radix_merge_compareILb1ELb1EiNS0_19identity_decomposerEEEEE10hipError_tT0_T1_T2_jT3_P12ihipStream_tbPNSt15iterator_traitsISI_E10value_typeEPNSO_ISJ_E10value_typeEPSK_NS1_7vsmem_tEENKUlT_SI_SJ_SK_E_clIPiSD_S10_SD_EESH_SX_SI_SJ_SK_EUlSX_E1_NS1_11comp_targetILNS1_3genE5ELNS1_11target_archE942ELNS1_3gpuE9ELNS1_3repE0EEENS1_36merge_oddeven_config_static_selectorELNS0_4arch9wavefront6targetE1EEEvSJ_,"axG",@progbits,_ZN7rocprim17ROCPRIM_400000_NS6detail17trampoline_kernelINS0_14default_configENS1_38merge_sort_block_merge_config_selectorIiiEEZZNS1_27merge_sort_block_merge_implIS3_N6thrust23THRUST_200600_302600_NS6detail15normal_iteratorINS8_10device_ptrIiEEEESD_jNS1_19radix_merge_compareILb1ELb1EiNS0_19identity_decomposerEEEEE10hipError_tT0_T1_T2_jT3_P12ihipStream_tbPNSt15iterator_traitsISI_E10value_typeEPNSO_ISJ_E10value_typeEPSK_NS1_7vsmem_tEENKUlT_SI_SJ_SK_E_clIPiSD_S10_SD_EESH_SX_SI_SJ_SK_EUlSX_E1_NS1_11comp_targetILNS1_3genE5ELNS1_11target_archE942ELNS1_3gpuE9ELNS1_3repE0EEENS1_36merge_oddeven_config_static_selectorELNS0_4arch9wavefront6targetE1EEEvSJ_,comdat
	.protected	_ZN7rocprim17ROCPRIM_400000_NS6detail17trampoline_kernelINS0_14default_configENS1_38merge_sort_block_merge_config_selectorIiiEEZZNS1_27merge_sort_block_merge_implIS3_N6thrust23THRUST_200600_302600_NS6detail15normal_iteratorINS8_10device_ptrIiEEEESD_jNS1_19radix_merge_compareILb1ELb1EiNS0_19identity_decomposerEEEEE10hipError_tT0_T1_T2_jT3_P12ihipStream_tbPNSt15iterator_traitsISI_E10value_typeEPNSO_ISJ_E10value_typeEPSK_NS1_7vsmem_tEENKUlT_SI_SJ_SK_E_clIPiSD_S10_SD_EESH_SX_SI_SJ_SK_EUlSX_E1_NS1_11comp_targetILNS1_3genE5ELNS1_11target_archE942ELNS1_3gpuE9ELNS1_3repE0EEENS1_36merge_oddeven_config_static_selectorELNS0_4arch9wavefront6targetE1EEEvSJ_ ; -- Begin function _ZN7rocprim17ROCPRIM_400000_NS6detail17trampoline_kernelINS0_14default_configENS1_38merge_sort_block_merge_config_selectorIiiEEZZNS1_27merge_sort_block_merge_implIS3_N6thrust23THRUST_200600_302600_NS6detail15normal_iteratorINS8_10device_ptrIiEEEESD_jNS1_19radix_merge_compareILb1ELb1EiNS0_19identity_decomposerEEEEE10hipError_tT0_T1_T2_jT3_P12ihipStream_tbPNSt15iterator_traitsISI_E10value_typeEPNSO_ISJ_E10value_typeEPSK_NS1_7vsmem_tEENKUlT_SI_SJ_SK_E_clIPiSD_S10_SD_EESH_SX_SI_SJ_SK_EUlSX_E1_NS1_11comp_targetILNS1_3genE5ELNS1_11target_archE942ELNS1_3gpuE9ELNS1_3repE0EEENS1_36merge_oddeven_config_static_selectorELNS0_4arch9wavefront6targetE1EEEvSJ_
	.globl	_ZN7rocprim17ROCPRIM_400000_NS6detail17trampoline_kernelINS0_14default_configENS1_38merge_sort_block_merge_config_selectorIiiEEZZNS1_27merge_sort_block_merge_implIS3_N6thrust23THRUST_200600_302600_NS6detail15normal_iteratorINS8_10device_ptrIiEEEESD_jNS1_19radix_merge_compareILb1ELb1EiNS0_19identity_decomposerEEEEE10hipError_tT0_T1_T2_jT3_P12ihipStream_tbPNSt15iterator_traitsISI_E10value_typeEPNSO_ISJ_E10value_typeEPSK_NS1_7vsmem_tEENKUlT_SI_SJ_SK_E_clIPiSD_S10_SD_EESH_SX_SI_SJ_SK_EUlSX_E1_NS1_11comp_targetILNS1_3genE5ELNS1_11target_archE942ELNS1_3gpuE9ELNS1_3repE0EEENS1_36merge_oddeven_config_static_selectorELNS0_4arch9wavefront6targetE1EEEvSJ_
	.p2align	8
	.type	_ZN7rocprim17ROCPRIM_400000_NS6detail17trampoline_kernelINS0_14default_configENS1_38merge_sort_block_merge_config_selectorIiiEEZZNS1_27merge_sort_block_merge_implIS3_N6thrust23THRUST_200600_302600_NS6detail15normal_iteratorINS8_10device_ptrIiEEEESD_jNS1_19radix_merge_compareILb1ELb1EiNS0_19identity_decomposerEEEEE10hipError_tT0_T1_T2_jT3_P12ihipStream_tbPNSt15iterator_traitsISI_E10value_typeEPNSO_ISJ_E10value_typeEPSK_NS1_7vsmem_tEENKUlT_SI_SJ_SK_E_clIPiSD_S10_SD_EESH_SX_SI_SJ_SK_EUlSX_E1_NS1_11comp_targetILNS1_3genE5ELNS1_11target_archE942ELNS1_3gpuE9ELNS1_3repE0EEENS1_36merge_oddeven_config_static_selectorELNS0_4arch9wavefront6targetE1EEEvSJ_,@function
_ZN7rocprim17ROCPRIM_400000_NS6detail17trampoline_kernelINS0_14default_configENS1_38merge_sort_block_merge_config_selectorIiiEEZZNS1_27merge_sort_block_merge_implIS3_N6thrust23THRUST_200600_302600_NS6detail15normal_iteratorINS8_10device_ptrIiEEEESD_jNS1_19radix_merge_compareILb1ELb1EiNS0_19identity_decomposerEEEEE10hipError_tT0_T1_T2_jT3_P12ihipStream_tbPNSt15iterator_traitsISI_E10value_typeEPNSO_ISJ_E10value_typeEPSK_NS1_7vsmem_tEENKUlT_SI_SJ_SK_E_clIPiSD_S10_SD_EESH_SX_SI_SJ_SK_EUlSX_E1_NS1_11comp_targetILNS1_3genE5ELNS1_11target_archE942ELNS1_3gpuE9ELNS1_3repE0EEENS1_36merge_oddeven_config_static_selectorELNS0_4arch9wavefront6targetE1EEEvSJ_: ; @_ZN7rocprim17ROCPRIM_400000_NS6detail17trampoline_kernelINS0_14default_configENS1_38merge_sort_block_merge_config_selectorIiiEEZZNS1_27merge_sort_block_merge_implIS3_N6thrust23THRUST_200600_302600_NS6detail15normal_iteratorINS8_10device_ptrIiEEEESD_jNS1_19radix_merge_compareILb1ELb1EiNS0_19identity_decomposerEEEEE10hipError_tT0_T1_T2_jT3_P12ihipStream_tbPNSt15iterator_traitsISI_E10value_typeEPNSO_ISJ_E10value_typeEPSK_NS1_7vsmem_tEENKUlT_SI_SJ_SK_E_clIPiSD_S10_SD_EESH_SX_SI_SJ_SK_EUlSX_E1_NS1_11comp_targetILNS1_3genE5ELNS1_11target_archE942ELNS1_3gpuE9ELNS1_3repE0EEENS1_36merge_oddeven_config_static_selectorELNS0_4arch9wavefront6targetE1EEEvSJ_
; %bb.0:
	.section	.rodata,"a",@progbits
	.p2align	6, 0x0
	.amdhsa_kernel _ZN7rocprim17ROCPRIM_400000_NS6detail17trampoline_kernelINS0_14default_configENS1_38merge_sort_block_merge_config_selectorIiiEEZZNS1_27merge_sort_block_merge_implIS3_N6thrust23THRUST_200600_302600_NS6detail15normal_iteratorINS8_10device_ptrIiEEEESD_jNS1_19radix_merge_compareILb1ELb1EiNS0_19identity_decomposerEEEEE10hipError_tT0_T1_T2_jT3_P12ihipStream_tbPNSt15iterator_traitsISI_E10value_typeEPNSO_ISJ_E10value_typeEPSK_NS1_7vsmem_tEENKUlT_SI_SJ_SK_E_clIPiSD_S10_SD_EESH_SX_SI_SJ_SK_EUlSX_E1_NS1_11comp_targetILNS1_3genE5ELNS1_11target_archE942ELNS1_3gpuE9ELNS1_3repE0EEENS1_36merge_oddeven_config_static_selectorELNS0_4arch9wavefront6targetE1EEEvSJ_
		.amdhsa_group_segment_fixed_size 0
		.amdhsa_private_segment_fixed_size 0
		.amdhsa_kernarg_size 48
		.amdhsa_user_sgpr_count 2
		.amdhsa_user_sgpr_dispatch_ptr 0
		.amdhsa_user_sgpr_queue_ptr 0
		.amdhsa_user_sgpr_kernarg_segment_ptr 1
		.amdhsa_user_sgpr_dispatch_id 0
		.amdhsa_user_sgpr_kernarg_preload_length 0
		.amdhsa_user_sgpr_kernarg_preload_offset 0
		.amdhsa_user_sgpr_private_segment_size 0
		.amdhsa_uses_dynamic_stack 0
		.amdhsa_enable_private_segment 0
		.amdhsa_system_sgpr_workgroup_id_x 1
		.amdhsa_system_sgpr_workgroup_id_y 0
		.amdhsa_system_sgpr_workgroup_id_z 0
		.amdhsa_system_sgpr_workgroup_info 0
		.amdhsa_system_vgpr_workitem_id 0
		.amdhsa_next_free_vgpr 1
		.amdhsa_next_free_sgpr 0
		.amdhsa_accum_offset 4
		.amdhsa_reserve_vcc 0
		.amdhsa_float_round_mode_32 0
		.amdhsa_float_round_mode_16_64 0
		.amdhsa_float_denorm_mode_32 3
		.amdhsa_float_denorm_mode_16_64 3
		.amdhsa_dx10_clamp 1
		.amdhsa_ieee_mode 1
		.amdhsa_fp16_overflow 0
		.amdhsa_tg_split 0
		.amdhsa_exception_fp_ieee_invalid_op 0
		.amdhsa_exception_fp_denorm_src 0
		.amdhsa_exception_fp_ieee_div_zero 0
		.amdhsa_exception_fp_ieee_overflow 0
		.amdhsa_exception_fp_ieee_underflow 0
		.amdhsa_exception_fp_ieee_inexact 0
		.amdhsa_exception_int_div_zero 0
	.end_amdhsa_kernel
	.section	.text._ZN7rocprim17ROCPRIM_400000_NS6detail17trampoline_kernelINS0_14default_configENS1_38merge_sort_block_merge_config_selectorIiiEEZZNS1_27merge_sort_block_merge_implIS3_N6thrust23THRUST_200600_302600_NS6detail15normal_iteratorINS8_10device_ptrIiEEEESD_jNS1_19radix_merge_compareILb1ELb1EiNS0_19identity_decomposerEEEEE10hipError_tT0_T1_T2_jT3_P12ihipStream_tbPNSt15iterator_traitsISI_E10value_typeEPNSO_ISJ_E10value_typeEPSK_NS1_7vsmem_tEENKUlT_SI_SJ_SK_E_clIPiSD_S10_SD_EESH_SX_SI_SJ_SK_EUlSX_E1_NS1_11comp_targetILNS1_3genE5ELNS1_11target_archE942ELNS1_3gpuE9ELNS1_3repE0EEENS1_36merge_oddeven_config_static_selectorELNS0_4arch9wavefront6targetE1EEEvSJ_,"axG",@progbits,_ZN7rocprim17ROCPRIM_400000_NS6detail17trampoline_kernelINS0_14default_configENS1_38merge_sort_block_merge_config_selectorIiiEEZZNS1_27merge_sort_block_merge_implIS3_N6thrust23THRUST_200600_302600_NS6detail15normal_iteratorINS8_10device_ptrIiEEEESD_jNS1_19radix_merge_compareILb1ELb1EiNS0_19identity_decomposerEEEEE10hipError_tT0_T1_T2_jT3_P12ihipStream_tbPNSt15iterator_traitsISI_E10value_typeEPNSO_ISJ_E10value_typeEPSK_NS1_7vsmem_tEENKUlT_SI_SJ_SK_E_clIPiSD_S10_SD_EESH_SX_SI_SJ_SK_EUlSX_E1_NS1_11comp_targetILNS1_3genE5ELNS1_11target_archE942ELNS1_3gpuE9ELNS1_3repE0EEENS1_36merge_oddeven_config_static_selectorELNS0_4arch9wavefront6targetE1EEEvSJ_,comdat
.Lfunc_end951:
	.size	_ZN7rocprim17ROCPRIM_400000_NS6detail17trampoline_kernelINS0_14default_configENS1_38merge_sort_block_merge_config_selectorIiiEEZZNS1_27merge_sort_block_merge_implIS3_N6thrust23THRUST_200600_302600_NS6detail15normal_iteratorINS8_10device_ptrIiEEEESD_jNS1_19radix_merge_compareILb1ELb1EiNS0_19identity_decomposerEEEEE10hipError_tT0_T1_T2_jT3_P12ihipStream_tbPNSt15iterator_traitsISI_E10value_typeEPNSO_ISJ_E10value_typeEPSK_NS1_7vsmem_tEENKUlT_SI_SJ_SK_E_clIPiSD_S10_SD_EESH_SX_SI_SJ_SK_EUlSX_E1_NS1_11comp_targetILNS1_3genE5ELNS1_11target_archE942ELNS1_3gpuE9ELNS1_3repE0EEENS1_36merge_oddeven_config_static_selectorELNS0_4arch9wavefront6targetE1EEEvSJ_, .Lfunc_end951-_ZN7rocprim17ROCPRIM_400000_NS6detail17trampoline_kernelINS0_14default_configENS1_38merge_sort_block_merge_config_selectorIiiEEZZNS1_27merge_sort_block_merge_implIS3_N6thrust23THRUST_200600_302600_NS6detail15normal_iteratorINS8_10device_ptrIiEEEESD_jNS1_19radix_merge_compareILb1ELb1EiNS0_19identity_decomposerEEEEE10hipError_tT0_T1_T2_jT3_P12ihipStream_tbPNSt15iterator_traitsISI_E10value_typeEPNSO_ISJ_E10value_typeEPSK_NS1_7vsmem_tEENKUlT_SI_SJ_SK_E_clIPiSD_S10_SD_EESH_SX_SI_SJ_SK_EUlSX_E1_NS1_11comp_targetILNS1_3genE5ELNS1_11target_archE942ELNS1_3gpuE9ELNS1_3repE0EEENS1_36merge_oddeven_config_static_selectorELNS0_4arch9wavefront6targetE1EEEvSJ_
                                        ; -- End function
	.set _ZN7rocprim17ROCPRIM_400000_NS6detail17trampoline_kernelINS0_14default_configENS1_38merge_sort_block_merge_config_selectorIiiEEZZNS1_27merge_sort_block_merge_implIS3_N6thrust23THRUST_200600_302600_NS6detail15normal_iteratorINS8_10device_ptrIiEEEESD_jNS1_19radix_merge_compareILb1ELb1EiNS0_19identity_decomposerEEEEE10hipError_tT0_T1_T2_jT3_P12ihipStream_tbPNSt15iterator_traitsISI_E10value_typeEPNSO_ISJ_E10value_typeEPSK_NS1_7vsmem_tEENKUlT_SI_SJ_SK_E_clIPiSD_S10_SD_EESH_SX_SI_SJ_SK_EUlSX_E1_NS1_11comp_targetILNS1_3genE5ELNS1_11target_archE942ELNS1_3gpuE9ELNS1_3repE0EEENS1_36merge_oddeven_config_static_selectorELNS0_4arch9wavefront6targetE1EEEvSJ_.num_vgpr, 0
	.set _ZN7rocprim17ROCPRIM_400000_NS6detail17trampoline_kernelINS0_14default_configENS1_38merge_sort_block_merge_config_selectorIiiEEZZNS1_27merge_sort_block_merge_implIS3_N6thrust23THRUST_200600_302600_NS6detail15normal_iteratorINS8_10device_ptrIiEEEESD_jNS1_19radix_merge_compareILb1ELb1EiNS0_19identity_decomposerEEEEE10hipError_tT0_T1_T2_jT3_P12ihipStream_tbPNSt15iterator_traitsISI_E10value_typeEPNSO_ISJ_E10value_typeEPSK_NS1_7vsmem_tEENKUlT_SI_SJ_SK_E_clIPiSD_S10_SD_EESH_SX_SI_SJ_SK_EUlSX_E1_NS1_11comp_targetILNS1_3genE5ELNS1_11target_archE942ELNS1_3gpuE9ELNS1_3repE0EEENS1_36merge_oddeven_config_static_selectorELNS0_4arch9wavefront6targetE1EEEvSJ_.num_agpr, 0
	.set _ZN7rocprim17ROCPRIM_400000_NS6detail17trampoline_kernelINS0_14default_configENS1_38merge_sort_block_merge_config_selectorIiiEEZZNS1_27merge_sort_block_merge_implIS3_N6thrust23THRUST_200600_302600_NS6detail15normal_iteratorINS8_10device_ptrIiEEEESD_jNS1_19radix_merge_compareILb1ELb1EiNS0_19identity_decomposerEEEEE10hipError_tT0_T1_T2_jT3_P12ihipStream_tbPNSt15iterator_traitsISI_E10value_typeEPNSO_ISJ_E10value_typeEPSK_NS1_7vsmem_tEENKUlT_SI_SJ_SK_E_clIPiSD_S10_SD_EESH_SX_SI_SJ_SK_EUlSX_E1_NS1_11comp_targetILNS1_3genE5ELNS1_11target_archE942ELNS1_3gpuE9ELNS1_3repE0EEENS1_36merge_oddeven_config_static_selectorELNS0_4arch9wavefront6targetE1EEEvSJ_.numbered_sgpr, 0
	.set _ZN7rocprim17ROCPRIM_400000_NS6detail17trampoline_kernelINS0_14default_configENS1_38merge_sort_block_merge_config_selectorIiiEEZZNS1_27merge_sort_block_merge_implIS3_N6thrust23THRUST_200600_302600_NS6detail15normal_iteratorINS8_10device_ptrIiEEEESD_jNS1_19radix_merge_compareILb1ELb1EiNS0_19identity_decomposerEEEEE10hipError_tT0_T1_T2_jT3_P12ihipStream_tbPNSt15iterator_traitsISI_E10value_typeEPNSO_ISJ_E10value_typeEPSK_NS1_7vsmem_tEENKUlT_SI_SJ_SK_E_clIPiSD_S10_SD_EESH_SX_SI_SJ_SK_EUlSX_E1_NS1_11comp_targetILNS1_3genE5ELNS1_11target_archE942ELNS1_3gpuE9ELNS1_3repE0EEENS1_36merge_oddeven_config_static_selectorELNS0_4arch9wavefront6targetE1EEEvSJ_.num_named_barrier, 0
	.set _ZN7rocprim17ROCPRIM_400000_NS6detail17trampoline_kernelINS0_14default_configENS1_38merge_sort_block_merge_config_selectorIiiEEZZNS1_27merge_sort_block_merge_implIS3_N6thrust23THRUST_200600_302600_NS6detail15normal_iteratorINS8_10device_ptrIiEEEESD_jNS1_19radix_merge_compareILb1ELb1EiNS0_19identity_decomposerEEEEE10hipError_tT0_T1_T2_jT3_P12ihipStream_tbPNSt15iterator_traitsISI_E10value_typeEPNSO_ISJ_E10value_typeEPSK_NS1_7vsmem_tEENKUlT_SI_SJ_SK_E_clIPiSD_S10_SD_EESH_SX_SI_SJ_SK_EUlSX_E1_NS1_11comp_targetILNS1_3genE5ELNS1_11target_archE942ELNS1_3gpuE9ELNS1_3repE0EEENS1_36merge_oddeven_config_static_selectorELNS0_4arch9wavefront6targetE1EEEvSJ_.private_seg_size, 0
	.set _ZN7rocprim17ROCPRIM_400000_NS6detail17trampoline_kernelINS0_14default_configENS1_38merge_sort_block_merge_config_selectorIiiEEZZNS1_27merge_sort_block_merge_implIS3_N6thrust23THRUST_200600_302600_NS6detail15normal_iteratorINS8_10device_ptrIiEEEESD_jNS1_19radix_merge_compareILb1ELb1EiNS0_19identity_decomposerEEEEE10hipError_tT0_T1_T2_jT3_P12ihipStream_tbPNSt15iterator_traitsISI_E10value_typeEPNSO_ISJ_E10value_typeEPSK_NS1_7vsmem_tEENKUlT_SI_SJ_SK_E_clIPiSD_S10_SD_EESH_SX_SI_SJ_SK_EUlSX_E1_NS1_11comp_targetILNS1_3genE5ELNS1_11target_archE942ELNS1_3gpuE9ELNS1_3repE0EEENS1_36merge_oddeven_config_static_selectorELNS0_4arch9wavefront6targetE1EEEvSJ_.uses_vcc, 0
	.set _ZN7rocprim17ROCPRIM_400000_NS6detail17trampoline_kernelINS0_14default_configENS1_38merge_sort_block_merge_config_selectorIiiEEZZNS1_27merge_sort_block_merge_implIS3_N6thrust23THRUST_200600_302600_NS6detail15normal_iteratorINS8_10device_ptrIiEEEESD_jNS1_19radix_merge_compareILb1ELb1EiNS0_19identity_decomposerEEEEE10hipError_tT0_T1_T2_jT3_P12ihipStream_tbPNSt15iterator_traitsISI_E10value_typeEPNSO_ISJ_E10value_typeEPSK_NS1_7vsmem_tEENKUlT_SI_SJ_SK_E_clIPiSD_S10_SD_EESH_SX_SI_SJ_SK_EUlSX_E1_NS1_11comp_targetILNS1_3genE5ELNS1_11target_archE942ELNS1_3gpuE9ELNS1_3repE0EEENS1_36merge_oddeven_config_static_selectorELNS0_4arch9wavefront6targetE1EEEvSJ_.uses_flat_scratch, 0
	.set _ZN7rocprim17ROCPRIM_400000_NS6detail17trampoline_kernelINS0_14default_configENS1_38merge_sort_block_merge_config_selectorIiiEEZZNS1_27merge_sort_block_merge_implIS3_N6thrust23THRUST_200600_302600_NS6detail15normal_iteratorINS8_10device_ptrIiEEEESD_jNS1_19radix_merge_compareILb1ELb1EiNS0_19identity_decomposerEEEEE10hipError_tT0_T1_T2_jT3_P12ihipStream_tbPNSt15iterator_traitsISI_E10value_typeEPNSO_ISJ_E10value_typeEPSK_NS1_7vsmem_tEENKUlT_SI_SJ_SK_E_clIPiSD_S10_SD_EESH_SX_SI_SJ_SK_EUlSX_E1_NS1_11comp_targetILNS1_3genE5ELNS1_11target_archE942ELNS1_3gpuE9ELNS1_3repE0EEENS1_36merge_oddeven_config_static_selectorELNS0_4arch9wavefront6targetE1EEEvSJ_.has_dyn_sized_stack, 0
	.set _ZN7rocprim17ROCPRIM_400000_NS6detail17trampoline_kernelINS0_14default_configENS1_38merge_sort_block_merge_config_selectorIiiEEZZNS1_27merge_sort_block_merge_implIS3_N6thrust23THRUST_200600_302600_NS6detail15normal_iteratorINS8_10device_ptrIiEEEESD_jNS1_19radix_merge_compareILb1ELb1EiNS0_19identity_decomposerEEEEE10hipError_tT0_T1_T2_jT3_P12ihipStream_tbPNSt15iterator_traitsISI_E10value_typeEPNSO_ISJ_E10value_typeEPSK_NS1_7vsmem_tEENKUlT_SI_SJ_SK_E_clIPiSD_S10_SD_EESH_SX_SI_SJ_SK_EUlSX_E1_NS1_11comp_targetILNS1_3genE5ELNS1_11target_archE942ELNS1_3gpuE9ELNS1_3repE0EEENS1_36merge_oddeven_config_static_selectorELNS0_4arch9wavefront6targetE1EEEvSJ_.has_recursion, 0
	.set _ZN7rocprim17ROCPRIM_400000_NS6detail17trampoline_kernelINS0_14default_configENS1_38merge_sort_block_merge_config_selectorIiiEEZZNS1_27merge_sort_block_merge_implIS3_N6thrust23THRUST_200600_302600_NS6detail15normal_iteratorINS8_10device_ptrIiEEEESD_jNS1_19radix_merge_compareILb1ELb1EiNS0_19identity_decomposerEEEEE10hipError_tT0_T1_T2_jT3_P12ihipStream_tbPNSt15iterator_traitsISI_E10value_typeEPNSO_ISJ_E10value_typeEPSK_NS1_7vsmem_tEENKUlT_SI_SJ_SK_E_clIPiSD_S10_SD_EESH_SX_SI_SJ_SK_EUlSX_E1_NS1_11comp_targetILNS1_3genE5ELNS1_11target_archE942ELNS1_3gpuE9ELNS1_3repE0EEENS1_36merge_oddeven_config_static_selectorELNS0_4arch9wavefront6targetE1EEEvSJ_.has_indirect_call, 0
	.section	.AMDGPU.csdata,"",@progbits
; Kernel info:
; codeLenInByte = 0
; TotalNumSgprs: 6
; NumVgprs: 0
; NumAgprs: 0
; TotalNumVgprs: 0
; ScratchSize: 0
; MemoryBound: 0
; FloatMode: 240
; IeeeMode: 1
; LDSByteSize: 0 bytes/workgroup (compile time only)
; SGPRBlocks: 0
; VGPRBlocks: 0
; NumSGPRsForWavesPerEU: 6
; NumVGPRsForWavesPerEU: 1
; AccumOffset: 4
; Occupancy: 8
; WaveLimiterHint : 0
; COMPUTE_PGM_RSRC2:SCRATCH_EN: 0
; COMPUTE_PGM_RSRC2:USER_SGPR: 2
; COMPUTE_PGM_RSRC2:TRAP_HANDLER: 0
; COMPUTE_PGM_RSRC2:TGID_X_EN: 1
; COMPUTE_PGM_RSRC2:TGID_Y_EN: 0
; COMPUTE_PGM_RSRC2:TGID_Z_EN: 0
; COMPUTE_PGM_RSRC2:TIDIG_COMP_CNT: 0
; COMPUTE_PGM_RSRC3_GFX90A:ACCUM_OFFSET: 0
; COMPUTE_PGM_RSRC3_GFX90A:TG_SPLIT: 0
	.section	.text._ZN7rocprim17ROCPRIM_400000_NS6detail17trampoline_kernelINS0_14default_configENS1_38merge_sort_block_merge_config_selectorIiiEEZZNS1_27merge_sort_block_merge_implIS3_N6thrust23THRUST_200600_302600_NS6detail15normal_iteratorINS8_10device_ptrIiEEEESD_jNS1_19radix_merge_compareILb1ELb1EiNS0_19identity_decomposerEEEEE10hipError_tT0_T1_T2_jT3_P12ihipStream_tbPNSt15iterator_traitsISI_E10value_typeEPNSO_ISJ_E10value_typeEPSK_NS1_7vsmem_tEENKUlT_SI_SJ_SK_E_clIPiSD_S10_SD_EESH_SX_SI_SJ_SK_EUlSX_E1_NS1_11comp_targetILNS1_3genE4ELNS1_11target_archE910ELNS1_3gpuE8ELNS1_3repE0EEENS1_36merge_oddeven_config_static_selectorELNS0_4arch9wavefront6targetE1EEEvSJ_,"axG",@progbits,_ZN7rocprim17ROCPRIM_400000_NS6detail17trampoline_kernelINS0_14default_configENS1_38merge_sort_block_merge_config_selectorIiiEEZZNS1_27merge_sort_block_merge_implIS3_N6thrust23THRUST_200600_302600_NS6detail15normal_iteratorINS8_10device_ptrIiEEEESD_jNS1_19radix_merge_compareILb1ELb1EiNS0_19identity_decomposerEEEEE10hipError_tT0_T1_T2_jT3_P12ihipStream_tbPNSt15iterator_traitsISI_E10value_typeEPNSO_ISJ_E10value_typeEPSK_NS1_7vsmem_tEENKUlT_SI_SJ_SK_E_clIPiSD_S10_SD_EESH_SX_SI_SJ_SK_EUlSX_E1_NS1_11comp_targetILNS1_3genE4ELNS1_11target_archE910ELNS1_3gpuE8ELNS1_3repE0EEENS1_36merge_oddeven_config_static_selectorELNS0_4arch9wavefront6targetE1EEEvSJ_,comdat
	.protected	_ZN7rocprim17ROCPRIM_400000_NS6detail17trampoline_kernelINS0_14default_configENS1_38merge_sort_block_merge_config_selectorIiiEEZZNS1_27merge_sort_block_merge_implIS3_N6thrust23THRUST_200600_302600_NS6detail15normal_iteratorINS8_10device_ptrIiEEEESD_jNS1_19radix_merge_compareILb1ELb1EiNS0_19identity_decomposerEEEEE10hipError_tT0_T1_T2_jT3_P12ihipStream_tbPNSt15iterator_traitsISI_E10value_typeEPNSO_ISJ_E10value_typeEPSK_NS1_7vsmem_tEENKUlT_SI_SJ_SK_E_clIPiSD_S10_SD_EESH_SX_SI_SJ_SK_EUlSX_E1_NS1_11comp_targetILNS1_3genE4ELNS1_11target_archE910ELNS1_3gpuE8ELNS1_3repE0EEENS1_36merge_oddeven_config_static_selectorELNS0_4arch9wavefront6targetE1EEEvSJ_ ; -- Begin function _ZN7rocprim17ROCPRIM_400000_NS6detail17trampoline_kernelINS0_14default_configENS1_38merge_sort_block_merge_config_selectorIiiEEZZNS1_27merge_sort_block_merge_implIS3_N6thrust23THRUST_200600_302600_NS6detail15normal_iteratorINS8_10device_ptrIiEEEESD_jNS1_19radix_merge_compareILb1ELb1EiNS0_19identity_decomposerEEEEE10hipError_tT0_T1_T2_jT3_P12ihipStream_tbPNSt15iterator_traitsISI_E10value_typeEPNSO_ISJ_E10value_typeEPSK_NS1_7vsmem_tEENKUlT_SI_SJ_SK_E_clIPiSD_S10_SD_EESH_SX_SI_SJ_SK_EUlSX_E1_NS1_11comp_targetILNS1_3genE4ELNS1_11target_archE910ELNS1_3gpuE8ELNS1_3repE0EEENS1_36merge_oddeven_config_static_selectorELNS0_4arch9wavefront6targetE1EEEvSJ_
	.globl	_ZN7rocprim17ROCPRIM_400000_NS6detail17trampoline_kernelINS0_14default_configENS1_38merge_sort_block_merge_config_selectorIiiEEZZNS1_27merge_sort_block_merge_implIS3_N6thrust23THRUST_200600_302600_NS6detail15normal_iteratorINS8_10device_ptrIiEEEESD_jNS1_19radix_merge_compareILb1ELb1EiNS0_19identity_decomposerEEEEE10hipError_tT0_T1_T2_jT3_P12ihipStream_tbPNSt15iterator_traitsISI_E10value_typeEPNSO_ISJ_E10value_typeEPSK_NS1_7vsmem_tEENKUlT_SI_SJ_SK_E_clIPiSD_S10_SD_EESH_SX_SI_SJ_SK_EUlSX_E1_NS1_11comp_targetILNS1_3genE4ELNS1_11target_archE910ELNS1_3gpuE8ELNS1_3repE0EEENS1_36merge_oddeven_config_static_selectorELNS0_4arch9wavefront6targetE1EEEvSJ_
	.p2align	8
	.type	_ZN7rocprim17ROCPRIM_400000_NS6detail17trampoline_kernelINS0_14default_configENS1_38merge_sort_block_merge_config_selectorIiiEEZZNS1_27merge_sort_block_merge_implIS3_N6thrust23THRUST_200600_302600_NS6detail15normal_iteratorINS8_10device_ptrIiEEEESD_jNS1_19radix_merge_compareILb1ELb1EiNS0_19identity_decomposerEEEEE10hipError_tT0_T1_T2_jT3_P12ihipStream_tbPNSt15iterator_traitsISI_E10value_typeEPNSO_ISJ_E10value_typeEPSK_NS1_7vsmem_tEENKUlT_SI_SJ_SK_E_clIPiSD_S10_SD_EESH_SX_SI_SJ_SK_EUlSX_E1_NS1_11comp_targetILNS1_3genE4ELNS1_11target_archE910ELNS1_3gpuE8ELNS1_3repE0EEENS1_36merge_oddeven_config_static_selectorELNS0_4arch9wavefront6targetE1EEEvSJ_,@function
_ZN7rocprim17ROCPRIM_400000_NS6detail17trampoline_kernelINS0_14default_configENS1_38merge_sort_block_merge_config_selectorIiiEEZZNS1_27merge_sort_block_merge_implIS3_N6thrust23THRUST_200600_302600_NS6detail15normal_iteratorINS8_10device_ptrIiEEEESD_jNS1_19radix_merge_compareILb1ELb1EiNS0_19identity_decomposerEEEEE10hipError_tT0_T1_T2_jT3_P12ihipStream_tbPNSt15iterator_traitsISI_E10value_typeEPNSO_ISJ_E10value_typeEPSK_NS1_7vsmem_tEENKUlT_SI_SJ_SK_E_clIPiSD_S10_SD_EESH_SX_SI_SJ_SK_EUlSX_E1_NS1_11comp_targetILNS1_3genE4ELNS1_11target_archE910ELNS1_3gpuE8ELNS1_3repE0EEENS1_36merge_oddeven_config_static_selectorELNS0_4arch9wavefront6targetE1EEEvSJ_: ; @_ZN7rocprim17ROCPRIM_400000_NS6detail17trampoline_kernelINS0_14default_configENS1_38merge_sort_block_merge_config_selectorIiiEEZZNS1_27merge_sort_block_merge_implIS3_N6thrust23THRUST_200600_302600_NS6detail15normal_iteratorINS8_10device_ptrIiEEEESD_jNS1_19radix_merge_compareILb1ELb1EiNS0_19identity_decomposerEEEEE10hipError_tT0_T1_T2_jT3_P12ihipStream_tbPNSt15iterator_traitsISI_E10value_typeEPNSO_ISJ_E10value_typeEPSK_NS1_7vsmem_tEENKUlT_SI_SJ_SK_E_clIPiSD_S10_SD_EESH_SX_SI_SJ_SK_EUlSX_E1_NS1_11comp_targetILNS1_3genE4ELNS1_11target_archE910ELNS1_3gpuE8ELNS1_3repE0EEENS1_36merge_oddeven_config_static_selectorELNS0_4arch9wavefront6targetE1EEEvSJ_
; %bb.0:
	.section	.rodata,"a",@progbits
	.p2align	6, 0x0
	.amdhsa_kernel _ZN7rocprim17ROCPRIM_400000_NS6detail17trampoline_kernelINS0_14default_configENS1_38merge_sort_block_merge_config_selectorIiiEEZZNS1_27merge_sort_block_merge_implIS3_N6thrust23THRUST_200600_302600_NS6detail15normal_iteratorINS8_10device_ptrIiEEEESD_jNS1_19radix_merge_compareILb1ELb1EiNS0_19identity_decomposerEEEEE10hipError_tT0_T1_T2_jT3_P12ihipStream_tbPNSt15iterator_traitsISI_E10value_typeEPNSO_ISJ_E10value_typeEPSK_NS1_7vsmem_tEENKUlT_SI_SJ_SK_E_clIPiSD_S10_SD_EESH_SX_SI_SJ_SK_EUlSX_E1_NS1_11comp_targetILNS1_3genE4ELNS1_11target_archE910ELNS1_3gpuE8ELNS1_3repE0EEENS1_36merge_oddeven_config_static_selectorELNS0_4arch9wavefront6targetE1EEEvSJ_
		.amdhsa_group_segment_fixed_size 0
		.amdhsa_private_segment_fixed_size 0
		.amdhsa_kernarg_size 48
		.amdhsa_user_sgpr_count 2
		.amdhsa_user_sgpr_dispatch_ptr 0
		.amdhsa_user_sgpr_queue_ptr 0
		.amdhsa_user_sgpr_kernarg_segment_ptr 1
		.amdhsa_user_sgpr_dispatch_id 0
		.amdhsa_user_sgpr_kernarg_preload_length 0
		.amdhsa_user_sgpr_kernarg_preload_offset 0
		.amdhsa_user_sgpr_private_segment_size 0
		.amdhsa_uses_dynamic_stack 0
		.amdhsa_enable_private_segment 0
		.amdhsa_system_sgpr_workgroup_id_x 1
		.amdhsa_system_sgpr_workgroup_id_y 0
		.amdhsa_system_sgpr_workgroup_id_z 0
		.amdhsa_system_sgpr_workgroup_info 0
		.amdhsa_system_vgpr_workitem_id 0
		.amdhsa_next_free_vgpr 1
		.amdhsa_next_free_sgpr 0
		.amdhsa_accum_offset 4
		.amdhsa_reserve_vcc 0
		.amdhsa_float_round_mode_32 0
		.amdhsa_float_round_mode_16_64 0
		.amdhsa_float_denorm_mode_32 3
		.amdhsa_float_denorm_mode_16_64 3
		.amdhsa_dx10_clamp 1
		.amdhsa_ieee_mode 1
		.amdhsa_fp16_overflow 0
		.amdhsa_tg_split 0
		.amdhsa_exception_fp_ieee_invalid_op 0
		.amdhsa_exception_fp_denorm_src 0
		.amdhsa_exception_fp_ieee_div_zero 0
		.amdhsa_exception_fp_ieee_overflow 0
		.amdhsa_exception_fp_ieee_underflow 0
		.amdhsa_exception_fp_ieee_inexact 0
		.amdhsa_exception_int_div_zero 0
	.end_amdhsa_kernel
	.section	.text._ZN7rocprim17ROCPRIM_400000_NS6detail17trampoline_kernelINS0_14default_configENS1_38merge_sort_block_merge_config_selectorIiiEEZZNS1_27merge_sort_block_merge_implIS3_N6thrust23THRUST_200600_302600_NS6detail15normal_iteratorINS8_10device_ptrIiEEEESD_jNS1_19radix_merge_compareILb1ELb1EiNS0_19identity_decomposerEEEEE10hipError_tT0_T1_T2_jT3_P12ihipStream_tbPNSt15iterator_traitsISI_E10value_typeEPNSO_ISJ_E10value_typeEPSK_NS1_7vsmem_tEENKUlT_SI_SJ_SK_E_clIPiSD_S10_SD_EESH_SX_SI_SJ_SK_EUlSX_E1_NS1_11comp_targetILNS1_3genE4ELNS1_11target_archE910ELNS1_3gpuE8ELNS1_3repE0EEENS1_36merge_oddeven_config_static_selectorELNS0_4arch9wavefront6targetE1EEEvSJ_,"axG",@progbits,_ZN7rocprim17ROCPRIM_400000_NS6detail17trampoline_kernelINS0_14default_configENS1_38merge_sort_block_merge_config_selectorIiiEEZZNS1_27merge_sort_block_merge_implIS3_N6thrust23THRUST_200600_302600_NS6detail15normal_iteratorINS8_10device_ptrIiEEEESD_jNS1_19radix_merge_compareILb1ELb1EiNS0_19identity_decomposerEEEEE10hipError_tT0_T1_T2_jT3_P12ihipStream_tbPNSt15iterator_traitsISI_E10value_typeEPNSO_ISJ_E10value_typeEPSK_NS1_7vsmem_tEENKUlT_SI_SJ_SK_E_clIPiSD_S10_SD_EESH_SX_SI_SJ_SK_EUlSX_E1_NS1_11comp_targetILNS1_3genE4ELNS1_11target_archE910ELNS1_3gpuE8ELNS1_3repE0EEENS1_36merge_oddeven_config_static_selectorELNS0_4arch9wavefront6targetE1EEEvSJ_,comdat
.Lfunc_end952:
	.size	_ZN7rocprim17ROCPRIM_400000_NS6detail17trampoline_kernelINS0_14default_configENS1_38merge_sort_block_merge_config_selectorIiiEEZZNS1_27merge_sort_block_merge_implIS3_N6thrust23THRUST_200600_302600_NS6detail15normal_iteratorINS8_10device_ptrIiEEEESD_jNS1_19radix_merge_compareILb1ELb1EiNS0_19identity_decomposerEEEEE10hipError_tT0_T1_T2_jT3_P12ihipStream_tbPNSt15iterator_traitsISI_E10value_typeEPNSO_ISJ_E10value_typeEPSK_NS1_7vsmem_tEENKUlT_SI_SJ_SK_E_clIPiSD_S10_SD_EESH_SX_SI_SJ_SK_EUlSX_E1_NS1_11comp_targetILNS1_3genE4ELNS1_11target_archE910ELNS1_3gpuE8ELNS1_3repE0EEENS1_36merge_oddeven_config_static_selectorELNS0_4arch9wavefront6targetE1EEEvSJ_, .Lfunc_end952-_ZN7rocprim17ROCPRIM_400000_NS6detail17trampoline_kernelINS0_14default_configENS1_38merge_sort_block_merge_config_selectorIiiEEZZNS1_27merge_sort_block_merge_implIS3_N6thrust23THRUST_200600_302600_NS6detail15normal_iteratorINS8_10device_ptrIiEEEESD_jNS1_19radix_merge_compareILb1ELb1EiNS0_19identity_decomposerEEEEE10hipError_tT0_T1_T2_jT3_P12ihipStream_tbPNSt15iterator_traitsISI_E10value_typeEPNSO_ISJ_E10value_typeEPSK_NS1_7vsmem_tEENKUlT_SI_SJ_SK_E_clIPiSD_S10_SD_EESH_SX_SI_SJ_SK_EUlSX_E1_NS1_11comp_targetILNS1_3genE4ELNS1_11target_archE910ELNS1_3gpuE8ELNS1_3repE0EEENS1_36merge_oddeven_config_static_selectorELNS0_4arch9wavefront6targetE1EEEvSJ_
                                        ; -- End function
	.set _ZN7rocprim17ROCPRIM_400000_NS6detail17trampoline_kernelINS0_14default_configENS1_38merge_sort_block_merge_config_selectorIiiEEZZNS1_27merge_sort_block_merge_implIS3_N6thrust23THRUST_200600_302600_NS6detail15normal_iteratorINS8_10device_ptrIiEEEESD_jNS1_19radix_merge_compareILb1ELb1EiNS0_19identity_decomposerEEEEE10hipError_tT0_T1_T2_jT3_P12ihipStream_tbPNSt15iterator_traitsISI_E10value_typeEPNSO_ISJ_E10value_typeEPSK_NS1_7vsmem_tEENKUlT_SI_SJ_SK_E_clIPiSD_S10_SD_EESH_SX_SI_SJ_SK_EUlSX_E1_NS1_11comp_targetILNS1_3genE4ELNS1_11target_archE910ELNS1_3gpuE8ELNS1_3repE0EEENS1_36merge_oddeven_config_static_selectorELNS0_4arch9wavefront6targetE1EEEvSJ_.num_vgpr, 0
	.set _ZN7rocprim17ROCPRIM_400000_NS6detail17trampoline_kernelINS0_14default_configENS1_38merge_sort_block_merge_config_selectorIiiEEZZNS1_27merge_sort_block_merge_implIS3_N6thrust23THRUST_200600_302600_NS6detail15normal_iteratorINS8_10device_ptrIiEEEESD_jNS1_19radix_merge_compareILb1ELb1EiNS0_19identity_decomposerEEEEE10hipError_tT0_T1_T2_jT3_P12ihipStream_tbPNSt15iterator_traitsISI_E10value_typeEPNSO_ISJ_E10value_typeEPSK_NS1_7vsmem_tEENKUlT_SI_SJ_SK_E_clIPiSD_S10_SD_EESH_SX_SI_SJ_SK_EUlSX_E1_NS1_11comp_targetILNS1_3genE4ELNS1_11target_archE910ELNS1_3gpuE8ELNS1_3repE0EEENS1_36merge_oddeven_config_static_selectorELNS0_4arch9wavefront6targetE1EEEvSJ_.num_agpr, 0
	.set _ZN7rocprim17ROCPRIM_400000_NS6detail17trampoline_kernelINS0_14default_configENS1_38merge_sort_block_merge_config_selectorIiiEEZZNS1_27merge_sort_block_merge_implIS3_N6thrust23THRUST_200600_302600_NS6detail15normal_iteratorINS8_10device_ptrIiEEEESD_jNS1_19radix_merge_compareILb1ELb1EiNS0_19identity_decomposerEEEEE10hipError_tT0_T1_T2_jT3_P12ihipStream_tbPNSt15iterator_traitsISI_E10value_typeEPNSO_ISJ_E10value_typeEPSK_NS1_7vsmem_tEENKUlT_SI_SJ_SK_E_clIPiSD_S10_SD_EESH_SX_SI_SJ_SK_EUlSX_E1_NS1_11comp_targetILNS1_3genE4ELNS1_11target_archE910ELNS1_3gpuE8ELNS1_3repE0EEENS1_36merge_oddeven_config_static_selectorELNS0_4arch9wavefront6targetE1EEEvSJ_.numbered_sgpr, 0
	.set _ZN7rocprim17ROCPRIM_400000_NS6detail17trampoline_kernelINS0_14default_configENS1_38merge_sort_block_merge_config_selectorIiiEEZZNS1_27merge_sort_block_merge_implIS3_N6thrust23THRUST_200600_302600_NS6detail15normal_iteratorINS8_10device_ptrIiEEEESD_jNS1_19radix_merge_compareILb1ELb1EiNS0_19identity_decomposerEEEEE10hipError_tT0_T1_T2_jT3_P12ihipStream_tbPNSt15iterator_traitsISI_E10value_typeEPNSO_ISJ_E10value_typeEPSK_NS1_7vsmem_tEENKUlT_SI_SJ_SK_E_clIPiSD_S10_SD_EESH_SX_SI_SJ_SK_EUlSX_E1_NS1_11comp_targetILNS1_3genE4ELNS1_11target_archE910ELNS1_3gpuE8ELNS1_3repE0EEENS1_36merge_oddeven_config_static_selectorELNS0_4arch9wavefront6targetE1EEEvSJ_.num_named_barrier, 0
	.set _ZN7rocprim17ROCPRIM_400000_NS6detail17trampoline_kernelINS0_14default_configENS1_38merge_sort_block_merge_config_selectorIiiEEZZNS1_27merge_sort_block_merge_implIS3_N6thrust23THRUST_200600_302600_NS6detail15normal_iteratorINS8_10device_ptrIiEEEESD_jNS1_19radix_merge_compareILb1ELb1EiNS0_19identity_decomposerEEEEE10hipError_tT0_T1_T2_jT3_P12ihipStream_tbPNSt15iterator_traitsISI_E10value_typeEPNSO_ISJ_E10value_typeEPSK_NS1_7vsmem_tEENKUlT_SI_SJ_SK_E_clIPiSD_S10_SD_EESH_SX_SI_SJ_SK_EUlSX_E1_NS1_11comp_targetILNS1_3genE4ELNS1_11target_archE910ELNS1_3gpuE8ELNS1_3repE0EEENS1_36merge_oddeven_config_static_selectorELNS0_4arch9wavefront6targetE1EEEvSJ_.private_seg_size, 0
	.set _ZN7rocprim17ROCPRIM_400000_NS6detail17trampoline_kernelINS0_14default_configENS1_38merge_sort_block_merge_config_selectorIiiEEZZNS1_27merge_sort_block_merge_implIS3_N6thrust23THRUST_200600_302600_NS6detail15normal_iteratorINS8_10device_ptrIiEEEESD_jNS1_19radix_merge_compareILb1ELb1EiNS0_19identity_decomposerEEEEE10hipError_tT0_T1_T2_jT3_P12ihipStream_tbPNSt15iterator_traitsISI_E10value_typeEPNSO_ISJ_E10value_typeEPSK_NS1_7vsmem_tEENKUlT_SI_SJ_SK_E_clIPiSD_S10_SD_EESH_SX_SI_SJ_SK_EUlSX_E1_NS1_11comp_targetILNS1_3genE4ELNS1_11target_archE910ELNS1_3gpuE8ELNS1_3repE0EEENS1_36merge_oddeven_config_static_selectorELNS0_4arch9wavefront6targetE1EEEvSJ_.uses_vcc, 0
	.set _ZN7rocprim17ROCPRIM_400000_NS6detail17trampoline_kernelINS0_14default_configENS1_38merge_sort_block_merge_config_selectorIiiEEZZNS1_27merge_sort_block_merge_implIS3_N6thrust23THRUST_200600_302600_NS6detail15normal_iteratorINS8_10device_ptrIiEEEESD_jNS1_19radix_merge_compareILb1ELb1EiNS0_19identity_decomposerEEEEE10hipError_tT0_T1_T2_jT3_P12ihipStream_tbPNSt15iterator_traitsISI_E10value_typeEPNSO_ISJ_E10value_typeEPSK_NS1_7vsmem_tEENKUlT_SI_SJ_SK_E_clIPiSD_S10_SD_EESH_SX_SI_SJ_SK_EUlSX_E1_NS1_11comp_targetILNS1_3genE4ELNS1_11target_archE910ELNS1_3gpuE8ELNS1_3repE0EEENS1_36merge_oddeven_config_static_selectorELNS0_4arch9wavefront6targetE1EEEvSJ_.uses_flat_scratch, 0
	.set _ZN7rocprim17ROCPRIM_400000_NS6detail17trampoline_kernelINS0_14default_configENS1_38merge_sort_block_merge_config_selectorIiiEEZZNS1_27merge_sort_block_merge_implIS3_N6thrust23THRUST_200600_302600_NS6detail15normal_iteratorINS8_10device_ptrIiEEEESD_jNS1_19radix_merge_compareILb1ELb1EiNS0_19identity_decomposerEEEEE10hipError_tT0_T1_T2_jT3_P12ihipStream_tbPNSt15iterator_traitsISI_E10value_typeEPNSO_ISJ_E10value_typeEPSK_NS1_7vsmem_tEENKUlT_SI_SJ_SK_E_clIPiSD_S10_SD_EESH_SX_SI_SJ_SK_EUlSX_E1_NS1_11comp_targetILNS1_3genE4ELNS1_11target_archE910ELNS1_3gpuE8ELNS1_3repE0EEENS1_36merge_oddeven_config_static_selectorELNS0_4arch9wavefront6targetE1EEEvSJ_.has_dyn_sized_stack, 0
	.set _ZN7rocprim17ROCPRIM_400000_NS6detail17trampoline_kernelINS0_14default_configENS1_38merge_sort_block_merge_config_selectorIiiEEZZNS1_27merge_sort_block_merge_implIS3_N6thrust23THRUST_200600_302600_NS6detail15normal_iteratorINS8_10device_ptrIiEEEESD_jNS1_19radix_merge_compareILb1ELb1EiNS0_19identity_decomposerEEEEE10hipError_tT0_T1_T2_jT3_P12ihipStream_tbPNSt15iterator_traitsISI_E10value_typeEPNSO_ISJ_E10value_typeEPSK_NS1_7vsmem_tEENKUlT_SI_SJ_SK_E_clIPiSD_S10_SD_EESH_SX_SI_SJ_SK_EUlSX_E1_NS1_11comp_targetILNS1_3genE4ELNS1_11target_archE910ELNS1_3gpuE8ELNS1_3repE0EEENS1_36merge_oddeven_config_static_selectorELNS0_4arch9wavefront6targetE1EEEvSJ_.has_recursion, 0
	.set _ZN7rocprim17ROCPRIM_400000_NS6detail17trampoline_kernelINS0_14default_configENS1_38merge_sort_block_merge_config_selectorIiiEEZZNS1_27merge_sort_block_merge_implIS3_N6thrust23THRUST_200600_302600_NS6detail15normal_iteratorINS8_10device_ptrIiEEEESD_jNS1_19radix_merge_compareILb1ELb1EiNS0_19identity_decomposerEEEEE10hipError_tT0_T1_T2_jT3_P12ihipStream_tbPNSt15iterator_traitsISI_E10value_typeEPNSO_ISJ_E10value_typeEPSK_NS1_7vsmem_tEENKUlT_SI_SJ_SK_E_clIPiSD_S10_SD_EESH_SX_SI_SJ_SK_EUlSX_E1_NS1_11comp_targetILNS1_3genE4ELNS1_11target_archE910ELNS1_3gpuE8ELNS1_3repE0EEENS1_36merge_oddeven_config_static_selectorELNS0_4arch9wavefront6targetE1EEEvSJ_.has_indirect_call, 0
	.section	.AMDGPU.csdata,"",@progbits
; Kernel info:
; codeLenInByte = 0
; TotalNumSgprs: 6
; NumVgprs: 0
; NumAgprs: 0
; TotalNumVgprs: 0
; ScratchSize: 0
; MemoryBound: 0
; FloatMode: 240
; IeeeMode: 1
; LDSByteSize: 0 bytes/workgroup (compile time only)
; SGPRBlocks: 0
; VGPRBlocks: 0
; NumSGPRsForWavesPerEU: 6
; NumVGPRsForWavesPerEU: 1
; AccumOffset: 4
; Occupancy: 8
; WaveLimiterHint : 0
; COMPUTE_PGM_RSRC2:SCRATCH_EN: 0
; COMPUTE_PGM_RSRC2:USER_SGPR: 2
; COMPUTE_PGM_RSRC2:TRAP_HANDLER: 0
; COMPUTE_PGM_RSRC2:TGID_X_EN: 1
; COMPUTE_PGM_RSRC2:TGID_Y_EN: 0
; COMPUTE_PGM_RSRC2:TGID_Z_EN: 0
; COMPUTE_PGM_RSRC2:TIDIG_COMP_CNT: 0
; COMPUTE_PGM_RSRC3_GFX90A:ACCUM_OFFSET: 0
; COMPUTE_PGM_RSRC3_GFX90A:TG_SPLIT: 0
	.section	.text._ZN7rocprim17ROCPRIM_400000_NS6detail17trampoline_kernelINS0_14default_configENS1_38merge_sort_block_merge_config_selectorIiiEEZZNS1_27merge_sort_block_merge_implIS3_N6thrust23THRUST_200600_302600_NS6detail15normal_iteratorINS8_10device_ptrIiEEEESD_jNS1_19radix_merge_compareILb1ELb1EiNS0_19identity_decomposerEEEEE10hipError_tT0_T1_T2_jT3_P12ihipStream_tbPNSt15iterator_traitsISI_E10value_typeEPNSO_ISJ_E10value_typeEPSK_NS1_7vsmem_tEENKUlT_SI_SJ_SK_E_clIPiSD_S10_SD_EESH_SX_SI_SJ_SK_EUlSX_E1_NS1_11comp_targetILNS1_3genE3ELNS1_11target_archE908ELNS1_3gpuE7ELNS1_3repE0EEENS1_36merge_oddeven_config_static_selectorELNS0_4arch9wavefront6targetE1EEEvSJ_,"axG",@progbits,_ZN7rocprim17ROCPRIM_400000_NS6detail17trampoline_kernelINS0_14default_configENS1_38merge_sort_block_merge_config_selectorIiiEEZZNS1_27merge_sort_block_merge_implIS3_N6thrust23THRUST_200600_302600_NS6detail15normal_iteratorINS8_10device_ptrIiEEEESD_jNS1_19radix_merge_compareILb1ELb1EiNS0_19identity_decomposerEEEEE10hipError_tT0_T1_T2_jT3_P12ihipStream_tbPNSt15iterator_traitsISI_E10value_typeEPNSO_ISJ_E10value_typeEPSK_NS1_7vsmem_tEENKUlT_SI_SJ_SK_E_clIPiSD_S10_SD_EESH_SX_SI_SJ_SK_EUlSX_E1_NS1_11comp_targetILNS1_3genE3ELNS1_11target_archE908ELNS1_3gpuE7ELNS1_3repE0EEENS1_36merge_oddeven_config_static_selectorELNS0_4arch9wavefront6targetE1EEEvSJ_,comdat
	.protected	_ZN7rocprim17ROCPRIM_400000_NS6detail17trampoline_kernelINS0_14default_configENS1_38merge_sort_block_merge_config_selectorIiiEEZZNS1_27merge_sort_block_merge_implIS3_N6thrust23THRUST_200600_302600_NS6detail15normal_iteratorINS8_10device_ptrIiEEEESD_jNS1_19radix_merge_compareILb1ELb1EiNS0_19identity_decomposerEEEEE10hipError_tT0_T1_T2_jT3_P12ihipStream_tbPNSt15iterator_traitsISI_E10value_typeEPNSO_ISJ_E10value_typeEPSK_NS1_7vsmem_tEENKUlT_SI_SJ_SK_E_clIPiSD_S10_SD_EESH_SX_SI_SJ_SK_EUlSX_E1_NS1_11comp_targetILNS1_3genE3ELNS1_11target_archE908ELNS1_3gpuE7ELNS1_3repE0EEENS1_36merge_oddeven_config_static_selectorELNS0_4arch9wavefront6targetE1EEEvSJ_ ; -- Begin function _ZN7rocprim17ROCPRIM_400000_NS6detail17trampoline_kernelINS0_14default_configENS1_38merge_sort_block_merge_config_selectorIiiEEZZNS1_27merge_sort_block_merge_implIS3_N6thrust23THRUST_200600_302600_NS6detail15normal_iteratorINS8_10device_ptrIiEEEESD_jNS1_19radix_merge_compareILb1ELb1EiNS0_19identity_decomposerEEEEE10hipError_tT0_T1_T2_jT3_P12ihipStream_tbPNSt15iterator_traitsISI_E10value_typeEPNSO_ISJ_E10value_typeEPSK_NS1_7vsmem_tEENKUlT_SI_SJ_SK_E_clIPiSD_S10_SD_EESH_SX_SI_SJ_SK_EUlSX_E1_NS1_11comp_targetILNS1_3genE3ELNS1_11target_archE908ELNS1_3gpuE7ELNS1_3repE0EEENS1_36merge_oddeven_config_static_selectorELNS0_4arch9wavefront6targetE1EEEvSJ_
	.globl	_ZN7rocprim17ROCPRIM_400000_NS6detail17trampoline_kernelINS0_14default_configENS1_38merge_sort_block_merge_config_selectorIiiEEZZNS1_27merge_sort_block_merge_implIS3_N6thrust23THRUST_200600_302600_NS6detail15normal_iteratorINS8_10device_ptrIiEEEESD_jNS1_19radix_merge_compareILb1ELb1EiNS0_19identity_decomposerEEEEE10hipError_tT0_T1_T2_jT3_P12ihipStream_tbPNSt15iterator_traitsISI_E10value_typeEPNSO_ISJ_E10value_typeEPSK_NS1_7vsmem_tEENKUlT_SI_SJ_SK_E_clIPiSD_S10_SD_EESH_SX_SI_SJ_SK_EUlSX_E1_NS1_11comp_targetILNS1_3genE3ELNS1_11target_archE908ELNS1_3gpuE7ELNS1_3repE0EEENS1_36merge_oddeven_config_static_selectorELNS0_4arch9wavefront6targetE1EEEvSJ_
	.p2align	8
	.type	_ZN7rocprim17ROCPRIM_400000_NS6detail17trampoline_kernelINS0_14default_configENS1_38merge_sort_block_merge_config_selectorIiiEEZZNS1_27merge_sort_block_merge_implIS3_N6thrust23THRUST_200600_302600_NS6detail15normal_iteratorINS8_10device_ptrIiEEEESD_jNS1_19radix_merge_compareILb1ELb1EiNS0_19identity_decomposerEEEEE10hipError_tT0_T1_T2_jT3_P12ihipStream_tbPNSt15iterator_traitsISI_E10value_typeEPNSO_ISJ_E10value_typeEPSK_NS1_7vsmem_tEENKUlT_SI_SJ_SK_E_clIPiSD_S10_SD_EESH_SX_SI_SJ_SK_EUlSX_E1_NS1_11comp_targetILNS1_3genE3ELNS1_11target_archE908ELNS1_3gpuE7ELNS1_3repE0EEENS1_36merge_oddeven_config_static_selectorELNS0_4arch9wavefront6targetE1EEEvSJ_,@function
_ZN7rocprim17ROCPRIM_400000_NS6detail17trampoline_kernelINS0_14default_configENS1_38merge_sort_block_merge_config_selectorIiiEEZZNS1_27merge_sort_block_merge_implIS3_N6thrust23THRUST_200600_302600_NS6detail15normal_iteratorINS8_10device_ptrIiEEEESD_jNS1_19radix_merge_compareILb1ELb1EiNS0_19identity_decomposerEEEEE10hipError_tT0_T1_T2_jT3_P12ihipStream_tbPNSt15iterator_traitsISI_E10value_typeEPNSO_ISJ_E10value_typeEPSK_NS1_7vsmem_tEENKUlT_SI_SJ_SK_E_clIPiSD_S10_SD_EESH_SX_SI_SJ_SK_EUlSX_E1_NS1_11comp_targetILNS1_3genE3ELNS1_11target_archE908ELNS1_3gpuE7ELNS1_3repE0EEENS1_36merge_oddeven_config_static_selectorELNS0_4arch9wavefront6targetE1EEEvSJ_: ; @_ZN7rocprim17ROCPRIM_400000_NS6detail17trampoline_kernelINS0_14default_configENS1_38merge_sort_block_merge_config_selectorIiiEEZZNS1_27merge_sort_block_merge_implIS3_N6thrust23THRUST_200600_302600_NS6detail15normal_iteratorINS8_10device_ptrIiEEEESD_jNS1_19radix_merge_compareILb1ELb1EiNS0_19identity_decomposerEEEEE10hipError_tT0_T1_T2_jT3_P12ihipStream_tbPNSt15iterator_traitsISI_E10value_typeEPNSO_ISJ_E10value_typeEPSK_NS1_7vsmem_tEENKUlT_SI_SJ_SK_E_clIPiSD_S10_SD_EESH_SX_SI_SJ_SK_EUlSX_E1_NS1_11comp_targetILNS1_3genE3ELNS1_11target_archE908ELNS1_3gpuE7ELNS1_3repE0EEENS1_36merge_oddeven_config_static_selectorELNS0_4arch9wavefront6targetE1EEEvSJ_
; %bb.0:
	.section	.rodata,"a",@progbits
	.p2align	6, 0x0
	.amdhsa_kernel _ZN7rocprim17ROCPRIM_400000_NS6detail17trampoline_kernelINS0_14default_configENS1_38merge_sort_block_merge_config_selectorIiiEEZZNS1_27merge_sort_block_merge_implIS3_N6thrust23THRUST_200600_302600_NS6detail15normal_iteratorINS8_10device_ptrIiEEEESD_jNS1_19radix_merge_compareILb1ELb1EiNS0_19identity_decomposerEEEEE10hipError_tT0_T1_T2_jT3_P12ihipStream_tbPNSt15iterator_traitsISI_E10value_typeEPNSO_ISJ_E10value_typeEPSK_NS1_7vsmem_tEENKUlT_SI_SJ_SK_E_clIPiSD_S10_SD_EESH_SX_SI_SJ_SK_EUlSX_E1_NS1_11comp_targetILNS1_3genE3ELNS1_11target_archE908ELNS1_3gpuE7ELNS1_3repE0EEENS1_36merge_oddeven_config_static_selectorELNS0_4arch9wavefront6targetE1EEEvSJ_
		.amdhsa_group_segment_fixed_size 0
		.amdhsa_private_segment_fixed_size 0
		.amdhsa_kernarg_size 48
		.amdhsa_user_sgpr_count 2
		.amdhsa_user_sgpr_dispatch_ptr 0
		.amdhsa_user_sgpr_queue_ptr 0
		.amdhsa_user_sgpr_kernarg_segment_ptr 1
		.amdhsa_user_sgpr_dispatch_id 0
		.amdhsa_user_sgpr_kernarg_preload_length 0
		.amdhsa_user_sgpr_kernarg_preload_offset 0
		.amdhsa_user_sgpr_private_segment_size 0
		.amdhsa_uses_dynamic_stack 0
		.amdhsa_enable_private_segment 0
		.amdhsa_system_sgpr_workgroup_id_x 1
		.amdhsa_system_sgpr_workgroup_id_y 0
		.amdhsa_system_sgpr_workgroup_id_z 0
		.amdhsa_system_sgpr_workgroup_info 0
		.amdhsa_system_vgpr_workitem_id 0
		.amdhsa_next_free_vgpr 1
		.amdhsa_next_free_sgpr 0
		.amdhsa_accum_offset 4
		.amdhsa_reserve_vcc 0
		.amdhsa_float_round_mode_32 0
		.amdhsa_float_round_mode_16_64 0
		.amdhsa_float_denorm_mode_32 3
		.amdhsa_float_denorm_mode_16_64 3
		.amdhsa_dx10_clamp 1
		.amdhsa_ieee_mode 1
		.amdhsa_fp16_overflow 0
		.amdhsa_tg_split 0
		.amdhsa_exception_fp_ieee_invalid_op 0
		.amdhsa_exception_fp_denorm_src 0
		.amdhsa_exception_fp_ieee_div_zero 0
		.amdhsa_exception_fp_ieee_overflow 0
		.amdhsa_exception_fp_ieee_underflow 0
		.amdhsa_exception_fp_ieee_inexact 0
		.amdhsa_exception_int_div_zero 0
	.end_amdhsa_kernel
	.section	.text._ZN7rocprim17ROCPRIM_400000_NS6detail17trampoline_kernelINS0_14default_configENS1_38merge_sort_block_merge_config_selectorIiiEEZZNS1_27merge_sort_block_merge_implIS3_N6thrust23THRUST_200600_302600_NS6detail15normal_iteratorINS8_10device_ptrIiEEEESD_jNS1_19radix_merge_compareILb1ELb1EiNS0_19identity_decomposerEEEEE10hipError_tT0_T1_T2_jT3_P12ihipStream_tbPNSt15iterator_traitsISI_E10value_typeEPNSO_ISJ_E10value_typeEPSK_NS1_7vsmem_tEENKUlT_SI_SJ_SK_E_clIPiSD_S10_SD_EESH_SX_SI_SJ_SK_EUlSX_E1_NS1_11comp_targetILNS1_3genE3ELNS1_11target_archE908ELNS1_3gpuE7ELNS1_3repE0EEENS1_36merge_oddeven_config_static_selectorELNS0_4arch9wavefront6targetE1EEEvSJ_,"axG",@progbits,_ZN7rocprim17ROCPRIM_400000_NS6detail17trampoline_kernelINS0_14default_configENS1_38merge_sort_block_merge_config_selectorIiiEEZZNS1_27merge_sort_block_merge_implIS3_N6thrust23THRUST_200600_302600_NS6detail15normal_iteratorINS8_10device_ptrIiEEEESD_jNS1_19radix_merge_compareILb1ELb1EiNS0_19identity_decomposerEEEEE10hipError_tT0_T1_T2_jT3_P12ihipStream_tbPNSt15iterator_traitsISI_E10value_typeEPNSO_ISJ_E10value_typeEPSK_NS1_7vsmem_tEENKUlT_SI_SJ_SK_E_clIPiSD_S10_SD_EESH_SX_SI_SJ_SK_EUlSX_E1_NS1_11comp_targetILNS1_3genE3ELNS1_11target_archE908ELNS1_3gpuE7ELNS1_3repE0EEENS1_36merge_oddeven_config_static_selectorELNS0_4arch9wavefront6targetE1EEEvSJ_,comdat
.Lfunc_end953:
	.size	_ZN7rocprim17ROCPRIM_400000_NS6detail17trampoline_kernelINS0_14default_configENS1_38merge_sort_block_merge_config_selectorIiiEEZZNS1_27merge_sort_block_merge_implIS3_N6thrust23THRUST_200600_302600_NS6detail15normal_iteratorINS8_10device_ptrIiEEEESD_jNS1_19radix_merge_compareILb1ELb1EiNS0_19identity_decomposerEEEEE10hipError_tT0_T1_T2_jT3_P12ihipStream_tbPNSt15iterator_traitsISI_E10value_typeEPNSO_ISJ_E10value_typeEPSK_NS1_7vsmem_tEENKUlT_SI_SJ_SK_E_clIPiSD_S10_SD_EESH_SX_SI_SJ_SK_EUlSX_E1_NS1_11comp_targetILNS1_3genE3ELNS1_11target_archE908ELNS1_3gpuE7ELNS1_3repE0EEENS1_36merge_oddeven_config_static_selectorELNS0_4arch9wavefront6targetE1EEEvSJ_, .Lfunc_end953-_ZN7rocprim17ROCPRIM_400000_NS6detail17trampoline_kernelINS0_14default_configENS1_38merge_sort_block_merge_config_selectorIiiEEZZNS1_27merge_sort_block_merge_implIS3_N6thrust23THRUST_200600_302600_NS6detail15normal_iteratorINS8_10device_ptrIiEEEESD_jNS1_19radix_merge_compareILb1ELb1EiNS0_19identity_decomposerEEEEE10hipError_tT0_T1_T2_jT3_P12ihipStream_tbPNSt15iterator_traitsISI_E10value_typeEPNSO_ISJ_E10value_typeEPSK_NS1_7vsmem_tEENKUlT_SI_SJ_SK_E_clIPiSD_S10_SD_EESH_SX_SI_SJ_SK_EUlSX_E1_NS1_11comp_targetILNS1_3genE3ELNS1_11target_archE908ELNS1_3gpuE7ELNS1_3repE0EEENS1_36merge_oddeven_config_static_selectorELNS0_4arch9wavefront6targetE1EEEvSJ_
                                        ; -- End function
	.set _ZN7rocprim17ROCPRIM_400000_NS6detail17trampoline_kernelINS0_14default_configENS1_38merge_sort_block_merge_config_selectorIiiEEZZNS1_27merge_sort_block_merge_implIS3_N6thrust23THRUST_200600_302600_NS6detail15normal_iteratorINS8_10device_ptrIiEEEESD_jNS1_19radix_merge_compareILb1ELb1EiNS0_19identity_decomposerEEEEE10hipError_tT0_T1_T2_jT3_P12ihipStream_tbPNSt15iterator_traitsISI_E10value_typeEPNSO_ISJ_E10value_typeEPSK_NS1_7vsmem_tEENKUlT_SI_SJ_SK_E_clIPiSD_S10_SD_EESH_SX_SI_SJ_SK_EUlSX_E1_NS1_11comp_targetILNS1_3genE3ELNS1_11target_archE908ELNS1_3gpuE7ELNS1_3repE0EEENS1_36merge_oddeven_config_static_selectorELNS0_4arch9wavefront6targetE1EEEvSJ_.num_vgpr, 0
	.set _ZN7rocprim17ROCPRIM_400000_NS6detail17trampoline_kernelINS0_14default_configENS1_38merge_sort_block_merge_config_selectorIiiEEZZNS1_27merge_sort_block_merge_implIS3_N6thrust23THRUST_200600_302600_NS6detail15normal_iteratorINS8_10device_ptrIiEEEESD_jNS1_19radix_merge_compareILb1ELb1EiNS0_19identity_decomposerEEEEE10hipError_tT0_T1_T2_jT3_P12ihipStream_tbPNSt15iterator_traitsISI_E10value_typeEPNSO_ISJ_E10value_typeEPSK_NS1_7vsmem_tEENKUlT_SI_SJ_SK_E_clIPiSD_S10_SD_EESH_SX_SI_SJ_SK_EUlSX_E1_NS1_11comp_targetILNS1_3genE3ELNS1_11target_archE908ELNS1_3gpuE7ELNS1_3repE0EEENS1_36merge_oddeven_config_static_selectorELNS0_4arch9wavefront6targetE1EEEvSJ_.num_agpr, 0
	.set _ZN7rocprim17ROCPRIM_400000_NS6detail17trampoline_kernelINS0_14default_configENS1_38merge_sort_block_merge_config_selectorIiiEEZZNS1_27merge_sort_block_merge_implIS3_N6thrust23THRUST_200600_302600_NS6detail15normal_iteratorINS8_10device_ptrIiEEEESD_jNS1_19radix_merge_compareILb1ELb1EiNS0_19identity_decomposerEEEEE10hipError_tT0_T1_T2_jT3_P12ihipStream_tbPNSt15iterator_traitsISI_E10value_typeEPNSO_ISJ_E10value_typeEPSK_NS1_7vsmem_tEENKUlT_SI_SJ_SK_E_clIPiSD_S10_SD_EESH_SX_SI_SJ_SK_EUlSX_E1_NS1_11comp_targetILNS1_3genE3ELNS1_11target_archE908ELNS1_3gpuE7ELNS1_3repE0EEENS1_36merge_oddeven_config_static_selectorELNS0_4arch9wavefront6targetE1EEEvSJ_.numbered_sgpr, 0
	.set _ZN7rocprim17ROCPRIM_400000_NS6detail17trampoline_kernelINS0_14default_configENS1_38merge_sort_block_merge_config_selectorIiiEEZZNS1_27merge_sort_block_merge_implIS3_N6thrust23THRUST_200600_302600_NS6detail15normal_iteratorINS8_10device_ptrIiEEEESD_jNS1_19radix_merge_compareILb1ELb1EiNS0_19identity_decomposerEEEEE10hipError_tT0_T1_T2_jT3_P12ihipStream_tbPNSt15iterator_traitsISI_E10value_typeEPNSO_ISJ_E10value_typeEPSK_NS1_7vsmem_tEENKUlT_SI_SJ_SK_E_clIPiSD_S10_SD_EESH_SX_SI_SJ_SK_EUlSX_E1_NS1_11comp_targetILNS1_3genE3ELNS1_11target_archE908ELNS1_3gpuE7ELNS1_3repE0EEENS1_36merge_oddeven_config_static_selectorELNS0_4arch9wavefront6targetE1EEEvSJ_.num_named_barrier, 0
	.set _ZN7rocprim17ROCPRIM_400000_NS6detail17trampoline_kernelINS0_14default_configENS1_38merge_sort_block_merge_config_selectorIiiEEZZNS1_27merge_sort_block_merge_implIS3_N6thrust23THRUST_200600_302600_NS6detail15normal_iteratorINS8_10device_ptrIiEEEESD_jNS1_19radix_merge_compareILb1ELb1EiNS0_19identity_decomposerEEEEE10hipError_tT0_T1_T2_jT3_P12ihipStream_tbPNSt15iterator_traitsISI_E10value_typeEPNSO_ISJ_E10value_typeEPSK_NS1_7vsmem_tEENKUlT_SI_SJ_SK_E_clIPiSD_S10_SD_EESH_SX_SI_SJ_SK_EUlSX_E1_NS1_11comp_targetILNS1_3genE3ELNS1_11target_archE908ELNS1_3gpuE7ELNS1_3repE0EEENS1_36merge_oddeven_config_static_selectorELNS0_4arch9wavefront6targetE1EEEvSJ_.private_seg_size, 0
	.set _ZN7rocprim17ROCPRIM_400000_NS6detail17trampoline_kernelINS0_14default_configENS1_38merge_sort_block_merge_config_selectorIiiEEZZNS1_27merge_sort_block_merge_implIS3_N6thrust23THRUST_200600_302600_NS6detail15normal_iteratorINS8_10device_ptrIiEEEESD_jNS1_19radix_merge_compareILb1ELb1EiNS0_19identity_decomposerEEEEE10hipError_tT0_T1_T2_jT3_P12ihipStream_tbPNSt15iterator_traitsISI_E10value_typeEPNSO_ISJ_E10value_typeEPSK_NS1_7vsmem_tEENKUlT_SI_SJ_SK_E_clIPiSD_S10_SD_EESH_SX_SI_SJ_SK_EUlSX_E1_NS1_11comp_targetILNS1_3genE3ELNS1_11target_archE908ELNS1_3gpuE7ELNS1_3repE0EEENS1_36merge_oddeven_config_static_selectorELNS0_4arch9wavefront6targetE1EEEvSJ_.uses_vcc, 0
	.set _ZN7rocprim17ROCPRIM_400000_NS6detail17trampoline_kernelINS0_14default_configENS1_38merge_sort_block_merge_config_selectorIiiEEZZNS1_27merge_sort_block_merge_implIS3_N6thrust23THRUST_200600_302600_NS6detail15normal_iteratorINS8_10device_ptrIiEEEESD_jNS1_19radix_merge_compareILb1ELb1EiNS0_19identity_decomposerEEEEE10hipError_tT0_T1_T2_jT3_P12ihipStream_tbPNSt15iterator_traitsISI_E10value_typeEPNSO_ISJ_E10value_typeEPSK_NS1_7vsmem_tEENKUlT_SI_SJ_SK_E_clIPiSD_S10_SD_EESH_SX_SI_SJ_SK_EUlSX_E1_NS1_11comp_targetILNS1_3genE3ELNS1_11target_archE908ELNS1_3gpuE7ELNS1_3repE0EEENS1_36merge_oddeven_config_static_selectorELNS0_4arch9wavefront6targetE1EEEvSJ_.uses_flat_scratch, 0
	.set _ZN7rocprim17ROCPRIM_400000_NS6detail17trampoline_kernelINS0_14default_configENS1_38merge_sort_block_merge_config_selectorIiiEEZZNS1_27merge_sort_block_merge_implIS3_N6thrust23THRUST_200600_302600_NS6detail15normal_iteratorINS8_10device_ptrIiEEEESD_jNS1_19radix_merge_compareILb1ELb1EiNS0_19identity_decomposerEEEEE10hipError_tT0_T1_T2_jT3_P12ihipStream_tbPNSt15iterator_traitsISI_E10value_typeEPNSO_ISJ_E10value_typeEPSK_NS1_7vsmem_tEENKUlT_SI_SJ_SK_E_clIPiSD_S10_SD_EESH_SX_SI_SJ_SK_EUlSX_E1_NS1_11comp_targetILNS1_3genE3ELNS1_11target_archE908ELNS1_3gpuE7ELNS1_3repE0EEENS1_36merge_oddeven_config_static_selectorELNS0_4arch9wavefront6targetE1EEEvSJ_.has_dyn_sized_stack, 0
	.set _ZN7rocprim17ROCPRIM_400000_NS6detail17trampoline_kernelINS0_14default_configENS1_38merge_sort_block_merge_config_selectorIiiEEZZNS1_27merge_sort_block_merge_implIS3_N6thrust23THRUST_200600_302600_NS6detail15normal_iteratorINS8_10device_ptrIiEEEESD_jNS1_19radix_merge_compareILb1ELb1EiNS0_19identity_decomposerEEEEE10hipError_tT0_T1_T2_jT3_P12ihipStream_tbPNSt15iterator_traitsISI_E10value_typeEPNSO_ISJ_E10value_typeEPSK_NS1_7vsmem_tEENKUlT_SI_SJ_SK_E_clIPiSD_S10_SD_EESH_SX_SI_SJ_SK_EUlSX_E1_NS1_11comp_targetILNS1_3genE3ELNS1_11target_archE908ELNS1_3gpuE7ELNS1_3repE0EEENS1_36merge_oddeven_config_static_selectorELNS0_4arch9wavefront6targetE1EEEvSJ_.has_recursion, 0
	.set _ZN7rocprim17ROCPRIM_400000_NS6detail17trampoline_kernelINS0_14default_configENS1_38merge_sort_block_merge_config_selectorIiiEEZZNS1_27merge_sort_block_merge_implIS3_N6thrust23THRUST_200600_302600_NS6detail15normal_iteratorINS8_10device_ptrIiEEEESD_jNS1_19radix_merge_compareILb1ELb1EiNS0_19identity_decomposerEEEEE10hipError_tT0_T1_T2_jT3_P12ihipStream_tbPNSt15iterator_traitsISI_E10value_typeEPNSO_ISJ_E10value_typeEPSK_NS1_7vsmem_tEENKUlT_SI_SJ_SK_E_clIPiSD_S10_SD_EESH_SX_SI_SJ_SK_EUlSX_E1_NS1_11comp_targetILNS1_3genE3ELNS1_11target_archE908ELNS1_3gpuE7ELNS1_3repE0EEENS1_36merge_oddeven_config_static_selectorELNS0_4arch9wavefront6targetE1EEEvSJ_.has_indirect_call, 0
	.section	.AMDGPU.csdata,"",@progbits
; Kernel info:
; codeLenInByte = 0
; TotalNumSgprs: 6
; NumVgprs: 0
; NumAgprs: 0
; TotalNumVgprs: 0
; ScratchSize: 0
; MemoryBound: 0
; FloatMode: 240
; IeeeMode: 1
; LDSByteSize: 0 bytes/workgroup (compile time only)
; SGPRBlocks: 0
; VGPRBlocks: 0
; NumSGPRsForWavesPerEU: 6
; NumVGPRsForWavesPerEU: 1
; AccumOffset: 4
; Occupancy: 8
; WaveLimiterHint : 0
; COMPUTE_PGM_RSRC2:SCRATCH_EN: 0
; COMPUTE_PGM_RSRC2:USER_SGPR: 2
; COMPUTE_PGM_RSRC2:TRAP_HANDLER: 0
; COMPUTE_PGM_RSRC2:TGID_X_EN: 1
; COMPUTE_PGM_RSRC2:TGID_Y_EN: 0
; COMPUTE_PGM_RSRC2:TGID_Z_EN: 0
; COMPUTE_PGM_RSRC2:TIDIG_COMP_CNT: 0
; COMPUTE_PGM_RSRC3_GFX90A:ACCUM_OFFSET: 0
; COMPUTE_PGM_RSRC3_GFX90A:TG_SPLIT: 0
	.section	.text._ZN7rocprim17ROCPRIM_400000_NS6detail17trampoline_kernelINS0_14default_configENS1_38merge_sort_block_merge_config_selectorIiiEEZZNS1_27merge_sort_block_merge_implIS3_N6thrust23THRUST_200600_302600_NS6detail15normal_iteratorINS8_10device_ptrIiEEEESD_jNS1_19radix_merge_compareILb1ELb1EiNS0_19identity_decomposerEEEEE10hipError_tT0_T1_T2_jT3_P12ihipStream_tbPNSt15iterator_traitsISI_E10value_typeEPNSO_ISJ_E10value_typeEPSK_NS1_7vsmem_tEENKUlT_SI_SJ_SK_E_clIPiSD_S10_SD_EESH_SX_SI_SJ_SK_EUlSX_E1_NS1_11comp_targetILNS1_3genE2ELNS1_11target_archE906ELNS1_3gpuE6ELNS1_3repE0EEENS1_36merge_oddeven_config_static_selectorELNS0_4arch9wavefront6targetE1EEEvSJ_,"axG",@progbits,_ZN7rocprim17ROCPRIM_400000_NS6detail17trampoline_kernelINS0_14default_configENS1_38merge_sort_block_merge_config_selectorIiiEEZZNS1_27merge_sort_block_merge_implIS3_N6thrust23THRUST_200600_302600_NS6detail15normal_iteratorINS8_10device_ptrIiEEEESD_jNS1_19radix_merge_compareILb1ELb1EiNS0_19identity_decomposerEEEEE10hipError_tT0_T1_T2_jT3_P12ihipStream_tbPNSt15iterator_traitsISI_E10value_typeEPNSO_ISJ_E10value_typeEPSK_NS1_7vsmem_tEENKUlT_SI_SJ_SK_E_clIPiSD_S10_SD_EESH_SX_SI_SJ_SK_EUlSX_E1_NS1_11comp_targetILNS1_3genE2ELNS1_11target_archE906ELNS1_3gpuE6ELNS1_3repE0EEENS1_36merge_oddeven_config_static_selectorELNS0_4arch9wavefront6targetE1EEEvSJ_,comdat
	.protected	_ZN7rocprim17ROCPRIM_400000_NS6detail17trampoline_kernelINS0_14default_configENS1_38merge_sort_block_merge_config_selectorIiiEEZZNS1_27merge_sort_block_merge_implIS3_N6thrust23THRUST_200600_302600_NS6detail15normal_iteratorINS8_10device_ptrIiEEEESD_jNS1_19radix_merge_compareILb1ELb1EiNS0_19identity_decomposerEEEEE10hipError_tT0_T1_T2_jT3_P12ihipStream_tbPNSt15iterator_traitsISI_E10value_typeEPNSO_ISJ_E10value_typeEPSK_NS1_7vsmem_tEENKUlT_SI_SJ_SK_E_clIPiSD_S10_SD_EESH_SX_SI_SJ_SK_EUlSX_E1_NS1_11comp_targetILNS1_3genE2ELNS1_11target_archE906ELNS1_3gpuE6ELNS1_3repE0EEENS1_36merge_oddeven_config_static_selectorELNS0_4arch9wavefront6targetE1EEEvSJ_ ; -- Begin function _ZN7rocprim17ROCPRIM_400000_NS6detail17trampoline_kernelINS0_14default_configENS1_38merge_sort_block_merge_config_selectorIiiEEZZNS1_27merge_sort_block_merge_implIS3_N6thrust23THRUST_200600_302600_NS6detail15normal_iteratorINS8_10device_ptrIiEEEESD_jNS1_19radix_merge_compareILb1ELb1EiNS0_19identity_decomposerEEEEE10hipError_tT0_T1_T2_jT3_P12ihipStream_tbPNSt15iterator_traitsISI_E10value_typeEPNSO_ISJ_E10value_typeEPSK_NS1_7vsmem_tEENKUlT_SI_SJ_SK_E_clIPiSD_S10_SD_EESH_SX_SI_SJ_SK_EUlSX_E1_NS1_11comp_targetILNS1_3genE2ELNS1_11target_archE906ELNS1_3gpuE6ELNS1_3repE0EEENS1_36merge_oddeven_config_static_selectorELNS0_4arch9wavefront6targetE1EEEvSJ_
	.globl	_ZN7rocprim17ROCPRIM_400000_NS6detail17trampoline_kernelINS0_14default_configENS1_38merge_sort_block_merge_config_selectorIiiEEZZNS1_27merge_sort_block_merge_implIS3_N6thrust23THRUST_200600_302600_NS6detail15normal_iteratorINS8_10device_ptrIiEEEESD_jNS1_19radix_merge_compareILb1ELb1EiNS0_19identity_decomposerEEEEE10hipError_tT0_T1_T2_jT3_P12ihipStream_tbPNSt15iterator_traitsISI_E10value_typeEPNSO_ISJ_E10value_typeEPSK_NS1_7vsmem_tEENKUlT_SI_SJ_SK_E_clIPiSD_S10_SD_EESH_SX_SI_SJ_SK_EUlSX_E1_NS1_11comp_targetILNS1_3genE2ELNS1_11target_archE906ELNS1_3gpuE6ELNS1_3repE0EEENS1_36merge_oddeven_config_static_selectorELNS0_4arch9wavefront6targetE1EEEvSJ_
	.p2align	8
	.type	_ZN7rocprim17ROCPRIM_400000_NS6detail17trampoline_kernelINS0_14default_configENS1_38merge_sort_block_merge_config_selectorIiiEEZZNS1_27merge_sort_block_merge_implIS3_N6thrust23THRUST_200600_302600_NS6detail15normal_iteratorINS8_10device_ptrIiEEEESD_jNS1_19radix_merge_compareILb1ELb1EiNS0_19identity_decomposerEEEEE10hipError_tT0_T1_T2_jT3_P12ihipStream_tbPNSt15iterator_traitsISI_E10value_typeEPNSO_ISJ_E10value_typeEPSK_NS1_7vsmem_tEENKUlT_SI_SJ_SK_E_clIPiSD_S10_SD_EESH_SX_SI_SJ_SK_EUlSX_E1_NS1_11comp_targetILNS1_3genE2ELNS1_11target_archE906ELNS1_3gpuE6ELNS1_3repE0EEENS1_36merge_oddeven_config_static_selectorELNS0_4arch9wavefront6targetE1EEEvSJ_,@function
_ZN7rocprim17ROCPRIM_400000_NS6detail17trampoline_kernelINS0_14default_configENS1_38merge_sort_block_merge_config_selectorIiiEEZZNS1_27merge_sort_block_merge_implIS3_N6thrust23THRUST_200600_302600_NS6detail15normal_iteratorINS8_10device_ptrIiEEEESD_jNS1_19radix_merge_compareILb1ELb1EiNS0_19identity_decomposerEEEEE10hipError_tT0_T1_T2_jT3_P12ihipStream_tbPNSt15iterator_traitsISI_E10value_typeEPNSO_ISJ_E10value_typeEPSK_NS1_7vsmem_tEENKUlT_SI_SJ_SK_E_clIPiSD_S10_SD_EESH_SX_SI_SJ_SK_EUlSX_E1_NS1_11comp_targetILNS1_3genE2ELNS1_11target_archE906ELNS1_3gpuE6ELNS1_3repE0EEENS1_36merge_oddeven_config_static_selectorELNS0_4arch9wavefront6targetE1EEEvSJ_: ; @_ZN7rocprim17ROCPRIM_400000_NS6detail17trampoline_kernelINS0_14default_configENS1_38merge_sort_block_merge_config_selectorIiiEEZZNS1_27merge_sort_block_merge_implIS3_N6thrust23THRUST_200600_302600_NS6detail15normal_iteratorINS8_10device_ptrIiEEEESD_jNS1_19radix_merge_compareILb1ELb1EiNS0_19identity_decomposerEEEEE10hipError_tT0_T1_T2_jT3_P12ihipStream_tbPNSt15iterator_traitsISI_E10value_typeEPNSO_ISJ_E10value_typeEPSK_NS1_7vsmem_tEENKUlT_SI_SJ_SK_E_clIPiSD_S10_SD_EESH_SX_SI_SJ_SK_EUlSX_E1_NS1_11comp_targetILNS1_3genE2ELNS1_11target_archE906ELNS1_3gpuE6ELNS1_3repE0EEENS1_36merge_oddeven_config_static_selectorELNS0_4arch9wavefront6targetE1EEEvSJ_
; %bb.0:
	.section	.rodata,"a",@progbits
	.p2align	6, 0x0
	.amdhsa_kernel _ZN7rocprim17ROCPRIM_400000_NS6detail17trampoline_kernelINS0_14default_configENS1_38merge_sort_block_merge_config_selectorIiiEEZZNS1_27merge_sort_block_merge_implIS3_N6thrust23THRUST_200600_302600_NS6detail15normal_iteratorINS8_10device_ptrIiEEEESD_jNS1_19radix_merge_compareILb1ELb1EiNS0_19identity_decomposerEEEEE10hipError_tT0_T1_T2_jT3_P12ihipStream_tbPNSt15iterator_traitsISI_E10value_typeEPNSO_ISJ_E10value_typeEPSK_NS1_7vsmem_tEENKUlT_SI_SJ_SK_E_clIPiSD_S10_SD_EESH_SX_SI_SJ_SK_EUlSX_E1_NS1_11comp_targetILNS1_3genE2ELNS1_11target_archE906ELNS1_3gpuE6ELNS1_3repE0EEENS1_36merge_oddeven_config_static_selectorELNS0_4arch9wavefront6targetE1EEEvSJ_
		.amdhsa_group_segment_fixed_size 0
		.amdhsa_private_segment_fixed_size 0
		.amdhsa_kernarg_size 48
		.amdhsa_user_sgpr_count 2
		.amdhsa_user_sgpr_dispatch_ptr 0
		.amdhsa_user_sgpr_queue_ptr 0
		.amdhsa_user_sgpr_kernarg_segment_ptr 1
		.amdhsa_user_sgpr_dispatch_id 0
		.amdhsa_user_sgpr_kernarg_preload_length 0
		.amdhsa_user_sgpr_kernarg_preload_offset 0
		.amdhsa_user_sgpr_private_segment_size 0
		.amdhsa_uses_dynamic_stack 0
		.amdhsa_enable_private_segment 0
		.amdhsa_system_sgpr_workgroup_id_x 1
		.amdhsa_system_sgpr_workgroup_id_y 0
		.amdhsa_system_sgpr_workgroup_id_z 0
		.amdhsa_system_sgpr_workgroup_info 0
		.amdhsa_system_vgpr_workitem_id 0
		.amdhsa_next_free_vgpr 1
		.amdhsa_next_free_sgpr 0
		.amdhsa_accum_offset 4
		.amdhsa_reserve_vcc 0
		.amdhsa_float_round_mode_32 0
		.amdhsa_float_round_mode_16_64 0
		.amdhsa_float_denorm_mode_32 3
		.amdhsa_float_denorm_mode_16_64 3
		.amdhsa_dx10_clamp 1
		.amdhsa_ieee_mode 1
		.amdhsa_fp16_overflow 0
		.amdhsa_tg_split 0
		.amdhsa_exception_fp_ieee_invalid_op 0
		.amdhsa_exception_fp_denorm_src 0
		.amdhsa_exception_fp_ieee_div_zero 0
		.amdhsa_exception_fp_ieee_overflow 0
		.amdhsa_exception_fp_ieee_underflow 0
		.amdhsa_exception_fp_ieee_inexact 0
		.amdhsa_exception_int_div_zero 0
	.end_amdhsa_kernel
	.section	.text._ZN7rocprim17ROCPRIM_400000_NS6detail17trampoline_kernelINS0_14default_configENS1_38merge_sort_block_merge_config_selectorIiiEEZZNS1_27merge_sort_block_merge_implIS3_N6thrust23THRUST_200600_302600_NS6detail15normal_iteratorINS8_10device_ptrIiEEEESD_jNS1_19radix_merge_compareILb1ELb1EiNS0_19identity_decomposerEEEEE10hipError_tT0_T1_T2_jT3_P12ihipStream_tbPNSt15iterator_traitsISI_E10value_typeEPNSO_ISJ_E10value_typeEPSK_NS1_7vsmem_tEENKUlT_SI_SJ_SK_E_clIPiSD_S10_SD_EESH_SX_SI_SJ_SK_EUlSX_E1_NS1_11comp_targetILNS1_3genE2ELNS1_11target_archE906ELNS1_3gpuE6ELNS1_3repE0EEENS1_36merge_oddeven_config_static_selectorELNS0_4arch9wavefront6targetE1EEEvSJ_,"axG",@progbits,_ZN7rocprim17ROCPRIM_400000_NS6detail17trampoline_kernelINS0_14default_configENS1_38merge_sort_block_merge_config_selectorIiiEEZZNS1_27merge_sort_block_merge_implIS3_N6thrust23THRUST_200600_302600_NS6detail15normal_iteratorINS8_10device_ptrIiEEEESD_jNS1_19radix_merge_compareILb1ELb1EiNS0_19identity_decomposerEEEEE10hipError_tT0_T1_T2_jT3_P12ihipStream_tbPNSt15iterator_traitsISI_E10value_typeEPNSO_ISJ_E10value_typeEPSK_NS1_7vsmem_tEENKUlT_SI_SJ_SK_E_clIPiSD_S10_SD_EESH_SX_SI_SJ_SK_EUlSX_E1_NS1_11comp_targetILNS1_3genE2ELNS1_11target_archE906ELNS1_3gpuE6ELNS1_3repE0EEENS1_36merge_oddeven_config_static_selectorELNS0_4arch9wavefront6targetE1EEEvSJ_,comdat
.Lfunc_end954:
	.size	_ZN7rocprim17ROCPRIM_400000_NS6detail17trampoline_kernelINS0_14default_configENS1_38merge_sort_block_merge_config_selectorIiiEEZZNS1_27merge_sort_block_merge_implIS3_N6thrust23THRUST_200600_302600_NS6detail15normal_iteratorINS8_10device_ptrIiEEEESD_jNS1_19radix_merge_compareILb1ELb1EiNS0_19identity_decomposerEEEEE10hipError_tT0_T1_T2_jT3_P12ihipStream_tbPNSt15iterator_traitsISI_E10value_typeEPNSO_ISJ_E10value_typeEPSK_NS1_7vsmem_tEENKUlT_SI_SJ_SK_E_clIPiSD_S10_SD_EESH_SX_SI_SJ_SK_EUlSX_E1_NS1_11comp_targetILNS1_3genE2ELNS1_11target_archE906ELNS1_3gpuE6ELNS1_3repE0EEENS1_36merge_oddeven_config_static_selectorELNS0_4arch9wavefront6targetE1EEEvSJ_, .Lfunc_end954-_ZN7rocprim17ROCPRIM_400000_NS6detail17trampoline_kernelINS0_14default_configENS1_38merge_sort_block_merge_config_selectorIiiEEZZNS1_27merge_sort_block_merge_implIS3_N6thrust23THRUST_200600_302600_NS6detail15normal_iteratorINS8_10device_ptrIiEEEESD_jNS1_19radix_merge_compareILb1ELb1EiNS0_19identity_decomposerEEEEE10hipError_tT0_T1_T2_jT3_P12ihipStream_tbPNSt15iterator_traitsISI_E10value_typeEPNSO_ISJ_E10value_typeEPSK_NS1_7vsmem_tEENKUlT_SI_SJ_SK_E_clIPiSD_S10_SD_EESH_SX_SI_SJ_SK_EUlSX_E1_NS1_11comp_targetILNS1_3genE2ELNS1_11target_archE906ELNS1_3gpuE6ELNS1_3repE0EEENS1_36merge_oddeven_config_static_selectorELNS0_4arch9wavefront6targetE1EEEvSJ_
                                        ; -- End function
	.set _ZN7rocprim17ROCPRIM_400000_NS6detail17trampoline_kernelINS0_14default_configENS1_38merge_sort_block_merge_config_selectorIiiEEZZNS1_27merge_sort_block_merge_implIS3_N6thrust23THRUST_200600_302600_NS6detail15normal_iteratorINS8_10device_ptrIiEEEESD_jNS1_19radix_merge_compareILb1ELb1EiNS0_19identity_decomposerEEEEE10hipError_tT0_T1_T2_jT3_P12ihipStream_tbPNSt15iterator_traitsISI_E10value_typeEPNSO_ISJ_E10value_typeEPSK_NS1_7vsmem_tEENKUlT_SI_SJ_SK_E_clIPiSD_S10_SD_EESH_SX_SI_SJ_SK_EUlSX_E1_NS1_11comp_targetILNS1_3genE2ELNS1_11target_archE906ELNS1_3gpuE6ELNS1_3repE0EEENS1_36merge_oddeven_config_static_selectorELNS0_4arch9wavefront6targetE1EEEvSJ_.num_vgpr, 0
	.set _ZN7rocprim17ROCPRIM_400000_NS6detail17trampoline_kernelINS0_14default_configENS1_38merge_sort_block_merge_config_selectorIiiEEZZNS1_27merge_sort_block_merge_implIS3_N6thrust23THRUST_200600_302600_NS6detail15normal_iteratorINS8_10device_ptrIiEEEESD_jNS1_19radix_merge_compareILb1ELb1EiNS0_19identity_decomposerEEEEE10hipError_tT0_T1_T2_jT3_P12ihipStream_tbPNSt15iterator_traitsISI_E10value_typeEPNSO_ISJ_E10value_typeEPSK_NS1_7vsmem_tEENKUlT_SI_SJ_SK_E_clIPiSD_S10_SD_EESH_SX_SI_SJ_SK_EUlSX_E1_NS1_11comp_targetILNS1_3genE2ELNS1_11target_archE906ELNS1_3gpuE6ELNS1_3repE0EEENS1_36merge_oddeven_config_static_selectorELNS0_4arch9wavefront6targetE1EEEvSJ_.num_agpr, 0
	.set _ZN7rocprim17ROCPRIM_400000_NS6detail17trampoline_kernelINS0_14default_configENS1_38merge_sort_block_merge_config_selectorIiiEEZZNS1_27merge_sort_block_merge_implIS3_N6thrust23THRUST_200600_302600_NS6detail15normal_iteratorINS8_10device_ptrIiEEEESD_jNS1_19radix_merge_compareILb1ELb1EiNS0_19identity_decomposerEEEEE10hipError_tT0_T1_T2_jT3_P12ihipStream_tbPNSt15iterator_traitsISI_E10value_typeEPNSO_ISJ_E10value_typeEPSK_NS1_7vsmem_tEENKUlT_SI_SJ_SK_E_clIPiSD_S10_SD_EESH_SX_SI_SJ_SK_EUlSX_E1_NS1_11comp_targetILNS1_3genE2ELNS1_11target_archE906ELNS1_3gpuE6ELNS1_3repE0EEENS1_36merge_oddeven_config_static_selectorELNS0_4arch9wavefront6targetE1EEEvSJ_.numbered_sgpr, 0
	.set _ZN7rocprim17ROCPRIM_400000_NS6detail17trampoline_kernelINS0_14default_configENS1_38merge_sort_block_merge_config_selectorIiiEEZZNS1_27merge_sort_block_merge_implIS3_N6thrust23THRUST_200600_302600_NS6detail15normal_iteratorINS8_10device_ptrIiEEEESD_jNS1_19radix_merge_compareILb1ELb1EiNS0_19identity_decomposerEEEEE10hipError_tT0_T1_T2_jT3_P12ihipStream_tbPNSt15iterator_traitsISI_E10value_typeEPNSO_ISJ_E10value_typeEPSK_NS1_7vsmem_tEENKUlT_SI_SJ_SK_E_clIPiSD_S10_SD_EESH_SX_SI_SJ_SK_EUlSX_E1_NS1_11comp_targetILNS1_3genE2ELNS1_11target_archE906ELNS1_3gpuE6ELNS1_3repE0EEENS1_36merge_oddeven_config_static_selectorELNS0_4arch9wavefront6targetE1EEEvSJ_.num_named_barrier, 0
	.set _ZN7rocprim17ROCPRIM_400000_NS6detail17trampoline_kernelINS0_14default_configENS1_38merge_sort_block_merge_config_selectorIiiEEZZNS1_27merge_sort_block_merge_implIS3_N6thrust23THRUST_200600_302600_NS6detail15normal_iteratorINS8_10device_ptrIiEEEESD_jNS1_19radix_merge_compareILb1ELb1EiNS0_19identity_decomposerEEEEE10hipError_tT0_T1_T2_jT3_P12ihipStream_tbPNSt15iterator_traitsISI_E10value_typeEPNSO_ISJ_E10value_typeEPSK_NS1_7vsmem_tEENKUlT_SI_SJ_SK_E_clIPiSD_S10_SD_EESH_SX_SI_SJ_SK_EUlSX_E1_NS1_11comp_targetILNS1_3genE2ELNS1_11target_archE906ELNS1_3gpuE6ELNS1_3repE0EEENS1_36merge_oddeven_config_static_selectorELNS0_4arch9wavefront6targetE1EEEvSJ_.private_seg_size, 0
	.set _ZN7rocprim17ROCPRIM_400000_NS6detail17trampoline_kernelINS0_14default_configENS1_38merge_sort_block_merge_config_selectorIiiEEZZNS1_27merge_sort_block_merge_implIS3_N6thrust23THRUST_200600_302600_NS6detail15normal_iteratorINS8_10device_ptrIiEEEESD_jNS1_19radix_merge_compareILb1ELb1EiNS0_19identity_decomposerEEEEE10hipError_tT0_T1_T2_jT3_P12ihipStream_tbPNSt15iterator_traitsISI_E10value_typeEPNSO_ISJ_E10value_typeEPSK_NS1_7vsmem_tEENKUlT_SI_SJ_SK_E_clIPiSD_S10_SD_EESH_SX_SI_SJ_SK_EUlSX_E1_NS1_11comp_targetILNS1_3genE2ELNS1_11target_archE906ELNS1_3gpuE6ELNS1_3repE0EEENS1_36merge_oddeven_config_static_selectorELNS0_4arch9wavefront6targetE1EEEvSJ_.uses_vcc, 0
	.set _ZN7rocprim17ROCPRIM_400000_NS6detail17trampoline_kernelINS0_14default_configENS1_38merge_sort_block_merge_config_selectorIiiEEZZNS1_27merge_sort_block_merge_implIS3_N6thrust23THRUST_200600_302600_NS6detail15normal_iteratorINS8_10device_ptrIiEEEESD_jNS1_19radix_merge_compareILb1ELb1EiNS0_19identity_decomposerEEEEE10hipError_tT0_T1_T2_jT3_P12ihipStream_tbPNSt15iterator_traitsISI_E10value_typeEPNSO_ISJ_E10value_typeEPSK_NS1_7vsmem_tEENKUlT_SI_SJ_SK_E_clIPiSD_S10_SD_EESH_SX_SI_SJ_SK_EUlSX_E1_NS1_11comp_targetILNS1_3genE2ELNS1_11target_archE906ELNS1_3gpuE6ELNS1_3repE0EEENS1_36merge_oddeven_config_static_selectorELNS0_4arch9wavefront6targetE1EEEvSJ_.uses_flat_scratch, 0
	.set _ZN7rocprim17ROCPRIM_400000_NS6detail17trampoline_kernelINS0_14default_configENS1_38merge_sort_block_merge_config_selectorIiiEEZZNS1_27merge_sort_block_merge_implIS3_N6thrust23THRUST_200600_302600_NS6detail15normal_iteratorINS8_10device_ptrIiEEEESD_jNS1_19radix_merge_compareILb1ELb1EiNS0_19identity_decomposerEEEEE10hipError_tT0_T1_T2_jT3_P12ihipStream_tbPNSt15iterator_traitsISI_E10value_typeEPNSO_ISJ_E10value_typeEPSK_NS1_7vsmem_tEENKUlT_SI_SJ_SK_E_clIPiSD_S10_SD_EESH_SX_SI_SJ_SK_EUlSX_E1_NS1_11comp_targetILNS1_3genE2ELNS1_11target_archE906ELNS1_3gpuE6ELNS1_3repE0EEENS1_36merge_oddeven_config_static_selectorELNS0_4arch9wavefront6targetE1EEEvSJ_.has_dyn_sized_stack, 0
	.set _ZN7rocprim17ROCPRIM_400000_NS6detail17trampoline_kernelINS0_14default_configENS1_38merge_sort_block_merge_config_selectorIiiEEZZNS1_27merge_sort_block_merge_implIS3_N6thrust23THRUST_200600_302600_NS6detail15normal_iteratorINS8_10device_ptrIiEEEESD_jNS1_19radix_merge_compareILb1ELb1EiNS0_19identity_decomposerEEEEE10hipError_tT0_T1_T2_jT3_P12ihipStream_tbPNSt15iterator_traitsISI_E10value_typeEPNSO_ISJ_E10value_typeEPSK_NS1_7vsmem_tEENKUlT_SI_SJ_SK_E_clIPiSD_S10_SD_EESH_SX_SI_SJ_SK_EUlSX_E1_NS1_11comp_targetILNS1_3genE2ELNS1_11target_archE906ELNS1_3gpuE6ELNS1_3repE0EEENS1_36merge_oddeven_config_static_selectorELNS0_4arch9wavefront6targetE1EEEvSJ_.has_recursion, 0
	.set _ZN7rocprim17ROCPRIM_400000_NS6detail17trampoline_kernelINS0_14default_configENS1_38merge_sort_block_merge_config_selectorIiiEEZZNS1_27merge_sort_block_merge_implIS3_N6thrust23THRUST_200600_302600_NS6detail15normal_iteratorINS8_10device_ptrIiEEEESD_jNS1_19radix_merge_compareILb1ELb1EiNS0_19identity_decomposerEEEEE10hipError_tT0_T1_T2_jT3_P12ihipStream_tbPNSt15iterator_traitsISI_E10value_typeEPNSO_ISJ_E10value_typeEPSK_NS1_7vsmem_tEENKUlT_SI_SJ_SK_E_clIPiSD_S10_SD_EESH_SX_SI_SJ_SK_EUlSX_E1_NS1_11comp_targetILNS1_3genE2ELNS1_11target_archE906ELNS1_3gpuE6ELNS1_3repE0EEENS1_36merge_oddeven_config_static_selectorELNS0_4arch9wavefront6targetE1EEEvSJ_.has_indirect_call, 0
	.section	.AMDGPU.csdata,"",@progbits
; Kernel info:
; codeLenInByte = 0
; TotalNumSgprs: 6
; NumVgprs: 0
; NumAgprs: 0
; TotalNumVgprs: 0
; ScratchSize: 0
; MemoryBound: 0
; FloatMode: 240
; IeeeMode: 1
; LDSByteSize: 0 bytes/workgroup (compile time only)
; SGPRBlocks: 0
; VGPRBlocks: 0
; NumSGPRsForWavesPerEU: 6
; NumVGPRsForWavesPerEU: 1
; AccumOffset: 4
; Occupancy: 8
; WaveLimiterHint : 0
; COMPUTE_PGM_RSRC2:SCRATCH_EN: 0
; COMPUTE_PGM_RSRC2:USER_SGPR: 2
; COMPUTE_PGM_RSRC2:TRAP_HANDLER: 0
; COMPUTE_PGM_RSRC2:TGID_X_EN: 1
; COMPUTE_PGM_RSRC2:TGID_Y_EN: 0
; COMPUTE_PGM_RSRC2:TGID_Z_EN: 0
; COMPUTE_PGM_RSRC2:TIDIG_COMP_CNT: 0
; COMPUTE_PGM_RSRC3_GFX90A:ACCUM_OFFSET: 0
; COMPUTE_PGM_RSRC3_GFX90A:TG_SPLIT: 0
	.section	.text._ZN7rocprim17ROCPRIM_400000_NS6detail17trampoline_kernelINS0_14default_configENS1_38merge_sort_block_merge_config_selectorIiiEEZZNS1_27merge_sort_block_merge_implIS3_N6thrust23THRUST_200600_302600_NS6detail15normal_iteratorINS8_10device_ptrIiEEEESD_jNS1_19radix_merge_compareILb1ELb1EiNS0_19identity_decomposerEEEEE10hipError_tT0_T1_T2_jT3_P12ihipStream_tbPNSt15iterator_traitsISI_E10value_typeEPNSO_ISJ_E10value_typeEPSK_NS1_7vsmem_tEENKUlT_SI_SJ_SK_E_clIPiSD_S10_SD_EESH_SX_SI_SJ_SK_EUlSX_E1_NS1_11comp_targetILNS1_3genE9ELNS1_11target_archE1100ELNS1_3gpuE3ELNS1_3repE0EEENS1_36merge_oddeven_config_static_selectorELNS0_4arch9wavefront6targetE1EEEvSJ_,"axG",@progbits,_ZN7rocprim17ROCPRIM_400000_NS6detail17trampoline_kernelINS0_14default_configENS1_38merge_sort_block_merge_config_selectorIiiEEZZNS1_27merge_sort_block_merge_implIS3_N6thrust23THRUST_200600_302600_NS6detail15normal_iteratorINS8_10device_ptrIiEEEESD_jNS1_19radix_merge_compareILb1ELb1EiNS0_19identity_decomposerEEEEE10hipError_tT0_T1_T2_jT3_P12ihipStream_tbPNSt15iterator_traitsISI_E10value_typeEPNSO_ISJ_E10value_typeEPSK_NS1_7vsmem_tEENKUlT_SI_SJ_SK_E_clIPiSD_S10_SD_EESH_SX_SI_SJ_SK_EUlSX_E1_NS1_11comp_targetILNS1_3genE9ELNS1_11target_archE1100ELNS1_3gpuE3ELNS1_3repE0EEENS1_36merge_oddeven_config_static_selectorELNS0_4arch9wavefront6targetE1EEEvSJ_,comdat
	.protected	_ZN7rocprim17ROCPRIM_400000_NS6detail17trampoline_kernelINS0_14default_configENS1_38merge_sort_block_merge_config_selectorIiiEEZZNS1_27merge_sort_block_merge_implIS3_N6thrust23THRUST_200600_302600_NS6detail15normal_iteratorINS8_10device_ptrIiEEEESD_jNS1_19radix_merge_compareILb1ELb1EiNS0_19identity_decomposerEEEEE10hipError_tT0_T1_T2_jT3_P12ihipStream_tbPNSt15iterator_traitsISI_E10value_typeEPNSO_ISJ_E10value_typeEPSK_NS1_7vsmem_tEENKUlT_SI_SJ_SK_E_clIPiSD_S10_SD_EESH_SX_SI_SJ_SK_EUlSX_E1_NS1_11comp_targetILNS1_3genE9ELNS1_11target_archE1100ELNS1_3gpuE3ELNS1_3repE0EEENS1_36merge_oddeven_config_static_selectorELNS0_4arch9wavefront6targetE1EEEvSJ_ ; -- Begin function _ZN7rocprim17ROCPRIM_400000_NS6detail17trampoline_kernelINS0_14default_configENS1_38merge_sort_block_merge_config_selectorIiiEEZZNS1_27merge_sort_block_merge_implIS3_N6thrust23THRUST_200600_302600_NS6detail15normal_iteratorINS8_10device_ptrIiEEEESD_jNS1_19radix_merge_compareILb1ELb1EiNS0_19identity_decomposerEEEEE10hipError_tT0_T1_T2_jT3_P12ihipStream_tbPNSt15iterator_traitsISI_E10value_typeEPNSO_ISJ_E10value_typeEPSK_NS1_7vsmem_tEENKUlT_SI_SJ_SK_E_clIPiSD_S10_SD_EESH_SX_SI_SJ_SK_EUlSX_E1_NS1_11comp_targetILNS1_3genE9ELNS1_11target_archE1100ELNS1_3gpuE3ELNS1_3repE0EEENS1_36merge_oddeven_config_static_selectorELNS0_4arch9wavefront6targetE1EEEvSJ_
	.globl	_ZN7rocprim17ROCPRIM_400000_NS6detail17trampoline_kernelINS0_14default_configENS1_38merge_sort_block_merge_config_selectorIiiEEZZNS1_27merge_sort_block_merge_implIS3_N6thrust23THRUST_200600_302600_NS6detail15normal_iteratorINS8_10device_ptrIiEEEESD_jNS1_19radix_merge_compareILb1ELb1EiNS0_19identity_decomposerEEEEE10hipError_tT0_T1_T2_jT3_P12ihipStream_tbPNSt15iterator_traitsISI_E10value_typeEPNSO_ISJ_E10value_typeEPSK_NS1_7vsmem_tEENKUlT_SI_SJ_SK_E_clIPiSD_S10_SD_EESH_SX_SI_SJ_SK_EUlSX_E1_NS1_11comp_targetILNS1_3genE9ELNS1_11target_archE1100ELNS1_3gpuE3ELNS1_3repE0EEENS1_36merge_oddeven_config_static_selectorELNS0_4arch9wavefront6targetE1EEEvSJ_
	.p2align	8
	.type	_ZN7rocprim17ROCPRIM_400000_NS6detail17trampoline_kernelINS0_14default_configENS1_38merge_sort_block_merge_config_selectorIiiEEZZNS1_27merge_sort_block_merge_implIS3_N6thrust23THRUST_200600_302600_NS6detail15normal_iteratorINS8_10device_ptrIiEEEESD_jNS1_19radix_merge_compareILb1ELb1EiNS0_19identity_decomposerEEEEE10hipError_tT0_T1_T2_jT3_P12ihipStream_tbPNSt15iterator_traitsISI_E10value_typeEPNSO_ISJ_E10value_typeEPSK_NS1_7vsmem_tEENKUlT_SI_SJ_SK_E_clIPiSD_S10_SD_EESH_SX_SI_SJ_SK_EUlSX_E1_NS1_11comp_targetILNS1_3genE9ELNS1_11target_archE1100ELNS1_3gpuE3ELNS1_3repE0EEENS1_36merge_oddeven_config_static_selectorELNS0_4arch9wavefront6targetE1EEEvSJ_,@function
_ZN7rocprim17ROCPRIM_400000_NS6detail17trampoline_kernelINS0_14default_configENS1_38merge_sort_block_merge_config_selectorIiiEEZZNS1_27merge_sort_block_merge_implIS3_N6thrust23THRUST_200600_302600_NS6detail15normal_iteratorINS8_10device_ptrIiEEEESD_jNS1_19radix_merge_compareILb1ELb1EiNS0_19identity_decomposerEEEEE10hipError_tT0_T1_T2_jT3_P12ihipStream_tbPNSt15iterator_traitsISI_E10value_typeEPNSO_ISJ_E10value_typeEPSK_NS1_7vsmem_tEENKUlT_SI_SJ_SK_E_clIPiSD_S10_SD_EESH_SX_SI_SJ_SK_EUlSX_E1_NS1_11comp_targetILNS1_3genE9ELNS1_11target_archE1100ELNS1_3gpuE3ELNS1_3repE0EEENS1_36merge_oddeven_config_static_selectorELNS0_4arch9wavefront6targetE1EEEvSJ_: ; @_ZN7rocprim17ROCPRIM_400000_NS6detail17trampoline_kernelINS0_14default_configENS1_38merge_sort_block_merge_config_selectorIiiEEZZNS1_27merge_sort_block_merge_implIS3_N6thrust23THRUST_200600_302600_NS6detail15normal_iteratorINS8_10device_ptrIiEEEESD_jNS1_19radix_merge_compareILb1ELb1EiNS0_19identity_decomposerEEEEE10hipError_tT0_T1_T2_jT3_P12ihipStream_tbPNSt15iterator_traitsISI_E10value_typeEPNSO_ISJ_E10value_typeEPSK_NS1_7vsmem_tEENKUlT_SI_SJ_SK_E_clIPiSD_S10_SD_EESH_SX_SI_SJ_SK_EUlSX_E1_NS1_11comp_targetILNS1_3genE9ELNS1_11target_archE1100ELNS1_3gpuE3ELNS1_3repE0EEENS1_36merge_oddeven_config_static_selectorELNS0_4arch9wavefront6targetE1EEEvSJ_
; %bb.0:
	.section	.rodata,"a",@progbits
	.p2align	6, 0x0
	.amdhsa_kernel _ZN7rocprim17ROCPRIM_400000_NS6detail17trampoline_kernelINS0_14default_configENS1_38merge_sort_block_merge_config_selectorIiiEEZZNS1_27merge_sort_block_merge_implIS3_N6thrust23THRUST_200600_302600_NS6detail15normal_iteratorINS8_10device_ptrIiEEEESD_jNS1_19radix_merge_compareILb1ELb1EiNS0_19identity_decomposerEEEEE10hipError_tT0_T1_T2_jT3_P12ihipStream_tbPNSt15iterator_traitsISI_E10value_typeEPNSO_ISJ_E10value_typeEPSK_NS1_7vsmem_tEENKUlT_SI_SJ_SK_E_clIPiSD_S10_SD_EESH_SX_SI_SJ_SK_EUlSX_E1_NS1_11comp_targetILNS1_3genE9ELNS1_11target_archE1100ELNS1_3gpuE3ELNS1_3repE0EEENS1_36merge_oddeven_config_static_selectorELNS0_4arch9wavefront6targetE1EEEvSJ_
		.amdhsa_group_segment_fixed_size 0
		.amdhsa_private_segment_fixed_size 0
		.amdhsa_kernarg_size 48
		.amdhsa_user_sgpr_count 2
		.amdhsa_user_sgpr_dispatch_ptr 0
		.amdhsa_user_sgpr_queue_ptr 0
		.amdhsa_user_sgpr_kernarg_segment_ptr 1
		.amdhsa_user_sgpr_dispatch_id 0
		.amdhsa_user_sgpr_kernarg_preload_length 0
		.amdhsa_user_sgpr_kernarg_preload_offset 0
		.amdhsa_user_sgpr_private_segment_size 0
		.amdhsa_uses_dynamic_stack 0
		.amdhsa_enable_private_segment 0
		.amdhsa_system_sgpr_workgroup_id_x 1
		.amdhsa_system_sgpr_workgroup_id_y 0
		.amdhsa_system_sgpr_workgroup_id_z 0
		.amdhsa_system_sgpr_workgroup_info 0
		.amdhsa_system_vgpr_workitem_id 0
		.amdhsa_next_free_vgpr 1
		.amdhsa_next_free_sgpr 0
		.amdhsa_accum_offset 4
		.amdhsa_reserve_vcc 0
		.amdhsa_float_round_mode_32 0
		.amdhsa_float_round_mode_16_64 0
		.amdhsa_float_denorm_mode_32 3
		.amdhsa_float_denorm_mode_16_64 3
		.amdhsa_dx10_clamp 1
		.amdhsa_ieee_mode 1
		.amdhsa_fp16_overflow 0
		.amdhsa_tg_split 0
		.amdhsa_exception_fp_ieee_invalid_op 0
		.amdhsa_exception_fp_denorm_src 0
		.amdhsa_exception_fp_ieee_div_zero 0
		.amdhsa_exception_fp_ieee_overflow 0
		.amdhsa_exception_fp_ieee_underflow 0
		.amdhsa_exception_fp_ieee_inexact 0
		.amdhsa_exception_int_div_zero 0
	.end_amdhsa_kernel
	.section	.text._ZN7rocprim17ROCPRIM_400000_NS6detail17trampoline_kernelINS0_14default_configENS1_38merge_sort_block_merge_config_selectorIiiEEZZNS1_27merge_sort_block_merge_implIS3_N6thrust23THRUST_200600_302600_NS6detail15normal_iteratorINS8_10device_ptrIiEEEESD_jNS1_19radix_merge_compareILb1ELb1EiNS0_19identity_decomposerEEEEE10hipError_tT0_T1_T2_jT3_P12ihipStream_tbPNSt15iterator_traitsISI_E10value_typeEPNSO_ISJ_E10value_typeEPSK_NS1_7vsmem_tEENKUlT_SI_SJ_SK_E_clIPiSD_S10_SD_EESH_SX_SI_SJ_SK_EUlSX_E1_NS1_11comp_targetILNS1_3genE9ELNS1_11target_archE1100ELNS1_3gpuE3ELNS1_3repE0EEENS1_36merge_oddeven_config_static_selectorELNS0_4arch9wavefront6targetE1EEEvSJ_,"axG",@progbits,_ZN7rocprim17ROCPRIM_400000_NS6detail17trampoline_kernelINS0_14default_configENS1_38merge_sort_block_merge_config_selectorIiiEEZZNS1_27merge_sort_block_merge_implIS3_N6thrust23THRUST_200600_302600_NS6detail15normal_iteratorINS8_10device_ptrIiEEEESD_jNS1_19radix_merge_compareILb1ELb1EiNS0_19identity_decomposerEEEEE10hipError_tT0_T1_T2_jT3_P12ihipStream_tbPNSt15iterator_traitsISI_E10value_typeEPNSO_ISJ_E10value_typeEPSK_NS1_7vsmem_tEENKUlT_SI_SJ_SK_E_clIPiSD_S10_SD_EESH_SX_SI_SJ_SK_EUlSX_E1_NS1_11comp_targetILNS1_3genE9ELNS1_11target_archE1100ELNS1_3gpuE3ELNS1_3repE0EEENS1_36merge_oddeven_config_static_selectorELNS0_4arch9wavefront6targetE1EEEvSJ_,comdat
.Lfunc_end955:
	.size	_ZN7rocprim17ROCPRIM_400000_NS6detail17trampoline_kernelINS0_14default_configENS1_38merge_sort_block_merge_config_selectorIiiEEZZNS1_27merge_sort_block_merge_implIS3_N6thrust23THRUST_200600_302600_NS6detail15normal_iteratorINS8_10device_ptrIiEEEESD_jNS1_19radix_merge_compareILb1ELb1EiNS0_19identity_decomposerEEEEE10hipError_tT0_T1_T2_jT3_P12ihipStream_tbPNSt15iterator_traitsISI_E10value_typeEPNSO_ISJ_E10value_typeEPSK_NS1_7vsmem_tEENKUlT_SI_SJ_SK_E_clIPiSD_S10_SD_EESH_SX_SI_SJ_SK_EUlSX_E1_NS1_11comp_targetILNS1_3genE9ELNS1_11target_archE1100ELNS1_3gpuE3ELNS1_3repE0EEENS1_36merge_oddeven_config_static_selectorELNS0_4arch9wavefront6targetE1EEEvSJ_, .Lfunc_end955-_ZN7rocprim17ROCPRIM_400000_NS6detail17trampoline_kernelINS0_14default_configENS1_38merge_sort_block_merge_config_selectorIiiEEZZNS1_27merge_sort_block_merge_implIS3_N6thrust23THRUST_200600_302600_NS6detail15normal_iteratorINS8_10device_ptrIiEEEESD_jNS1_19radix_merge_compareILb1ELb1EiNS0_19identity_decomposerEEEEE10hipError_tT0_T1_T2_jT3_P12ihipStream_tbPNSt15iterator_traitsISI_E10value_typeEPNSO_ISJ_E10value_typeEPSK_NS1_7vsmem_tEENKUlT_SI_SJ_SK_E_clIPiSD_S10_SD_EESH_SX_SI_SJ_SK_EUlSX_E1_NS1_11comp_targetILNS1_3genE9ELNS1_11target_archE1100ELNS1_3gpuE3ELNS1_3repE0EEENS1_36merge_oddeven_config_static_selectorELNS0_4arch9wavefront6targetE1EEEvSJ_
                                        ; -- End function
	.set _ZN7rocprim17ROCPRIM_400000_NS6detail17trampoline_kernelINS0_14default_configENS1_38merge_sort_block_merge_config_selectorIiiEEZZNS1_27merge_sort_block_merge_implIS3_N6thrust23THRUST_200600_302600_NS6detail15normal_iteratorINS8_10device_ptrIiEEEESD_jNS1_19radix_merge_compareILb1ELb1EiNS0_19identity_decomposerEEEEE10hipError_tT0_T1_T2_jT3_P12ihipStream_tbPNSt15iterator_traitsISI_E10value_typeEPNSO_ISJ_E10value_typeEPSK_NS1_7vsmem_tEENKUlT_SI_SJ_SK_E_clIPiSD_S10_SD_EESH_SX_SI_SJ_SK_EUlSX_E1_NS1_11comp_targetILNS1_3genE9ELNS1_11target_archE1100ELNS1_3gpuE3ELNS1_3repE0EEENS1_36merge_oddeven_config_static_selectorELNS0_4arch9wavefront6targetE1EEEvSJ_.num_vgpr, 0
	.set _ZN7rocprim17ROCPRIM_400000_NS6detail17trampoline_kernelINS0_14default_configENS1_38merge_sort_block_merge_config_selectorIiiEEZZNS1_27merge_sort_block_merge_implIS3_N6thrust23THRUST_200600_302600_NS6detail15normal_iteratorINS8_10device_ptrIiEEEESD_jNS1_19radix_merge_compareILb1ELb1EiNS0_19identity_decomposerEEEEE10hipError_tT0_T1_T2_jT3_P12ihipStream_tbPNSt15iterator_traitsISI_E10value_typeEPNSO_ISJ_E10value_typeEPSK_NS1_7vsmem_tEENKUlT_SI_SJ_SK_E_clIPiSD_S10_SD_EESH_SX_SI_SJ_SK_EUlSX_E1_NS1_11comp_targetILNS1_3genE9ELNS1_11target_archE1100ELNS1_3gpuE3ELNS1_3repE0EEENS1_36merge_oddeven_config_static_selectorELNS0_4arch9wavefront6targetE1EEEvSJ_.num_agpr, 0
	.set _ZN7rocprim17ROCPRIM_400000_NS6detail17trampoline_kernelINS0_14default_configENS1_38merge_sort_block_merge_config_selectorIiiEEZZNS1_27merge_sort_block_merge_implIS3_N6thrust23THRUST_200600_302600_NS6detail15normal_iteratorINS8_10device_ptrIiEEEESD_jNS1_19radix_merge_compareILb1ELb1EiNS0_19identity_decomposerEEEEE10hipError_tT0_T1_T2_jT3_P12ihipStream_tbPNSt15iterator_traitsISI_E10value_typeEPNSO_ISJ_E10value_typeEPSK_NS1_7vsmem_tEENKUlT_SI_SJ_SK_E_clIPiSD_S10_SD_EESH_SX_SI_SJ_SK_EUlSX_E1_NS1_11comp_targetILNS1_3genE9ELNS1_11target_archE1100ELNS1_3gpuE3ELNS1_3repE0EEENS1_36merge_oddeven_config_static_selectorELNS0_4arch9wavefront6targetE1EEEvSJ_.numbered_sgpr, 0
	.set _ZN7rocprim17ROCPRIM_400000_NS6detail17trampoline_kernelINS0_14default_configENS1_38merge_sort_block_merge_config_selectorIiiEEZZNS1_27merge_sort_block_merge_implIS3_N6thrust23THRUST_200600_302600_NS6detail15normal_iteratorINS8_10device_ptrIiEEEESD_jNS1_19radix_merge_compareILb1ELb1EiNS0_19identity_decomposerEEEEE10hipError_tT0_T1_T2_jT3_P12ihipStream_tbPNSt15iterator_traitsISI_E10value_typeEPNSO_ISJ_E10value_typeEPSK_NS1_7vsmem_tEENKUlT_SI_SJ_SK_E_clIPiSD_S10_SD_EESH_SX_SI_SJ_SK_EUlSX_E1_NS1_11comp_targetILNS1_3genE9ELNS1_11target_archE1100ELNS1_3gpuE3ELNS1_3repE0EEENS1_36merge_oddeven_config_static_selectorELNS0_4arch9wavefront6targetE1EEEvSJ_.num_named_barrier, 0
	.set _ZN7rocprim17ROCPRIM_400000_NS6detail17trampoline_kernelINS0_14default_configENS1_38merge_sort_block_merge_config_selectorIiiEEZZNS1_27merge_sort_block_merge_implIS3_N6thrust23THRUST_200600_302600_NS6detail15normal_iteratorINS8_10device_ptrIiEEEESD_jNS1_19radix_merge_compareILb1ELb1EiNS0_19identity_decomposerEEEEE10hipError_tT0_T1_T2_jT3_P12ihipStream_tbPNSt15iterator_traitsISI_E10value_typeEPNSO_ISJ_E10value_typeEPSK_NS1_7vsmem_tEENKUlT_SI_SJ_SK_E_clIPiSD_S10_SD_EESH_SX_SI_SJ_SK_EUlSX_E1_NS1_11comp_targetILNS1_3genE9ELNS1_11target_archE1100ELNS1_3gpuE3ELNS1_3repE0EEENS1_36merge_oddeven_config_static_selectorELNS0_4arch9wavefront6targetE1EEEvSJ_.private_seg_size, 0
	.set _ZN7rocprim17ROCPRIM_400000_NS6detail17trampoline_kernelINS0_14default_configENS1_38merge_sort_block_merge_config_selectorIiiEEZZNS1_27merge_sort_block_merge_implIS3_N6thrust23THRUST_200600_302600_NS6detail15normal_iteratorINS8_10device_ptrIiEEEESD_jNS1_19radix_merge_compareILb1ELb1EiNS0_19identity_decomposerEEEEE10hipError_tT0_T1_T2_jT3_P12ihipStream_tbPNSt15iterator_traitsISI_E10value_typeEPNSO_ISJ_E10value_typeEPSK_NS1_7vsmem_tEENKUlT_SI_SJ_SK_E_clIPiSD_S10_SD_EESH_SX_SI_SJ_SK_EUlSX_E1_NS1_11comp_targetILNS1_3genE9ELNS1_11target_archE1100ELNS1_3gpuE3ELNS1_3repE0EEENS1_36merge_oddeven_config_static_selectorELNS0_4arch9wavefront6targetE1EEEvSJ_.uses_vcc, 0
	.set _ZN7rocprim17ROCPRIM_400000_NS6detail17trampoline_kernelINS0_14default_configENS1_38merge_sort_block_merge_config_selectorIiiEEZZNS1_27merge_sort_block_merge_implIS3_N6thrust23THRUST_200600_302600_NS6detail15normal_iteratorINS8_10device_ptrIiEEEESD_jNS1_19radix_merge_compareILb1ELb1EiNS0_19identity_decomposerEEEEE10hipError_tT0_T1_T2_jT3_P12ihipStream_tbPNSt15iterator_traitsISI_E10value_typeEPNSO_ISJ_E10value_typeEPSK_NS1_7vsmem_tEENKUlT_SI_SJ_SK_E_clIPiSD_S10_SD_EESH_SX_SI_SJ_SK_EUlSX_E1_NS1_11comp_targetILNS1_3genE9ELNS1_11target_archE1100ELNS1_3gpuE3ELNS1_3repE0EEENS1_36merge_oddeven_config_static_selectorELNS0_4arch9wavefront6targetE1EEEvSJ_.uses_flat_scratch, 0
	.set _ZN7rocprim17ROCPRIM_400000_NS6detail17trampoline_kernelINS0_14default_configENS1_38merge_sort_block_merge_config_selectorIiiEEZZNS1_27merge_sort_block_merge_implIS3_N6thrust23THRUST_200600_302600_NS6detail15normal_iteratorINS8_10device_ptrIiEEEESD_jNS1_19radix_merge_compareILb1ELb1EiNS0_19identity_decomposerEEEEE10hipError_tT0_T1_T2_jT3_P12ihipStream_tbPNSt15iterator_traitsISI_E10value_typeEPNSO_ISJ_E10value_typeEPSK_NS1_7vsmem_tEENKUlT_SI_SJ_SK_E_clIPiSD_S10_SD_EESH_SX_SI_SJ_SK_EUlSX_E1_NS1_11comp_targetILNS1_3genE9ELNS1_11target_archE1100ELNS1_3gpuE3ELNS1_3repE0EEENS1_36merge_oddeven_config_static_selectorELNS0_4arch9wavefront6targetE1EEEvSJ_.has_dyn_sized_stack, 0
	.set _ZN7rocprim17ROCPRIM_400000_NS6detail17trampoline_kernelINS0_14default_configENS1_38merge_sort_block_merge_config_selectorIiiEEZZNS1_27merge_sort_block_merge_implIS3_N6thrust23THRUST_200600_302600_NS6detail15normal_iteratorINS8_10device_ptrIiEEEESD_jNS1_19radix_merge_compareILb1ELb1EiNS0_19identity_decomposerEEEEE10hipError_tT0_T1_T2_jT3_P12ihipStream_tbPNSt15iterator_traitsISI_E10value_typeEPNSO_ISJ_E10value_typeEPSK_NS1_7vsmem_tEENKUlT_SI_SJ_SK_E_clIPiSD_S10_SD_EESH_SX_SI_SJ_SK_EUlSX_E1_NS1_11comp_targetILNS1_3genE9ELNS1_11target_archE1100ELNS1_3gpuE3ELNS1_3repE0EEENS1_36merge_oddeven_config_static_selectorELNS0_4arch9wavefront6targetE1EEEvSJ_.has_recursion, 0
	.set _ZN7rocprim17ROCPRIM_400000_NS6detail17trampoline_kernelINS0_14default_configENS1_38merge_sort_block_merge_config_selectorIiiEEZZNS1_27merge_sort_block_merge_implIS3_N6thrust23THRUST_200600_302600_NS6detail15normal_iteratorINS8_10device_ptrIiEEEESD_jNS1_19radix_merge_compareILb1ELb1EiNS0_19identity_decomposerEEEEE10hipError_tT0_T1_T2_jT3_P12ihipStream_tbPNSt15iterator_traitsISI_E10value_typeEPNSO_ISJ_E10value_typeEPSK_NS1_7vsmem_tEENKUlT_SI_SJ_SK_E_clIPiSD_S10_SD_EESH_SX_SI_SJ_SK_EUlSX_E1_NS1_11comp_targetILNS1_3genE9ELNS1_11target_archE1100ELNS1_3gpuE3ELNS1_3repE0EEENS1_36merge_oddeven_config_static_selectorELNS0_4arch9wavefront6targetE1EEEvSJ_.has_indirect_call, 0
	.section	.AMDGPU.csdata,"",@progbits
; Kernel info:
; codeLenInByte = 0
; TotalNumSgprs: 6
; NumVgprs: 0
; NumAgprs: 0
; TotalNumVgprs: 0
; ScratchSize: 0
; MemoryBound: 0
; FloatMode: 240
; IeeeMode: 1
; LDSByteSize: 0 bytes/workgroup (compile time only)
; SGPRBlocks: 0
; VGPRBlocks: 0
; NumSGPRsForWavesPerEU: 6
; NumVGPRsForWavesPerEU: 1
; AccumOffset: 4
; Occupancy: 8
; WaveLimiterHint : 0
; COMPUTE_PGM_RSRC2:SCRATCH_EN: 0
; COMPUTE_PGM_RSRC2:USER_SGPR: 2
; COMPUTE_PGM_RSRC2:TRAP_HANDLER: 0
; COMPUTE_PGM_RSRC2:TGID_X_EN: 1
; COMPUTE_PGM_RSRC2:TGID_Y_EN: 0
; COMPUTE_PGM_RSRC2:TGID_Z_EN: 0
; COMPUTE_PGM_RSRC2:TIDIG_COMP_CNT: 0
; COMPUTE_PGM_RSRC3_GFX90A:ACCUM_OFFSET: 0
; COMPUTE_PGM_RSRC3_GFX90A:TG_SPLIT: 0
	.section	.text._ZN7rocprim17ROCPRIM_400000_NS6detail17trampoline_kernelINS0_14default_configENS1_38merge_sort_block_merge_config_selectorIiiEEZZNS1_27merge_sort_block_merge_implIS3_N6thrust23THRUST_200600_302600_NS6detail15normal_iteratorINS8_10device_ptrIiEEEESD_jNS1_19radix_merge_compareILb1ELb1EiNS0_19identity_decomposerEEEEE10hipError_tT0_T1_T2_jT3_P12ihipStream_tbPNSt15iterator_traitsISI_E10value_typeEPNSO_ISJ_E10value_typeEPSK_NS1_7vsmem_tEENKUlT_SI_SJ_SK_E_clIPiSD_S10_SD_EESH_SX_SI_SJ_SK_EUlSX_E1_NS1_11comp_targetILNS1_3genE8ELNS1_11target_archE1030ELNS1_3gpuE2ELNS1_3repE0EEENS1_36merge_oddeven_config_static_selectorELNS0_4arch9wavefront6targetE1EEEvSJ_,"axG",@progbits,_ZN7rocprim17ROCPRIM_400000_NS6detail17trampoline_kernelINS0_14default_configENS1_38merge_sort_block_merge_config_selectorIiiEEZZNS1_27merge_sort_block_merge_implIS3_N6thrust23THRUST_200600_302600_NS6detail15normal_iteratorINS8_10device_ptrIiEEEESD_jNS1_19radix_merge_compareILb1ELb1EiNS0_19identity_decomposerEEEEE10hipError_tT0_T1_T2_jT3_P12ihipStream_tbPNSt15iterator_traitsISI_E10value_typeEPNSO_ISJ_E10value_typeEPSK_NS1_7vsmem_tEENKUlT_SI_SJ_SK_E_clIPiSD_S10_SD_EESH_SX_SI_SJ_SK_EUlSX_E1_NS1_11comp_targetILNS1_3genE8ELNS1_11target_archE1030ELNS1_3gpuE2ELNS1_3repE0EEENS1_36merge_oddeven_config_static_selectorELNS0_4arch9wavefront6targetE1EEEvSJ_,comdat
	.protected	_ZN7rocprim17ROCPRIM_400000_NS6detail17trampoline_kernelINS0_14default_configENS1_38merge_sort_block_merge_config_selectorIiiEEZZNS1_27merge_sort_block_merge_implIS3_N6thrust23THRUST_200600_302600_NS6detail15normal_iteratorINS8_10device_ptrIiEEEESD_jNS1_19radix_merge_compareILb1ELb1EiNS0_19identity_decomposerEEEEE10hipError_tT0_T1_T2_jT3_P12ihipStream_tbPNSt15iterator_traitsISI_E10value_typeEPNSO_ISJ_E10value_typeEPSK_NS1_7vsmem_tEENKUlT_SI_SJ_SK_E_clIPiSD_S10_SD_EESH_SX_SI_SJ_SK_EUlSX_E1_NS1_11comp_targetILNS1_3genE8ELNS1_11target_archE1030ELNS1_3gpuE2ELNS1_3repE0EEENS1_36merge_oddeven_config_static_selectorELNS0_4arch9wavefront6targetE1EEEvSJ_ ; -- Begin function _ZN7rocprim17ROCPRIM_400000_NS6detail17trampoline_kernelINS0_14default_configENS1_38merge_sort_block_merge_config_selectorIiiEEZZNS1_27merge_sort_block_merge_implIS3_N6thrust23THRUST_200600_302600_NS6detail15normal_iteratorINS8_10device_ptrIiEEEESD_jNS1_19radix_merge_compareILb1ELb1EiNS0_19identity_decomposerEEEEE10hipError_tT0_T1_T2_jT3_P12ihipStream_tbPNSt15iterator_traitsISI_E10value_typeEPNSO_ISJ_E10value_typeEPSK_NS1_7vsmem_tEENKUlT_SI_SJ_SK_E_clIPiSD_S10_SD_EESH_SX_SI_SJ_SK_EUlSX_E1_NS1_11comp_targetILNS1_3genE8ELNS1_11target_archE1030ELNS1_3gpuE2ELNS1_3repE0EEENS1_36merge_oddeven_config_static_selectorELNS0_4arch9wavefront6targetE1EEEvSJ_
	.globl	_ZN7rocprim17ROCPRIM_400000_NS6detail17trampoline_kernelINS0_14default_configENS1_38merge_sort_block_merge_config_selectorIiiEEZZNS1_27merge_sort_block_merge_implIS3_N6thrust23THRUST_200600_302600_NS6detail15normal_iteratorINS8_10device_ptrIiEEEESD_jNS1_19radix_merge_compareILb1ELb1EiNS0_19identity_decomposerEEEEE10hipError_tT0_T1_T2_jT3_P12ihipStream_tbPNSt15iterator_traitsISI_E10value_typeEPNSO_ISJ_E10value_typeEPSK_NS1_7vsmem_tEENKUlT_SI_SJ_SK_E_clIPiSD_S10_SD_EESH_SX_SI_SJ_SK_EUlSX_E1_NS1_11comp_targetILNS1_3genE8ELNS1_11target_archE1030ELNS1_3gpuE2ELNS1_3repE0EEENS1_36merge_oddeven_config_static_selectorELNS0_4arch9wavefront6targetE1EEEvSJ_
	.p2align	8
	.type	_ZN7rocprim17ROCPRIM_400000_NS6detail17trampoline_kernelINS0_14default_configENS1_38merge_sort_block_merge_config_selectorIiiEEZZNS1_27merge_sort_block_merge_implIS3_N6thrust23THRUST_200600_302600_NS6detail15normal_iteratorINS8_10device_ptrIiEEEESD_jNS1_19radix_merge_compareILb1ELb1EiNS0_19identity_decomposerEEEEE10hipError_tT0_T1_T2_jT3_P12ihipStream_tbPNSt15iterator_traitsISI_E10value_typeEPNSO_ISJ_E10value_typeEPSK_NS1_7vsmem_tEENKUlT_SI_SJ_SK_E_clIPiSD_S10_SD_EESH_SX_SI_SJ_SK_EUlSX_E1_NS1_11comp_targetILNS1_3genE8ELNS1_11target_archE1030ELNS1_3gpuE2ELNS1_3repE0EEENS1_36merge_oddeven_config_static_selectorELNS0_4arch9wavefront6targetE1EEEvSJ_,@function
_ZN7rocprim17ROCPRIM_400000_NS6detail17trampoline_kernelINS0_14default_configENS1_38merge_sort_block_merge_config_selectorIiiEEZZNS1_27merge_sort_block_merge_implIS3_N6thrust23THRUST_200600_302600_NS6detail15normal_iteratorINS8_10device_ptrIiEEEESD_jNS1_19radix_merge_compareILb1ELb1EiNS0_19identity_decomposerEEEEE10hipError_tT0_T1_T2_jT3_P12ihipStream_tbPNSt15iterator_traitsISI_E10value_typeEPNSO_ISJ_E10value_typeEPSK_NS1_7vsmem_tEENKUlT_SI_SJ_SK_E_clIPiSD_S10_SD_EESH_SX_SI_SJ_SK_EUlSX_E1_NS1_11comp_targetILNS1_3genE8ELNS1_11target_archE1030ELNS1_3gpuE2ELNS1_3repE0EEENS1_36merge_oddeven_config_static_selectorELNS0_4arch9wavefront6targetE1EEEvSJ_: ; @_ZN7rocprim17ROCPRIM_400000_NS6detail17trampoline_kernelINS0_14default_configENS1_38merge_sort_block_merge_config_selectorIiiEEZZNS1_27merge_sort_block_merge_implIS3_N6thrust23THRUST_200600_302600_NS6detail15normal_iteratorINS8_10device_ptrIiEEEESD_jNS1_19radix_merge_compareILb1ELb1EiNS0_19identity_decomposerEEEEE10hipError_tT0_T1_T2_jT3_P12ihipStream_tbPNSt15iterator_traitsISI_E10value_typeEPNSO_ISJ_E10value_typeEPSK_NS1_7vsmem_tEENKUlT_SI_SJ_SK_E_clIPiSD_S10_SD_EESH_SX_SI_SJ_SK_EUlSX_E1_NS1_11comp_targetILNS1_3genE8ELNS1_11target_archE1030ELNS1_3gpuE2ELNS1_3repE0EEENS1_36merge_oddeven_config_static_selectorELNS0_4arch9wavefront6targetE1EEEvSJ_
; %bb.0:
	.section	.rodata,"a",@progbits
	.p2align	6, 0x0
	.amdhsa_kernel _ZN7rocprim17ROCPRIM_400000_NS6detail17trampoline_kernelINS0_14default_configENS1_38merge_sort_block_merge_config_selectorIiiEEZZNS1_27merge_sort_block_merge_implIS3_N6thrust23THRUST_200600_302600_NS6detail15normal_iteratorINS8_10device_ptrIiEEEESD_jNS1_19radix_merge_compareILb1ELb1EiNS0_19identity_decomposerEEEEE10hipError_tT0_T1_T2_jT3_P12ihipStream_tbPNSt15iterator_traitsISI_E10value_typeEPNSO_ISJ_E10value_typeEPSK_NS1_7vsmem_tEENKUlT_SI_SJ_SK_E_clIPiSD_S10_SD_EESH_SX_SI_SJ_SK_EUlSX_E1_NS1_11comp_targetILNS1_3genE8ELNS1_11target_archE1030ELNS1_3gpuE2ELNS1_3repE0EEENS1_36merge_oddeven_config_static_selectorELNS0_4arch9wavefront6targetE1EEEvSJ_
		.amdhsa_group_segment_fixed_size 0
		.amdhsa_private_segment_fixed_size 0
		.amdhsa_kernarg_size 48
		.amdhsa_user_sgpr_count 2
		.amdhsa_user_sgpr_dispatch_ptr 0
		.amdhsa_user_sgpr_queue_ptr 0
		.amdhsa_user_sgpr_kernarg_segment_ptr 1
		.amdhsa_user_sgpr_dispatch_id 0
		.amdhsa_user_sgpr_kernarg_preload_length 0
		.amdhsa_user_sgpr_kernarg_preload_offset 0
		.amdhsa_user_sgpr_private_segment_size 0
		.amdhsa_uses_dynamic_stack 0
		.amdhsa_enable_private_segment 0
		.amdhsa_system_sgpr_workgroup_id_x 1
		.amdhsa_system_sgpr_workgroup_id_y 0
		.amdhsa_system_sgpr_workgroup_id_z 0
		.amdhsa_system_sgpr_workgroup_info 0
		.amdhsa_system_vgpr_workitem_id 0
		.amdhsa_next_free_vgpr 1
		.amdhsa_next_free_sgpr 0
		.amdhsa_accum_offset 4
		.amdhsa_reserve_vcc 0
		.amdhsa_float_round_mode_32 0
		.amdhsa_float_round_mode_16_64 0
		.amdhsa_float_denorm_mode_32 3
		.amdhsa_float_denorm_mode_16_64 3
		.amdhsa_dx10_clamp 1
		.amdhsa_ieee_mode 1
		.amdhsa_fp16_overflow 0
		.amdhsa_tg_split 0
		.amdhsa_exception_fp_ieee_invalid_op 0
		.amdhsa_exception_fp_denorm_src 0
		.amdhsa_exception_fp_ieee_div_zero 0
		.amdhsa_exception_fp_ieee_overflow 0
		.amdhsa_exception_fp_ieee_underflow 0
		.amdhsa_exception_fp_ieee_inexact 0
		.amdhsa_exception_int_div_zero 0
	.end_amdhsa_kernel
	.section	.text._ZN7rocprim17ROCPRIM_400000_NS6detail17trampoline_kernelINS0_14default_configENS1_38merge_sort_block_merge_config_selectorIiiEEZZNS1_27merge_sort_block_merge_implIS3_N6thrust23THRUST_200600_302600_NS6detail15normal_iteratorINS8_10device_ptrIiEEEESD_jNS1_19radix_merge_compareILb1ELb1EiNS0_19identity_decomposerEEEEE10hipError_tT0_T1_T2_jT3_P12ihipStream_tbPNSt15iterator_traitsISI_E10value_typeEPNSO_ISJ_E10value_typeEPSK_NS1_7vsmem_tEENKUlT_SI_SJ_SK_E_clIPiSD_S10_SD_EESH_SX_SI_SJ_SK_EUlSX_E1_NS1_11comp_targetILNS1_3genE8ELNS1_11target_archE1030ELNS1_3gpuE2ELNS1_3repE0EEENS1_36merge_oddeven_config_static_selectorELNS0_4arch9wavefront6targetE1EEEvSJ_,"axG",@progbits,_ZN7rocprim17ROCPRIM_400000_NS6detail17trampoline_kernelINS0_14default_configENS1_38merge_sort_block_merge_config_selectorIiiEEZZNS1_27merge_sort_block_merge_implIS3_N6thrust23THRUST_200600_302600_NS6detail15normal_iteratorINS8_10device_ptrIiEEEESD_jNS1_19radix_merge_compareILb1ELb1EiNS0_19identity_decomposerEEEEE10hipError_tT0_T1_T2_jT3_P12ihipStream_tbPNSt15iterator_traitsISI_E10value_typeEPNSO_ISJ_E10value_typeEPSK_NS1_7vsmem_tEENKUlT_SI_SJ_SK_E_clIPiSD_S10_SD_EESH_SX_SI_SJ_SK_EUlSX_E1_NS1_11comp_targetILNS1_3genE8ELNS1_11target_archE1030ELNS1_3gpuE2ELNS1_3repE0EEENS1_36merge_oddeven_config_static_selectorELNS0_4arch9wavefront6targetE1EEEvSJ_,comdat
.Lfunc_end956:
	.size	_ZN7rocprim17ROCPRIM_400000_NS6detail17trampoline_kernelINS0_14default_configENS1_38merge_sort_block_merge_config_selectorIiiEEZZNS1_27merge_sort_block_merge_implIS3_N6thrust23THRUST_200600_302600_NS6detail15normal_iteratorINS8_10device_ptrIiEEEESD_jNS1_19radix_merge_compareILb1ELb1EiNS0_19identity_decomposerEEEEE10hipError_tT0_T1_T2_jT3_P12ihipStream_tbPNSt15iterator_traitsISI_E10value_typeEPNSO_ISJ_E10value_typeEPSK_NS1_7vsmem_tEENKUlT_SI_SJ_SK_E_clIPiSD_S10_SD_EESH_SX_SI_SJ_SK_EUlSX_E1_NS1_11comp_targetILNS1_3genE8ELNS1_11target_archE1030ELNS1_3gpuE2ELNS1_3repE0EEENS1_36merge_oddeven_config_static_selectorELNS0_4arch9wavefront6targetE1EEEvSJ_, .Lfunc_end956-_ZN7rocprim17ROCPRIM_400000_NS6detail17trampoline_kernelINS0_14default_configENS1_38merge_sort_block_merge_config_selectorIiiEEZZNS1_27merge_sort_block_merge_implIS3_N6thrust23THRUST_200600_302600_NS6detail15normal_iteratorINS8_10device_ptrIiEEEESD_jNS1_19radix_merge_compareILb1ELb1EiNS0_19identity_decomposerEEEEE10hipError_tT0_T1_T2_jT3_P12ihipStream_tbPNSt15iterator_traitsISI_E10value_typeEPNSO_ISJ_E10value_typeEPSK_NS1_7vsmem_tEENKUlT_SI_SJ_SK_E_clIPiSD_S10_SD_EESH_SX_SI_SJ_SK_EUlSX_E1_NS1_11comp_targetILNS1_3genE8ELNS1_11target_archE1030ELNS1_3gpuE2ELNS1_3repE0EEENS1_36merge_oddeven_config_static_selectorELNS0_4arch9wavefront6targetE1EEEvSJ_
                                        ; -- End function
	.set _ZN7rocprim17ROCPRIM_400000_NS6detail17trampoline_kernelINS0_14default_configENS1_38merge_sort_block_merge_config_selectorIiiEEZZNS1_27merge_sort_block_merge_implIS3_N6thrust23THRUST_200600_302600_NS6detail15normal_iteratorINS8_10device_ptrIiEEEESD_jNS1_19radix_merge_compareILb1ELb1EiNS0_19identity_decomposerEEEEE10hipError_tT0_T1_T2_jT3_P12ihipStream_tbPNSt15iterator_traitsISI_E10value_typeEPNSO_ISJ_E10value_typeEPSK_NS1_7vsmem_tEENKUlT_SI_SJ_SK_E_clIPiSD_S10_SD_EESH_SX_SI_SJ_SK_EUlSX_E1_NS1_11comp_targetILNS1_3genE8ELNS1_11target_archE1030ELNS1_3gpuE2ELNS1_3repE0EEENS1_36merge_oddeven_config_static_selectorELNS0_4arch9wavefront6targetE1EEEvSJ_.num_vgpr, 0
	.set _ZN7rocprim17ROCPRIM_400000_NS6detail17trampoline_kernelINS0_14default_configENS1_38merge_sort_block_merge_config_selectorIiiEEZZNS1_27merge_sort_block_merge_implIS3_N6thrust23THRUST_200600_302600_NS6detail15normal_iteratorINS8_10device_ptrIiEEEESD_jNS1_19radix_merge_compareILb1ELb1EiNS0_19identity_decomposerEEEEE10hipError_tT0_T1_T2_jT3_P12ihipStream_tbPNSt15iterator_traitsISI_E10value_typeEPNSO_ISJ_E10value_typeEPSK_NS1_7vsmem_tEENKUlT_SI_SJ_SK_E_clIPiSD_S10_SD_EESH_SX_SI_SJ_SK_EUlSX_E1_NS1_11comp_targetILNS1_3genE8ELNS1_11target_archE1030ELNS1_3gpuE2ELNS1_3repE0EEENS1_36merge_oddeven_config_static_selectorELNS0_4arch9wavefront6targetE1EEEvSJ_.num_agpr, 0
	.set _ZN7rocprim17ROCPRIM_400000_NS6detail17trampoline_kernelINS0_14default_configENS1_38merge_sort_block_merge_config_selectorIiiEEZZNS1_27merge_sort_block_merge_implIS3_N6thrust23THRUST_200600_302600_NS6detail15normal_iteratorINS8_10device_ptrIiEEEESD_jNS1_19radix_merge_compareILb1ELb1EiNS0_19identity_decomposerEEEEE10hipError_tT0_T1_T2_jT3_P12ihipStream_tbPNSt15iterator_traitsISI_E10value_typeEPNSO_ISJ_E10value_typeEPSK_NS1_7vsmem_tEENKUlT_SI_SJ_SK_E_clIPiSD_S10_SD_EESH_SX_SI_SJ_SK_EUlSX_E1_NS1_11comp_targetILNS1_3genE8ELNS1_11target_archE1030ELNS1_3gpuE2ELNS1_3repE0EEENS1_36merge_oddeven_config_static_selectorELNS0_4arch9wavefront6targetE1EEEvSJ_.numbered_sgpr, 0
	.set _ZN7rocprim17ROCPRIM_400000_NS6detail17trampoline_kernelINS0_14default_configENS1_38merge_sort_block_merge_config_selectorIiiEEZZNS1_27merge_sort_block_merge_implIS3_N6thrust23THRUST_200600_302600_NS6detail15normal_iteratorINS8_10device_ptrIiEEEESD_jNS1_19radix_merge_compareILb1ELb1EiNS0_19identity_decomposerEEEEE10hipError_tT0_T1_T2_jT3_P12ihipStream_tbPNSt15iterator_traitsISI_E10value_typeEPNSO_ISJ_E10value_typeEPSK_NS1_7vsmem_tEENKUlT_SI_SJ_SK_E_clIPiSD_S10_SD_EESH_SX_SI_SJ_SK_EUlSX_E1_NS1_11comp_targetILNS1_3genE8ELNS1_11target_archE1030ELNS1_3gpuE2ELNS1_3repE0EEENS1_36merge_oddeven_config_static_selectorELNS0_4arch9wavefront6targetE1EEEvSJ_.num_named_barrier, 0
	.set _ZN7rocprim17ROCPRIM_400000_NS6detail17trampoline_kernelINS0_14default_configENS1_38merge_sort_block_merge_config_selectorIiiEEZZNS1_27merge_sort_block_merge_implIS3_N6thrust23THRUST_200600_302600_NS6detail15normal_iteratorINS8_10device_ptrIiEEEESD_jNS1_19radix_merge_compareILb1ELb1EiNS0_19identity_decomposerEEEEE10hipError_tT0_T1_T2_jT3_P12ihipStream_tbPNSt15iterator_traitsISI_E10value_typeEPNSO_ISJ_E10value_typeEPSK_NS1_7vsmem_tEENKUlT_SI_SJ_SK_E_clIPiSD_S10_SD_EESH_SX_SI_SJ_SK_EUlSX_E1_NS1_11comp_targetILNS1_3genE8ELNS1_11target_archE1030ELNS1_3gpuE2ELNS1_3repE0EEENS1_36merge_oddeven_config_static_selectorELNS0_4arch9wavefront6targetE1EEEvSJ_.private_seg_size, 0
	.set _ZN7rocprim17ROCPRIM_400000_NS6detail17trampoline_kernelINS0_14default_configENS1_38merge_sort_block_merge_config_selectorIiiEEZZNS1_27merge_sort_block_merge_implIS3_N6thrust23THRUST_200600_302600_NS6detail15normal_iteratorINS8_10device_ptrIiEEEESD_jNS1_19radix_merge_compareILb1ELb1EiNS0_19identity_decomposerEEEEE10hipError_tT0_T1_T2_jT3_P12ihipStream_tbPNSt15iterator_traitsISI_E10value_typeEPNSO_ISJ_E10value_typeEPSK_NS1_7vsmem_tEENKUlT_SI_SJ_SK_E_clIPiSD_S10_SD_EESH_SX_SI_SJ_SK_EUlSX_E1_NS1_11comp_targetILNS1_3genE8ELNS1_11target_archE1030ELNS1_3gpuE2ELNS1_3repE0EEENS1_36merge_oddeven_config_static_selectorELNS0_4arch9wavefront6targetE1EEEvSJ_.uses_vcc, 0
	.set _ZN7rocprim17ROCPRIM_400000_NS6detail17trampoline_kernelINS0_14default_configENS1_38merge_sort_block_merge_config_selectorIiiEEZZNS1_27merge_sort_block_merge_implIS3_N6thrust23THRUST_200600_302600_NS6detail15normal_iteratorINS8_10device_ptrIiEEEESD_jNS1_19radix_merge_compareILb1ELb1EiNS0_19identity_decomposerEEEEE10hipError_tT0_T1_T2_jT3_P12ihipStream_tbPNSt15iterator_traitsISI_E10value_typeEPNSO_ISJ_E10value_typeEPSK_NS1_7vsmem_tEENKUlT_SI_SJ_SK_E_clIPiSD_S10_SD_EESH_SX_SI_SJ_SK_EUlSX_E1_NS1_11comp_targetILNS1_3genE8ELNS1_11target_archE1030ELNS1_3gpuE2ELNS1_3repE0EEENS1_36merge_oddeven_config_static_selectorELNS0_4arch9wavefront6targetE1EEEvSJ_.uses_flat_scratch, 0
	.set _ZN7rocprim17ROCPRIM_400000_NS6detail17trampoline_kernelINS0_14default_configENS1_38merge_sort_block_merge_config_selectorIiiEEZZNS1_27merge_sort_block_merge_implIS3_N6thrust23THRUST_200600_302600_NS6detail15normal_iteratorINS8_10device_ptrIiEEEESD_jNS1_19radix_merge_compareILb1ELb1EiNS0_19identity_decomposerEEEEE10hipError_tT0_T1_T2_jT3_P12ihipStream_tbPNSt15iterator_traitsISI_E10value_typeEPNSO_ISJ_E10value_typeEPSK_NS1_7vsmem_tEENKUlT_SI_SJ_SK_E_clIPiSD_S10_SD_EESH_SX_SI_SJ_SK_EUlSX_E1_NS1_11comp_targetILNS1_3genE8ELNS1_11target_archE1030ELNS1_3gpuE2ELNS1_3repE0EEENS1_36merge_oddeven_config_static_selectorELNS0_4arch9wavefront6targetE1EEEvSJ_.has_dyn_sized_stack, 0
	.set _ZN7rocprim17ROCPRIM_400000_NS6detail17trampoline_kernelINS0_14default_configENS1_38merge_sort_block_merge_config_selectorIiiEEZZNS1_27merge_sort_block_merge_implIS3_N6thrust23THRUST_200600_302600_NS6detail15normal_iteratorINS8_10device_ptrIiEEEESD_jNS1_19radix_merge_compareILb1ELb1EiNS0_19identity_decomposerEEEEE10hipError_tT0_T1_T2_jT3_P12ihipStream_tbPNSt15iterator_traitsISI_E10value_typeEPNSO_ISJ_E10value_typeEPSK_NS1_7vsmem_tEENKUlT_SI_SJ_SK_E_clIPiSD_S10_SD_EESH_SX_SI_SJ_SK_EUlSX_E1_NS1_11comp_targetILNS1_3genE8ELNS1_11target_archE1030ELNS1_3gpuE2ELNS1_3repE0EEENS1_36merge_oddeven_config_static_selectorELNS0_4arch9wavefront6targetE1EEEvSJ_.has_recursion, 0
	.set _ZN7rocprim17ROCPRIM_400000_NS6detail17trampoline_kernelINS0_14default_configENS1_38merge_sort_block_merge_config_selectorIiiEEZZNS1_27merge_sort_block_merge_implIS3_N6thrust23THRUST_200600_302600_NS6detail15normal_iteratorINS8_10device_ptrIiEEEESD_jNS1_19radix_merge_compareILb1ELb1EiNS0_19identity_decomposerEEEEE10hipError_tT0_T1_T2_jT3_P12ihipStream_tbPNSt15iterator_traitsISI_E10value_typeEPNSO_ISJ_E10value_typeEPSK_NS1_7vsmem_tEENKUlT_SI_SJ_SK_E_clIPiSD_S10_SD_EESH_SX_SI_SJ_SK_EUlSX_E1_NS1_11comp_targetILNS1_3genE8ELNS1_11target_archE1030ELNS1_3gpuE2ELNS1_3repE0EEENS1_36merge_oddeven_config_static_selectorELNS0_4arch9wavefront6targetE1EEEvSJ_.has_indirect_call, 0
	.section	.AMDGPU.csdata,"",@progbits
; Kernel info:
; codeLenInByte = 0
; TotalNumSgprs: 6
; NumVgprs: 0
; NumAgprs: 0
; TotalNumVgprs: 0
; ScratchSize: 0
; MemoryBound: 0
; FloatMode: 240
; IeeeMode: 1
; LDSByteSize: 0 bytes/workgroup (compile time only)
; SGPRBlocks: 0
; VGPRBlocks: 0
; NumSGPRsForWavesPerEU: 6
; NumVGPRsForWavesPerEU: 1
; AccumOffset: 4
; Occupancy: 8
; WaveLimiterHint : 0
; COMPUTE_PGM_RSRC2:SCRATCH_EN: 0
; COMPUTE_PGM_RSRC2:USER_SGPR: 2
; COMPUTE_PGM_RSRC2:TRAP_HANDLER: 0
; COMPUTE_PGM_RSRC2:TGID_X_EN: 1
; COMPUTE_PGM_RSRC2:TGID_Y_EN: 0
; COMPUTE_PGM_RSRC2:TGID_Z_EN: 0
; COMPUTE_PGM_RSRC2:TIDIG_COMP_CNT: 0
; COMPUTE_PGM_RSRC3_GFX90A:ACCUM_OFFSET: 0
; COMPUTE_PGM_RSRC3_GFX90A:TG_SPLIT: 0
	.section	.text._ZN7rocprim17ROCPRIM_400000_NS6detail17trampoline_kernelINS0_14default_configENS1_38merge_sort_block_merge_config_selectorIiiEEZZNS1_27merge_sort_block_merge_implIS3_N6thrust23THRUST_200600_302600_NS6detail15normal_iteratorINS8_10device_ptrIiEEEESD_jNS1_19radix_merge_compareILb1ELb1EiNS0_19identity_decomposerEEEEE10hipError_tT0_T1_T2_jT3_P12ihipStream_tbPNSt15iterator_traitsISI_E10value_typeEPNSO_ISJ_E10value_typeEPSK_NS1_7vsmem_tEENKUlT_SI_SJ_SK_E_clISD_PiSD_S10_EESH_SX_SI_SJ_SK_EUlSX_E_NS1_11comp_targetILNS1_3genE0ELNS1_11target_archE4294967295ELNS1_3gpuE0ELNS1_3repE0EEENS1_48merge_mergepath_partition_config_static_selectorELNS0_4arch9wavefront6targetE1EEEvSJ_,"axG",@progbits,_ZN7rocprim17ROCPRIM_400000_NS6detail17trampoline_kernelINS0_14default_configENS1_38merge_sort_block_merge_config_selectorIiiEEZZNS1_27merge_sort_block_merge_implIS3_N6thrust23THRUST_200600_302600_NS6detail15normal_iteratorINS8_10device_ptrIiEEEESD_jNS1_19radix_merge_compareILb1ELb1EiNS0_19identity_decomposerEEEEE10hipError_tT0_T1_T2_jT3_P12ihipStream_tbPNSt15iterator_traitsISI_E10value_typeEPNSO_ISJ_E10value_typeEPSK_NS1_7vsmem_tEENKUlT_SI_SJ_SK_E_clISD_PiSD_S10_EESH_SX_SI_SJ_SK_EUlSX_E_NS1_11comp_targetILNS1_3genE0ELNS1_11target_archE4294967295ELNS1_3gpuE0ELNS1_3repE0EEENS1_48merge_mergepath_partition_config_static_selectorELNS0_4arch9wavefront6targetE1EEEvSJ_,comdat
	.protected	_ZN7rocprim17ROCPRIM_400000_NS6detail17trampoline_kernelINS0_14default_configENS1_38merge_sort_block_merge_config_selectorIiiEEZZNS1_27merge_sort_block_merge_implIS3_N6thrust23THRUST_200600_302600_NS6detail15normal_iteratorINS8_10device_ptrIiEEEESD_jNS1_19radix_merge_compareILb1ELb1EiNS0_19identity_decomposerEEEEE10hipError_tT0_T1_T2_jT3_P12ihipStream_tbPNSt15iterator_traitsISI_E10value_typeEPNSO_ISJ_E10value_typeEPSK_NS1_7vsmem_tEENKUlT_SI_SJ_SK_E_clISD_PiSD_S10_EESH_SX_SI_SJ_SK_EUlSX_E_NS1_11comp_targetILNS1_3genE0ELNS1_11target_archE4294967295ELNS1_3gpuE0ELNS1_3repE0EEENS1_48merge_mergepath_partition_config_static_selectorELNS0_4arch9wavefront6targetE1EEEvSJ_ ; -- Begin function _ZN7rocprim17ROCPRIM_400000_NS6detail17trampoline_kernelINS0_14default_configENS1_38merge_sort_block_merge_config_selectorIiiEEZZNS1_27merge_sort_block_merge_implIS3_N6thrust23THRUST_200600_302600_NS6detail15normal_iteratorINS8_10device_ptrIiEEEESD_jNS1_19radix_merge_compareILb1ELb1EiNS0_19identity_decomposerEEEEE10hipError_tT0_T1_T2_jT3_P12ihipStream_tbPNSt15iterator_traitsISI_E10value_typeEPNSO_ISJ_E10value_typeEPSK_NS1_7vsmem_tEENKUlT_SI_SJ_SK_E_clISD_PiSD_S10_EESH_SX_SI_SJ_SK_EUlSX_E_NS1_11comp_targetILNS1_3genE0ELNS1_11target_archE4294967295ELNS1_3gpuE0ELNS1_3repE0EEENS1_48merge_mergepath_partition_config_static_selectorELNS0_4arch9wavefront6targetE1EEEvSJ_
	.globl	_ZN7rocprim17ROCPRIM_400000_NS6detail17trampoline_kernelINS0_14default_configENS1_38merge_sort_block_merge_config_selectorIiiEEZZNS1_27merge_sort_block_merge_implIS3_N6thrust23THRUST_200600_302600_NS6detail15normal_iteratorINS8_10device_ptrIiEEEESD_jNS1_19radix_merge_compareILb1ELb1EiNS0_19identity_decomposerEEEEE10hipError_tT0_T1_T2_jT3_P12ihipStream_tbPNSt15iterator_traitsISI_E10value_typeEPNSO_ISJ_E10value_typeEPSK_NS1_7vsmem_tEENKUlT_SI_SJ_SK_E_clISD_PiSD_S10_EESH_SX_SI_SJ_SK_EUlSX_E_NS1_11comp_targetILNS1_3genE0ELNS1_11target_archE4294967295ELNS1_3gpuE0ELNS1_3repE0EEENS1_48merge_mergepath_partition_config_static_selectorELNS0_4arch9wavefront6targetE1EEEvSJ_
	.p2align	8
	.type	_ZN7rocprim17ROCPRIM_400000_NS6detail17trampoline_kernelINS0_14default_configENS1_38merge_sort_block_merge_config_selectorIiiEEZZNS1_27merge_sort_block_merge_implIS3_N6thrust23THRUST_200600_302600_NS6detail15normal_iteratorINS8_10device_ptrIiEEEESD_jNS1_19radix_merge_compareILb1ELb1EiNS0_19identity_decomposerEEEEE10hipError_tT0_T1_T2_jT3_P12ihipStream_tbPNSt15iterator_traitsISI_E10value_typeEPNSO_ISJ_E10value_typeEPSK_NS1_7vsmem_tEENKUlT_SI_SJ_SK_E_clISD_PiSD_S10_EESH_SX_SI_SJ_SK_EUlSX_E_NS1_11comp_targetILNS1_3genE0ELNS1_11target_archE4294967295ELNS1_3gpuE0ELNS1_3repE0EEENS1_48merge_mergepath_partition_config_static_selectorELNS0_4arch9wavefront6targetE1EEEvSJ_,@function
_ZN7rocprim17ROCPRIM_400000_NS6detail17trampoline_kernelINS0_14default_configENS1_38merge_sort_block_merge_config_selectorIiiEEZZNS1_27merge_sort_block_merge_implIS3_N6thrust23THRUST_200600_302600_NS6detail15normal_iteratorINS8_10device_ptrIiEEEESD_jNS1_19radix_merge_compareILb1ELb1EiNS0_19identity_decomposerEEEEE10hipError_tT0_T1_T2_jT3_P12ihipStream_tbPNSt15iterator_traitsISI_E10value_typeEPNSO_ISJ_E10value_typeEPSK_NS1_7vsmem_tEENKUlT_SI_SJ_SK_E_clISD_PiSD_S10_EESH_SX_SI_SJ_SK_EUlSX_E_NS1_11comp_targetILNS1_3genE0ELNS1_11target_archE4294967295ELNS1_3gpuE0ELNS1_3repE0EEENS1_48merge_mergepath_partition_config_static_selectorELNS0_4arch9wavefront6targetE1EEEvSJ_: ; @_ZN7rocprim17ROCPRIM_400000_NS6detail17trampoline_kernelINS0_14default_configENS1_38merge_sort_block_merge_config_selectorIiiEEZZNS1_27merge_sort_block_merge_implIS3_N6thrust23THRUST_200600_302600_NS6detail15normal_iteratorINS8_10device_ptrIiEEEESD_jNS1_19radix_merge_compareILb1ELb1EiNS0_19identity_decomposerEEEEE10hipError_tT0_T1_T2_jT3_P12ihipStream_tbPNSt15iterator_traitsISI_E10value_typeEPNSO_ISJ_E10value_typeEPSK_NS1_7vsmem_tEENKUlT_SI_SJ_SK_E_clISD_PiSD_S10_EESH_SX_SI_SJ_SK_EUlSX_E_NS1_11comp_targetILNS1_3genE0ELNS1_11target_archE4294967295ELNS1_3gpuE0ELNS1_3repE0EEENS1_48merge_mergepath_partition_config_static_selectorELNS0_4arch9wavefront6targetE1EEEvSJ_
; %bb.0:
	s_load_dword s3, s[0:1], 0x0
	v_lshl_or_b32 v0, s2, 7, v0
	s_waitcnt lgkmcnt(0)
	v_cmp_gt_u32_e32 vcc, s3, v0
	s_and_saveexec_b64 s[2:3], vcc
	s_cbranch_execz .LBB957_6
; %bb.1:
	s_load_dwordx2 s[4:5], s[0:1], 0x4
	s_load_dwordx2 s[2:3], s[0:1], 0x20
	s_waitcnt lgkmcnt(0)
	s_lshr_b32 s6, s4, 9
	s_and_b32 s6, s6, 0x7ffffe
	s_add_i32 s7, s6, -1
	s_sub_i32 s6, 0, s6
	v_and_b32_e32 v1, s6, v0
	v_lshlrev_b32_e32 v1, 10, v1
	v_min_u32_e32 v2, s5, v1
	v_add_u32_e32 v1, s4, v1
	v_min_u32_e32 v4, s5, v1
	v_add_u32_e32 v1, s4, v4
	v_and_b32_e32 v3, s7, v0
	v_min_u32_e32 v1, s5, v1
	v_sub_u32_e32 v5, v1, v2
	v_lshlrev_b32_e32 v3, 10, v3
	v_min_u32_e32 v10, v5, v3
	v_sub_u32_e32 v3, v4, v2
	v_sub_u32_e32 v1, v1, v4
	v_sub_u32_e64 v1, v10, v1 clamp
	v_min_u32_e32 v11, v10, v3
	v_cmp_lt_u32_e32 vcc, v1, v11
	s_and_saveexec_b64 s[4:5], vcc
	s_cbranch_execz .LBB957_5
; %bb.2:
	s_load_dwordx2 s[8:9], s[0:1], 0x10
	s_load_dword s6, s[0:1], 0x18
	v_mov_b32_e32 v5, 0
	v_mov_b32_e32 v3, v5
	s_mov_b64 s[0:1], 0
	s_waitcnt lgkmcnt(0)
	v_lshl_add_u64 v[6:7], v[2:3], 2, s[8:9]
	v_lshl_add_u64 v[8:9], v[4:5], 2, s[8:9]
.LBB957_3:                              ; =>This Inner Loop Header: Depth=1
	v_add_u32_e32 v3, v11, v1
	v_lshrrev_b32_e32 v4, 1, v3
	v_mov_b32_e32 v13, v5
	v_xad_u32 v12, v4, -1, v10
	v_lshl_add_u64 v[14:15], v[4:5], 2, v[6:7]
	v_lshl_add_u64 v[12:13], v[12:13], 2, v[8:9]
	flat_load_dword v3, v[14:15]
	flat_load_dword v16, v[12:13]
	v_add_u32_e32 v12, 1, v4
	s_waitcnt vmcnt(0) lgkmcnt(0)
	v_and_b32_e32 v3, s6, v3
	v_and_b32_e32 v13, s6, v16
	v_cmp_gt_i32_e32 vcc, v13, v3
	s_nop 1
	v_cndmask_b32_e32 v11, v11, v4, vcc
	v_cndmask_b32_e32 v1, v12, v1, vcc
	v_cmp_ge_u32_e32 vcc, v1, v11
	s_or_b64 s[0:1], vcc, s[0:1]
	s_andn2_b64 exec, exec, s[0:1]
	s_cbranch_execnz .LBB957_3
; %bb.4:
	s_or_b64 exec, exec, s[0:1]
.LBB957_5:
	s_or_b64 exec, exec, s[4:5]
	v_add_u32_e32 v2, v1, v2
	v_mov_b32_e32 v1, 0
	v_lshl_add_u64 v[0:1], v[0:1], 2, s[2:3]
	global_store_dword v[0:1], v2, off
.LBB957_6:
	s_endpgm
	.section	.rodata,"a",@progbits
	.p2align	6, 0x0
	.amdhsa_kernel _ZN7rocprim17ROCPRIM_400000_NS6detail17trampoline_kernelINS0_14default_configENS1_38merge_sort_block_merge_config_selectorIiiEEZZNS1_27merge_sort_block_merge_implIS3_N6thrust23THRUST_200600_302600_NS6detail15normal_iteratorINS8_10device_ptrIiEEEESD_jNS1_19radix_merge_compareILb1ELb1EiNS0_19identity_decomposerEEEEE10hipError_tT0_T1_T2_jT3_P12ihipStream_tbPNSt15iterator_traitsISI_E10value_typeEPNSO_ISJ_E10value_typeEPSK_NS1_7vsmem_tEENKUlT_SI_SJ_SK_E_clISD_PiSD_S10_EESH_SX_SI_SJ_SK_EUlSX_E_NS1_11comp_targetILNS1_3genE0ELNS1_11target_archE4294967295ELNS1_3gpuE0ELNS1_3repE0EEENS1_48merge_mergepath_partition_config_static_selectorELNS0_4arch9wavefront6targetE1EEEvSJ_
		.amdhsa_group_segment_fixed_size 0
		.amdhsa_private_segment_fixed_size 0
		.amdhsa_kernarg_size 40
		.amdhsa_user_sgpr_count 2
		.amdhsa_user_sgpr_dispatch_ptr 0
		.amdhsa_user_sgpr_queue_ptr 0
		.amdhsa_user_sgpr_kernarg_segment_ptr 1
		.amdhsa_user_sgpr_dispatch_id 0
		.amdhsa_user_sgpr_kernarg_preload_length 0
		.amdhsa_user_sgpr_kernarg_preload_offset 0
		.amdhsa_user_sgpr_private_segment_size 0
		.amdhsa_uses_dynamic_stack 0
		.amdhsa_enable_private_segment 0
		.amdhsa_system_sgpr_workgroup_id_x 1
		.amdhsa_system_sgpr_workgroup_id_y 0
		.amdhsa_system_sgpr_workgroup_id_z 0
		.amdhsa_system_sgpr_workgroup_info 0
		.amdhsa_system_vgpr_workitem_id 0
		.amdhsa_next_free_vgpr 17
		.amdhsa_next_free_sgpr 10
		.amdhsa_accum_offset 20
		.amdhsa_reserve_vcc 1
		.amdhsa_float_round_mode_32 0
		.amdhsa_float_round_mode_16_64 0
		.amdhsa_float_denorm_mode_32 3
		.amdhsa_float_denorm_mode_16_64 3
		.amdhsa_dx10_clamp 1
		.amdhsa_ieee_mode 1
		.amdhsa_fp16_overflow 0
		.amdhsa_tg_split 0
		.amdhsa_exception_fp_ieee_invalid_op 0
		.amdhsa_exception_fp_denorm_src 0
		.amdhsa_exception_fp_ieee_div_zero 0
		.amdhsa_exception_fp_ieee_overflow 0
		.amdhsa_exception_fp_ieee_underflow 0
		.amdhsa_exception_fp_ieee_inexact 0
		.amdhsa_exception_int_div_zero 0
	.end_amdhsa_kernel
	.section	.text._ZN7rocprim17ROCPRIM_400000_NS6detail17trampoline_kernelINS0_14default_configENS1_38merge_sort_block_merge_config_selectorIiiEEZZNS1_27merge_sort_block_merge_implIS3_N6thrust23THRUST_200600_302600_NS6detail15normal_iteratorINS8_10device_ptrIiEEEESD_jNS1_19radix_merge_compareILb1ELb1EiNS0_19identity_decomposerEEEEE10hipError_tT0_T1_T2_jT3_P12ihipStream_tbPNSt15iterator_traitsISI_E10value_typeEPNSO_ISJ_E10value_typeEPSK_NS1_7vsmem_tEENKUlT_SI_SJ_SK_E_clISD_PiSD_S10_EESH_SX_SI_SJ_SK_EUlSX_E_NS1_11comp_targetILNS1_3genE0ELNS1_11target_archE4294967295ELNS1_3gpuE0ELNS1_3repE0EEENS1_48merge_mergepath_partition_config_static_selectorELNS0_4arch9wavefront6targetE1EEEvSJ_,"axG",@progbits,_ZN7rocprim17ROCPRIM_400000_NS6detail17trampoline_kernelINS0_14default_configENS1_38merge_sort_block_merge_config_selectorIiiEEZZNS1_27merge_sort_block_merge_implIS3_N6thrust23THRUST_200600_302600_NS6detail15normal_iteratorINS8_10device_ptrIiEEEESD_jNS1_19radix_merge_compareILb1ELb1EiNS0_19identity_decomposerEEEEE10hipError_tT0_T1_T2_jT3_P12ihipStream_tbPNSt15iterator_traitsISI_E10value_typeEPNSO_ISJ_E10value_typeEPSK_NS1_7vsmem_tEENKUlT_SI_SJ_SK_E_clISD_PiSD_S10_EESH_SX_SI_SJ_SK_EUlSX_E_NS1_11comp_targetILNS1_3genE0ELNS1_11target_archE4294967295ELNS1_3gpuE0ELNS1_3repE0EEENS1_48merge_mergepath_partition_config_static_selectorELNS0_4arch9wavefront6targetE1EEEvSJ_,comdat
.Lfunc_end957:
	.size	_ZN7rocprim17ROCPRIM_400000_NS6detail17trampoline_kernelINS0_14default_configENS1_38merge_sort_block_merge_config_selectorIiiEEZZNS1_27merge_sort_block_merge_implIS3_N6thrust23THRUST_200600_302600_NS6detail15normal_iteratorINS8_10device_ptrIiEEEESD_jNS1_19radix_merge_compareILb1ELb1EiNS0_19identity_decomposerEEEEE10hipError_tT0_T1_T2_jT3_P12ihipStream_tbPNSt15iterator_traitsISI_E10value_typeEPNSO_ISJ_E10value_typeEPSK_NS1_7vsmem_tEENKUlT_SI_SJ_SK_E_clISD_PiSD_S10_EESH_SX_SI_SJ_SK_EUlSX_E_NS1_11comp_targetILNS1_3genE0ELNS1_11target_archE4294967295ELNS1_3gpuE0ELNS1_3repE0EEENS1_48merge_mergepath_partition_config_static_selectorELNS0_4arch9wavefront6targetE1EEEvSJ_, .Lfunc_end957-_ZN7rocprim17ROCPRIM_400000_NS6detail17trampoline_kernelINS0_14default_configENS1_38merge_sort_block_merge_config_selectorIiiEEZZNS1_27merge_sort_block_merge_implIS3_N6thrust23THRUST_200600_302600_NS6detail15normal_iteratorINS8_10device_ptrIiEEEESD_jNS1_19radix_merge_compareILb1ELb1EiNS0_19identity_decomposerEEEEE10hipError_tT0_T1_T2_jT3_P12ihipStream_tbPNSt15iterator_traitsISI_E10value_typeEPNSO_ISJ_E10value_typeEPSK_NS1_7vsmem_tEENKUlT_SI_SJ_SK_E_clISD_PiSD_S10_EESH_SX_SI_SJ_SK_EUlSX_E_NS1_11comp_targetILNS1_3genE0ELNS1_11target_archE4294967295ELNS1_3gpuE0ELNS1_3repE0EEENS1_48merge_mergepath_partition_config_static_selectorELNS0_4arch9wavefront6targetE1EEEvSJ_
                                        ; -- End function
	.set _ZN7rocprim17ROCPRIM_400000_NS6detail17trampoline_kernelINS0_14default_configENS1_38merge_sort_block_merge_config_selectorIiiEEZZNS1_27merge_sort_block_merge_implIS3_N6thrust23THRUST_200600_302600_NS6detail15normal_iteratorINS8_10device_ptrIiEEEESD_jNS1_19radix_merge_compareILb1ELb1EiNS0_19identity_decomposerEEEEE10hipError_tT0_T1_T2_jT3_P12ihipStream_tbPNSt15iterator_traitsISI_E10value_typeEPNSO_ISJ_E10value_typeEPSK_NS1_7vsmem_tEENKUlT_SI_SJ_SK_E_clISD_PiSD_S10_EESH_SX_SI_SJ_SK_EUlSX_E_NS1_11comp_targetILNS1_3genE0ELNS1_11target_archE4294967295ELNS1_3gpuE0ELNS1_3repE0EEENS1_48merge_mergepath_partition_config_static_selectorELNS0_4arch9wavefront6targetE1EEEvSJ_.num_vgpr, 17
	.set _ZN7rocprim17ROCPRIM_400000_NS6detail17trampoline_kernelINS0_14default_configENS1_38merge_sort_block_merge_config_selectorIiiEEZZNS1_27merge_sort_block_merge_implIS3_N6thrust23THRUST_200600_302600_NS6detail15normal_iteratorINS8_10device_ptrIiEEEESD_jNS1_19radix_merge_compareILb1ELb1EiNS0_19identity_decomposerEEEEE10hipError_tT0_T1_T2_jT3_P12ihipStream_tbPNSt15iterator_traitsISI_E10value_typeEPNSO_ISJ_E10value_typeEPSK_NS1_7vsmem_tEENKUlT_SI_SJ_SK_E_clISD_PiSD_S10_EESH_SX_SI_SJ_SK_EUlSX_E_NS1_11comp_targetILNS1_3genE0ELNS1_11target_archE4294967295ELNS1_3gpuE0ELNS1_3repE0EEENS1_48merge_mergepath_partition_config_static_selectorELNS0_4arch9wavefront6targetE1EEEvSJ_.num_agpr, 0
	.set _ZN7rocprim17ROCPRIM_400000_NS6detail17trampoline_kernelINS0_14default_configENS1_38merge_sort_block_merge_config_selectorIiiEEZZNS1_27merge_sort_block_merge_implIS3_N6thrust23THRUST_200600_302600_NS6detail15normal_iteratorINS8_10device_ptrIiEEEESD_jNS1_19radix_merge_compareILb1ELb1EiNS0_19identity_decomposerEEEEE10hipError_tT0_T1_T2_jT3_P12ihipStream_tbPNSt15iterator_traitsISI_E10value_typeEPNSO_ISJ_E10value_typeEPSK_NS1_7vsmem_tEENKUlT_SI_SJ_SK_E_clISD_PiSD_S10_EESH_SX_SI_SJ_SK_EUlSX_E_NS1_11comp_targetILNS1_3genE0ELNS1_11target_archE4294967295ELNS1_3gpuE0ELNS1_3repE0EEENS1_48merge_mergepath_partition_config_static_selectorELNS0_4arch9wavefront6targetE1EEEvSJ_.numbered_sgpr, 10
	.set _ZN7rocprim17ROCPRIM_400000_NS6detail17trampoline_kernelINS0_14default_configENS1_38merge_sort_block_merge_config_selectorIiiEEZZNS1_27merge_sort_block_merge_implIS3_N6thrust23THRUST_200600_302600_NS6detail15normal_iteratorINS8_10device_ptrIiEEEESD_jNS1_19radix_merge_compareILb1ELb1EiNS0_19identity_decomposerEEEEE10hipError_tT0_T1_T2_jT3_P12ihipStream_tbPNSt15iterator_traitsISI_E10value_typeEPNSO_ISJ_E10value_typeEPSK_NS1_7vsmem_tEENKUlT_SI_SJ_SK_E_clISD_PiSD_S10_EESH_SX_SI_SJ_SK_EUlSX_E_NS1_11comp_targetILNS1_3genE0ELNS1_11target_archE4294967295ELNS1_3gpuE0ELNS1_3repE0EEENS1_48merge_mergepath_partition_config_static_selectorELNS0_4arch9wavefront6targetE1EEEvSJ_.num_named_barrier, 0
	.set _ZN7rocprim17ROCPRIM_400000_NS6detail17trampoline_kernelINS0_14default_configENS1_38merge_sort_block_merge_config_selectorIiiEEZZNS1_27merge_sort_block_merge_implIS3_N6thrust23THRUST_200600_302600_NS6detail15normal_iteratorINS8_10device_ptrIiEEEESD_jNS1_19radix_merge_compareILb1ELb1EiNS0_19identity_decomposerEEEEE10hipError_tT0_T1_T2_jT3_P12ihipStream_tbPNSt15iterator_traitsISI_E10value_typeEPNSO_ISJ_E10value_typeEPSK_NS1_7vsmem_tEENKUlT_SI_SJ_SK_E_clISD_PiSD_S10_EESH_SX_SI_SJ_SK_EUlSX_E_NS1_11comp_targetILNS1_3genE0ELNS1_11target_archE4294967295ELNS1_3gpuE0ELNS1_3repE0EEENS1_48merge_mergepath_partition_config_static_selectorELNS0_4arch9wavefront6targetE1EEEvSJ_.private_seg_size, 0
	.set _ZN7rocprim17ROCPRIM_400000_NS6detail17trampoline_kernelINS0_14default_configENS1_38merge_sort_block_merge_config_selectorIiiEEZZNS1_27merge_sort_block_merge_implIS3_N6thrust23THRUST_200600_302600_NS6detail15normal_iteratorINS8_10device_ptrIiEEEESD_jNS1_19radix_merge_compareILb1ELb1EiNS0_19identity_decomposerEEEEE10hipError_tT0_T1_T2_jT3_P12ihipStream_tbPNSt15iterator_traitsISI_E10value_typeEPNSO_ISJ_E10value_typeEPSK_NS1_7vsmem_tEENKUlT_SI_SJ_SK_E_clISD_PiSD_S10_EESH_SX_SI_SJ_SK_EUlSX_E_NS1_11comp_targetILNS1_3genE0ELNS1_11target_archE4294967295ELNS1_3gpuE0ELNS1_3repE0EEENS1_48merge_mergepath_partition_config_static_selectorELNS0_4arch9wavefront6targetE1EEEvSJ_.uses_vcc, 1
	.set _ZN7rocprim17ROCPRIM_400000_NS6detail17trampoline_kernelINS0_14default_configENS1_38merge_sort_block_merge_config_selectorIiiEEZZNS1_27merge_sort_block_merge_implIS3_N6thrust23THRUST_200600_302600_NS6detail15normal_iteratorINS8_10device_ptrIiEEEESD_jNS1_19radix_merge_compareILb1ELb1EiNS0_19identity_decomposerEEEEE10hipError_tT0_T1_T2_jT3_P12ihipStream_tbPNSt15iterator_traitsISI_E10value_typeEPNSO_ISJ_E10value_typeEPSK_NS1_7vsmem_tEENKUlT_SI_SJ_SK_E_clISD_PiSD_S10_EESH_SX_SI_SJ_SK_EUlSX_E_NS1_11comp_targetILNS1_3genE0ELNS1_11target_archE4294967295ELNS1_3gpuE0ELNS1_3repE0EEENS1_48merge_mergepath_partition_config_static_selectorELNS0_4arch9wavefront6targetE1EEEvSJ_.uses_flat_scratch, 0
	.set _ZN7rocprim17ROCPRIM_400000_NS6detail17trampoline_kernelINS0_14default_configENS1_38merge_sort_block_merge_config_selectorIiiEEZZNS1_27merge_sort_block_merge_implIS3_N6thrust23THRUST_200600_302600_NS6detail15normal_iteratorINS8_10device_ptrIiEEEESD_jNS1_19radix_merge_compareILb1ELb1EiNS0_19identity_decomposerEEEEE10hipError_tT0_T1_T2_jT3_P12ihipStream_tbPNSt15iterator_traitsISI_E10value_typeEPNSO_ISJ_E10value_typeEPSK_NS1_7vsmem_tEENKUlT_SI_SJ_SK_E_clISD_PiSD_S10_EESH_SX_SI_SJ_SK_EUlSX_E_NS1_11comp_targetILNS1_3genE0ELNS1_11target_archE4294967295ELNS1_3gpuE0ELNS1_3repE0EEENS1_48merge_mergepath_partition_config_static_selectorELNS0_4arch9wavefront6targetE1EEEvSJ_.has_dyn_sized_stack, 0
	.set _ZN7rocprim17ROCPRIM_400000_NS6detail17trampoline_kernelINS0_14default_configENS1_38merge_sort_block_merge_config_selectorIiiEEZZNS1_27merge_sort_block_merge_implIS3_N6thrust23THRUST_200600_302600_NS6detail15normal_iteratorINS8_10device_ptrIiEEEESD_jNS1_19radix_merge_compareILb1ELb1EiNS0_19identity_decomposerEEEEE10hipError_tT0_T1_T2_jT3_P12ihipStream_tbPNSt15iterator_traitsISI_E10value_typeEPNSO_ISJ_E10value_typeEPSK_NS1_7vsmem_tEENKUlT_SI_SJ_SK_E_clISD_PiSD_S10_EESH_SX_SI_SJ_SK_EUlSX_E_NS1_11comp_targetILNS1_3genE0ELNS1_11target_archE4294967295ELNS1_3gpuE0ELNS1_3repE0EEENS1_48merge_mergepath_partition_config_static_selectorELNS0_4arch9wavefront6targetE1EEEvSJ_.has_recursion, 0
	.set _ZN7rocprim17ROCPRIM_400000_NS6detail17trampoline_kernelINS0_14default_configENS1_38merge_sort_block_merge_config_selectorIiiEEZZNS1_27merge_sort_block_merge_implIS3_N6thrust23THRUST_200600_302600_NS6detail15normal_iteratorINS8_10device_ptrIiEEEESD_jNS1_19radix_merge_compareILb1ELb1EiNS0_19identity_decomposerEEEEE10hipError_tT0_T1_T2_jT3_P12ihipStream_tbPNSt15iterator_traitsISI_E10value_typeEPNSO_ISJ_E10value_typeEPSK_NS1_7vsmem_tEENKUlT_SI_SJ_SK_E_clISD_PiSD_S10_EESH_SX_SI_SJ_SK_EUlSX_E_NS1_11comp_targetILNS1_3genE0ELNS1_11target_archE4294967295ELNS1_3gpuE0ELNS1_3repE0EEENS1_48merge_mergepath_partition_config_static_selectorELNS0_4arch9wavefront6targetE1EEEvSJ_.has_indirect_call, 0
	.section	.AMDGPU.csdata,"",@progbits
; Kernel info:
; codeLenInByte = 332
; TotalNumSgprs: 16
; NumVgprs: 17
; NumAgprs: 0
; TotalNumVgprs: 17
; ScratchSize: 0
; MemoryBound: 0
; FloatMode: 240
; IeeeMode: 1
; LDSByteSize: 0 bytes/workgroup (compile time only)
; SGPRBlocks: 1
; VGPRBlocks: 2
; NumSGPRsForWavesPerEU: 16
; NumVGPRsForWavesPerEU: 17
; AccumOffset: 20
; Occupancy: 8
; WaveLimiterHint : 0
; COMPUTE_PGM_RSRC2:SCRATCH_EN: 0
; COMPUTE_PGM_RSRC2:USER_SGPR: 2
; COMPUTE_PGM_RSRC2:TRAP_HANDLER: 0
; COMPUTE_PGM_RSRC2:TGID_X_EN: 1
; COMPUTE_PGM_RSRC2:TGID_Y_EN: 0
; COMPUTE_PGM_RSRC2:TGID_Z_EN: 0
; COMPUTE_PGM_RSRC2:TIDIG_COMP_CNT: 0
; COMPUTE_PGM_RSRC3_GFX90A:ACCUM_OFFSET: 4
; COMPUTE_PGM_RSRC3_GFX90A:TG_SPLIT: 0
	.section	.text._ZN7rocprim17ROCPRIM_400000_NS6detail17trampoline_kernelINS0_14default_configENS1_38merge_sort_block_merge_config_selectorIiiEEZZNS1_27merge_sort_block_merge_implIS3_N6thrust23THRUST_200600_302600_NS6detail15normal_iteratorINS8_10device_ptrIiEEEESD_jNS1_19radix_merge_compareILb1ELb1EiNS0_19identity_decomposerEEEEE10hipError_tT0_T1_T2_jT3_P12ihipStream_tbPNSt15iterator_traitsISI_E10value_typeEPNSO_ISJ_E10value_typeEPSK_NS1_7vsmem_tEENKUlT_SI_SJ_SK_E_clISD_PiSD_S10_EESH_SX_SI_SJ_SK_EUlSX_E_NS1_11comp_targetILNS1_3genE10ELNS1_11target_archE1201ELNS1_3gpuE5ELNS1_3repE0EEENS1_48merge_mergepath_partition_config_static_selectorELNS0_4arch9wavefront6targetE1EEEvSJ_,"axG",@progbits,_ZN7rocprim17ROCPRIM_400000_NS6detail17trampoline_kernelINS0_14default_configENS1_38merge_sort_block_merge_config_selectorIiiEEZZNS1_27merge_sort_block_merge_implIS3_N6thrust23THRUST_200600_302600_NS6detail15normal_iteratorINS8_10device_ptrIiEEEESD_jNS1_19radix_merge_compareILb1ELb1EiNS0_19identity_decomposerEEEEE10hipError_tT0_T1_T2_jT3_P12ihipStream_tbPNSt15iterator_traitsISI_E10value_typeEPNSO_ISJ_E10value_typeEPSK_NS1_7vsmem_tEENKUlT_SI_SJ_SK_E_clISD_PiSD_S10_EESH_SX_SI_SJ_SK_EUlSX_E_NS1_11comp_targetILNS1_3genE10ELNS1_11target_archE1201ELNS1_3gpuE5ELNS1_3repE0EEENS1_48merge_mergepath_partition_config_static_selectorELNS0_4arch9wavefront6targetE1EEEvSJ_,comdat
	.protected	_ZN7rocprim17ROCPRIM_400000_NS6detail17trampoline_kernelINS0_14default_configENS1_38merge_sort_block_merge_config_selectorIiiEEZZNS1_27merge_sort_block_merge_implIS3_N6thrust23THRUST_200600_302600_NS6detail15normal_iteratorINS8_10device_ptrIiEEEESD_jNS1_19radix_merge_compareILb1ELb1EiNS0_19identity_decomposerEEEEE10hipError_tT0_T1_T2_jT3_P12ihipStream_tbPNSt15iterator_traitsISI_E10value_typeEPNSO_ISJ_E10value_typeEPSK_NS1_7vsmem_tEENKUlT_SI_SJ_SK_E_clISD_PiSD_S10_EESH_SX_SI_SJ_SK_EUlSX_E_NS1_11comp_targetILNS1_3genE10ELNS1_11target_archE1201ELNS1_3gpuE5ELNS1_3repE0EEENS1_48merge_mergepath_partition_config_static_selectorELNS0_4arch9wavefront6targetE1EEEvSJ_ ; -- Begin function _ZN7rocprim17ROCPRIM_400000_NS6detail17trampoline_kernelINS0_14default_configENS1_38merge_sort_block_merge_config_selectorIiiEEZZNS1_27merge_sort_block_merge_implIS3_N6thrust23THRUST_200600_302600_NS6detail15normal_iteratorINS8_10device_ptrIiEEEESD_jNS1_19radix_merge_compareILb1ELb1EiNS0_19identity_decomposerEEEEE10hipError_tT0_T1_T2_jT3_P12ihipStream_tbPNSt15iterator_traitsISI_E10value_typeEPNSO_ISJ_E10value_typeEPSK_NS1_7vsmem_tEENKUlT_SI_SJ_SK_E_clISD_PiSD_S10_EESH_SX_SI_SJ_SK_EUlSX_E_NS1_11comp_targetILNS1_3genE10ELNS1_11target_archE1201ELNS1_3gpuE5ELNS1_3repE0EEENS1_48merge_mergepath_partition_config_static_selectorELNS0_4arch9wavefront6targetE1EEEvSJ_
	.globl	_ZN7rocprim17ROCPRIM_400000_NS6detail17trampoline_kernelINS0_14default_configENS1_38merge_sort_block_merge_config_selectorIiiEEZZNS1_27merge_sort_block_merge_implIS3_N6thrust23THRUST_200600_302600_NS6detail15normal_iteratorINS8_10device_ptrIiEEEESD_jNS1_19radix_merge_compareILb1ELb1EiNS0_19identity_decomposerEEEEE10hipError_tT0_T1_T2_jT3_P12ihipStream_tbPNSt15iterator_traitsISI_E10value_typeEPNSO_ISJ_E10value_typeEPSK_NS1_7vsmem_tEENKUlT_SI_SJ_SK_E_clISD_PiSD_S10_EESH_SX_SI_SJ_SK_EUlSX_E_NS1_11comp_targetILNS1_3genE10ELNS1_11target_archE1201ELNS1_3gpuE5ELNS1_3repE0EEENS1_48merge_mergepath_partition_config_static_selectorELNS0_4arch9wavefront6targetE1EEEvSJ_
	.p2align	8
	.type	_ZN7rocprim17ROCPRIM_400000_NS6detail17trampoline_kernelINS0_14default_configENS1_38merge_sort_block_merge_config_selectorIiiEEZZNS1_27merge_sort_block_merge_implIS3_N6thrust23THRUST_200600_302600_NS6detail15normal_iteratorINS8_10device_ptrIiEEEESD_jNS1_19radix_merge_compareILb1ELb1EiNS0_19identity_decomposerEEEEE10hipError_tT0_T1_T2_jT3_P12ihipStream_tbPNSt15iterator_traitsISI_E10value_typeEPNSO_ISJ_E10value_typeEPSK_NS1_7vsmem_tEENKUlT_SI_SJ_SK_E_clISD_PiSD_S10_EESH_SX_SI_SJ_SK_EUlSX_E_NS1_11comp_targetILNS1_3genE10ELNS1_11target_archE1201ELNS1_3gpuE5ELNS1_3repE0EEENS1_48merge_mergepath_partition_config_static_selectorELNS0_4arch9wavefront6targetE1EEEvSJ_,@function
_ZN7rocprim17ROCPRIM_400000_NS6detail17trampoline_kernelINS0_14default_configENS1_38merge_sort_block_merge_config_selectorIiiEEZZNS1_27merge_sort_block_merge_implIS3_N6thrust23THRUST_200600_302600_NS6detail15normal_iteratorINS8_10device_ptrIiEEEESD_jNS1_19radix_merge_compareILb1ELb1EiNS0_19identity_decomposerEEEEE10hipError_tT0_T1_T2_jT3_P12ihipStream_tbPNSt15iterator_traitsISI_E10value_typeEPNSO_ISJ_E10value_typeEPSK_NS1_7vsmem_tEENKUlT_SI_SJ_SK_E_clISD_PiSD_S10_EESH_SX_SI_SJ_SK_EUlSX_E_NS1_11comp_targetILNS1_3genE10ELNS1_11target_archE1201ELNS1_3gpuE5ELNS1_3repE0EEENS1_48merge_mergepath_partition_config_static_selectorELNS0_4arch9wavefront6targetE1EEEvSJ_: ; @_ZN7rocprim17ROCPRIM_400000_NS6detail17trampoline_kernelINS0_14default_configENS1_38merge_sort_block_merge_config_selectorIiiEEZZNS1_27merge_sort_block_merge_implIS3_N6thrust23THRUST_200600_302600_NS6detail15normal_iteratorINS8_10device_ptrIiEEEESD_jNS1_19radix_merge_compareILb1ELb1EiNS0_19identity_decomposerEEEEE10hipError_tT0_T1_T2_jT3_P12ihipStream_tbPNSt15iterator_traitsISI_E10value_typeEPNSO_ISJ_E10value_typeEPSK_NS1_7vsmem_tEENKUlT_SI_SJ_SK_E_clISD_PiSD_S10_EESH_SX_SI_SJ_SK_EUlSX_E_NS1_11comp_targetILNS1_3genE10ELNS1_11target_archE1201ELNS1_3gpuE5ELNS1_3repE0EEENS1_48merge_mergepath_partition_config_static_selectorELNS0_4arch9wavefront6targetE1EEEvSJ_
; %bb.0:
	.section	.rodata,"a",@progbits
	.p2align	6, 0x0
	.amdhsa_kernel _ZN7rocprim17ROCPRIM_400000_NS6detail17trampoline_kernelINS0_14default_configENS1_38merge_sort_block_merge_config_selectorIiiEEZZNS1_27merge_sort_block_merge_implIS3_N6thrust23THRUST_200600_302600_NS6detail15normal_iteratorINS8_10device_ptrIiEEEESD_jNS1_19radix_merge_compareILb1ELb1EiNS0_19identity_decomposerEEEEE10hipError_tT0_T1_T2_jT3_P12ihipStream_tbPNSt15iterator_traitsISI_E10value_typeEPNSO_ISJ_E10value_typeEPSK_NS1_7vsmem_tEENKUlT_SI_SJ_SK_E_clISD_PiSD_S10_EESH_SX_SI_SJ_SK_EUlSX_E_NS1_11comp_targetILNS1_3genE10ELNS1_11target_archE1201ELNS1_3gpuE5ELNS1_3repE0EEENS1_48merge_mergepath_partition_config_static_selectorELNS0_4arch9wavefront6targetE1EEEvSJ_
		.amdhsa_group_segment_fixed_size 0
		.amdhsa_private_segment_fixed_size 0
		.amdhsa_kernarg_size 40
		.amdhsa_user_sgpr_count 2
		.amdhsa_user_sgpr_dispatch_ptr 0
		.amdhsa_user_sgpr_queue_ptr 0
		.amdhsa_user_sgpr_kernarg_segment_ptr 1
		.amdhsa_user_sgpr_dispatch_id 0
		.amdhsa_user_sgpr_kernarg_preload_length 0
		.amdhsa_user_sgpr_kernarg_preload_offset 0
		.amdhsa_user_sgpr_private_segment_size 0
		.amdhsa_uses_dynamic_stack 0
		.amdhsa_enable_private_segment 0
		.amdhsa_system_sgpr_workgroup_id_x 1
		.amdhsa_system_sgpr_workgroup_id_y 0
		.amdhsa_system_sgpr_workgroup_id_z 0
		.amdhsa_system_sgpr_workgroup_info 0
		.amdhsa_system_vgpr_workitem_id 0
		.amdhsa_next_free_vgpr 1
		.amdhsa_next_free_sgpr 0
		.amdhsa_accum_offset 4
		.amdhsa_reserve_vcc 0
		.amdhsa_float_round_mode_32 0
		.amdhsa_float_round_mode_16_64 0
		.amdhsa_float_denorm_mode_32 3
		.amdhsa_float_denorm_mode_16_64 3
		.amdhsa_dx10_clamp 1
		.amdhsa_ieee_mode 1
		.amdhsa_fp16_overflow 0
		.amdhsa_tg_split 0
		.amdhsa_exception_fp_ieee_invalid_op 0
		.amdhsa_exception_fp_denorm_src 0
		.amdhsa_exception_fp_ieee_div_zero 0
		.amdhsa_exception_fp_ieee_overflow 0
		.amdhsa_exception_fp_ieee_underflow 0
		.amdhsa_exception_fp_ieee_inexact 0
		.amdhsa_exception_int_div_zero 0
	.end_amdhsa_kernel
	.section	.text._ZN7rocprim17ROCPRIM_400000_NS6detail17trampoline_kernelINS0_14default_configENS1_38merge_sort_block_merge_config_selectorIiiEEZZNS1_27merge_sort_block_merge_implIS3_N6thrust23THRUST_200600_302600_NS6detail15normal_iteratorINS8_10device_ptrIiEEEESD_jNS1_19radix_merge_compareILb1ELb1EiNS0_19identity_decomposerEEEEE10hipError_tT0_T1_T2_jT3_P12ihipStream_tbPNSt15iterator_traitsISI_E10value_typeEPNSO_ISJ_E10value_typeEPSK_NS1_7vsmem_tEENKUlT_SI_SJ_SK_E_clISD_PiSD_S10_EESH_SX_SI_SJ_SK_EUlSX_E_NS1_11comp_targetILNS1_3genE10ELNS1_11target_archE1201ELNS1_3gpuE5ELNS1_3repE0EEENS1_48merge_mergepath_partition_config_static_selectorELNS0_4arch9wavefront6targetE1EEEvSJ_,"axG",@progbits,_ZN7rocprim17ROCPRIM_400000_NS6detail17trampoline_kernelINS0_14default_configENS1_38merge_sort_block_merge_config_selectorIiiEEZZNS1_27merge_sort_block_merge_implIS3_N6thrust23THRUST_200600_302600_NS6detail15normal_iteratorINS8_10device_ptrIiEEEESD_jNS1_19radix_merge_compareILb1ELb1EiNS0_19identity_decomposerEEEEE10hipError_tT0_T1_T2_jT3_P12ihipStream_tbPNSt15iterator_traitsISI_E10value_typeEPNSO_ISJ_E10value_typeEPSK_NS1_7vsmem_tEENKUlT_SI_SJ_SK_E_clISD_PiSD_S10_EESH_SX_SI_SJ_SK_EUlSX_E_NS1_11comp_targetILNS1_3genE10ELNS1_11target_archE1201ELNS1_3gpuE5ELNS1_3repE0EEENS1_48merge_mergepath_partition_config_static_selectorELNS0_4arch9wavefront6targetE1EEEvSJ_,comdat
.Lfunc_end958:
	.size	_ZN7rocprim17ROCPRIM_400000_NS6detail17trampoline_kernelINS0_14default_configENS1_38merge_sort_block_merge_config_selectorIiiEEZZNS1_27merge_sort_block_merge_implIS3_N6thrust23THRUST_200600_302600_NS6detail15normal_iteratorINS8_10device_ptrIiEEEESD_jNS1_19radix_merge_compareILb1ELb1EiNS0_19identity_decomposerEEEEE10hipError_tT0_T1_T2_jT3_P12ihipStream_tbPNSt15iterator_traitsISI_E10value_typeEPNSO_ISJ_E10value_typeEPSK_NS1_7vsmem_tEENKUlT_SI_SJ_SK_E_clISD_PiSD_S10_EESH_SX_SI_SJ_SK_EUlSX_E_NS1_11comp_targetILNS1_3genE10ELNS1_11target_archE1201ELNS1_3gpuE5ELNS1_3repE0EEENS1_48merge_mergepath_partition_config_static_selectorELNS0_4arch9wavefront6targetE1EEEvSJ_, .Lfunc_end958-_ZN7rocprim17ROCPRIM_400000_NS6detail17trampoline_kernelINS0_14default_configENS1_38merge_sort_block_merge_config_selectorIiiEEZZNS1_27merge_sort_block_merge_implIS3_N6thrust23THRUST_200600_302600_NS6detail15normal_iteratorINS8_10device_ptrIiEEEESD_jNS1_19radix_merge_compareILb1ELb1EiNS0_19identity_decomposerEEEEE10hipError_tT0_T1_T2_jT3_P12ihipStream_tbPNSt15iterator_traitsISI_E10value_typeEPNSO_ISJ_E10value_typeEPSK_NS1_7vsmem_tEENKUlT_SI_SJ_SK_E_clISD_PiSD_S10_EESH_SX_SI_SJ_SK_EUlSX_E_NS1_11comp_targetILNS1_3genE10ELNS1_11target_archE1201ELNS1_3gpuE5ELNS1_3repE0EEENS1_48merge_mergepath_partition_config_static_selectorELNS0_4arch9wavefront6targetE1EEEvSJ_
                                        ; -- End function
	.set _ZN7rocprim17ROCPRIM_400000_NS6detail17trampoline_kernelINS0_14default_configENS1_38merge_sort_block_merge_config_selectorIiiEEZZNS1_27merge_sort_block_merge_implIS3_N6thrust23THRUST_200600_302600_NS6detail15normal_iteratorINS8_10device_ptrIiEEEESD_jNS1_19radix_merge_compareILb1ELb1EiNS0_19identity_decomposerEEEEE10hipError_tT0_T1_T2_jT3_P12ihipStream_tbPNSt15iterator_traitsISI_E10value_typeEPNSO_ISJ_E10value_typeEPSK_NS1_7vsmem_tEENKUlT_SI_SJ_SK_E_clISD_PiSD_S10_EESH_SX_SI_SJ_SK_EUlSX_E_NS1_11comp_targetILNS1_3genE10ELNS1_11target_archE1201ELNS1_3gpuE5ELNS1_3repE0EEENS1_48merge_mergepath_partition_config_static_selectorELNS0_4arch9wavefront6targetE1EEEvSJ_.num_vgpr, 0
	.set _ZN7rocprim17ROCPRIM_400000_NS6detail17trampoline_kernelINS0_14default_configENS1_38merge_sort_block_merge_config_selectorIiiEEZZNS1_27merge_sort_block_merge_implIS3_N6thrust23THRUST_200600_302600_NS6detail15normal_iteratorINS8_10device_ptrIiEEEESD_jNS1_19radix_merge_compareILb1ELb1EiNS0_19identity_decomposerEEEEE10hipError_tT0_T1_T2_jT3_P12ihipStream_tbPNSt15iterator_traitsISI_E10value_typeEPNSO_ISJ_E10value_typeEPSK_NS1_7vsmem_tEENKUlT_SI_SJ_SK_E_clISD_PiSD_S10_EESH_SX_SI_SJ_SK_EUlSX_E_NS1_11comp_targetILNS1_3genE10ELNS1_11target_archE1201ELNS1_3gpuE5ELNS1_3repE0EEENS1_48merge_mergepath_partition_config_static_selectorELNS0_4arch9wavefront6targetE1EEEvSJ_.num_agpr, 0
	.set _ZN7rocprim17ROCPRIM_400000_NS6detail17trampoline_kernelINS0_14default_configENS1_38merge_sort_block_merge_config_selectorIiiEEZZNS1_27merge_sort_block_merge_implIS3_N6thrust23THRUST_200600_302600_NS6detail15normal_iteratorINS8_10device_ptrIiEEEESD_jNS1_19radix_merge_compareILb1ELb1EiNS0_19identity_decomposerEEEEE10hipError_tT0_T1_T2_jT3_P12ihipStream_tbPNSt15iterator_traitsISI_E10value_typeEPNSO_ISJ_E10value_typeEPSK_NS1_7vsmem_tEENKUlT_SI_SJ_SK_E_clISD_PiSD_S10_EESH_SX_SI_SJ_SK_EUlSX_E_NS1_11comp_targetILNS1_3genE10ELNS1_11target_archE1201ELNS1_3gpuE5ELNS1_3repE0EEENS1_48merge_mergepath_partition_config_static_selectorELNS0_4arch9wavefront6targetE1EEEvSJ_.numbered_sgpr, 0
	.set _ZN7rocprim17ROCPRIM_400000_NS6detail17trampoline_kernelINS0_14default_configENS1_38merge_sort_block_merge_config_selectorIiiEEZZNS1_27merge_sort_block_merge_implIS3_N6thrust23THRUST_200600_302600_NS6detail15normal_iteratorINS8_10device_ptrIiEEEESD_jNS1_19radix_merge_compareILb1ELb1EiNS0_19identity_decomposerEEEEE10hipError_tT0_T1_T2_jT3_P12ihipStream_tbPNSt15iterator_traitsISI_E10value_typeEPNSO_ISJ_E10value_typeEPSK_NS1_7vsmem_tEENKUlT_SI_SJ_SK_E_clISD_PiSD_S10_EESH_SX_SI_SJ_SK_EUlSX_E_NS1_11comp_targetILNS1_3genE10ELNS1_11target_archE1201ELNS1_3gpuE5ELNS1_3repE0EEENS1_48merge_mergepath_partition_config_static_selectorELNS0_4arch9wavefront6targetE1EEEvSJ_.num_named_barrier, 0
	.set _ZN7rocprim17ROCPRIM_400000_NS6detail17trampoline_kernelINS0_14default_configENS1_38merge_sort_block_merge_config_selectorIiiEEZZNS1_27merge_sort_block_merge_implIS3_N6thrust23THRUST_200600_302600_NS6detail15normal_iteratorINS8_10device_ptrIiEEEESD_jNS1_19radix_merge_compareILb1ELb1EiNS0_19identity_decomposerEEEEE10hipError_tT0_T1_T2_jT3_P12ihipStream_tbPNSt15iterator_traitsISI_E10value_typeEPNSO_ISJ_E10value_typeEPSK_NS1_7vsmem_tEENKUlT_SI_SJ_SK_E_clISD_PiSD_S10_EESH_SX_SI_SJ_SK_EUlSX_E_NS1_11comp_targetILNS1_3genE10ELNS1_11target_archE1201ELNS1_3gpuE5ELNS1_3repE0EEENS1_48merge_mergepath_partition_config_static_selectorELNS0_4arch9wavefront6targetE1EEEvSJ_.private_seg_size, 0
	.set _ZN7rocprim17ROCPRIM_400000_NS6detail17trampoline_kernelINS0_14default_configENS1_38merge_sort_block_merge_config_selectorIiiEEZZNS1_27merge_sort_block_merge_implIS3_N6thrust23THRUST_200600_302600_NS6detail15normal_iteratorINS8_10device_ptrIiEEEESD_jNS1_19radix_merge_compareILb1ELb1EiNS0_19identity_decomposerEEEEE10hipError_tT0_T1_T2_jT3_P12ihipStream_tbPNSt15iterator_traitsISI_E10value_typeEPNSO_ISJ_E10value_typeEPSK_NS1_7vsmem_tEENKUlT_SI_SJ_SK_E_clISD_PiSD_S10_EESH_SX_SI_SJ_SK_EUlSX_E_NS1_11comp_targetILNS1_3genE10ELNS1_11target_archE1201ELNS1_3gpuE5ELNS1_3repE0EEENS1_48merge_mergepath_partition_config_static_selectorELNS0_4arch9wavefront6targetE1EEEvSJ_.uses_vcc, 0
	.set _ZN7rocprim17ROCPRIM_400000_NS6detail17trampoline_kernelINS0_14default_configENS1_38merge_sort_block_merge_config_selectorIiiEEZZNS1_27merge_sort_block_merge_implIS3_N6thrust23THRUST_200600_302600_NS6detail15normal_iteratorINS8_10device_ptrIiEEEESD_jNS1_19radix_merge_compareILb1ELb1EiNS0_19identity_decomposerEEEEE10hipError_tT0_T1_T2_jT3_P12ihipStream_tbPNSt15iterator_traitsISI_E10value_typeEPNSO_ISJ_E10value_typeEPSK_NS1_7vsmem_tEENKUlT_SI_SJ_SK_E_clISD_PiSD_S10_EESH_SX_SI_SJ_SK_EUlSX_E_NS1_11comp_targetILNS1_3genE10ELNS1_11target_archE1201ELNS1_3gpuE5ELNS1_3repE0EEENS1_48merge_mergepath_partition_config_static_selectorELNS0_4arch9wavefront6targetE1EEEvSJ_.uses_flat_scratch, 0
	.set _ZN7rocprim17ROCPRIM_400000_NS6detail17trampoline_kernelINS0_14default_configENS1_38merge_sort_block_merge_config_selectorIiiEEZZNS1_27merge_sort_block_merge_implIS3_N6thrust23THRUST_200600_302600_NS6detail15normal_iteratorINS8_10device_ptrIiEEEESD_jNS1_19radix_merge_compareILb1ELb1EiNS0_19identity_decomposerEEEEE10hipError_tT0_T1_T2_jT3_P12ihipStream_tbPNSt15iterator_traitsISI_E10value_typeEPNSO_ISJ_E10value_typeEPSK_NS1_7vsmem_tEENKUlT_SI_SJ_SK_E_clISD_PiSD_S10_EESH_SX_SI_SJ_SK_EUlSX_E_NS1_11comp_targetILNS1_3genE10ELNS1_11target_archE1201ELNS1_3gpuE5ELNS1_3repE0EEENS1_48merge_mergepath_partition_config_static_selectorELNS0_4arch9wavefront6targetE1EEEvSJ_.has_dyn_sized_stack, 0
	.set _ZN7rocprim17ROCPRIM_400000_NS6detail17trampoline_kernelINS0_14default_configENS1_38merge_sort_block_merge_config_selectorIiiEEZZNS1_27merge_sort_block_merge_implIS3_N6thrust23THRUST_200600_302600_NS6detail15normal_iteratorINS8_10device_ptrIiEEEESD_jNS1_19radix_merge_compareILb1ELb1EiNS0_19identity_decomposerEEEEE10hipError_tT0_T1_T2_jT3_P12ihipStream_tbPNSt15iterator_traitsISI_E10value_typeEPNSO_ISJ_E10value_typeEPSK_NS1_7vsmem_tEENKUlT_SI_SJ_SK_E_clISD_PiSD_S10_EESH_SX_SI_SJ_SK_EUlSX_E_NS1_11comp_targetILNS1_3genE10ELNS1_11target_archE1201ELNS1_3gpuE5ELNS1_3repE0EEENS1_48merge_mergepath_partition_config_static_selectorELNS0_4arch9wavefront6targetE1EEEvSJ_.has_recursion, 0
	.set _ZN7rocprim17ROCPRIM_400000_NS6detail17trampoline_kernelINS0_14default_configENS1_38merge_sort_block_merge_config_selectorIiiEEZZNS1_27merge_sort_block_merge_implIS3_N6thrust23THRUST_200600_302600_NS6detail15normal_iteratorINS8_10device_ptrIiEEEESD_jNS1_19radix_merge_compareILb1ELb1EiNS0_19identity_decomposerEEEEE10hipError_tT0_T1_T2_jT3_P12ihipStream_tbPNSt15iterator_traitsISI_E10value_typeEPNSO_ISJ_E10value_typeEPSK_NS1_7vsmem_tEENKUlT_SI_SJ_SK_E_clISD_PiSD_S10_EESH_SX_SI_SJ_SK_EUlSX_E_NS1_11comp_targetILNS1_3genE10ELNS1_11target_archE1201ELNS1_3gpuE5ELNS1_3repE0EEENS1_48merge_mergepath_partition_config_static_selectorELNS0_4arch9wavefront6targetE1EEEvSJ_.has_indirect_call, 0
	.section	.AMDGPU.csdata,"",@progbits
; Kernel info:
; codeLenInByte = 0
; TotalNumSgprs: 6
; NumVgprs: 0
; NumAgprs: 0
; TotalNumVgprs: 0
; ScratchSize: 0
; MemoryBound: 0
; FloatMode: 240
; IeeeMode: 1
; LDSByteSize: 0 bytes/workgroup (compile time only)
; SGPRBlocks: 0
; VGPRBlocks: 0
; NumSGPRsForWavesPerEU: 6
; NumVGPRsForWavesPerEU: 1
; AccumOffset: 4
; Occupancy: 8
; WaveLimiterHint : 0
; COMPUTE_PGM_RSRC2:SCRATCH_EN: 0
; COMPUTE_PGM_RSRC2:USER_SGPR: 2
; COMPUTE_PGM_RSRC2:TRAP_HANDLER: 0
; COMPUTE_PGM_RSRC2:TGID_X_EN: 1
; COMPUTE_PGM_RSRC2:TGID_Y_EN: 0
; COMPUTE_PGM_RSRC2:TGID_Z_EN: 0
; COMPUTE_PGM_RSRC2:TIDIG_COMP_CNT: 0
; COMPUTE_PGM_RSRC3_GFX90A:ACCUM_OFFSET: 0
; COMPUTE_PGM_RSRC3_GFX90A:TG_SPLIT: 0
	.section	.text._ZN7rocprim17ROCPRIM_400000_NS6detail17trampoline_kernelINS0_14default_configENS1_38merge_sort_block_merge_config_selectorIiiEEZZNS1_27merge_sort_block_merge_implIS3_N6thrust23THRUST_200600_302600_NS6detail15normal_iteratorINS8_10device_ptrIiEEEESD_jNS1_19radix_merge_compareILb1ELb1EiNS0_19identity_decomposerEEEEE10hipError_tT0_T1_T2_jT3_P12ihipStream_tbPNSt15iterator_traitsISI_E10value_typeEPNSO_ISJ_E10value_typeEPSK_NS1_7vsmem_tEENKUlT_SI_SJ_SK_E_clISD_PiSD_S10_EESH_SX_SI_SJ_SK_EUlSX_E_NS1_11comp_targetILNS1_3genE5ELNS1_11target_archE942ELNS1_3gpuE9ELNS1_3repE0EEENS1_48merge_mergepath_partition_config_static_selectorELNS0_4arch9wavefront6targetE1EEEvSJ_,"axG",@progbits,_ZN7rocprim17ROCPRIM_400000_NS6detail17trampoline_kernelINS0_14default_configENS1_38merge_sort_block_merge_config_selectorIiiEEZZNS1_27merge_sort_block_merge_implIS3_N6thrust23THRUST_200600_302600_NS6detail15normal_iteratorINS8_10device_ptrIiEEEESD_jNS1_19radix_merge_compareILb1ELb1EiNS0_19identity_decomposerEEEEE10hipError_tT0_T1_T2_jT3_P12ihipStream_tbPNSt15iterator_traitsISI_E10value_typeEPNSO_ISJ_E10value_typeEPSK_NS1_7vsmem_tEENKUlT_SI_SJ_SK_E_clISD_PiSD_S10_EESH_SX_SI_SJ_SK_EUlSX_E_NS1_11comp_targetILNS1_3genE5ELNS1_11target_archE942ELNS1_3gpuE9ELNS1_3repE0EEENS1_48merge_mergepath_partition_config_static_selectorELNS0_4arch9wavefront6targetE1EEEvSJ_,comdat
	.protected	_ZN7rocprim17ROCPRIM_400000_NS6detail17trampoline_kernelINS0_14default_configENS1_38merge_sort_block_merge_config_selectorIiiEEZZNS1_27merge_sort_block_merge_implIS3_N6thrust23THRUST_200600_302600_NS6detail15normal_iteratorINS8_10device_ptrIiEEEESD_jNS1_19radix_merge_compareILb1ELb1EiNS0_19identity_decomposerEEEEE10hipError_tT0_T1_T2_jT3_P12ihipStream_tbPNSt15iterator_traitsISI_E10value_typeEPNSO_ISJ_E10value_typeEPSK_NS1_7vsmem_tEENKUlT_SI_SJ_SK_E_clISD_PiSD_S10_EESH_SX_SI_SJ_SK_EUlSX_E_NS1_11comp_targetILNS1_3genE5ELNS1_11target_archE942ELNS1_3gpuE9ELNS1_3repE0EEENS1_48merge_mergepath_partition_config_static_selectorELNS0_4arch9wavefront6targetE1EEEvSJ_ ; -- Begin function _ZN7rocprim17ROCPRIM_400000_NS6detail17trampoline_kernelINS0_14default_configENS1_38merge_sort_block_merge_config_selectorIiiEEZZNS1_27merge_sort_block_merge_implIS3_N6thrust23THRUST_200600_302600_NS6detail15normal_iteratorINS8_10device_ptrIiEEEESD_jNS1_19radix_merge_compareILb1ELb1EiNS0_19identity_decomposerEEEEE10hipError_tT0_T1_T2_jT3_P12ihipStream_tbPNSt15iterator_traitsISI_E10value_typeEPNSO_ISJ_E10value_typeEPSK_NS1_7vsmem_tEENKUlT_SI_SJ_SK_E_clISD_PiSD_S10_EESH_SX_SI_SJ_SK_EUlSX_E_NS1_11comp_targetILNS1_3genE5ELNS1_11target_archE942ELNS1_3gpuE9ELNS1_3repE0EEENS1_48merge_mergepath_partition_config_static_selectorELNS0_4arch9wavefront6targetE1EEEvSJ_
	.globl	_ZN7rocprim17ROCPRIM_400000_NS6detail17trampoline_kernelINS0_14default_configENS1_38merge_sort_block_merge_config_selectorIiiEEZZNS1_27merge_sort_block_merge_implIS3_N6thrust23THRUST_200600_302600_NS6detail15normal_iteratorINS8_10device_ptrIiEEEESD_jNS1_19radix_merge_compareILb1ELb1EiNS0_19identity_decomposerEEEEE10hipError_tT0_T1_T2_jT3_P12ihipStream_tbPNSt15iterator_traitsISI_E10value_typeEPNSO_ISJ_E10value_typeEPSK_NS1_7vsmem_tEENKUlT_SI_SJ_SK_E_clISD_PiSD_S10_EESH_SX_SI_SJ_SK_EUlSX_E_NS1_11comp_targetILNS1_3genE5ELNS1_11target_archE942ELNS1_3gpuE9ELNS1_3repE0EEENS1_48merge_mergepath_partition_config_static_selectorELNS0_4arch9wavefront6targetE1EEEvSJ_
	.p2align	8
	.type	_ZN7rocprim17ROCPRIM_400000_NS6detail17trampoline_kernelINS0_14default_configENS1_38merge_sort_block_merge_config_selectorIiiEEZZNS1_27merge_sort_block_merge_implIS3_N6thrust23THRUST_200600_302600_NS6detail15normal_iteratorINS8_10device_ptrIiEEEESD_jNS1_19radix_merge_compareILb1ELb1EiNS0_19identity_decomposerEEEEE10hipError_tT0_T1_T2_jT3_P12ihipStream_tbPNSt15iterator_traitsISI_E10value_typeEPNSO_ISJ_E10value_typeEPSK_NS1_7vsmem_tEENKUlT_SI_SJ_SK_E_clISD_PiSD_S10_EESH_SX_SI_SJ_SK_EUlSX_E_NS1_11comp_targetILNS1_3genE5ELNS1_11target_archE942ELNS1_3gpuE9ELNS1_3repE0EEENS1_48merge_mergepath_partition_config_static_selectorELNS0_4arch9wavefront6targetE1EEEvSJ_,@function
_ZN7rocprim17ROCPRIM_400000_NS6detail17trampoline_kernelINS0_14default_configENS1_38merge_sort_block_merge_config_selectorIiiEEZZNS1_27merge_sort_block_merge_implIS3_N6thrust23THRUST_200600_302600_NS6detail15normal_iteratorINS8_10device_ptrIiEEEESD_jNS1_19radix_merge_compareILb1ELb1EiNS0_19identity_decomposerEEEEE10hipError_tT0_T1_T2_jT3_P12ihipStream_tbPNSt15iterator_traitsISI_E10value_typeEPNSO_ISJ_E10value_typeEPSK_NS1_7vsmem_tEENKUlT_SI_SJ_SK_E_clISD_PiSD_S10_EESH_SX_SI_SJ_SK_EUlSX_E_NS1_11comp_targetILNS1_3genE5ELNS1_11target_archE942ELNS1_3gpuE9ELNS1_3repE0EEENS1_48merge_mergepath_partition_config_static_selectorELNS0_4arch9wavefront6targetE1EEEvSJ_: ; @_ZN7rocprim17ROCPRIM_400000_NS6detail17trampoline_kernelINS0_14default_configENS1_38merge_sort_block_merge_config_selectorIiiEEZZNS1_27merge_sort_block_merge_implIS3_N6thrust23THRUST_200600_302600_NS6detail15normal_iteratorINS8_10device_ptrIiEEEESD_jNS1_19radix_merge_compareILb1ELb1EiNS0_19identity_decomposerEEEEE10hipError_tT0_T1_T2_jT3_P12ihipStream_tbPNSt15iterator_traitsISI_E10value_typeEPNSO_ISJ_E10value_typeEPSK_NS1_7vsmem_tEENKUlT_SI_SJ_SK_E_clISD_PiSD_S10_EESH_SX_SI_SJ_SK_EUlSX_E_NS1_11comp_targetILNS1_3genE5ELNS1_11target_archE942ELNS1_3gpuE9ELNS1_3repE0EEENS1_48merge_mergepath_partition_config_static_selectorELNS0_4arch9wavefront6targetE1EEEvSJ_
; %bb.0:
	.section	.rodata,"a",@progbits
	.p2align	6, 0x0
	.amdhsa_kernel _ZN7rocprim17ROCPRIM_400000_NS6detail17trampoline_kernelINS0_14default_configENS1_38merge_sort_block_merge_config_selectorIiiEEZZNS1_27merge_sort_block_merge_implIS3_N6thrust23THRUST_200600_302600_NS6detail15normal_iteratorINS8_10device_ptrIiEEEESD_jNS1_19radix_merge_compareILb1ELb1EiNS0_19identity_decomposerEEEEE10hipError_tT0_T1_T2_jT3_P12ihipStream_tbPNSt15iterator_traitsISI_E10value_typeEPNSO_ISJ_E10value_typeEPSK_NS1_7vsmem_tEENKUlT_SI_SJ_SK_E_clISD_PiSD_S10_EESH_SX_SI_SJ_SK_EUlSX_E_NS1_11comp_targetILNS1_3genE5ELNS1_11target_archE942ELNS1_3gpuE9ELNS1_3repE0EEENS1_48merge_mergepath_partition_config_static_selectorELNS0_4arch9wavefront6targetE1EEEvSJ_
		.amdhsa_group_segment_fixed_size 0
		.amdhsa_private_segment_fixed_size 0
		.amdhsa_kernarg_size 40
		.amdhsa_user_sgpr_count 2
		.amdhsa_user_sgpr_dispatch_ptr 0
		.amdhsa_user_sgpr_queue_ptr 0
		.amdhsa_user_sgpr_kernarg_segment_ptr 1
		.amdhsa_user_sgpr_dispatch_id 0
		.amdhsa_user_sgpr_kernarg_preload_length 0
		.amdhsa_user_sgpr_kernarg_preload_offset 0
		.amdhsa_user_sgpr_private_segment_size 0
		.amdhsa_uses_dynamic_stack 0
		.amdhsa_enable_private_segment 0
		.amdhsa_system_sgpr_workgroup_id_x 1
		.amdhsa_system_sgpr_workgroup_id_y 0
		.amdhsa_system_sgpr_workgroup_id_z 0
		.amdhsa_system_sgpr_workgroup_info 0
		.amdhsa_system_vgpr_workitem_id 0
		.amdhsa_next_free_vgpr 1
		.amdhsa_next_free_sgpr 0
		.amdhsa_accum_offset 4
		.amdhsa_reserve_vcc 0
		.amdhsa_float_round_mode_32 0
		.amdhsa_float_round_mode_16_64 0
		.amdhsa_float_denorm_mode_32 3
		.amdhsa_float_denorm_mode_16_64 3
		.amdhsa_dx10_clamp 1
		.amdhsa_ieee_mode 1
		.amdhsa_fp16_overflow 0
		.amdhsa_tg_split 0
		.amdhsa_exception_fp_ieee_invalid_op 0
		.amdhsa_exception_fp_denorm_src 0
		.amdhsa_exception_fp_ieee_div_zero 0
		.amdhsa_exception_fp_ieee_overflow 0
		.amdhsa_exception_fp_ieee_underflow 0
		.amdhsa_exception_fp_ieee_inexact 0
		.amdhsa_exception_int_div_zero 0
	.end_amdhsa_kernel
	.section	.text._ZN7rocprim17ROCPRIM_400000_NS6detail17trampoline_kernelINS0_14default_configENS1_38merge_sort_block_merge_config_selectorIiiEEZZNS1_27merge_sort_block_merge_implIS3_N6thrust23THRUST_200600_302600_NS6detail15normal_iteratorINS8_10device_ptrIiEEEESD_jNS1_19radix_merge_compareILb1ELb1EiNS0_19identity_decomposerEEEEE10hipError_tT0_T1_T2_jT3_P12ihipStream_tbPNSt15iterator_traitsISI_E10value_typeEPNSO_ISJ_E10value_typeEPSK_NS1_7vsmem_tEENKUlT_SI_SJ_SK_E_clISD_PiSD_S10_EESH_SX_SI_SJ_SK_EUlSX_E_NS1_11comp_targetILNS1_3genE5ELNS1_11target_archE942ELNS1_3gpuE9ELNS1_3repE0EEENS1_48merge_mergepath_partition_config_static_selectorELNS0_4arch9wavefront6targetE1EEEvSJ_,"axG",@progbits,_ZN7rocprim17ROCPRIM_400000_NS6detail17trampoline_kernelINS0_14default_configENS1_38merge_sort_block_merge_config_selectorIiiEEZZNS1_27merge_sort_block_merge_implIS3_N6thrust23THRUST_200600_302600_NS6detail15normal_iteratorINS8_10device_ptrIiEEEESD_jNS1_19radix_merge_compareILb1ELb1EiNS0_19identity_decomposerEEEEE10hipError_tT0_T1_T2_jT3_P12ihipStream_tbPNSt15iterator_traitsISI_E10value_typeEPNSO_ISJ_E10value_typeEPSK_NS1_7vsmem_tEENKUlT_SI_SJ_SK_E_clISD_PiSD_S10_EESH_SX_SI_SJ_SK_EUlSX_E_NS1_11comp_targetILNS1_3genE5ELNS1_11target_archE942ELNS1_3gpuE9ELNS1_3repE0EEENS1_48merge_mergepath_partition_config_static_selectorELNS0_4arch9wavefront6targetE1EEEvSJ_,comdat
.Lfunc_end959:
	.size	_ZN7rocprim17ROCPRIM_400000_NS6detail17trampoline_kernelINS0_14default_configENS1_38merge_sort_block_merge_config_selectorIiiEEZZNS1_27merge_sort_block_merge_implIS3_N6thrust23THRUST_200600_302600_NS6detail15normal_iteratorINS8_10device_ptrIiEEEESD_jNS1_19radix_merge_compareILb1ELb1EiNS0_19identity_decomposerEEEEE10hipError_tT0_T1_T2_jT3_P12ihipStream_tbPNSt15iterator_traitsISI_E10value_typeEPNSO_ISJ_E10value_typeEPSK_NS1_7vsmem_tEENKUlT_SI_SJ_SK_E_clISD_PiSD_S10_EESH_SX_SI_SJ_SK_EUlSX_E_NS1_11comp_targetILNS1_3genE5ELNS1_11target_archE942ELNS1_3gpuE9ELNS1_3repE0EEENS1_48merge_mergepath_partition_config_static_selectorELNS0_4arch9wavefront6targetE1EEEvSJ_, .Lfunc_end959-_ZN7rocprim17ROCPRIM_400000_NS6detail17trampoline_kernelINS0_14default_configENS1_38merge_sort_block_merge_config_selectorIiiEEZZNS1_27merge_sort_block_merge_implIS3_N6thrust23THRUST_200600_302600_NS6detail15normal_iteratorINS8_10device_ptrIiEEEESD_jNS1_19radix_merge_compareILb1ELb1EiNS0_19identity_decomposerEEEEE10hipError_tT0_T1_T2_jT3_P12ihipStream_tbPNSt15iterator_traitsISI_E10value_typeEPNSO_ISJ_E10value_typeEPSK_NS1_7vsmem_tEENKUlT_SI_SJ_SK_E_clISD_PiSD_S10_EESH_SX_SI_SJ_SK_EUlSX_E_NS1_11comp_targetILNS1_3genE5ELNS1_11target_archE942ELNS1_3gpuE9ELNS1_3repE0EEENS1_48merge_mergepath_partition_config_static_selectorELNS0_4arch9wavefront6targetE1EEEvSJ_
                                        ; -- End function
	.set _ZN7rocprim17ROCPRIM_400000_NS6detail17trampoline_kernelINS0_14default_configENS1_38merge_sort_block_merge_config_selectorIiiEEZZNS1_27merge_sort_block_merge_implIS3_N6thrust23THRUST_200600_302600_NS6detail15normal_iteratorINS8_10device_ptrIiEEEESD_jNS1_19radix_merge_compareILb1ELb1EiNS0_19identity_decomposerEEEEE10hipError_tT0_T1_T2_jT3_P12ihipStream_tbPNSt15iterator_traitsISI_E10value_typeEPNSO_ISJ_E10value_typeEPSK_NS1_7vsmem_tEENKUlT_SI_SJ_SK_E_clISD_PiSD_S10_EESH_SX_SI_SJ_SK_EUlSX_E_NS1_11comp_targetILNS1_3genE5ELNS1_11target_archE942ELNS1_3gpuE9ELNS1_3repE0EEENS1_48merge_mergepath_partition_config_static_selectorELNS0_4arch9wavefront6targetE1EEEvSJ_.num_vgpr, 0
	.set _ZN7rocprim17ROCPRIM_400000_NS6detail17trampoline_kernelINS0_14default_configENS1_38merge_sort_block_merge_config_selectorIiiEEZZNS1_27merge_sort_block_merge_implIS3_N6thrust23THRUST_200600_302600_NS6detail15normal_iteratorINS8_10device_ptrIiEEEESD_jNS1_19radix_merge_compareILb1ELb1EiNS0_19identity_decomposerEEEEE10hipError_tT0_T1_T2_jT3_P12ihipStream_tbPNSt15iterator_traitsISI_E10value_typeEPNSO_ISJ_E10value_typeEPSK_NS1_7vsmem_tEENKUlT_SI_SJ_SK_E_clISD_PiSD_S10_EESH_SX_SI_SJ_SK_EUlSX_E_NS1_11comp_targetILNS1_3genE5ELNS1_11target_archE942ELNS1_3gpuE9ELNS1_3repE0EEENS1_48merge_mergepath_partition_config_static_selectorELNS0_4arch9wavefront6targetE1EEEvSJ_.num_agpr, 0
	.set _ZN7rocprim17ROCPRIM_400000_NS6detail17trampoline_kernelINS0_14default_configENS1_38merge_sort_block_merge_config_selectorIiiEEZZNS1_27merge_sort_block_merge_implIS3_N6thrust23THRUST_200600_302600_NS6detail15normal_iteratorINS8_10device_ptrIiEEEESD_jNS1_19radix_merge_compareILb1ELb1EiNS0_19identity_decomposerEEEEE10hipError_tT0_T1_T2_jT3_P12ihipStream_tbPNSt15iterator_traitsISI_E10value_typeEPNSO_ISJ_E10value_typeEPSK_NS1_7vsmem_tEENKUlT_SI_SJ_SK_E_clISD_PiSD_S10_EESH_SX_SI_SJ_SK_EUlSX_E_NS1_11comp_targetILNS1_3genE5ELNS1_11target_archE942ELNS1_3gpuE9ELNS1_3repE0EEENS1_48merge_mergepath_partition_config_static_selectorELNS0_4arch9wavefront6targetE1EEEvSJ_.numbered_sgpr, 0
	.set _ZN7rocprim17ROCPRIM_400000_NS6detail17trampoline_kernelINS0_14default_configENS1_38merge_sort_block_merge_config_selectorIiiEEZZNS1_27merge_sort_block_merge_implIS3_N6thrust23THRUST_200600_302600_NS6detail15normal_iteratorINS8_10device_ptrIiEEEESD_jNS1_19radix_merge_compareILb1ELb1EiNS0_19identity_decomposerEEEEE10hipError_tT0_T1_T2_jT3_P12ihipStream_tbPNSt15iterator_traitsISI_E10value_typeEPNSO_ISJ_E10value_typeEPSK_NS1_7vsmem_tEENKUlT_SI_SJ_SK_E_clISD_PiSD_S10_EESH_SX_SI_SJ_SK_EUlSX_E_NS1_11comp_targetILNS1_3genE5ELNS1_11target_archE942ELNS1_3gpuE9ELNS1_3repE0EEENS1_48merge_mergepath_partition_config_static_selectorELNS0_4arch9wavefront6targetE1EEEvSJ_.num_named_barrier, 0
	.set _ZN7rocprim17ROCPRIM_400000_NS6detail17trampoline_kernelINS0_14default_configENS1_38merge_sort_block_merge_config_selectorIiiEEZZNS1_27merge_sort_block_merge_implIS3_N6thrust23THRUST_200600_302600_NS6detail15normal_iteratorINS8_10device_ptrIiEEEESD_jNS1_19radix_merge_compareILb1ELb1EiNS0_19identity_decomposerEEEEE10hipError_tT0_T1_T2_jT3_P12ihipStream_tbPNSt15iterator_traitsISI_E10value_typeEPNSO_ISJ_E10value_typeEPSK_NS1_7vsmem_tEENKUlT_SI_SJ_SK_E_clISD_PiSD_S10_EESH_SX_SI_SJ_SK_EUlSX_E_NS1_11comp_targetILNS1_3genE5ELNS1_11target_archE942ELNS1_3gpuE9ELNS1_3repE0EEENS1_48merge_mergepath_partition_config_static_selectorELNS0_4arch9wavefront6targetE1EEEvSJ_.private_seg_size, 0
	.set _ZN7rocprim17ROCPRIM_400000_NS6detail17trampoline_kernelINS0_14default_configENS1_38merge_sort_block_merge_config_selectorIiiEEZZNS1_27merge_sort_block_merge_implIS3_N6thrust23THRUST_200600_302600_NS6detail15normal_iteratorINS8_10device_ptrIiEEEESD_jNS1_19radix_merge_compareILb1ELb1EiNS0_19identity_decomposerEEEEE10hipError_tT0_T1_T2_jT3_P12ihipStream_tbPNSt15iterator_traitsISI_E10value_typeEPNSO_ISJ_E10value_typeEPSK_NS1_7vsmem_tEENKUlT_SI_SJ_SK_E_clISD_PiSD_S10_EESH_SX_SI_SJ_SK_EUlSX_E_NS1_11comp_targetILNS1_3genE5ELNS1_11target_archE942ELNS1_3gpuE9ELNS1_3repE0EEENS1_48merge_mergepath_partition_config_static_selectorELNS0_4arch9wavefront6targetE1EEEvSJ_.uses_vcc, 0
	.set _ZN7rocprim17ROCPRIM_400000_NS6detail17trampoline_kernelINS0_14default_configENS1_38merge_sort_block_merge_config_selectorIiiEEZZNS1_27merge_sort_block_merge_implIS3_N6thrust23THRUST_200600_302600_NS6detail15normal_iteratorINS8_10device_ptrIiEEEESD_jNS1_19radix_merge_compareILb1ELb1EiNS0_19identity_decomposerEEEEE10hipError_tT0_T1_T2_jT3_P12ihipStream_tbPNSt15iterator_traitsISI_E10value_typeEPNSO_ISJ_E10value_typeEPSK_NS1_7vsmem_tEENKUlT_SI_SJ_SK_E_clISD_PiSD_S10_EESH_SX_SI_SJ_SK_EUlSX_E_NS1_11comp_targetILNS1_3genE5ELNS1_11target_archE942ELNS1_3gpuE9ELNS1_3repE0EEENS1_48merge_mergepath_partition_config_static_selectorELNS0_4arch9wavefront6targetE1EEEvSJ_.uses_flat_scratch, 0
	.set _ZN7rocprim17ROCPRIM_400000_NS6detail17trampoline_kernelINS0_14default_configENS1_38merge_sort_block_merge_config_selectorIiiEEZZNS1_27merge_sort_block_merge_implIS3_N6thrust23THRUST_200600_302600_NS6detail15normal_iteratorINS8_10device_ptrIiEEEESD_jNS1_19radix_merge_compareILb1ELb1EiNS0_19identity_decomposerEEEEE10hipError_tT0_T1_T2_jT3_P12ihipStream_tbPNSt15iterator_traitsISI_E10value_typeEPNSO_ISJ_E10value_typeEPSK_NS1_7vsmem_tEENKUlT_SI_SJ_SK_E_clISD_PiSD_S10_EESH_SX_SI_SJ_SK_EUlSX_E_NS1_11comp_targetILNS1_3genE5ELNS1_11target_archE942ELNS1_3gpuE9ELNS1_3repE0EEENS1_48merge_mergepath_partition_config_static_selectorELNS0_4arch9wavefront6targetE1EEEvSJ_.has_dyn_sized_stack, 0
	.set _ZN7rocprim17ROCPRIM_400000_NS6detail17trampoline_kernelINS0_14default_configENS1_38merge_sort_block_merge_config_selectorIiiEEZZNS1_27merge_sort_block_merge_implIS3_N6thrust23THRUST_200600_302600_NS6detail15normal_iteratorINS8_10device_ptrIiEEEESD_jNS1_19radix_merge_compareILb1ELb1EiNS0_19identity_decomposerEEEEE10hipError_tT0_T1_T2_jT3_P12ihipStream_tbPNSt15iterator_traitsISI_E10value_typeEPNSO_ISJ_E10value_typeEPSK_NS1_7vsmem_tEENKUlT_SI_SJ_SK_E_clISD_PiSD_S10_EESH_SX_SI_SJ_SK_EUlSX_E_NS1_11comp_targetILNS1_3genE5ELNS1_11target_archE942ELNS1_3gpuE9ELNS1_3repE0EEENS1_48merge_mergepath_partition_config_static_selectorELNS0_4arch9wavefront6targetE1EEEvSJ_.has_recursion, 0
	.set _ZN7rocprim17ROCPRIM_400000_NS6detail17trampoline_kernelINS0_14default_configENS1_38merge_sort_block_merge_config_selectorIiiEEZZNS1_27merge_sort_block_merge_implIS3_N6thrust23THRUST_200600_302600_NS6detail15normal_iteratorINS8_10device_ptrIiEEEESD_jNS1_19radix_merge_compareILb1ELb1EiNS0_19identity_decomposerEEEEE10hipError_tT0_T1_T2_jT3_P12ihipStream_tbPNSt15iterator_traitsISI_E10value_typeEPNSO_ISJ_E10value_typeEPSK_NS1_7vsmem_tEENKUlT_SI_SJ_SK_E_clISD_PiSD_S10_EESH_SX_SI_SJ_SK_EUlSX_E_NS1_11comp_targetILNS1_3genE5ELNS1_11target_archE942ELNS1_3gpuE9ELNS1_3repE0EEENS1_48merge_mergepath_partition_config_static_selectorELNS0_4arch9wavefront6targetE1EEEvSJ_.has_indirect_call, 0
	.section	.AMDGPU.csdata,"",@progbits
; Kernel info:
; codeLenInByte = 0
; TotalNumSgprs: 6
; NumVgprs: 0
; NumAgprs: 0
; TotalNumVgprs: 0
; ScratchSize: 0
; MemoryBound: 0
; FloatMode: 240
; IeeeMode: 1
; LDSByteSize: 0 bytes/workgroup (compile time only)
; SGPRBlocks: 0
; VGPRBlocks: 0
; NumSGPRsForWavesPerEU: 6
; NumVGPRsForWavesPerEU: 1
; AccumOffset: 4
; Occupancy: 8
; WaveLimiterHint : 0
; COMPUTE_PGM_RSRC2:SCRATCH_EN: 0
; COMPUTE_PGM_RSRC2:USER_SGPR: 2
; COMPUTE_PGM_RSRC2:TRAP_HANDLER: 0
; COMPUTE_PGM_RSRC2:TGID_X_EN: 1
; COMPUTE_PGM_RSRC2:TGID_Y_EN: 0
; COMPUTE_PGM_RSRC2:TGID_Z_EN: 0
; COMPUTE_PGM_RSRC2:TIDIG_COMP_CNT: 0
; COMPUTE_PGM_RSRC3_GFX90A:ACCUM_OFFSET: 0
; COMPUTE_PGM_RSRC3_GFX90A:TG_SPLIT: 0
	.section	.text._ZN7rocprim17ROCPRIM_400000_NS6detail17trampoline_kernelINS0_14default_configENS1_38merge_sort_block_merge_config_selectorIiiEEZZNS1_27merge_sort_block_merge_implIS3_N6thrust23THRUST_200600_302600_NS6detail15normal_iteratorINS8_10device_ptrIiEEEESD_jNS1_19radix_merge_compareILb1ELb1EiNS0_19identity_decomposerEEEEE10hipError_tT0_T1_T2_jT3_P12ihipStream_tbPNSt15iterator_traitsISI_E10value_typeEPNSO_ISJ_E10value_typeEPSK_NS1_7vsmem_tEENKUlT_SI_SJ_SK_E_clISD_PiSD_S10_EESH_SX_SI_SJ_SK_EUlSX_E_NS1_11comp_targetILNS1_3genE4ELNS1_11target_archE910ELNS1_3gpuE8ELNS1_3repE0EEENS1_48merge_mergepath_partition_config_static_selectorELNS0_4arch9wavefront6targetE1EEEvSJ_,"axG",@progbits,_ZN7rocprim17ROCPRIM_400000_NS6detail17trampoline_kernelINS0_14default_configENS1_38merge_sort_block_merge_config_selectorIiiEEZZNS1_27merge_sort_block_merge_implIS3_N6thrust23THRUST_200600_302600_NS6detail15normal_iteratorINS8_10device_ptrIiEEEESD_jNS1_19radix_merge_compareILb1ELb1EiNS0_19identity_decomposerEEEEE10hipError_tT0_T1_T2_jT3_P12ihipStream_tbPNSt15iterator_traitsISI_E10value_typeEPNSO_ISJ_E10value_typeEPSK_NS1_7vsmem_tEENKUlT_SI_SJ_SK_E_clISD_PiSD_S10_EESH_SX_SI_SJ_SK_EUlSX_E_NS1_11comp_targetILNS1_3genE4ELNS1_11target_archE910ELNS1_3gpuE8ELNS1_3repE0EEENS1_48merge_mergepath_partition_config_static_selectorELNS0_4arch9wavefront6targetE1EEEvSJ_,comdat
	.protected	_ZN7rocprim17ROCPRIM_400000_NS6detail17trampoline_kernelINS0_14default_configENS1_38merge_sort_block_merge_config_selectorIiiEEZZNS1_27merge_sort_block_merge_implIS3_N6thrust23THRUST_200600_302600_NS6detail15normal_iteratorINS8_10device_ptrIiEEEESD_jNS1_19radix_merge_compareILb1ELb1EiNS0_19identity_decomposerEEEEE10hipError_tT0_T1_T2_jT3_P12ihipStream_tbPNSt15iterator_traitsISI_E10value_typeEPNSO_ISJ_E10value_typeEPSK_NS1_7vsmem_tEENKUlT_SI_SJ_SK_E_clISD_PiSD_S10_EESH_SX_SI_SJ_SK_EUlSX_E_NS1_11comp_targetILNS1_3genE4ELNS1_11target_archE910ELNS1_3gpuE8ELNS1_3repE0EEENS1_48merge_mergepath_partition_config_static_selectorELNS0_4arch9wavefront6targetE1EEEvSJ_ ; -- Begin function _ZN7rocprim17ROCPRIM_400000_NS6detail17trampoline_kernelINS0_14default_configENS1_38merge_sort_block_merge_config_selectorIiiEEZZNS1_27merge_sort_block_merge_implIS3_N6thrust23THRUST_200600_302600_NS6detail15normal_iteratorINS8_10device_ptrIiEEEESD_jNS1_19radix_merge_compareILb1ELb1EiNS0_19identity_decomposerEEEEE10hipError_tT0_T1_T2_jT3_P12ihipStream_tbPNSt15iterator_traitsISI_E10value_typeEPNSO_ISJ_E10value_typeEPSK_NS1_7vsmem_tEENKUlT_SI_SJ_SK_E_clISD_PiSD_S10_EESH_SX_SI_SJ_SK_EUlSX_E_NS1_11comp_targetILNS1_3genE4ELNS1_11target_archE910ELNS1_3gpuE8ELNS1_3repE0EEENS1_48merge_mergepath_partition_config_static_selectorELNS0_4arch9wavefront6targetE1EEEvSJ_
	.globl	_ZN7rocprim17ROCPRIM_400000_NS6detail17trampoline_kernelINS0_14default_configENS1_38merge_sort_block_merge_config_selectorIiiEEZZNS1_27merge_sort_block_merge_implIS3_N6thrust23THRUST_200600_302600_NS6detail15normal_iteratorINS8_10device_ptrIiEEEESD_jNS1_19radix_merge_compareILb1ELb1EiNS0_19identity_decomposerEEEEE10hipError_tT0_T1_T2_jT3_P12ihipStream_tbPNSt15iterator_traitsISI_E10value_typeEPNSO_ISJ_E10value_typeEPSK_NS1_7vsmem_tEENKUlT_SI_SJ_SK_E_clISD_PiSD_S10_EESH_SX_SI_SJ_SK_EUlSX_E_NS1_11comp_targetILNS1_3genE4ELNS1_11target_archE910ELNS1_3gpuE8ELNS1_3repE0EEENS1_48merge_mergepath_partition_config_static_selectorELNS0_4arch9wavefront6targetE1EEEvSJ_
	.p2align	8
	.type	_ZN7rocprim17ROCPRIM_400000_NS6detail17trampoline_kernelINS0_14default_configENS1_38merge_sort_block_merge_config_selectorIiiEEZZNS1_27merge_sort_block_merge_implIS3_N6thrust23THRUST_200600_302600_NS6detail15normal_iteratorINS8_10device_ptrIiEEEESD_jNS1_19radix_merge_compareILb1ELb1EiNS0_19identity_decomposerEEEEE10hipError_tT0_T1_T2_jT3_P12ihipStream_tbPNSt15iterator_traitsISI_E10value_typeEPNSO_ISJ_E10value_typeEPSK_NS1_7vsmem_tEENKUlT_SI_SJ_SK_E_clISD_PiSD_S10_EESH_SX_SI_SJ_SK_EUlSX_E_NS1_11comp_targetILNS1_3genE4ELNS1_11target_archE910ELNS1_3gpuE8ELNS1_3repE0EEENS1_48merge_mergepath_partition_config_static_selectorELNS0_4arch9wavefront6targetE1EEEvSJ_,@function
_ZN7rocprim17ROCPRIM_400000_NS6detail17trampoline_kernelINS0_14default_configENS1_38merge_sort_block_merge_config_selectorIiiEEZZNS1_27merge_sort_block_merge_implIS3_N6thrust23THRUST_200600_302600_NS6detail15normal_iteratorINS8_10device_ptrIiEEEESD_jNS1_19radix_merge_compareILb1ELb1EiNS0_19identity_decomposerEEEEE10hipError_tT0_T1_T2_jT3_P12ihipStream_tbPNSt15iterator_traitsISI_E10value_typeEPNSO_ISJ_E10value_typeEPSK_NS1_7vsmem_tEENKUlT_SI_SJ_SK_E_clISD_PiSD_S10_EESH_SX_SI_SJ_SK_EUlSX_E_NS1_11comp_targetILNS1_3genE4ELNS1_11target_archE910ELNS1_3gpuE8ELNS1_3repE0EEENS1_48merge_mergepath_partition_config_static_selectorELNS0_4arch9wavefront6targetE1EEEvSJ_: ; @_ZN7rocprim17ROCPRIM_400000_NS6detail17trampoline_kernelINS0_14default_configENS1_38merge_sort_block_merge_config_selectorIiiEEZZNS1_27merge_sort_block_merge_implIS3_N6thrust23THRUST_200600_302600_NS6detail15normal_iteratorINS8_10device_ptrIiEEEESD_jNS1_19radix_merge_compareILb1ELb1EiNS0_19identity_decomposerEEEEE10hipError_tT0_T1_T2_jT3_P12ihipStream_tbPNSt15iterator_traitsISI_E10value_typeEPNSO_ISJ_E10value_typeEPSK_NS1_7vsmem_tEENKUlT_SI_SJ_SK_E_clISD_PiSD_S10_EESH_SX_SI_SJ_SK_EUlSX_E_NS1_11comp_targetILNS1_3genE4ELNS1_11target_archE910ELNS1_3gpuE8ELNS1_3repE0EEENS1_48merge_mergepath_partition_config_static_selectorELNS0_4arch9wavefront6targetE1EEEvSJ_
; %bb.0:
	.section	.rodata,"a",@progbits
	.p2align	6, 0x0
	.amdhsa_kernel _ZN7rocprim17ROCPRIM_400000_NS6detail17trampoline_kernelINS0_14default_configENS1_38merge_sort_block_merge_config_selectorIiiEEZZNS1_27merge_sort_block_merge_implIS3_N6thrust23THRUST_200600_302600_NS6detail15normal_iteratorINS8_10device_ptrIiEEEESD_jNS1_19radix_merge_compareILb1ELb1EiNS0_19identity_decomposerEEEEE10hipError_tT0_T1_T2_jT3_P12ihipStream_tbPNSt15iterator_traitsISI_E10value_typeEPNSO_ISJ_E10value_typeEPSK_NS1_7vsmem_tEENKUlT_SI_SJ_SK_E_clISD_PiSD_S10_EESH_SX_SI_SJ_SK_EUlSX_E_NS1_11comp_targetILNS1_3genE4ELNS1_11target_archE910ELNS1_3gpuE8ELNS1_3repE0EEENS1_48merge_mergepath_partition_config_static_selectorELNS0_4arch9wavefront6targetE1EEEvSJ_
		.amdhsa_group_segment_fixed_size 0
		.amdhsa_private_segment_fixed_size 0
		.amdhsa_kernarg_size 40
		.amdhsa_user_sgpr_count 2
		.amdhsa_user_sgpr_dispatch_ptr 0
		.amdhsa_user_sgpr_queue_ptr 0
		.amdhsa_user_sgpr_kernarg_segment_ptr 1
		.amdhsa_user_sgpr_dispatch_id 0
		.amdhsa_user_sgpr_kernarg_preload_length 0
		.amdhsa_user_sgpr_kernarg_preload_offset 0
		.amdhsa_user_sgpr_private_segment_size 0
		.amdhsa_uses_dynamic_stack 0
		.amdhsa_enable_private_segment 0
		.amdhsa_system_sgpr_workgroup_id_x 1
		.amdhsa_system_sgpr_workgroup_id_y 0
		.amdhsa_system_sgpr_workgroup_id_z 0
		.amdhsa_system_sgpr_workgroup_info 0
		.amdhsa_system_vgpr_workitem_id 0
		.amdhsa_next_free_vgpr 1
		.amdhsa_next_free_sgpr 0
		.amdhsa_accum_offset 4
		.amdhsa_reserve_vcc 0
		.amdhsa_float_round_mode_32 0
		.amdhsa_float_round_mode_16_64 0
		.amdhsa_float_denorm_mode_32 3
		.amdhsa_float_denorm_mode_16_64 3
		.amdhsa_dx10_clamp 1
		.amdhsa_ieee_mode 1
		.amdhsa_fp16_overflow 0
		.amdhsa_tg_split 0
		.amdhsa_exception_fp_ieee_invalid_op 0
		.amdhsa_exception_fp_denorm_src 0
		.amdhsa_exception_fp_ieee_div_zero 0
		.amdhsa_exception_fp_ieee_overflow 0
		.amdhsa_exception_fp_ieee_underflow 0
		.amdhsa_exception_fp_ieee_inexact 0
		.amdhsa_exception_int_div_zero 0
	.end_amdhsa_kernel
	.section	.text._ZN7rocprim17ROCPRIM_400000_NS6detail17trampoline_kernelINS0_14default_configENS1_38merge_sort_block_merge_config_selectorIiiEEZZNS1_27merge_sort_block_merge_implIS3_N6thrust23THRUST_200600_302600_NS6detail15normal_iteratorINS8_10device_ptrIiEEEESD_jNS1_19radix_merge_compareILb1ELb1EiNS0_19identity_decomposerEEEEE10hipError_tT0_T1_T2_jT3_P12ihipStream_tbPNSt15iterator_traitsISI_E10value_typeEPNSO_ISJ_E10value_typeEPSK_NS1_7vsmem_tEENKUlT_SI_SJ_SK_E_clISD_PiSD_S10_EESH_SX_SI_SJ_SK_EUlSX_E_NS1_11comp_targetILNS1_3genE4ELNS1_11target_archE910ELNS1_3gpuE8ELNS1_3repE0EEENS1_48merge_mergepath_partition_config_static_selectorELNS0_4arch9wavefront6targetE1EEEvSJ_,"axG",@progbits,_ZN7rocprim17ROCPRIM_400000_NS6detail17trampoline_kernelINS0_14default_configENS1_38merge_sort_block_merge_config_selectorIiiEEZZNS1_27merge_sort_block_merge_implIS3_N6thrust23THRUST_200600_302600_NS6detail15normal_iteratorINS8_10device_ptrIiEEEESD_jNS1_19radix_merge_compareILb1ELb1EiNS0_19identity_decomposerEEEEE10hipError_tT0_T1_T2_jT3_P12ihipStream_tbPNSt15iterator_traitsISI_E10value_typeEPNSO_ISJ_E10value_typeEPSK_NS1_7vsmem_tEENKUlT_SI_SJ_SK_E_clISD_PiSD_S10_EESH_SX_SI_SJ_SK_EUlSX_E_NS1_11comp_targetILNS1_3genE4ELNS1_11target_archE910ELNS1_3gpuE8ELNS1_3repE0EEENS1_48merge_mergepath_partition_config_static_selectorELNS0_4arch9wavefront6targetE1EEEvSJ_,comdat
.Lfunc_end960:
	.size	_ZN7rocprim17ROCPRIM_400000_NS6detail17trampoline_kernelINS0_14default_configENS1_38merge_sort_block_merge_config_selectorIiiEEZZNS1_27merge_sort_block_merge_implIS3_N6thrust23THRUST_200600_302600_NS6detail15normal_iteratorINS8_10device_ptrIiEEEESD_jNS1_19radix_merge_compareILb1ELb1EiNS0_19identity_decomposerEEEEE10hipError_tT0_T1_T2_jT3_P12ihipStream_tbPNSt15iterator_traitsISI_E10value_typeEPNSO_ISJ_E10value_typeEPSK_NS1_7vsmem_tEENKUlT_SI_SJ_SK_E_clISD_PiSD_S10_EESH_SX_SI_SJ_SK_EUlSX_E_NS1_11comp_targetILNS1_3genE4ELNS1_11target_archE910ELNS1_3gpuE8ELNS1_3repE0EEENS1_48merge_mergepath_partition_config_static_selectorELNS0_4arch9wavefront6targetE1EEEvSJ_, .Lfunc_end960-_ZN7rocprim17ROCPRIM_400000_NS6detail17trampoline_kernelINS0_14default_configENS1_38merge_sort_block_merge_config_selectorIiiEEZZNS1_27merge_sort_block_merge_implIS3_N6thrust23THRUST_200600_302600_NS6detail15normal_iteratorINS8_10device_ptrIiEEEESD_jNS1_19radix_merge_compareILb1ELb1EiNS0_19identity_decomposerEEEEE10hipError_tT0_T1_T2_jT3_P12ihipStream_tbPNSt15iterator_traitsISI_E10value_typeEPNSO_ISJ_E10value_typeEPSK_NS1_7vsmem_tEENKUlT_SI_SJ_SK_E_clISD_PiSD_S10_EESH_SX_SI_SJ_SK_EUlSX_E_NS1_11comp_targetILNS1_3genE4ELNS1_11target_archE910ELNS1_3gpuE8ELNS1_3repE0EEENS1_48merge_mergepath_partition_config_static_selectorELNS0_4arch9wavefront6targetE1EEEvSJ_
                                        ; -- End function
	.set _ZN7rocprim17ROCPRIM_400000_NS6detail17trampoline_kernelINS0_14default_configENS1_38merge_sort_block_merge_config_selectorIiiEEZZNS1_27merge_sort_block_merge_implIS3_N6thrust23THRUST_200600_302600_NS6detail15normal_iteratorINS8_10device_ptrIiEEEESD_jNS1_19radix_merge_compareILb1ELb1EiNS0_19identity_decomposerEEEEE10hipError_tT0_T1_T2_jT3_P12ihipStream_tbPNSt15iterator_traitsISI_E10value_typeEPNSO_ISJ_E10value_typeEPSK_NS1_7vsmem_tEENKUlT_SI_SJ_SK_E_clISD_PiSD_S10_EESH_SX_SI_SJ_SK_EUlSX_E_NS1_11comp_targetILNS1_3genE4ELNS1_11target_archE910ELNS1_3gpuE8ELNS1_3repE0EEENS1_48merge_mergepath_partition_config_static_selectorELNS0_4arch9wavefront6targetE1EEEvSJ_.num_vgpr, 0
	.set _ZN7rocprim17ROCPRIM_400000_NS6detail17trampoline_kernelINS0_14default_configENS1_38merge_sort_block_merge_config_selectorIiiEEZZNS1_27merge_sort_block_merge_implIS3_N6thrust23THRUST_200600_302600_NS6detail15normal_iteratorINS8_10device_ptrIiEEEESD_jNS1_19radix_merge_compareILb1ELb1EiNS0_19identity_decomposerEEEEE10hipError_tT0_T1_T2_jT3_P12ihipStream_tbPNSt15iterator_traitsISI_E10value_typeEPNSO_ISJ_E10value_typeEPSK_NS1_7vsmem_tEENKUlT_SI_SJ_SK_E_clISD_PiSD_S10_EESH_SX_SI_SJ_SK_EUlSX_E_NS1_11comp_targetILNS1_3genE4ELNS1_11target_archE910ELNS1_3gpuE8ELNS1_3repE0EEENS1_48merge_mergepath_partition_config_static_selectorELNS0_4arch9wavefront6targetE1EEEvSJ_.num_agpr, 0
	.set _ZN7rocprim17ROCPRIM_400000_NS6detail17trampoline_kernelINS0_14default_configENS1_38merge_sort_block_merge_config_selectorIiiEEZZNS1_27merge_sort_block_merge_implIS3_N6thrust23THRUST_200600_302600_NS6detail15normal_iteratorINS8_10device_ptrIiEEEESD_jNS1_19radix_merge_compareILb1ELb1EiNS0_19identity_decomposerEEEEE10hipError_tT0_T1_T2_jT3_P12ihipStream_tbPNSt15iterator_traitsISI_E10value_typeEPNSO_ISJ_E10value_typeEPSK_NS1_7vsmem_tEENKUlT_SI_SJ_SK_E_clISD_PiSD_S10_EESH_SX_SI_SJ_SK_EUlSX_E_NS1_11comp_targetILNS1_3genE4ELNS1_11target_archE910ELNS1_3gpuE8ELNS1_3repE0EEENS1_48merge_mergepath_partition_config_static_selectorELNS0_4arch9wavefront6targetE1EEEvSJ_.numbered_sgpr, 0
	.set _ZN7rocprim17ROCPRIM_400000_NS6detail17trampoline_kernelINS0_14default_configENS1_38merge_sort_block_merge_config_selectorIiiEEZZNS1_27merge_sort_block_merge_implIS3_N6thrust23THRUST_200600_302600_NS6detail15normal_iteratorINS8_10device_ptrIiEEEESD_jNS1_19radix_merge_compareILb1ELb1EiNS0_19identity_decomposerEEEEE10hipError_tT0_T1_T2_jT3_P12ihipStream_tbPNSt15iterator_traitsISI_E10value_typeEPNSO_ISJ_E10value_typeEPSK_NS1_7vsmem_tEENKUlT_SI_SJ_SK_E_clISD_PiSD_S10_EESH_SX_SI_SJ_SK_EUlSX_E_NS1_11comp_targetILNS1_3genE4ELNS1_11target_archE910ELNS1_3gpuE8ELNS1_3repE0EEENS1_48merge_mergepath_partition_config_static_selectorELNS0_4arch9wavefront6targetE1EEEvSJ_.num_named_barrier, 0
	.set _ZN7rocprim17ROCPRIM_400000_NS6detail17trampoline_kernelINS0_14default_configENS1_38merge_sort_block_merge_config_selectorIiiEEZZNS1_27merge_sort_block_merge_implIS3_N6thrust23THRUST_200600_302600_NS6detail15normal_iteratorINS8_10device_ptrIiEEEESD_jNS1_19radix_merge_compareILb1ELb1EiNS0_19identity_decomposerEEEEE10hipError_tT0_T1_T2_jT3_P12ihipStream_tbPNSt15iterator_traitsISI_E10value_typeEPNSO_ISJ_E10value_typeEPSK_NS1_7vsmem_tEENKUlT_SI_SJ_SK_E_clISD_PiSD_S10_EESH_SX_SI_SJ_SK_EUlSX_E_NS1_11comp_targetILNS1_3genE4ELNS1_11target_archE910ELNS1_3gpuE8ELNS1_3repE0EEENS1_48merge_mergepath_partition_config_static_selectorELNS0_4arch9wavefront6targetE1EEEvSJ_.private_seg_size, 0
	.set _ZN7rocprim17ROCPRIM_400000_NS6detail17trampoline_kernelINS0_14default_configENS1_38merge_sort_block_merge_config_selectorIiiEEZZNS1_27merge_sort_block_merge_implIS3_N6thrust23THRUST_200600_302600_NS6detail15normal_iteratorINS8_10device_ptrIiEEEESD_jNS1_19radix_merge_compareILb1ELb1EiNS0_19identity_decomposerEEEEE10hipError_tT0_T1_T2_jT3_P12ihipStream_tbPNSt15iterator_traitsISI_E10value_typeEPNSO_ISJ_E10value_typeEPSK_NS1_7vsmem_tEENKUlT_SI_SJ_SK_E_clISD_PiSD_S10_EESH_SX_SI_SJ_SK_EUlSX_E_NS1_11comp_targetILNS1_3genE4ELNS1_11target_archE910ELNS1_3gpuE8ELNS1_3repE0EEENS1_48merge_mergepath_partition_config_static_selectorELNS0_4arch9wavefront6targetE1EEEvSJ_.uses_vcc, 0
	.set _ZN7rocprim17ROCPRIM_400000_NS6detail17trampoline_kernelINS0_14default_configENS1_38merge_sort_block_merge_config_selectorIiiEEZZNS1_27merge_sort_block_merge_implIS3_N6thrust23THRUST_200600_302600_NS6detail15normal_iteratorINS8_10device_ptrIiEEEESD_jNS1_19radix_merge_compareILb1ELb1EiNS0_19identity_decomposerEEEEE10hipError_tT0_T1_T2_jT3_P12ihipStream_tbPNSt15iterator_traitsISI_E10value_typeEPNSO_ISJ_E10value_typeEPSK_NS1_7vsmem_tEENKUlT_SI_SJ_SK_E_clISD_PiSD_S10_EESH_SX_SI_SJ_SK_EUlSX_E_NS1_11comp_targetILNS1_3genE4ELNS1_11target_archE910ELNS1_3gpuE8ELNS1_3repE0EEENS1_48merge_mergepath_partition_config_static_selectorELNS0_4arch9wavefront6targetE1EEEvSJ_.uses_flat_scratch, 0
	.set _ZN7rocprim17ROCPRIM_400000_NS6detail17trampoline_kernelINS0_14default_configENS1_38merge_sort_block_merge_config_selectorIiiEEZZNS1_27merge_sort_block_merge_implIS3_N6thrust23THRUST_200600_302600_NS6detail15normal_iteratorINS8_10device_ptrIiEEEESD_jNS1_19radix_merge_compareILb1ELb1EiNS0_19identity_decomposerEEEEE10hipError_tT0_T1_T2_jT3_P12ihipStream_tbPNSt15iterator_traitsISI_E10value_typeEPNSO_ISJ_E10value_typeEPSK_NS1_7vsmem_tEENKUlT_SI_SJ_SK_E_clISD_PiSD_S10_EESH_SX_SI_SJ_SK_EUlSX_E_NS1_11comp_targetILNS1_3genE4ELNS1_11target_archE910ELNS1_3gpuE8ELNS1_3repE0EEENS1_48merge_mergepath_partition_config_static_selectorELNS0_4arch9wavefront6targetE1EEEvSJ_.has_dyn_sized_stack, 0
	.set _ZN7rocprim17ROCPRIM_400000_NS6detail17trampoline_kernelINS0_14default_configENS1_38merge_sort_block_merge_config_selectorIiiEEZZNS1_27merge_sort_block_merge_implIS3_N6thrust23THRUST_200600_302600_NS6detail15normal_iteratorINS8_10device_ptrIiEEEESD_jNS1_19radix_merge_compareILb1ELb1EiNS0_19identity_decomposerEEEEE10hipError_tT0_T1_T2_jT3_P12ihipStream_tbPNSt15iterator_traitsISI_E10value_typeEPNSO_ISJ_E10value_typeEPSK_NS1_7vsmem_tEENKUlT_SI_SJ_SK_E_clISD_PiSD_S10_EESH_SX_SI_SJ_SK_EUlSX_E_NS1_11comp_targetILNS1_3genE4ELNS1_11target_archE910ELNS1_3gpuE8ELNS1_3repE0EEENS1_48merge_mergepath_partition_config_static_selectorELNS0_4arch9wavefront6targetE1EEEvSJ_.has_recursion, 0
	.set _ZN7rocprim17ROCPRIM_400000_NS6detail17trampoline_kernelINS0_14default_configENS1_38merge_sort_block_merge_config_selectorIiiEEZZNS1_27merge_sort_block_merge_implIS3_N6thrust23THRUST_200600_302600_NS6detail15normal_iteratorINS8_10device_ptrIiEEEESD_jNS1_19radix_merge_compareILb1ELb1EiNS0_19identity_decomposerEEEEE10hipError_tT0_T1_T2_jT3_P12ihipStream_tbPNSt15iterator_traitsISI_E10value_typeEPNSO_ISJ_E10value_typeEPSK_NS1_7vsmem_tEENKUlT_SI_SJ_SK_E_clISD_PiSD_S10_EESH_SX_SI_SJ_SK_EUlSX_E_NS1_11comp_targetILNS1_3genE4ELNS1_11target_archE910ELNS1_3gpuE8ELNS1_3repE0EEENS1_48merge_mergepath_partition_config_static_selectorELNS0_4arch9wavefront6targetE1EEEvSJ_.has_indirect_call, 0
	.section	.AMDGPU.csdata,"",@progbits
; Kernel info:
; codeLenInByte = 0
; TotalNumSgprs: 6
; NumVgprs: 0
; NumAgprs: 0
; TotalNumVgprs: 0
; ScratchSize: 0
; MemoryBound: 0
; FloatMode: 240
; IeeeMode: 1
; LDSByteSize: 0 bytes/workgroup (compile time only)
; SGPRBlocks: 0
; VGPRBlocks: 0
; NumSGPRsForWavesPerEU: 6
; NumVGPRsForWavesPerEU: 1
; AccumOffset: 4
; Occupancy: 8
; WaveLimiterHint : 0
; COMPUTE_PGM_RSRC2:SCRATCH_EN: 0
; COMPUTE_PGM_RSRC2:USER_SGPR: 2
; COMPUTE_PGM_RSRC2:TRAP_HANDLER: 0
; COMPUTE_PGM_RSRC2:TGID_X_EN: 1
; COMPUTE_PGM_RSRC2:TGID_Y_EN: 0
; COMPUTE_PGM_RSRC2:TGID_Z_EN: 0
; COMPUTE_PGM_RSRC2:TIDIG_COMP_CNT: 0
; COMPUTE_PGM_RSRC3_GFX90A:ACCUM_OFFSET: 0
; COMPUTE_PGM_RSRC3_GFX90A:TG_SPLIT: 0
	.section	.text._ZN7rocprim17ROCPRIM_400000_NS6detail17trampoline_kernelINS0_14default_configENS1_38merge_sort_block_merge_config_selectorIiiEEZZNS1_27merge_sort_block_merge_implIS3_N6thrust23THRUST_200600_302600_NS6detail15normal_iteratorINS8_10device_ptrIiEEEESD_jNS1_19radix_merge_compareILb1ELb1EiNS0_19identity_decomposerEEEEE10hipError_tT0_T1_T2_jT3_P12ihipStream_tbPNSt15iterator_traitsISI_E10value_typeEPNSO_ISJ_E10value_typeEPSK_NS1_7vsmem_tEENKUlT_SI_SJ_SK_E_clISD_PiSD_S10_EESH_SX_SI_SJ_SK_EUlSX_E_NS1_11comp_targetILNS1_3genE3ELNS1_11target_archE908ELNS1_3gpuE7ELNS1_3repE0EEENS1_48merge_mergepath_partition_config_static_selectorELNS0_4arch9wavefront6targetE1EEEvSJ_,"axG",@progbits,_ZN7rocprim17ROCPRIM_400000_NS6detail17trampoline_kernelINS0_14default_configENS1_38merge_sort_block_merge_config_selectorIiiEEZZNS1_27merge_sort_block_merge_implIS3_N6thrust23THRUST_200600_302600_NS6detail15normal_iteratorINS8_10device_ptrIiEEEESD_jNS1_19radix_merge_compareILb1ELb1EiNS0_19identity_decomposerEEEEE10hipError_tT0_T1_T2_jT3_P12ihipStream_tbPNSt15iterator_traitsISI_E10value_typeEPNSO_ISJ_E10value_typeEPSK_NS1_7vsmem_tEENKUlT_SI_SJ_SK_E_clISD_PiSD_S10_EESH_SX_SI_SJ_SK_EUlSX_E_NS1_11comp_targetILNS1_3genE3ELNS1_11target_archE908ELNS1_3gpuE7ELNS1_3repE0EEENS1_48merge_mergepath_partition_config_static_selectorELNS0_4arch9wavefront6targetE1EEEvSJ_,comdat
	.protected	_ZN7rocprim17ROCPRIM_400000_NS6detail17trampoline_kernelINS0_14default_configENS1_38merge_sort_block_merge_config_selectorIiiEEZZNS1_27merge_sort_block_merge_implIS3_N6thrust23THRUST_200600_302600_NS6detail15normal_iteratorINS8_10device_ptrIiEEEESD_jNS1_19radix_merge_compareILb1ELb1EiNS0_19identity_decomposerEEEEE10hipError_tT0_T1_T2_jT3_P12ihipStream_tbPNSt15iterator_traitsISI_E10value_typeEPNSO_ISJ_E10value_typeEPSK_NS1_7vsmem_tEENKUlT_SI_SJ_SK_E_clISD_PiSD_S10_EESH_SX_SI_SJ_SK_EUlSX_E_NS1_11comp_targetILNS1_3genE3ELNS1_11target_archE908ELNS1_3gpuE7ELNS1_3repE0EEENS1_48merge_mergepath_partition_config_static_selectorELNS0_4arch9wavefront6targetE1EEEvSJ_ ; -- Begin function _ZN7rocprim17ROCPRIM_400000_NS6detail17trampoline_kernelINS0_14default_configENS1_38merge_sort_block_merge_config_selectorIiiEEZZNS1_27merge_sort_block_merge_implIS3_N6thrust23THRUST_200600_302600_NS6detail15normal_iteratorINS8_10device_ptrIiEEEESD_jNS1_19radix_merge_compareILb1ELb1EiNS0_19identity_decomposerEEEEE10hipError_tT0_T1_T2_jT3_P12ihipStream_tbPNSt15iterator_traitsISI_E10value_typeEPNSO_ISJ_E10value_typeEPSK_NS1_7vsmem_tEENKUlT_SI_SJ_SK_E_clISD_PiSD_S10_EESH_SX_SI_SJ_SK_EUlSX_E_NS1_11comp_targetILNS1_3genE3ELNS1_11target_archE908ELNS1_3gpuE7ELNS1_3repE0EEENS1_48merge_mergepath_partition_config_static_selectorELNS0_4arch9wavefront6targetE1EEEvSJ_
	.globl	_ZN7rocprim17ROCPRIM_400000_NS6detail17trampoline_kernelINS0_14default_configENS1_38merge_sort_block_merge_config_selectorIiiEEZZNS1_27merge_sort_block_merge_implIS3_N6thrust23THRUST_200600_302600_NS6detail15normal_iteratorINS8_10device_ptrIiEEEESD_jNS1_19radix_merge_compareILb1ELb1EiNS0_19identity_decomposerEEEEE10hipError_tT0_T1_T2_jT3_P12ihipStream_tbPNSt15iterator_traitsISI_E10value_typeEPNSO_ISJ_E10value_typeEPSK_NS1_7vsmem_tEENKUlT_SI_SJ_SK_E_clISD_PiSD_S10_EESH_SX_SI_SJ_SK_EUlSX_E_NS1_11comp_targetILNS1_3genE3ELNS1_11target_archE908ELNS1_3gpuE7ELNS1_3repE0EEENS1_48merge_mergepath_partition_config_static_selectorELNS0_4arch9wavefront6targetE1EEEvSJ_
	.p2align	8
	.type	_ZN7rocprim17ROCPRIM_400000_NS6detail17trampoline_kernelINS0_14default_configENS1_38merge_sort_block_merge_config_selectorIiiEEZZNS1_27merge_sort_block_merge_implIS3_N6thrust23THRUST_200600_302600_NS6detail15normal_iteratorINS8_10device_ptrIiEEEESD_jNS1_19radix_merge_compareILb1ELb1EiNS0_19identity_decomposerEEEEE10hipError_tT0_T1_T2_jT3_P12ihipStream_tbPNSt15iterator_traitsISI_E10value_typeEPNSO_ISJ_E10value_typeEPSK_NS1_7vsmem_tEENKUlT_SI_SJ_SK_E_clISD_PiSD_S10_EESH_SX_SI_SJ_SK_EUlSX_E_NS1_11comp_targetILNS1_3genE3ELNS1_11target_archE908ELNS1_3gpuE7ELNS1_3repE0EEENS1_48merge_mergepath_partition_config_static_selectorELNS0_4arch9wavefront6targetE1EEEvSJ_,@function
_ZN7rocprim17ROCPRIM_400000_NS6detail17trampoline_kernelINS0_14default_configENS1_38merge_sort_block_merge_config_selectorIiiEEZZNS1_27merge_sort_block_merge_implIS3_N6thrust23THRUST_200600_302600_NS6detail15normal_iteratorINS8_10device_ptrIiEEEESD_jNS1_19radix_merge_compareILb1ELb1EiNS0_19identity_decomposerEEEEE10hipError_tT0_T1_T2_jT3_P12ihipStream_tbPNSt15iterator_traitsISI_E10value_typeEPNSO_ISJ_E10value_typeEPSK_NS1_7vsmem_tEENKUlT_SI_SJ_SK_E_clISD_PiSD_S10_EESH_SX_SI_SJ_SK_EUlSX_E_NS1_11comp_targetILNS1_3genE3ELNS1_11target_archE908ELNS1_3gpuE7ELNS1_3repE0EEENS1_48merge_mergepath_partition_config_static_selectorELNS0_4arch9wavefront6targetE1EEEvSJ_: ; @_ZN7rocprim17ROCPRIM_400000_NS6detail17trampoline_kernelINS0_14default_configENS1_38merge_sort_block_merge_config_selectorIiiEEZZNS1_27merge_sort_block_merge_implIS3_N6thrust23THRUST_200600_302600_NS6detail15normal_iteratorINS8_10device_ptrIiEEEESD_jNS1_19radix_merge_compareILb1ELb1EiNS0_19identity_decomposerEEEEE10hipError_tT0_T1_T2_jT3_P12ihipStream_tbPNSt15iterator_traitsISI_E10value_typeEPNSO_ISJ_E10value_typeEPSK_NS1_7vsmem_tEENKUlT_SI_SJ_SK_E_clISD_PiSD_S10_EESH_SX_SI_SJ_SK_EUlSX_E_NS1_11comp_targetILNS1_3genE3ELNS1_11target_archE908ELNS1_3gpuE7ELNS1_3repE0EEENS1_48merge_mergepath_partition_config_static_selectorELNS0_4arch9wavefront6targetE1EEEvSJ_
; %bb.0:
	.section	.rodata,"a",@progbits
	.p2align	6, 0x0
	.amdhsa_kernel _ZN7rocprim17ROCPRIM_400000_NS6detail17trampoline_kernelINS0_14default_configENS1_38merge_sort_block_merge_config_selectorIiiEEZZNS1_27merge_sort_block_merge_implIS3_N6thrust23THRUST_200600_302600_NS6detail15normal_iteratorINS8_10device_ptrIiEEEESD_jNS1_19radix_merge_compareILb1ELb1EiNS0_19identity_decomposerEEEEE10hipError_tT0_T1_T2_jT3_P12ihipStream_tbPNSt15iterator_traitsISI_E10value_typeEPNSO_ISJ_E10value_typeEPSK_NS1_7vsmem_tEENKUlT_SI_SJ_SK_E_clISD_PiSD_S10_EESH_SX_SI_SJ_SK_EUlSX_E_NS1_11comp_targetILNS1_3genE3ELNS1_11target_archE908ELNS1_3gpuE7ELNS1_3repE0EEENS1_48merge_mergepath_partition_config_static_selectorELNS0_4arch9wavefront6targetE1EEEvSJ_
		.amdhsa_group_segment_fixed_size 0
		.amdhsa_private_segment_fixed_size 0
		.amdhsa_kernarg_size 40
		.amdhsa_user_sgpr_count 2
		.amdhsa_user_sgpr_dispatch_ptr 0
		.amdhsa_user_sgpr_queue_ptr 0
		.amdhsa_user_sgpr_kernarg_segment_ptr 1
		.amdhsa_user_sgpr_dispatch_id 0
		.amdhsa_user_sgpr_kernarg_preload_length 0
		.amdhsa_user_sgpr_kernarg_preload_offset 0
		.amdhsa_user_sgpr_private_segment_size 0
		.amdhsa_uses_dynamic_stack 0
		.amdhsa_enable_private_segment 0
		.amdhsa_system_sgpr_workgroup_id_x 1
		.amdhsa_system_sgpr_workgroup_id_y 0
		.amdhsa_system_sgpr_workgroup_id_z 0
		.amdhsa_system_sgpr_workgroup_info 0
		.amdhsa_system_vgpr_workitem_id 0
		.amdhsa_next_free_vgpr 1
		.amdhsa_next_free_sgpr 0
		.amdhsa_accum_offset 4
		.amdhsa_reserve_vcc 0
		.amdhsa_float_round_mode_32 0
		.amdhsa_float_round_mode_16_64 0
		.amdhsa_float_denorm_mode_32 3
		.amdhsa_float_denorm_mode_16_64 3
		.amdhsa_dx10_clamp 1
		.amdhsa_ieee_mode 1
		.amdhsa_fp16_overflow 0
		.amdhsa_tg_split 0
		.amdhsa_exception_fp_ieee_invalid_op 0
		.amdhsa_exception_fp_denorm_src 0
		.amdhsa_exception_fp_ieee_div_zero 0
		.amdhsa_exception_fp_ieee_overflow 0
		.amdhsa_exception_fp_ieee_underflow 0
		.amdhsa_exception_fp_ieee_inexact 0
		.amdhsa_exception_int_div_zero 0
	.end_amdhsa_kernel
	.section	.text._ZN7rocprim17ROCPRIM_400000_NS6detail17trampoline_kernelINS0_14default_configENS1_38merge_sort_block_merge_config_selectorIiiEEZZNS1_27merge_sort_block_merge_implIS3_N6thrust23THRUST_200600_302600_NS6detail15normal_iteratorINS8_10device_ptrIiEEEESD_jNS1_19radix_merge_compareILb1ELb1EiNS0_19identity_decomposerEEEEE10hipError_tT0_T1_T2_jT3_P12ihipStream_tbPNSt15iterator_traitsISI_E10value_typeEPNSO_ISJ_E10value_typeEPSK_NS1_7vsmem_tEENKUlT_SI_SJ_SK_E_clISD_PiSD_S10_EESH_SX_SI_SJ_SK_EUlSX_E_NS1_11comp_targetILNS1_3genE3ELNS1_11target_archE908ELNS1_3gpuE7ELNS1_3repE0EEENS1_48merge_mergepath_partition_config_static_selectorELNS0_4arch9wavefront6targetE1EEEvSJ_,"axG",@progbits,_ZN7rocprim17ROCPRIM_400000_NS6detail17trampoline_kernelINS0_14default_configENS1_38merge_sort_block_merge_config_selectorIiiEEZZNS1_27merge_sort_block_merge_implIS3_N6thrust23THRUST_200600_302600_NS6detail15normal_iteratorINS8_10device_ptrIiEEEESD_jNS1_19radix_merge_compareILb1ELb1EiNS0_19identity_decomposerEEEEE10hipError_tT0_T1_T2_jT3_P12ihipStream_tbPNSt15iterator_traitsISI_E10value_typeEPNSO_ISJ_E10value_typeEPSK_NS1_7vsmem_tEENKUlT_SI_SJ_SK_E_clISD_PiSD_S10_EESH_SX_SI_SJ_SK_EUlSX_E_NS1_11comp_targetILNS1_3genE3ELNS1_11target_archE908ELNS1_3gpuE7ELNS1_3repE0EEENS1_48merge_mergepath_partition_config_static_selectorELNS0_4arch9wavefront6targetE1EEEvSJ_,comdat
.Lfunc_end961:
	.size	_ZN7rocprim17ROCPRIM_400000_NS6detail17trampoline_kernelINS0_14default_configENS1_38merge_sort_block_merge_config_selectorIiiEEZZNS1_27merge_sort_block_merge_implIS3_N6thrust23THRUST_200600_302600_NS6detail15normal_iteratorINS8_10device_ptrIiEEEESD_jNS1_19radix_merge_compareILb1ELb1EiNS0_19identity_decomposerEEEEE10hipError_tT0_T1_T2_jT3_P12ihipStream_tbPNSt15iterator_traitsISI_E10value_typeEPNSO_ISJ_E10value_typeEPSK_NS1_7vsmem_tEENKUlT_SI_SJ_SK_E_clISD_PiSD_S10_EESH_SX_SI_SJ_SK_EUlSX_E_NS1_11comp_targetILNS1_3genE3ELNS1_11target_archE908ELNS1_3gpuE7ELNS1_3repE0EEENS1_48merge_mergepath_partition_config_static_selectorELNS0_4arch9wavefront6targetE1EEEvSJ_, .Lfunc_end961-_ZN7rocprim17ROCPRIM_400000_NS6detail17trampoline_kernelINS0_14default_configENS1_38merge_sort_block_merge_config_selectorIiiEEZZNS1_27merge_sort_block_merge_implIS3_N6thrust23THRUST_200600_302600_NS6detail15normal_iteratorINS8_10device_ptrIiEEEESD_jNS1_19radix_merge_compareILb1ELb1EiNS0_19identity_decomposerEEEEE10hipError_tT0_T1_T2_jT3_P12ihipStream_tbPNSt15iterator_traitsISI_E10value_typeEPNSO_ISJ_E10value_typeEPSK_NS1_7vsmem_tEENKUlT_SI_SJ_SK_E_clISD_PiSD_S10_EESH_SX_SI_SJ_SK_EUlSX_E_NS1_11comp_targetILNS1_3genE3ELNS1_11target_archE908ELNS1_3gpuE7ELNS1_3repE0EEENS1_48merge_mergepath_partition_config_static_selectorELNS0_4arch9wavefront6targetE1EEEvSJ_
                                        ; -- End function
	.set _ZN7rocprim17ROCPRIM_400000_NS6detail17trampoline_kernelINS0_14default_configENS1_38merge_sort_block_merge_config_selectorIiiEEZZNS1_27merge_sort_block_merge_implIS3_N6thrust23THRUST_200600_302600_NS6detail15normal_iteratorINS8_10device_ptrIiEEEESD_jNS1_19radix_merge_compareILb1ELb1EiNS0_19identity_decomposerEEEEE10hipError_tT0_T1_T2_jT3_P12ihipStream_tbPNSt15iterator_traitsISI_E10value_typeEPNSO_ISJ_E10value_typeEPSK_NS1_7vsmem_tEENKUlT_SI_SJ_SK_E_clISD_PiSD_S10_EESH_SX_SI_SJ_SK_EUlSX_E_NS1_11comp_targetILNS1_3genE3ELNS1_11target_archE908ELNS1_3gpuE7ELNS1_3repE0EEENS1_48merge_mergepath_partition_config_static_selectorELNS0_4arch9wavefront6targetE1EEEvSJ_.num_vgpr, 0
	.set _ZN7rocprim17ROCPRIM_400000_NS6detail17trampoline_kernelINS0_14default_configENS1_38merge_sort_block_merge_config_selectorIiiEEZZNS1_27merge_sort_block_merge_implIS3_N6thrust23THRUST_200600_302600_NS6detail15normal_iteratorINS8_10device_ptrIiEEEESD_jNS1_19radix_merge_compareILb1ELb1EiNS0_19identity_decomposerEEEEE10hipError_tT0_T1_T2_jT3_P12ihipStream_tbPNSt15iterator_traitsISI_E10value_typeEPNSO_ISJ_E10value_typeEPSK_NS1_7vsmem_tEENKUlT_SI_SJ_SK_E_clISD_PiSD_S10_EESH_SX_SI_SJ_SK_EUlSX_E_NS1_11comp_targetILNS1_3genE3ELNS1_11target_archE908ELNS1_3gpuE7ELNS1_3repE0EEENS1_48merge_mergepath_partition_config_static_selectorELNS0_4arch9wavefront6targetE1EEEvSJ_.num_agpr, 0
	.set _ZN7rocprim17ROCPRIM_400000_NS6detail17trampoline_kernelINS0_14default_configENS1_38merge_sort_block_merge_config_selectorIiiEEZZNS1_27merge_sort_block_merge_implIS3_N6thrust23THRUST_200600_302600_NS6detail15normal_iteratorINS8_10device_ptrIiEEEESD_jNS1_19radix_merge_compareILb1ELb1EiNS0_19identity_decomposerEEEEE10hipError_tT0_T1_T2_jT3_P12ihipStream_tbPNSt15iterator_traitsISI_E10value_typeEPNSO_ISJ_E10value_typeEPSK_NS1_7vsmem_tEENKUlT_SI_SJ_SK_E_clISD_PiSD_S10_EESH_SX_SI_SJ_SK_EUlSX_E_NS1_11comp_targetILNS1_3genE3ELNS1_11target_archE908ELNS1_3gpuE7ELNS1_3repE0EEENS1_48merge_mergepath_partition_config_static_selectorELNS0_4arch9wavefront6targetE1EEEvSJ_.numbered_sgpr, 0
	.set _ZN7rocprim17ROCPRIM_400000_NS6detail17trampoline_kernelINS0_14default_configENS1_38merge_sort_block_merge_config_selectorIiiEEZZNS1_27merge_sort_block_merge_implIS3_N6thrust23THRUST_200600_302600_NS6detail15normal_iteratorINS8_10device_ptrIiEEEESD_jNS1_19radix_merge_compareILb1ELb1EiNS0_19identity_decomposerEEEEE10hipError_tT0_T1_T2_jT3_P12ihipStream_tbPNSt15iterator_traitsISI_E10value_typeEPNSO_ISJ_E10value_typeEPSK_NS1_7vsmem_tEENKUlT_SI_SJ_SK_E_clISD_PiSD_S10_EESH_SX_SI_SJ_SK_EUlSX_E_NS1_11comp_targetILNS1_3genE3ELNS1_11target_archE908ELNS1_3gpuE7ELNS1_3repE0EEENS1_48merge_mergepath_partition_config_static_selectorELNS0_4arch9wavefront6targetE1EEEvSJ_.num_named_barrier, 0
	.set _ZN7rocprim17ROCPRIM_400000_NS6detail17trampoline_kernelINS0_14default_configENS1_38merge_sort_block_merge_config_selectorIiiEEZZNS1_27merge_sort_block_merge_implIS3_N6thrust23THRUST_200600_302600_NS6detail15normal_iteratorINS8_10device_ptrIiEEEESD_jNS1_19radix_merge_compareILb1ELb1EiNS0_19identity_decomposerEEEEE10hipError_tT0_T1_T2_jT3_P12ihipStream_tbPNSt15iterator_traitsISI_E10value_typeEPNSO_ISJ_E10value_typeEPSK_NS1_7vsmem_tEENKUlT_SI_SJ_SK_E_clISD_PiSD_S10_EESH_SX_SI_SJ_SK_EUlSX_E_NS1_11comp_targetILNS1_3genE3ELNS1_11target_archE908ELNS1_3gpuE7ELNS1_3repE0EEENS1_48merge_mergepath_partition_config_static_selectorELNS0_4arch9wavefront6targetE1EEEvSJ_.private_seg_size, 0
	.set _ZN7rocprim17ROCPRIM_400000_NS6detail17trampoline_kernelINS0_14default_configENS1_38merge_sort_block_merge_config_selectorIiiEEZZNS1_27merge_sort_block_merge_implIS3_N6thrust23THRUST_200600_302600_NS6detail15normal_iteratorINS8_10device_ptrIiEEEESD_jNS1_19radix_merge_compareILb1ELb1EiNS0_19identity_decomposerEEEEE10hipError_tT0_T1_T2_jT3_P12ihipStream_tbPNSt15iterator_traitsISI_E10value_typeEPNSO_ISJ_E10value_typeEPSK_NS1_7vsmem_tEENKUlT_SI_SJ_SK_E_clISD_PiSD_S10_EESH_SX_SI_SJ_SK_EUlSX_E_NS1_11comp_targetILNS1_3genE3ELNS1_11target_archE908ELNS1_3gpuE7ELNS1_3repE0EEENS1_48merge_mergepath_partition_config_static_selectorELNS0_4arch9wavefront6targetE1EEEvSJ_.uses_vcc, 0
	.set _ZN7rocprim17ROCPRIM_400000_NS6detail17trampoline_kernelINS0_14default_configENS1_38merge_sort_block_merge_config_selectorIiiEEZZNS1_27merge_sort_block_merge_implIS3_N6thrust23THRUST_200600_302600_NS6detail15normal_iteratorINS8_10device_ptrIiEEEESD_jNS1_19radix_merge_compareILb1ELb1EiNS0_19identity_decomposerEEEEE10hipError_tT0_T1_T2_jT3_P12ihipStream_tbPNSt15iterator_traitsISI_E10value_typeEPNSO_ISJ_E10value_typeEPSK_NS1_7vsmem_tEENKUlT_SI_SJ_SK_E_clISD_PiSD_S10_EESH_SX_SI_SJ_SK_EUlSX_E_NS1_11comp_targetILNS1_3genE3ELNS1_11target_archE908ELNS1_3gpuE7ELNS1_3repE0EEENS1_48merge_mergepath_partition_config_static_selectorELNS0_4arch9wavefront6targetE1EEEvSJ_.uses_flat_scratch, 0
	.set _ZN7rocprim17ROCPRIM_400000_NS6detail17trampoline_kernelINS0_14default_configENS1_38merge_sort_block_merge_config_selectorIiiEEZZNS1_27merge_sort_block_merge_implIS3_N6thrust23THRUST_200600_302600_NS6detail15normal_iteratorINS8_10device_ptrIiEEEESD_jNS1_19radix_merge_compareILb1ELb1EiNS0_19identity_decomposerEEEEE10hipError_tT0_T1_T2_jT3_P12ihipStream_tbPNSt15iterator_traitsISI_E10value_typeEPNSO_ISJ_E10value_typeEPSK_NS1_7vsmem_tEENKUlT_SI_SJ_SK_E_clISD_PiSD_S10_EESH_SX_SI_SJ_SK_EUlSX_E_NS1_11comp_targetILNS1_3genE3ELNS1_11target_archE908ELNS1_3gpuE7ELNS1_3repE0EEENS1_48merge_mergepath_partition_config_static_selectorELNS0_4arch9wavefront6targetE1EEEvSJ_.has_dyn_sized_stack, 0
	.set _ZN7rocprim17ROCPRIM_400000_NS6detail17trampoline_kernelINS0_14default_configENS1_38merge_sort_block_merge_config_selectorIiiEEZZNS1_27merge_sort_block_merge_implIS3_N6thrust23THRUST_200600_302600_NS6detail15normal_iteratorINS8_10device_ptrIiEEEESD_jNS1_19radix_merge_compareILb1ELb1EiNS0_19identity_decomposerEEEEE10hipError_tT0_T1_T2_jT3_P12ihipStream_tbPNSt15iterator_traitsISI_E10value_typeEPNSO_ISJ_E10value_typeEPSK_NS1_7vsmem_tEENKUlT_SI_SJ_SK_E_clISD_PiSD_S10_EESH_SX_SI_SJ_SK_EUlSX_E_NS1_11comp_targetILNS1_3genE3ELNS1_11target_archE908ELNS1_3gpuE7ELNS1_3repE0EEENS1_48merge_mergepath_partition_config_static_selectorELNS0_4arch9wavefront6targetE1EEEvSJ_.has_recursion, 0
	.set _ZN7rocprim17ROCPRIM_400000_NS6detail17trampoline_kernelINS0_14default_configENS1_38merge_sort_block_merge_config_selectorIiiEEZZNS1_27merge_sort_block_merge_implIS3_N6thrust23THRUST_200600_302600_NS6detail15normal_iteratorINS8_10device_ptrIiEEEESD_jNS1_19radix_merge_compareILb1ELb1EiNS0_19identity_decomposerEEEEE10hipError_tT0_T1_T2_jT3_P12ihipStream_tbPNSt15iterator_traitsISI_E10value_typeEPNSO_ISJ_E10value_typeEPSK_NS1_7vsmem_tEENKUlT_SI_SJ_SK_E_clISD_PiSD_S10_EESH_SX_SI_SJ_SK_EUlSX_E_NS1_11comp_targetILNS1_3genE3ELNS1_11target_archE908ELNS1_3gpuE7ELNS1_3repE0EEENS1_48merge_mergepath_partition_config_static_selectorELNS0_4arch9wavefront6targetE1EEEvSJ_.has_indirect_call, 0
	.section	.AMDGPU.csdata,"",@progbits
; Kernel info:
; codeLenInByte = 0
; TotalNumSgprs: 6
; NumVgprs: 0
; NumAgprs: 0
; TotalNumVgprs: 0
; ScratchSize: 0
; MemoryBound: 0
; FloatMode: 240
; IeeeMode: 1
; LDSByteSize: 0 bytes/workgroup (compile time only)
; SGPRBlocks: 0
; VGPRBlocks: 0
; NumSGPRsForWavesPerEU: 6
; NumVGPRsForWavesPerEU: 1
; AccumOffset: 4
; Occupancy: 8
; WaveLimiterHint : 0
; COMPUTE_PGM_RSRC2:SCRATCH_EN: 0
; COMPUTE_PGM_RSRC2:USER_SGPR: 2
; COMPUTE_PGM_RSRC2:TRAP_HANDLER: 0
; COMPUTE_PGM_RSRC2:TGID_X_EN: 1
; COMPUTE_PGM_RSRC2:TGID_Y_EN: 0
; COMPUTE_PGM_RSRC2:TGID_Z_EN: 0
; COMPUTE_PGM_RSRC2:TIDIG_COMP_CNT: 0
; COMPUTE_PGM_RSRC3_GFX90A:ACCUM_OFFSET: 0
; COMPUTE_PGM_RSRC3_GFX90A:TG_SPLIT: 0
	.section	.text._ZN7rocprim17ROCPRIM_400000_NS6detail17trampoline_kernelINS0_14default_configENS1_38merge_sort_block_merge_config_selectorIiiEEZZNS1_27merge_sort_block_merge_implIS3_N6thrust23THRUST_200600_302600_NS6detail15normal_iteratorINS8_10device_ptrIiEEEESD_jNS1_19radix_merge_compareILb1ELb1EiNS0_19identity_decomposerEEEEE10hipError_tT0_T1_T2_jT3_P12ihipStream_tbPNSt15iterator_traitsISI_E10value_typeEPNSO_ISJ_E10value_typeEPSK_NS1_7vsmem_tEENKUlT_SI_SJ_SK_E_clISD_PiSD_S10_EESH_SX_SI_SJ_SK_EUlSX_E_NS1_11comp_targetILNS1_3genE2ELNS1_11target_archE906ELNS1_3gpuE6ELNS1_3repE0EEENS1_48merge_mergepath_partition_config_static_selectorELNS0_4arch9wavefront6targetE1EEEvSJ_,"axG",@progbits,_ZN7rocprim17ROCPRIM_400000_NS6detail17trampoline_kernelINS0_14default_configENS1_38merge_sort_block_merge_config_selectorIiiEEZZNS1_27merge_sort_block_merge_implIS3_N6thrust23THRUST_200600_302600_NS6detail15normal_iteratorINS8_10device_ptrIiEEEESD_jNS1_19radix_merge_compareILb1ELb1EiNS0_19identity_decomposerEEEEE10hipError_tT0_T1_T2_jT3_P12ihipStream_tbPNSt15iterator_traitsISI_E10value_typeEPNSO_ISJ_E10value_typeEPSK_NS1_7vsmem_tEENKUlT_SI_SJ_SK_E_clISD_PiSD_S10_EESH_SX_SI_SJ_SK_EUlSX_E_NS1_11comp_targetILNS1_3genE2ELNS1_11target_archE906ELNS1_3gpuE6ELNS1_3repE0EEENS1_48merge_mergepath_partition_config_static_selectorELNS0_4arch9wavefront6targetE1EEEvSJ_,comdat
	.protected	_ZN7rocprim17ROCPRIM_400000_NS6detail17trampoline_kernelINS0_14default_configENS1_38merge_sort_block_merge_config_selectorIiiEEZZNS1_27merge_sort_block_merge_implIS3_N6thrust23THRUST_200600_302600_NS6detail15normal_iteratorINS8_10device_ptrIiEEEESD_jNS1_19radix_merge_compareILb1ELb1EiNS0_19identity_decomposerEEEEE10hipError_tT0_T1_T2_jT3_P12ihipStream_tbPNSt15iterator_traitsISI_E10value_typeEPNSO_ISJ_E10value_typeEPSK_NS1_7vsmem_tEENKUlT_SI_SJ_SK_E_clISD_PiSD_S10_EESH_SX_SI_SJ_SK_EUlSX_E_NS1_11comp_targetILNS1_3genE2ELNS1_11target_archE906ELNS1_3gpuE6ELNS1_3repE0EEENS1_48merge_mergepath_partition_config_static_selectorELNS0_4arch9wavefront6targetE1EEEvSJ_ ; -- Begin function _ZN7rocprim17ROCPRIM_400000_NS6detail17trampoline_kernelINS0_14default_configENS1_38merge_sort_block_merge_config_selectorIiiEEZZNS1_27merge_sort_block_merge_implIS3_N6thrust23THRUST_200600_302600_NS6detail15normal_iteratorINS8_10device_ptrIiEEEESD_jNS1_19radix_merge_compareILb1ELb1EiNS0_19identity_decomposerEEEEE10hipError_tT0_T1_T2_jT3_P12ihipStream_tbPNSt15iterator_traitsISI_E10value_typeEPNSO_ISJ_E10value_typeEPSK_NS1_7vsmem_tEENKUlT_SI_SJ_SK_E_clISD_PiSD_S10_EESH_SX_SI_SJ_SK_EUlSX_E_NS1_11comp_targetILNS1_3genE2ELNS1_11target_archE906ELNS1_3gpuE6ELNS1_3repE0EEENS1_48merge_mergepath_partition_config_static_selectorELNS0_4arch9wavefront6targetE1EEEvSJ_
	.globl	_ZN7rocprim17ROCPRIM_400000_NS6detail17trampoline_kernelINS0_14default_configENS1_38merge_sort_block_merge_config_selectorIiiEEZZNS1_27merge_sort_block_merge_implIS3_N6thrust23THRUST_200600_302600_NS6detail15normal_iteratorINS8_10device_ptrIiEEEESD_jNS1_19radix_merge_compareILb1ELb1EiNS0_19identity_decomposerEEEEE10hipError_tT0_T1_T2_jT3_P12ihipStream_tbPNSt15iterator_traitsISI_E10value_typeEPNSO_ISJ_E10value_typeEPSK_NS1_7vsmem_tEENKUlT_SI_SJ_SK_E_clISD_PiSD_S10_EESH_SX_SI_SJ_SK_EUlSX_E_NS1_11comp_targetILNS1_3genE2ELNS1_11target_archE906ELNS1_3gpuE6ELNS1_3repE0EEENS1_48merge_mergepath_partition_config_static_selectorELNS0_4arch9wavefront6targetE1EEEvSJ_
	.p2align	8
	.type	_ZN7rocprim17ROCPRIM_400000_NS6detail17trampoline_kernelINS0_14default_configENS1_38merge_sort_block_merge_config_selectorIiiEEZZNS1_27merge_sort_block_merge_implIS3_N6thrust23THRUST_200600_302600_NS6detail15normal_iteratorINS8_10device_ptrIiEEEESD_jNS1_19radix_merge_compareILb1ELb1EiNS0_19identity_decomposerEEEEE10hipError_tT0_T1_T2_jT3_P12ihipStream_tbPNSt15iterator_traitsISI_E10value_typeEPNSO_ISJ_E10value_typeEPSK_NS1_7vsmem_tEENKUlT_SI_SJ_SK_E_clISD_PiSD_S10_EESH_SX_SI_SJ_SK_EUlSX_E_NS1_11comp_targetILNS1_3genE2ELNS1_11target_archE906ELNS1_3gpuE6ELNS1_3repE0EEENS1_48merge_mergepath_partition_config_static_selectorELNS0_4arch9wavefront6targetE1EEEvSJ_,@function
_ZN7rocprim17ROCPRIM_400000_NS6detail17trampoline_kernelINS0_14default_configENS1_38merge_sort_block_merge_config_selectorIiiEEZZNS1_27merge_sort_block_merge_implIS3_N6thrust23THRUST_200600_302600_NS6detail15normal_iteratorINS8_10device_ptrIiEEEESD_jNS1_19radix_merge_compareILb1ELb1EiNS0_19identity_decomposerEEEEE10hipError_tT0_T1_T2_jT3_P12ihipStream_tbPNSt15iterator_traitsISI_E10value_typeEPNSO_ISJ_E10value_typeEPSK_NS1_7vsmem_tEENKUlT_SI_SJ_SK_E_clISD_PiSD_S10_EESH_SX_SI_SJ_SK_EUlSX_E_NS1_11comp_targetILNS1_3genE2ELNS1_11target_archE906ELNS1_3gpuE6ELNS1_3repE0EEENS1_48merge_mergepath_partition_config_static_selectorELNS0_4arch9wavefront6targetE1EEEvSJ_: ; @_ZN7rocprim17ROCPRIM_400000_NS6detail17trampoline_kernelINS0_14default_configENS1_38merge_sort_block_merge_config_selectorIiiEEZZNS1_27merge_sort_block_merge_implIS3_N6thrust23THRUST_200600_302600_NS6detail15normal_iteratorINS8_10device_ptrIiEEEESD_jNS1_19radix_merge_compareILb1ELb1EiNS0_19identity_decomposerEEEEE10hipError_tT0_T1_T2_jT3_P12ihipStream_tbPNSt15iterator_traitsISI_E10value_typeEPNSO_ISJ_E10value_typeEPSK_NS1_7vsmem_tEENKUlT_SI_SJ_SK_E_clISD_PiSD_S10_EESH_SX_SI_SJ_SK_EUlSX_E_NS1_11comp_targetILNS1_3genE2ELNS1_11target_archE906ELNS1_3gpuE6ELNS1_3repE0EEENS1_48merge_mergepath_partition_config_static_selectorELNS0_4arch9wavefront6targetE1EEEvSJ_
; %bb.0:
	.section	.rodata,"a",@progbits
	.p2align	6, 0x0
	.amdhsa_kernel _ZN7rocprim17ROCPRIM_400000_NS6detail17trampoline_kernelINS0_14default_configENS1_38merge_sort_block_merge_config_selectorIiiEEZZNS1_27merge_sort_block_merge_implIS3_N6thrust23THRUST_200600_302600_NS6detail15normal_iteratorINS8_10device_ptrIiEEEESD_jNS1_19radix_merge_compareILb1ELb1EiNS0_19identity_decomposerEEEEE10hipError_tT0_T1_T2_jT3_P12ihipStream_tbPNSt15iterator_traitsISI_E10value_typeEPNSO_ISJ_E10value_typeEPSK_NS1_7vsmem_tEENKUlT_SI_SJ_SK_E_clISD_PiSD_S10_EESH_SX_SI_SJ_SK_EUlSX_E_NS1_11comp_targetILNS1_3genE2ELNS1_11target_archE906ELNS1_3gpuE6ELNS1_3repE0EEENS1_48merge_mergepath_partition_config_static_selectorELNS0_4arch9wavefront6targetE1EEEvSJ_
		.amdhsa_group_segment_fixed_size 0
		.amdhsa_private_segment_fixed_size 0
		.amdhsa_kernarg_size 40
		.amdhsa_user_sgpr_count 2
		.amdhsa_user_sgpr_dispatch_ptr 0
		.amdhsa_user_sgpr_queue_ptr 0
		.amdhsa_user_sgpr_kernarg_segment_ptr 1
		.amdhsa_user_sgpr_dispatch_id 0
		.amdhsa_user_sgpr_kernarg_preload_length 0
		.amdhsa_user_sgpr_kernarg_preload_offset 0
		.amdhsa_user_sgpr_private_segment_size 0
		.amdhsa_uses_dynamic_stack 0
		.amdhsa_enable_private_segment 0
		.amdhsa_system_sgpr_workgroup_id_x 1
		.amdhsa_system_sgpr_workgroup_id_y 0
		.amdhsa_system_sgpr_workgroup_id_z 0
		.amdhsa_system_sgpr_workgroup_info 0
		.amdhsa_system_vgpr_workitem_id 0
		.amdhsa_next_free_vgpr 1
		.amdhsa_next_free_sgpr 0
		.amdhsa_accum_offset 4
		.amdhsa_reserve_vcc 0
		.amdhsa_float_round_mode_32 0
		.amdhsa_float_round_mode_16_64 0
		.amdhsa_float_denorm_mode_32 3
		.amdhsa_float_denorm_mode_16_64 3
		.amdhsa_dx10_clamp 1
		.amdhsa_ieee_mode 1
		.amdhsa_fp16_overflow 0
		.amdhsa_tg_split 0
		.amdhsa_exception_fp_ieee_invalid_op 0
		.amdhsa_exception_fp_denorm_src 0
		.amdhsa_exception_fp_ieee_div_zero 0
		.amdhsa_exception_fp_ieee_overflow 0
		.amdhsa_exception_fp_ieee_underflow 0
		.amdhsa_exception_fp_ieee_inexact 0
		.amdhsa_exception_int_div_zero 0
	.end_amdhsa_kernel
	.section	.text._ZN7rocprim17ROCPRIM_400000_NS6detail17trampoline_kernelINS0_14default_configENS1_38merge_sort_block_merge_config_selectorIiiEEZZNS1_27merge_sort_block_merge_implIS3_N6thrust23THRUST_200600_302600_NS6detail15normal_iteratorINS8_10device_ptrIiEEEESD_jNS1_19radix_merge_compareILb1ELb1EiNS0_19identity_decomposerEEEEE10hipError_tT0_T1_T2_jT3_P12ihipStream_tbPNSt15iterator_traitsISI_E10value_typeEPNSO_ISJ_E10value_typeEPSK_NS1_7vsmem_tEENKUlT_SI_SJ_SK_E_clISD_PiSD_S10_EESH_SX_SI_SJ_SK_EUlSX_E_NS1_11comp_targetILNS1_3genE2ELNS1_11target_archE906ELNS1_3gpuE6ELNS1_3repE0EEENS1_48merge_mergepath_partition_config_static_selectorELNS0_4arch9wavefront6targetE1EEEvSJ_,"axG",@progbits,_ZN7rocprim17ROCPRIM_400000_NS6detail17trampoline_kernelINS0_14default_configENS1_38merge_sort_block_merge_config_selectorIiiEEZZNS1_27merge_sort_block_merge_implIS3_N6thrust23THRUST_200600_302600_NS6detail15normal_iteratorINS8_10device_ptrIiEEEESD_jNS1_19radix_merge_compareILb1ELb1EiNS0_19identity_decomposerEEEEE10hipError_tT0_T1_T2_jT3_P12ihipStream_tbPNSt15iterator_traitsISI_E10value_typeEPNSO_ISJ_E10value_typeEPSK_NS1_7vsmem_tEENKUlT_SI_SJ_SK_E_clISD_PiSD_S10_EESH_SX_SI_SJ_SK_EUlSX_E_NS1_11comp_targetILNS1_3genE2ELNS1_11target_archE906ELNS1_3gpuE6ELNS1_3repE0EEENS1_48merge_mergepath_partition_config_static_selectorELNS0_4arch9wavefront6targetE1EEEvSJ_,comdat
.Lfunc_end962:
	.size	_ZN7rocprim17ROCPRIM_400000_NS6detail17trampoline_kernelINS0_14default_configENS1_38merge_sort_block_merge_config_selectorIiiEEZZNS1_27merge_sort_block_merge_implIS3_N6thrust23THRUST_200600_302600_NS6detail15normal_iteratorINS8_10device_ptrIiEEEESD_jNS1_19radix_merge_compareILb1ELb1EiNS0_19identity_decomposerEEEEE10hipError_tT0_T1_T2_jT3_P12ihipStream_tbPNSt15iterator_traitsISI_E10value_typeEPNSO_ISJ_E10value_typeEPSK_NS1_7vsmem_tEENKUlT_SI_SJ_SK_E_clISD_PiSD_S10_EESH_SX_SI_SJ_SK_EUlSX_E_NS1_11comp_targetILNS1_3genE2ELNS1_11target_archE906ELNS1_3gpuE6ELNS1_3repE0EEENS1_48merge_mergepath_partition_config_static_selectorELNS0_4arch9wavefront6targetE1EEEvSJ_, .Lfunc_end962-_ZN7rocprim17ROCPRIM_400000_NS6detail17trampoline_kernelINS0_14default_configENS1_38merge_sort_block_merge_config_selectorIiiEEZZNS1_27merge_sort_block_merge_implIS3_N6thrust23THRUST_200600_302600_NS6detail15normal_iteratorINS8_10device_ptrIiEEEESD_jNS1_19radix_merge_compareILb1ELb1EiNS0_19identity_decomposerEEEEE10hipError_tT0_T1_T2_jT3_P12ihipStream_tbPNSt15iterator_traitsISI_E10value_typeEPNSO_ISJ_E10value_typeEPSK_NS1_7vsmem_tEENKUlT_SI_SJ_SK_E_clISD_PiSD_S10_EESH_SX_SI_SJ_SK_EUlSX_E_NS1_11comp_targetILNS1_3genE2ELNS1_11target_archE906ELNS1_3gpuE6ELNS1_3repE0EEENS1_48merge_mergepath_partition_config_static_selectorELNS0_4arch9wavefront6targetE1EEEvSJ_
                                        ; -- End function
	.set _ZN7rocprim17ROCPRIM_400000_NS6detail17trampoline_kernelINS0_14default_configENS1_38merge_sort_block_merge_config_selectorIiiEEZZNS1_27merge_sort_block_merge_implIS3_N6thrust23THRUST_200600_302600_NS6detail15normal_iteratorINS8_10device_ptrIiEEEESD_jNS1_19radix_merge_compareILb1ELb1EiNS0_19identity_decomposerEEEEE10hipError_tT0_T1_T2_jT3_P12ihipStream_tbPNSt15iterator_traitsISI_E10value_typeEPNSO_ISJ_E10value_typeEPSK_NS1_7vsmem_tEENKUlT_SI_SJ_SK_E_clISD_PiSD_S10_EESH_SX_SI_SJ_SK_EUlSX_E_NS1_11comp_targetILNS1_3genE2ELNS1_11target_archE906ELNS1_3gpuE6ELNS1_3repE0EEENS1_48merge_mergepath_partition_config_static_selectorELNS0_4arch9wavefront6targetE1EEEvSJ_.num_vgpr, 0
	.set _ZN7rocprim17ROCPRIM_400000_NS6detail17trampoline_kernelINS0_14default_configENS1_38merge_sort_block_merge_config_selectorIiiEEZZNS1_27merge_sort_block_merge_implIS3_N6thrust23THRUST_200600_302600_NS6detail15normal_iteratorINS8_10device_ptrIiEEEESD_jNS1_19radix_merge_compareILb1ELb1EiNS0_19identity_decomposerEEEEE10hipError_tT0_T1_T2_jT3_P12ihipStream_tbPNSt15iterator_traitsISI_E10value_typeEPNSO_ISJ_E10value_typeEPSK_NS1_7vsmem_tEENKUlT_SI_SJ_SK_E_clISD_PiSD_S10_EESH_SX_SI_SJ_SK_EUlSX_E_NS1_11comp_targetILNS1_3genE2ELNS1_11target_archE906ELNS1_3gpuE6ELNS1_3repE0EEENS1_48merge_mergepath_partition_config_static_selectorELNS0_4arch9wavefront6targetE1EEEvSJ_.num_agpr, 0
	.set _ZN7rocprim17ROCPRIM_400000_NS6detail17trampoline_kernelINS0_14default_configENS1_38merge_sort_block_merge_config_selectorIiiEEZZNS1_27merge_sort_block_merge_implIS3_N6thrust23THRUST_200600_302600_NS6detail15normal_iteratorINS8_10device_ptrIiEEEESD_jNS1_19radix_merge_compareILb1ELb1EiNS0_19identity_decomposerEEEEE10hipError_tT0_T1_T2_jT3_P12ihipStream_tbPNSt15iterator_traitsISI_E10value_typeEPNSO_ISJ_E10value_typeEPSK_NS1_7vsmem_tEENKUlT_SI_SJ_SK_E_clISD_PiSD_S10_EESH_SX_SI_SJ_SK_EUlSX_E_NS1_11comp_targetILNS1_3genE2ELNS1_11target_archE906ELNS1_3gpuE6ELNS1_3repE0EEENS1_48merge_mergepath_partition_config_static_selectorELNS0_4arch9wavefront6targetE1EEEvSJ_.numbered_sgpr, 0
	.set _ZN7rocprim17ROCPRIM_400000_NS6detail17trampoline_kernelINS0_14default_configENS1_38merge_sort_block_merge_config_selectorIiiEEZZNS1_27merge_sort_block_merge_implIS3_N6thrust23THRUST_200600_302600_NS6detail15normal_iteratorINS8_10device_ptrIiEEEESD_jNS1_19radix_merge_compareILb1ELb1EiNS0_19identity_decomposerEEEEE10hipError_tT0_T1_T2_jT3_P12ihipStream_tbPNSt15iterator_traitsISI_E10value_typeEPNSO_ISJ_E10value_typeEPSK_NS1_7vsmem_tEENKUlT_SI_SJ_SK_E_clISD_PiSD_S10_EESH_SX_SI_SJ_SK_EUlSX_E_NS1_11comp_targetILNS1_3genE2ELNS1_11target_archE906ELNS1_3gpuE6ELNS1_3repE0EEENS1_48merge_mergepath_partition_config_static_selectorELNS0_4arch9wavefront6targetE1EEEvSJ_.num_named_barrier, 0
	.set _ZN7rocprim17ROCPRIM_400000_NS6detail17trampoline_kernelINS0_14default_configENS1_38merge_sort_block_merge_config_selectorIiiEEZZNS1_27merge_sort_block_merge_implIS3_N6thrust23THRUST_200600_302600_NS6detail15normal_iteratorINS8_10device_ptrIiEEEESD_jNS1_19radix_merge_compareILb1ELb1EiNS0_19identity_decomposerEEEEE10hipError_tT0_T1_T2_jT3_P12ihipStream_tbPNSt15iterator_traitsISI_E10value_typeEPNSO_ISJ_E10value_typeEPSK_NS1_7vsmem_tEENKUlT_SI_SJ_SK_E_clISD_PiSD_S10_EESH_SX_SI_SJ_SK_EUlSX_E_NS1_11comp_targetILNS1_3genE2ELNS1_11target_archE906ELNS1_3gpuE6ELNS1_3repE0EEENS1_48merge_mergepath_partition_config_static_selectorELNS0_4arch9wavefront6targetE1EEEvSJ_.private_seg_size, 0
	.set _ZN7rocprim17ROCPRIM_400000_NS6detail17trampoline_kernelINS0_14default_configENS1_38merge_sort_block_merge_config_selectorIiiEEZZNS1_27merge_sort_block_merge_implIS3_N6thrust23THRUST_200600_302600_NS6detail15normal_iteratorINS8_10device_ptrIiEEEESD_jNS1_19radix_merge_compareILb1ELb1EiNS0_19identity_decomposerEEEEE10hipError_tT0_T1_T2_jT3_P12ihipStream_tbPNSt15iterator_traitsISI_E10value_typeEPNSO_ISJ_E10value_typeEPSK_NS1_7vsmem_tEENKUlT_SI_SJ_SK_E_clISD_PiSD_S10_EESH_SX_SI_SJ_SK_EUlSX_E_NS1_11comp_targetILNS1_3genE2ELNS1_11target_archE906ELNS1_3gpuE6ELNS1_3repE0EEENS1_48merge_mergepath_partition_config_static_selectorELNS0_4arch9wavefront6targetE1EEEvSJ_.uses_vcc, 0
	.set _ZN7rocprim17ROCPRIM_400000_NS6detail17trampoline_kernelINS0_14default_configENS1_38merge_sort_block_merge_config_selectorIiiEEZZNS1_27merge_sort_block_merge_implIS3_N6thrust23THRUST_200600_302600_NS6detail15normal_iteratorINS8_10device_ptrIiEEEESD_jNS1_19radix_merge_compareILb1ELb1EiNS0_19identity_decomposerEEEEE10hipError_tT0_T1_T2_jT3_P12ihipStream_tbPNSt15iterator_traitsISI_E10value_typeEPNSO_ISJ_E10value_typeEPSK_NS1_7vsmem_tEENKUlT_SI_SJ_SK_E_clISD_PiSD_S10_EESH_SX_SI_SJ_SK_EUlSX_E_NS1_11comp_targetILNS1_3genE2ELNS1_11target_archE906ELNS1_3gpuE6ELNS1_3repE0EEENS1_48merge_mergepath_partition_config_static_selectorELNS0_4arch9wavefront6targetE1EEEvSJ_.uses_flat_scratch, 0
	.set _ZN7rocprim17ROCPRIM_400000_NS6detail17trampoline_kernelINS0_14default_configENS1_38merge_sort_block_merge_config_selectorIiiEEZZNS1_27merge_sort_block_merge_implIS3_N6thrust23THRUST_200600_302600_NS6detail15normal_iteratorINS8_10device_ptrIiEEEESD_jNS1_19radix_merge_compareILb1ELb1EiNS0_19identity_decomposerEEEEE10hipError_tT0_T1_T2_jT3_P12ihipStream_tbPNSt15iterator_traitsISI_E10value_typeEPNSO_ISJ_E10value_typeEPSK_NS1_7vsmem_tEENKUlT_SI_SJ_SK_E_clISD_PiSD_S10_EESH_SX_SI_SJ_SK_EUlSX_E_NS1_11comp_targetILNS1_3genE2ELNS1_11target_archE906ELNS1_3gpuE6ELNS1_3repE0EEENS1_48merge_mergepath_partition_config_static_selectorELNS0_4arch9wavefront6targetE1EEEvSJ_.has_dyn_sized_stack, 0
	.set _ZN7rocprim17ROCPRIM_400000_NS6detail17trampoline_kernelINS0_14default_configENS1_38merge_sort_block_merge_config_selectorIiiEEZZNS1_27merge_sort_block_merge_implIS3_N6thrust23THRUST_200600_302600_NS6detail15normal_iteratorINS8_10device_ptrIiEEEESD_jNS1_19radix_merge_compareILb1ELb1EiNS0_19identity_decomposerEEEEE10hipError_tT0_T1_T2_jT3_P12ihipStream_tbPNSt15iterator_traitsISI_E10value_typeEPNSO_ISJ_E10value_typeEPSK_NS1_7vsmem_tEENKUlT_SI_SJ_SK_E_clISD_PiSD_S10_EESH_SX_SI_SJ_SK_EUlSX_E_NS1_11comp_targetILNS1_3genE2ELNS1_11target_archE906ELNS1_3gpuE6ELNS1_3repE0EEENS1_48merge_mergepath_partition_config_static_selectorELNS0_4arch9wavefront6targetE1EEEvSJ_.has_recursion, 0
	.set _ZN7rocprim17ROCPRIM_400000_NS6detail17trampoline_kernelINS0_14default_configENS1_38merge_sort_block_merge_config_selectorIiiEEZZNS1_27merge_sort_block_merge_implIS3_N6thrust23THRUST_200600_302600_NS6detail15normal_iteratorINS8_10device_ptrIiEEEESD_jNS1_19radix_merge_compareILb1ELb1EiNS0_19identity_decomposerEEEEE10hipError_tT0_T1_T2_jT3_P12ihipStream_tbPNSt15iterator_traitsISI_E10value_typeEPNSO_ISJ_E10value_typeEPSK_NS1_7vsmem_tEENKUlT_SI_SJ_SK_E_clISD_PiSD_S10_EESH_SX_SI_SJ_SK_EUlSX_E_NS1_11comp_targetILNS1_3genE2ELNS1_11target_archE906ELNS1_3gpuE6ELNS1_3repE0EEENS1_48merge_mergepath_partition_config_static_selectorELNS0_4arch9wavefront6targetE1EEEvSJ_.has_indirect_call, 0
	.section	.AMDGPU.csdata,"",@progbits
; Kernel info:
; codeLenInByte = 0
; TotalNumSgprs: 6
; NumVgprs: 0
; NumAgprs: 0
; TotalNumVgprs: 0
; ScratchSize: 0
; MemoryBound: 0
; FloatMode: 240
; IeeeMode: 1
; LDSByteSize: 0 bytes/workgroup (compile time only)
; SGPRBlocks: 0
; VGPRBlocks: 0
; NumSGPRsForWavesPerEU: 6
; NumVGPRsForWavesPerEU: 1
; AccumOffset: 4
; Occupancy: 8
; WaveLimiterHint : 0
; COMPUTE_PGM_RSRC2:SCRATCH_EN: 0
; COMPUTE_PGM_RSRC2:USER_SGPR: 2
; COMPUTE_PGM_RSRC2:TRAP_HANDLER: 0
; COMPUTE_PGM_RSRC2:TGID_X_EN: 1
; COMPUTE_PGM_RSRC2:TGID_Y_EN: 0
; COMPUTE_PGM_RSRC2:TGID_Z_EN: 0
; COMPUTE_PGM_RSRC2:TIDIG_COMP_CNT: 0
; COMPUTE_PGM_RSRC3_GFX90A:ACCUM_OFFSET: 0
; COMPUTE_PGM_RSRC3_GFX90A:TG_SPLIT: 0
	.section	.text._ZN7rocprim17ROCPRIM_400000_NS6detail17trampoline_kernelINS0_14default_configENS1_38merge_sort_block_merge_config_selectorIiiEEZZNS1_27merge_sort_block_merge_implIS3_N6thrust23THRUST_200600_302600_NS6detail15normal_iteratorINS8_10device_ptrIiEEEESD_jNS1_19radix_merge_compareILb1ELb1EiNS0_19identity_decomposerEEEEE10hipError_tT0_T1_T2_jT3_P12ihipStream_tbPNSt15iterator_traitsISI_E10value_typeEPNSO_ISJ_E10value_typeEPSK_NS1_7vsmem_tEENKUlT_SI_SJ_SK_E_clISD_PiSD_S10_EESH_SX_SI_SJ_SK_EUlSX_E_NS1_11comp_targetILNS1_3genE9ELNS1_11target_archE1100ELNS1_3gpuE3ELNS1_3repE0EEENS1_48merge_mergepath_partition_config_static_selectorELNS0_4arch9wavefront6targetE1EEEvSJ_,"axG",@progbits,_ZN7rocprim17ROCPRIM_400000_NS6detail17trampoline_kernelINS0_14default_configENS1_38merge_sort_block_merge_config_selectorIiiEEZZNS1_27merge_sort_block_merge_implIS3_N6thrust23THRUST_200600_302600_NS6detail15normal_iteratorINS8_10device_ptrIiEEEESD_jNS1_19radix_merge_compareILb1ELb1EiNS0_19identity_decomposerEEEEE10hipError_tT0_T1_T2_jT3_P12ihipStream_tbPNSt15iterator_traitsISI_E10value_typeEPNSO_ISJ_E10value_typeEPSK_NS1_7vsmem_tEENKUlT_SI_SJ_SK_E_clISD_PiSD_S10_EESH_SX_SI_SJ_SK_EUlSX_E_NS1_11comp_targetILNS1_3genE9ELNS1_11target_archE1100ELNS1_3gpuE3ELNS1_3repE0EEENS1_48merge_mergepath_partition_config_static_selectorELNS0_4arch9wavefront6targetE1EEEvSJ_,comdat
	.protected	_ZN7rocprim17ROCPRIM_400000_NS6detail17trampoline_kernelINS0_14default_configENS1_38merge_sort_block_merge_config_selectorIiiEEZZNS1_27merge_sort_block_merge_implIS3_N6thrust23THRUST_200600_302600_NS6detail15normal_iteratorINS8_10device_ptrIiEEEESD_jNS1_19radix_merge_compareILb1ELb1EiNS0_19identity_decomposerEEEEE10hipError_tT0_T1_T2_jT3_P12ihipStream_tbPNSt15iterator_traitsISI_E10value_typeEPNSO_ISJ_E10value_typeEPSK_NS1_7vsmem_tEENKUlT_SI_SJ_SK_E_clISD_PiSD_S10_EESH_SX_SI_SJ_SK_EUlSX_E_NS1_11comp_targetILNS1_3genE9ELNS1_11target_archE1100ELNS1_3gpuE3ELNS1_3repE0EEENS1_48merge_mergepath_partition_config_static_selectorELNS0_4arch9wavefront6targetE1EEEvSJ_ ; -- Begin function _ZN7rocprim17ROCPRIM_400000_NS6detail17trampoline_kernelINS0_14default_configENS1_38merge_sort_block_merge_config_selectorIiiEEZZNS1_27merge_sort_block_merge_implIS3_N6thrust23THRUST_200600_302600_NS6detail15normal_iteratorINS8_10device_ptrIiEEEESD_jNS1_19radix_merge_compareILb1ELb1EiNS0_19identity_decomposerEEEEE10hipError_tT0_T1_T2_jT3_P12ihipStream_tbPNSt15iterator_traitsISI_E10value_typeEPNSO_ISJ_E10value_typeEPSK_NS1_7vsmem_tEENKUlT_SI_SJ_SK_E_clISD_PiSD_S10_EESH_SX_SI_SJ_SK_EUlSX_E_NS1_11comp_targetILNS1_3genE9ELNS1_11target_archE1100ELNS1_3gpuE3ELNS1_3repE0EEENS1_48merge_mergepath_partition_config_static_selectorELNS0_4arch9wavefront6targetE1EEEvSJ_
	.globl	_ZN7rocprim17ROCPRIM_400000_NS6detail17trampoline_kernelINS0_14default_configENS1_38merge_sort_block_merge_config_selectorIiiEEZZNS1_27merge_sort_block_merge_implIS3_N6thrust23THRUST_200600_302600_NS6detail15normal_iteratorINS8_10device_ptrIiEEEESD_jNS1_19radix_merge_compareILb1ELb1EiNS0_19identity_decomposerEEEEE10hipError_tT0_T1_T2_jT3_P12ihipStream_tbPNSt15iterator_traitsISI_E10value_typeEPNSO_ISJ_E10value_typeEPSK_NS1_7vsmem_tEENKUlT_SI_SJ_SK_E_clISD_PiSD_S10_EESH_SX_SI_SJ_SK_EUlSX_E_NS1_11comp_targetILNS1_3genE9ELNS1_11target_archE1100ELNS1_3gpuE3ELNS1_3repE0EEENS1_48merge_mergepath_partition_config_static_selectorELNS0_4arch9wavefront6targetE1EEEvSJ_
	.p2align	8
	.type	_ZN7rocprim17ROCPRIM_400000_NS6detail17trampoline_kernelINS0_14default_configENS1_38merge_sort_block_merge_config_selectorIiiEEZZNS1_27merge_sort_block_merge_implIS3_N6thrust23THRUST_200600_302600_NS6detail15normal_iteratorINS8_10device_ptrIiEEEESD_jNS1_19radix_merge_compareILb1ELb1EiNS0_19identity_decomposerEEEEE10hipError_tT0_T1_T2_jT3_P12ihipStream_tbPNSt15iterator_traitsISI_E10value_typeEPNSO_ISJ_E10value_typeEPSK_NS1_7vsmem_tEENKUlT_SI_SJ_SK_E_clISD_PiSD_S10_EESH_SX_SI_SJ_SK_EUlSX_E_NS1_11comp_targetILNS1_3genE9ELNS1_11target_archE1100ELNS1_3gpuE3ELNS1_3repE0EEENS1_48merge_mergepath_partition_config_static_selectorELNS0_4arch9wavefront6targetE1EEEvSJ_,@function
_ZN7rocprim17ROCPRIM_400000_NS6detail17trampoline_kernelINS0_14default_configENS1_38merge_sort_block_merge_config_selectorIiiEEZZNS1_27merge_sort_block_merge_implIS3_N6thrust23THRUST_200600_302600_NS6detail15normal_iteratorINS8_10device_ptrIiEEEESD_jNS1_19radix_merge_compareILb1ELb1EiNS0_19identity_decomposerEEEEE10hipError_tT0_T1_T2_jT3_P12ihipStream_tbPNSt15iterator_traitsISI_E10value_typeEPNSO_ISJ_E10value_typeEPSK_NS1_7vsmem_tEENKUlT_SI_SJ_SK_E_clISD_PiSD_S10_EESH_SX_SI_SJ_SK_EUlSX_E_NS1_11comp_targetILNS1_3genE9ELNS1_11target_archE1100ELNS1_3gpuE3ELNS1_3repE0EEENS1_48merge_mergepath_partition_config_static_selectorELNS0_4arch9wavefront6targetE1EEEvSJ_: ; @_ZN7rocprim17ROCPRIM_400000_NS6detail17trampoline_kernelINS0_14default_configENS1_38merge_sort_block_merge_config_selectorIiiEEZZNS1_27merge_sort_block_merge_implIS3_N6thrust23THRUST_200600_302600_NS6detail15normal_iteratorINS8_10device_ptrIiEEEESD_jNS1_19radix_merge_compareILb1ELb1EiNS0_19identity_decomposerEEEEE10hipError_tT0_T1_T2_jT3_P12ihipStream_tbPNSt15iterator_traitsISI_E10value_typeEPNSO_ISJ_E10value_typeEPSK_NS1_7vsmem_tEENKUlT_SI_SJ_SK_E_clISD_PiSD_S10_EESH_SX_SI_SJ_SK_EUlSX_E_NS1_11comp_targetILNS1_3genE9ELNS1_11target_archE1100ELNS1_3gpuE3ELNS1_3repE0EEENS1_48merge_mergepath_partition_config_static_selectorELNS0_4arch9wavefront6targetE1EEEvSJ_
; %bb.0:
	.section	.rodata,"a",@progbits
	.p2align	6, 0x0
	.amdhsa_kernel _ZN7rocprim17ROCPRIM_400000_NS6detail17trampoline_kernelINS0_14default_configENS1_38merge_sort_block_merge_config_selectorIiiEEZZNS1_27merge_sort_block_merge_implIS3_N6thrust23THRUST_200600_302600_NS6detail15normal_iteratorINS8_10device_ptrIiEEEESD_jNS1_19radix_merge_compareILb1ELb1EiNS0_19identity_decomposerEEEEE10hipError_tT0_T1_T2_jT3_P12ihipStream_tbPNSt15iterator_traitsISI_E10value_typeEPNSO_ISJ_E10value_typeEPSK_NS1_7vsmem_tEENKUlT_SI_SJ_SK_E_clISD_PiSD_S10_EESH_SX_SI_SJ_SK_EUlSX_E_NS1_11comp_targetILNS1_3genE9ELNS1_11target_archE1100ELNS1_3gpuE3ELNS1_3repE0EEENS1_48merge_mergepath_partition_config_static_selectorELNS0_4arch9wavefront6targetE1EEEvSJ_
		.amdhsa_group_segment_fixed_size 0
		.amdhsa_private_segment_fixed_size 0
		.amdhsa_kernarg_size 40
		.amdhsa_user_sgpr_count 2
		.amdhsa_user_sgpr_dispatch_ptr 0
		.amdhsa_user_sgpr_queue_ptr 0
		.amdhsa_user_sgpr_kernarg_segment_ptr 1
		.amdhsa_user_sgpr_dispatch_id 0
		.amdhsa_user_sgpr_kernarg_preload_length 0
		.amdhsa_user_sgpr_kernarg_preload_offset 0
		.amdhsa_user_sgpr_private_segment_size 0
		.amdhsa_uses_dynamic_stack 0
		.amdhsa_enable_private_segment 0
		.amdhsa_system_sgpr_workgroup_id_x 1
		.amdhsa_system_sgpr_workgroup_id_y 0
		.amdhsa_system_sgpr_workgroup_id_z 0
		.amdhsa_system_sgpr_workgroup_info 0
		.amdhsa_system_vgpr_workitem_id 0
		.amdhsa_next_free_vgpr 1
		.amdhsa_next_free_sgpr 0
		.amdhsa_accum_offset 4
		.amdhsa_reserve_vcc 0
		.amdhsa_float_round_mode_32 0
		.amdhsa_float_round_mode_16_64 0
		.amdhsa_float_denorm_mode_32 3
		.amdhsa_float_denorm_mode_16_64 3
		.amdhsa_dx10_clamp 1
		.amdhsa_ieee_mode 1
		.amdhsa_fp16_overflow 0
		.amdhsa_tg_split 0
		.amdhsa_exception_fp_ieee_invalid_op 0
		.amdhsa_exception_fp_denorm_src 0
		.amdhsa_exception_fp_ieee_div_zero 0
		.amdhsa_exception_fp_ieee_overflow 0
		.amdhsa_exception_fp_ieee_underflow 0
		.amdhsa_exception_fp_ieee_inexact 0
		.amdhsa_exception_int_div_zero 0
	.end_amdhsa_kernel
	.section	.text._ZN7rocprim17ROCPRIM_400000_NS6detail17trampoline_kernelINS0_14default_configENS1_38merge_sort_block_merge_config_selectorIiiEEZZNS1_27merge_sort_block_merge_implIS3_N6thrust23THRUST_200600_302600_NS6detail15normal_iteratorINS8_10device_ptrIiEEEESD_jNS1_19radix_merge_compareILb1ELb1EiNS0_19identity_decomposerEEEEE10hipError_tT0_T1_T2_jT3_P12ihipStream_tbPNSt15iterator_traitsISI_E10value_typeEPNSO_ISJ_E10value_typeEPSK_NS1_7vsmem_tEENKUlT_SI_SJ_SK_E_clISD_PiSD_S10_EESH_SX_SI_SJ_SK_EUlSX_E_NS1_11comp_targetILNS1_3genE9ELNS1_11target_archE1100ELNS1_3gpuE3ELNS1_3repE0EEENS1_48merge_mergepath_partition_config_static_selectorELNS0_4arch9wavefront6targetE1EEEvSJ_,"axG",@progbits,_ZN7rocprim17ROCPRIM_400000_NS6detail17trampoline_kernelINS0_14default_configENS1_38merge_sort_block_merge_config_selectorIiiEEZZNS1_27merge_sort_block_merge_implIS3_N6thrust23THRUST_200600_302600_NS6detail15normal_iteratorINS8_10device_ptrIiEEEESD_jNS1_19radix_merge_compareILb1ELb1EiNS0_19identity_decomposerEEEEE10hipError_tT0_T1_T2_jT3_P12ihipStream_tbPNSt15iterator_traitsISI_E10value_typeEPNSO_ISJ_E10value_typeEPSK_NS1_7vsmem_tEENKUlT_SI_SJ_SK_E_clISD_PiSD_S10_EESH_SX_SI_SJ_SK_EUlSX_E_NS1_11comp_targetILNS1_3genE9ELNS1_11target_archE1100ELNS1_3gpuE3ELNS1_3repE0EEENS1_48merge_mergepath_partition_config_static_selectorELNS0_4arch9wavefront6targetE1EEEvSJ_,comdat
.Lfunc_end963:
	.size	_ZN7rocprim17ROCPRIM_400000_NS6detail17trampoline_kernelINS0_14default_configENS1_38merge_sort_block_merge_config_selectorIiiEEZZNS1_27merge_sort_block_merge_implIS3_N6thrust23THRUST_200600_302600_NS6detail15normal_iteratorINS8_10device_ptrIiEEEESD_jNS1_19radix_merge_compareILb1ELb1EiNS0_19identity_decomposerEEEEE10hipError_tT0_T1_T2_jT3_P12ihipStream_tbPNSt15iterator_traitsISI_E10value_typeEPNSO_ISJ_E10value_typeEPSK_NS1_7vsmem_tEENKUlT_SI_SJ_SK_E_clISD_PiSD_S10_EESH_SX_SI_SJ_SK_EUlSX_E_NS1_11comp_targetILNS1_3genE9ELNS1_11target_archE1100ELNS1_3gpuE3ELNS1_3repE0EEENS1_48merge_mergepath_partition_config_static_selectorELNS0_4arch9wavefront6targetE1EEEvSJ_, .Lfunc_end963-_ZN7rocprim17ROCPRIM_400000_NS6detail17trampoline_kernelINS0_14default_configENS1_38merge_sort_block_merge_config_selectorIiiEEZZNS1_27merge_sort_block_merge_implIS3_N6thrust23THRUST_200600_302600_NS6detail15normal_iteratorINS8_10device_ptrIiEEEESD_jNS1_19radix_merge_compareILb1ELb1EiNS0_19identity_decomposerEEEEE10hipError_tT0_T1_T2_jT3_P12ihipStream_tbPNSt15iterator_traitsISI_E10value_typeEPNSO_ISJ_E10value_typeEPSK_NS1_7vsmem_tEENKUlT_SI_SJ_SK_E_clISD_PiSD_S10_EESH_SX_SI_SJ_SK_EUlSX_E_NS1_11comp_targetILNS1_3genE9ELNS1_11target_archE1100ELNS1_3gpuE3ELNS1_3repE0EEENS1_48merge_mergepath_partition_config_static_selectorELNS0_4arch9wavefront6targetE1EEEvSJ_
                                        ; -- End function
	.set _ZN7rocprim17ROCPRIM_400000_NS6detail17trampoline_kernelINS0_14default_configENS1_38merge_sort_block_merge_config_selectorIiiEEZZNS1_27merge_sort_block_merge_implIS3_N6thrust23THRUST_200600_302600_NS6detail15normal_iteratorINS8_10device_ptrIiEEEESD_jNS1_19radix_merge_compareILb1ELb1EiNS0_19identity_decomposerEEEEE10hipError_tT0_T1_T2_jT3_P12ihipStream_tbPNSt15iterator_traitsISI_E10value_typeEPNSO_ISJ_E10value_typeEPSK_NS1_7vsmem_tEENKUlT_SI_SJ_SK_E_clISD_PiSD_S10_EESH_SX_SI_SJ_SK_EUlSX_E_NS1_11comp_targetILNS1_3genE9ELNS1_11target_archE1100ELNS1_3gpuE3ELNS1_3repE0EEENS1_48merge_mergepath_partition_config_static_selectorELNS0_4arch9wavefront6targetE1EEEvSJ_.num_vgpr, 0
	.set _ZN7rocprim17ROCPRIM_400000_NS6detail17trampoline_kernelINS0_14default_configENS1_38merge_sort_block_merge_config_selectorIiiEEZZNS1_27merge_sort_block_merge_implIS3_N6thrust23THRUST_200600_302600_NS6detail15normal_iteratorINS8_10device_ptrIiEEEESD_jNS1_19radix_merge_compareILb1ELb1EiNS0_19identity_decomposerEEEEE10hipError_tT0_T1_T2_jT3_P12ihipStream_tbPNSt15iterator_traitsISI_E10value_typeEPNSO_ISJ_E10value_typeEPSK_NS1_7vsmem_tEENKUlT_SI_SJ_SK_E_clISD_PiSD_S10_EESH_SX_SI_SJ_SK_EUlSX_E_NS1_11comp_targetILNS1_3genE9ELNS1_11target_archE1100ELNS1_3gpuE3ELNS1_3repE0EEENS1_48merge_mergepath_partition_config_static_selectorELNS0_4arch9wavefront6targetE1EEEvSJ_.num_agpr, 0
	.set _ZN7rocprim17ROCPRIM_400000_NS6detail17trampoline_kernelINS0_14default_configENS1_38merge_sort_block_merge_config_selectorIiiEEZZNS1_27merge_sort_block_merge_implIS3_N6thrust23THRUST_200600_302600_NS6detail15normal_iteratorINS8_10device_ptrIiEEEESD_jNS1_19radix_merge_compareILb1ELb1EiNS0_19identity_decomposerEEEEE10hipError_tT0_T1_T2_jT3_P12ihipStream_tbPNSt15iterator_traitsISI_E10value_typeEPNSO_ISJ_E10value_typeEPSK_NS1_7vsmem_tEENKUlT_SI_SJ_SK_E_clISD_PiSD_S10_EESH_SX_SI_SJ_SK_EUlSX_E_NS1_11comp_targetILNS1_3genE9ELNS1_11target_archE1100ELNS1_3gpuE3ELNS1_3repE0EEENS1_48merge_mergepath_partition_config_static_selectorELNS0_4arch9wavefront6targetE1EEEvSJ_.numbered_sgpr, 0
	.set _ZN7rocprim17ROCPRIM_400000_NS6detail17trampoline_kernelINS0_14default_configENS1_38merge_sort_block_merge_config_selectorIiiEEZZNS1_27merge_sort_block_merge_implIS3_N6thrust23THRUST_200600_302600_NS6detail15normal_iteratorINS8_10device_ptrIiEEEESD_jNS1_19radix_merge_compareILb1ELb1EiNS0_19identity_decomposerEEEEE10hipError_tT0_T1_T2_jT3_P12ihipStream_tbPNSt15iterator_traitsISI_E10value_typeEPNSO_ISJ_E10value_typeEPSK_NS1_7vsmem_tEENKUlT_SI_SJ_SK_E_clISD_PiSD_S10_EESH_SX_SI_SJ_SK_EUlSX_E_NS1_11comp_targetILNS1_3genE9ELNS1_11target_archE1100ELNS1_3gpuE3ELNS1_3repE0EEENS1_48merge_mergepath_partition_config_static_selectorELNS0_4arch9wavefront6targetE1EEEvSJ_.num_named_barrier, 0
	.set _ZN7rocprim17ROCPRIM_400000_NS6detail17trampoline_kernelINS0_14default_configENS1_38merge_sort_block_merge_config_selectorIiiEEZZNS1_27merge_sort_block_merge_implIS3_N6thrust23THRUST_200600_302600_NS6detail15normal_iteratorINS8_10device_ptrIiEEEESD_jNS1_19radix_merge_compareILb1ELb1EiNS0_19identity_decomposerEEEEE10hipError_tT0_T1_T2_jT3_P12ihipStream_tbPNSt15iterator_traitsISI_E10value_typeEPNSO_ISJ_E10value_typeEPSK_NS1_7vsmem_tEENKUlT_SI_SJ_SK_E_clISD_PiSD_S10_EESH_SX_SI_SJ_SK_EUlSX_E_NS1_11comp_targetILNS1_3genE9ELNS1_11target_archE1100ELNS1_3gpuE3ELNS1_3repE0EEENS1_48merge_mergepath_partition_config_static_selectorELNS0_4arch9wavefront6targetE1EEEvSJ_.private_seg_size, 0
	.set _ZN7rocprim17ROCPRIM_400000_NS6detail17trampoline_kernelINS0_14default_configENS1_38merge_sort_block_merge_config_selectorIiiEEZZNS1_27merge_sort_block_merge_implIS3_N6thrust23THRUST_200600_302600_NS6detail15normal_iteratorINS8_10device_ptrIiEEEESD_jNS1_19radix_merge_compareILb1ELb1EiNS0_19identity_decomposerEEEEE10hipError_tT0_T1_T2_jT3_P12ihipStream_tbPNSt15iterator_traitsISI_E10value_typeEPNSO_ISJ_E10value_typeEPSK_NS1_7vsmem_tEENKUlT_SI_SJ_SK_E_clISD_PiSD_S10_EESH_SX_SI_SJ_SK_EUlSX_E_NS1_11comp_targetILNS1_3genE9ELNS1_11target_archE1100ELNS1_3gpuE3ELNS1_3repE0EEENS1_48merge_mergepath_partition_config_static_selectorELNS0_4arch9wavefront6targetE1EEEvSJ_.uses_vcc, 0
	.set _ZN7rocprim17ROCPRIM_400000_NS6detail17trampoline_kernelINS0_14default_configENS1_38merge_sort_block_merge_config_selectorIiiEEZZNS1_27merge_sort_block_merge_implIS3_N6thrust23THRUST_200600_302600_NS6detail15normal_iteratorINS8_10device_ptrIiEEEESD_jNS1_19radix_merge_compareILb1ELb1EiNS0_19identity_decomposerEEEEE10hipError_tT0_T1_T2_jT3_P12ihipStream_tbPNSt15iterator_traitsISI_E10value_typeEPNSO_ISJ_E10value_typeEPSK_NS1_7vsmem_tEENKUlT_SI_SJ_SK_E_clISD_PiSD_S10_EESH_SX_SI_SJ_SK_EUlSX_E_NS1_11comp_targetILNS1_3genE9ELNS1_11target_archE1100ELNS1_3gpuE3ELNS1_3repE0EEENS1_48merge_mergepath_partition_config_static_selectorELNS0_4arch9wavefront6targetE1EEEvSJ_.uses_flat_scratch, 0
	.set _ZN7rocprim17ROCPRIM_400000_NS6detail17trampoline_kernelINS0_14default_configENS1_38merge_sort_block_merge_config_selectorIiiEEZZNS1_27merge_sort_block_merge_implIS3_N6thrust23THRUST_200600_302600_NS6detail15normal_iteratorINS8_10device_ptrIiEEEESD_jNS1_19radix_merge_compareILb1ELb1EiNS0_19identity_decomposerEEEEE10hipError_tT0_T1_T2_jT3_P12ihipStream_tbPNSt15iterator_traitsISI_E10value_typeEPNSO_ISJ_E10value_typeEPSK_NS1_7vsmem_tEENKUlT_SI_SJ_SK_E_clISD_PiSD_S10_EESH_SX_SI_SJ_SK_EUlSX_E_NS1_11comp_targetILNS1_3genE9ELNS1_11target_archE1100ELNS1_3gpuE3ELNS1_3repE0EEENS1_48merge_mergepath_partition_config_static_selectorELNS0_4arch9wavefront6targetE1EEEvSJ_.has_dyn_sized_stack, 0
	.set _ZN7rocprim17ROCPRIM_400000_NS6detail17trampoline_kernelINS0_14default_configENS1_38merge_sort_block_merge_config_selectorIiiEEZZNS1_27merge_sort_block_merge_implIS3_N6thrust23THRUST_200600_302600_NS6detail15normal_iteratorINS8_10device_ptrIiEEEESD_jNS1_19radix_merge_compareILb1ELb1EiNS0_19identity_decomposerEEEEE10hipError_tT0_T1_T2_jT3_P12ihipStream_tbPNSt15iterator_traitsISI_E10value_typeEPNSO_ISJ_E10value_typeEPSK_NS1_7vsmem_tEENKUlT_SI_SJ_SK_E_clISD_PiSD_S10_EESH_SX_SI_SJ_SK_EUlSX_E_NS1_11comp_targetILNS1_3genE9ELNS1_11target_archE1100ELNS1_3gpuE3ELNS1_3repE0EEENS1_48merge_mergepath_partition_config_static_selectorELNS0_4arch9wavefront6targetE1EEEvSJ_.has_recursion, 0
	.set _ZN7rocprim17ROCPRIM_400000_NS6detail17trampoline_kernelINS0_14default_configENS1_38merge_sort_block_merge_config_selectorIiiEEZZNS1_27merge_sort_block_merge_implIS3_N6thrust23THRUST_200600_302600_NS6detail15normal_iteratorINS8_10device_ptrIiEEEESD_jNS1_19radix_merge_compareILb1ELb1EiNS0_19identity_decomposerEEEEE10hipError_tT0_T1_T2_jT3_P12ihipStream_tbPNSt15iterator_traitsISI_E10value_typeEPNSO_ISJ_E10value_typeEPSK_NS1_7vsmem_tEENKUlT_SI_SJ_SK_E_clISD_PiSD_S10_EESH_SX_SI_SJ_SK_EUlSX_E_NS1_11comp_targetILNS1_3genE9ELNS1_11target_archE1100ELNS1_3gpuE3ELNS1_3repE0EEENS1_48merge_mergepath_partition_config_static_selectorELNS0_4arch9wavefront6targetE1EEEvSJ_.has_indirect_call, 0
	.section	.AMDGPU.csdata,"",@progbits
; Kernel info:
; codeLenInByte = 0
; TotalNumSgprs: 6
; NumVgprs: 0
; NumAgprs: 0
; TotalNumVgprs: 0
; ScratchSize: 0
; MemoryBound: 0
; FloatMode: 240
; IeeeMode: 1
; LDSByteSize: 0 bytes/workgroup (compile time only)
; SGPRBlocks: 0
; VGPRBlocks: 0
; NumSGPRsForWavesPerEU: 6
; NumVGPRsForWavesPerEU: 1
; AccumOffset: 4
; Occupancy: 8
; WaveLimiterHint : 0
; COMPUTE_PGM_RSRC2:SCRATCH_EN: 0
; COMPUTE_PGM_RSRC2:USER_SGPR: 2
; COMPUTE_PGM_RSRC2:TRAP_HANDLER: 0
; COMPUTE_PGM_RSRC2:TGID_X_EN: 1
; COMPUTE_PGM_RSRC2:TGID_Y_EN: 0
; COMPUTE_PGM_RSRC2:TGID_Z_EN: 0
; COMPUTE_PGM_RSRC2:TIDIG_COMP_CNT: 0
; COMPUTE_PGM_RSRC3_GFX90A:ACCUM_OFFSET: 0
; COMPUTE_PGM_RSRC3_GFX90A:TG_SPLIT: 0
	.section	.text._ZN7rocprim17ROCPRIM_400000_NS6detail17trampoline_kernelINS0_14default_configENS1_38merge_sort_block_merge_config_selectorIiiEEZZNS1_27merge_sort_block_merge_implIS3_N6thrust23THRUST_200600_302600_NS6detail15normal_iteratorINS8_10device_ptrIiEEEESD_jNS1_19radix_merge_compareILb1ELb1EiNS0_19identity_decomposerEEEEE10hipError_tT0_T1_T2_jT3_P12ihipStream_tbPNSt15iterator_traitsISI_E10value_typeEPNSO_ISJ_E10value_typeEPSK_NS1_7vsmem_tEENKUlT_SI_SJ_SK_E_clISD_PiSD_S10_EESH_SX_SI_SJ_SK_EUlSX_E_NS1_11comp_targetILNS1_3genE8ELNS1_11target_archE1030ELNS1_3gpuE2ELNS1_3repE0EEENS1_48merge_mergepath_partition_config_static_selectorELNS0_4arch9wavefront6targetE1EEEvSJ_,"axG",@progbits,_ZN7rocprim17ROCPRIM_400000_NS6detail17trampoline_kernelINS0_14default_configENS1_38merge_sort_block_merge_config_selectorIiiEEZZNS1_27merge_sort_block_merge_implIS3_N6thrust23THRUST_200600_302600_NS6detail15normal_iteratorINS8_10device_ptrIiEEEESD_jNS1_19radix_merge_compareILb1ELb1EiNS0_19identity_decomposerEEEEE10hipError_tT0_T1_T2_jT3_P12ihipStream_tbPNSt15iterator_traitsISI_E10value_typeEPNSO_ISJ_E10value_typeEPSK_NS1_7vsmem_tEENKUlT_SI_SJ_SK_E_clISD_PiSD_S10_EESH_SX_SI_SJ_SK_EUlSX_E_NS1_11comp_targetILNS1_3genE8ELNS1_11target_archE1030ELNS1_3gpuE2ELNS1_3repE0EEENS1_48merge_mergepath_partition_config_static_selectorELNS0_4arch9wavefront6targetE1EEEvSJ_,comdat
	.protected	_ZN7rocprim17ROCPRIM_400000_NS6detail17trampoline_kernelINS0_14default_configENS1_38merge_sort_block_merge_config_selectorIiiEEZZNS1_27merge_sort_block_merge_implIS3_N6thrust23THRUST_200600_302600_NS6detail15normal_iteratorINS8_10device_ptrIiEEEESD_jNS1_19radix_merge_compareILb1ELb1EiNS0_19identity_decomposerEEEEE10hipError_tT0_T1_T2_jT3_P12ihipStream_tbPNSt15iterator_traitsISI_E10value_typeEPNSO_ISJ_E10value_typeEPSK_NS1_7vsmem_tEENKUlT_SI_SJ_SK_E_clISD_PiSD_S10_EESH_SX_SI_SJ_SK_EUlSX_E_NS1_11comp_targetILNS1_3genE8ELNS1_11target_archE1030ELNS1_3gpuE2ELNS1_3repE0EEENS1_48merge_mergepath_partition_config_static_selectorELNS0_4arch9wavefront6targetE1EEEvSJ_ ; -- Begin function _ZN7rocprim17ROCPRIM_400000_NS6detail17trampoline_kernelINS0_14default_configENS1_38merge_sort_block_merge_config_selectorIiiEEZZNS1_27merge_sort_block_merge_implIS3_N6thrust23THRUST_200600_302600_NS6detail15normal_iteratorINS8_10device_ptrIiEEEESD_jNS1_19radix_merge_compareILb1ELb1EiNS0_19identity_decomposerEEEEE10hipError_tT0_T1_T2_jT3_P12ihipStream_tbPNSt15iterator_traitsISI_E10value_typeEPNSO_ISJ_E10value_typeEPSK_NS1_7vsmem_tEENKUlT_SI_SJ_SK_E_clISD_PiSD_S10_EESH_SX_SI_SJ_SK_EUlSX_E_NS1_11comp_targetILNS1_3genE8ELNS1_11target_archE1030ELNS1_3gpuE2ELNS1_3repE0EEENS1_48merge_mergepath_partition_config_static_selectorELNS0_4arch9wavefront6targetE1EEEvSJ_
	.globl	_ZN7rocprim17ROCPRIM_400000_NS6detail17trampoline_kernelINS0_14default_configENS1_38merge_sort_block_merge_config_selectorIiiEEZZNS1_27merge_sort_block_merge_implIS3_N6thrust23THRUST_200600_302600_NS6detail15normal_iteratorINS8_10device_ptrIiEEEESD_jNS1_19radix_merge_compareILb1ELb1EiNS0_19identity_decomposerEEEEE10hipError_tT0_T1_T2_jT3_P12ihipStream_tbPNSt15iterator_traitsISI_E10value_typeEPNSO_ISJ_E10value_typeEPSK_NS1_7vsmem_tEENKUlT_SI_SJ_SK_E_clISD_PiSD_S10_EESH_SX_SI_SJ_SK_EUlSX_E_NS1_11comp_targetILNS1_3genE8ELNS1_11target_archE1030ELNS1_3gpuE2ELNS1_3repE0EEENS1_48merge_mergepath_partition_config_static_selectorELNS0_4arch9wavefront6targetE1EEEvSJ_
	.p2align	8
	.type	_ZN7rocprim17ROCPRIM_400000_NS6detail17trampoline_kernelINS0_14default_configENS1_38merge_sort_block_merge_config_selectorIiiEEZZNS1_27merge_sort_block_merge_implIS3_N6thrust23THRUST_200600_302600_NS6detail15normal_iteratorINS8_10device_ptrIiEEEESD_jNS1_19radix_merge_compareILb1ELb1EiNS0_19identity_decomposerEEEEE10hipError_tT0_T1_T2_jT3_P12ihipStream_tbPNSt15iterator_traitsISI_E10value_typeEPNSO_ISJ_E10value_typeEPSK_NS1_7vsmem_tEENKUlT_SI_SJ_SK_E_clISD_PiSD_S10_EESH_SX_SI_SJ_SK_EUlSX_E_NS1_11comp_targetILNS1_3genE8ELNS1_11target_archE1030ELNS1_3gpuE2ELNS1_3repE0EEENS1_48merge_mergepath_partition_config_static_selectorELNS0_4arch9wavefront6targetE1EEEvSJ_,@function
_ZN7rocprim17ROCPRIM_400000_NS6detail17trampoline_kernelINS0_14default_configENS1_38merge_sort_block_merge_config_selectorIiiEEZZNS1_27merge_sort_block_merge_implIS3_N6thrust23THRUST_200600_302600_NS6detail15normal_iteratorINS8_10device_ptrIiEEEESD_jNS1_19radix_merge_compareILb1ELb1EiNS0_19identity_decomposerEEEEE10hipError_tT0_T1_T2_jT3_P12ihipStream_tbPNSt15iterator_traitsISI_E10value_typeEPNSO_ISJ_E10value_typeEPSK_NS1_7vsmem_tEENKUlT_SI_SJ_SK_E_clISD_PiSD_S10_EESH_SX_SI_SJ_SK_EUlSX_E_NS1_11comp_targetILNS1_3genE8ELNS1_11target_archE1030ELNS1_3gpuE2ELNS1_3repE0EEENS1_48merge_mergepath_partition_config_static_selectorELNS0_4arch9wavefront6targetE1EEEvSJ_: ; @_ZN7rocprim17ROCPRIM_400000_NS6detail17trampoline_kernelINS0_14default_configENS1_38merge_sort_block_merge_config_selectorIiiEEZZNS1_27merge_sort_block_merge_implIS3_N6thrust23THRUST_200600_302600_NS6detail15normal_iteratorINS8_10device_ptrIiEEEESD_jNS1_19radix_merge_compareILb1ELb1EiNS0_19identity_decomposerEEEEE10hipError_tT0_T1_T2_jT3_P12ihipStream_tbPNSt15iterator_traitsISI_E10value_typeEPNSO_ISJ_E10value_typeEPSK_NS1_7vsmem_tEENKUlT_SI_SJ_SK_E_clISD_PiSD_S10_EESH_SX_SI_SJ_SK_EUlSX_E_NS1_11comp_targetILNS1_3genE8ELNS1_11target_archE1030ELNS1_3gpuE2ELNS1_3repE0EEENS1_48merge_mergepath_partition_config_static_selectorELNS0_4arch9wavefront6targetE1EEEvSJ_
; %bb.0:
	.section	.rodata,"a",@progbits
	.p2align	6, 0x0
	.amdhsa_kernel _ZN7rocprim17ROCPRIM_400000_NS6detail17trampoline_kernelINS0_14default_configENS1_38merge_sort_block_merge_config_selectorIiiEEZZNS1_27merge_sort_block_merge_implIS3_N6thrust23THRUST_200600_302600_NS6detail15normal_iteratorINS8_10device_ptrIiEEEESD_jNS1_19radix_merge_compareILb1ELb1EiNS0_19identity_decomposerEEEEE10hipError_tT0_T1_T2_jT3_P12ihipStream_tbPNSt15iterator_traitsISI_E10value_typeEPNSO_ISJ_E10value_typeEPSK_NS1_7vsmem_tEENKUlT_SI_SJ_SK_E_clISD_PiSD_S10_EESH_SX_SI_SJ_SK_EUlSX_E_NS1_11comp_targetILNS1_3genE8ELNS1_11target_archE1030ELNS1_3gpuE2ELNS1_3repE0EEENS1_48merge_mergepath_partition_config_static_selectorELNS0_4arch9wavefront6targetE1EEEvSJ_
		.amdhsa_group_segment_fixed_size 0
		.amdhsa_private_segment_fixed_size 0
		.amdhsa_kernarg_size 40
		.amdhsa_user_sgpr_count 2
		.amdhsa_user_sgpr_dispatch_ptr 0
		.amdhsa_user_sgpr_queue_ptr 0
		.amdhsa_user_sgpr_kernarg_segment_ptr 1
		.amdhsa_user_sgpr_dispatch_id 0
		.amdhsa_user_sgpr_kernarg_preload_length 0
		.amdhsa_user_sgpr_kernarg_preload_offset 0
		.amdhsa_user_sgpr_private_segment_size 0
		.amdhsa_uses_dynamic_stack 0
		.amdhsa_enable_private_segment 0
		.amdhsa_system_sgpr_workgroup_id_x 1
		.amdhsa_system_sgpr_workgroup_id_y 0
		.amdhsa_system_sgpr_workgroup_id_z 0
		.amdhsa_system_sgpr_workgroup_info 0
		.amdhsa_system_vgpr_workitem_id 0
		.amdhsa_next_free_vgpr 1
		.amdhsa_next_free_sgpr 0
		.amdhsa_accum_offset 4
		.amdhsa_reserve_vcc 0
		.amdhsa_float_round_mode_32 0
		.amdhsa_float_round_mode_16_64 0
		.amdhsa_float_denorm_mode_32 3
		.amdhsa_float_denorm_mode_16_64 3
		.amdhsa_dx10_clamp 1
		.amdhsa_ieee_mode 1
		.amdhsa_fp16_overflow 0
		.amdhsa_tg_split 0
		.amdhsa_exception_fp_ieee_invalid_op 0
		.amdhsa_exception_fp_denorm_src 0
		.amdhsa_exception_fp_ieee_div_zero 0
		.amdhsa_exception_fp_ieee_overflow 0
		.amdhsa_exception_fp_ieee_underflow 0
		.amdhsa_exception_fp_ieee_inexact 0
		.amdhsa_exception_int_div_zero 0
	.end_amdhsa_kernel
	.section	.text._ZN7rocprim17ROCPRIM_400000_NS6detail17trampoline_kernelINS0_14default_configENS1_38merge_sort_block_merge_config_selectorIiiEEZZNS1_27merge_sort_block_merge_implIS3_N6thrust23THRUST_200600_302600_NS6detail15normal_iteratorINS8_10device_ptrIiEEEESD_jNS1_19radix_merge_compareILb1ELb1EiNS0_19identity_decomposerEEEEE10hipError_tT0_T1_T2_jT3_P12ihipStream_tbPNSt15iterator_traitsISI_E10value_typeEPNSO_ISJ_E10value_typeEPSK_NS1_7vsmem_tEENKUlT_SI_SJ_SK_E_clISD_PiSD_S10_EESH_SX_SI_SJ_SK_EUlSX_E_NS1_11comp_targetILNS1_3genE8ELNS1_11target_archE1030ELNS1_3gpuE2ELNS1_3repE0EEENS1_48merge_mergepath_partition_config_static_selectorELNS0_4arch9wavefront6targetE1EEEvSJ_,"axG",@progbits,_ZN7rocprim17ROCPRIM_400000_NS6detail17trampoline_kernelINS0_14default_configENS1_38merge_sort_block_merge_config_selectorIiiEEZZNS1_27merge_sort_block_merge_implIS3_N6thrust23THRUST_200600_302600_NS6detail15normal_iteratorINS8_10device_ptrIiEEEESD_jNS1_19radix_merge_compareILb1ELb1EiNS0_19identity_decomposerEEEEE10hipError_tT0_T1_T2_jT3_P12ihipStream_tbPNSt15iterator_traitsISI_E10value_typeEPNSO_ISJ_E10value_typeEPSK_NS1_7vsmem_tEENKUlT_SI_SJ_SK_E_clISD_PiSD_S10_EESH_SX_SI_SJ_SK_EUlSX_E_NS1_11comp_targetILNS1_3genE8ELNS1_11target_archE1030ELNS1_3gpuE2ELNS1_3repE0EEENS1_48merge_mergepath_partition_config_static_selectorELNS0_4arch9wavefront6targetE1EEEvSJ_,comdat
.Lfunc_end964:
	.size	_ZN7rocprim17ROCPRIM_400000_NS6detail17trampoline_kernelINS0_14default_configENS1_38merge_sort_block_merge_config_selectorIiiEEZZNS1_27merge_sort_block_merge_implIS3_N6thrust23THRUST_200600_302600_NS6detail15normal_iteratorINS8_10device_ptrIiEEEESD_jNS1_19radix_merge_compareILb1ELb1EiNS0_19identity_decomposerEEEEE10hipError_tT0_T1_T2_jT3_P12ihipStream_tbPNSt15iterator_traitsISI_E10value_typeEPNSO_ISJ_E10value_typeEPSK_NS1_7vsmem_tEENKUlT_SI_SJ_SK_E_clISD_PiSD_S10_EESH_SX_SI_SJ_SK_EUlSX_E_NS1_11comp_targetILNS1_3genE8ELNS1_11target_archE1030ELNS1_3gpuE2ELNS1_3repE0EEENS1_48merge_mergepath_partition_config_static_selectorELNS0_4arch9wavefront6targetE1EEEvSJ_, .Lfunc_end964-_ZN7rocprim17ROCPRIM_400000_NS6detail17trampoline_kernelINS0_14default_configENS1_38merge_sort_block_merge_config_selectorIiiEEZZNS1_27merge_sort_block_merge_implIS3_N6thrust23THRUST_200600_302600_NS6detail15normal_iteratorINS8_10device_ptrIiEEEESD_jNS1_19radix_merge_compareILb1ELb1EiNS0_19identity_decomposerEEEEE10hipError_tT0_T1_T2_jT3_P12ihipStream_tbPNSt15iterator_traitsISI_E10value_typeEPNSO_ISJ_E10value_typeEPSK_NS1_7vsmem_tEENKUlT_SI_SJ_SK_E_clISD_PiSD_S10_EESH_SX_SI_SJ_SK_EUlSX_E_NS1_11comp_targetILNS1_3genE8ELNS1_11target_archE1030ELNS1_3gpuE2ELNS1_3repE0EEENS1_48merge_mergepath_partition_config_static_selectorELNS0_4arch9wavefront6targetE1EEEvSJ_
                                        ; -- End function
	.set _ZN7rocprim17ROCPRIM_400000_NS6detail17trampoline_kernelINS0_14default_configENS1_38merge_sort_block_merge_config_selectorIiiEEZZNS1_27merge_sort_block_merge_implIS3_N6thrust23THRUST_200600_302600_NS6detail15normal_iteratorINS8_10device_ptrIiEEEESD_jNS1_19radix_merge_compareILb1ELb1EiNS0_19identity_decomposerEEEEE10hipError_tT0_T1_T2_jT3_P12ihipStream_tbPNSt15iterator_traitsISI_E10value_typeEPNSO_ISJ_E10value_typeEPSK_NS1_7vsmem_tEENKUlT_SI_SJ_SK_E_clISD_PiSD_S10_EESH_SX_SI_SJ_SK_EUlSX_E_NS1_11comp_targetILNS1_3genE8ELNS1_11target_archE1030ELNS1_3gpuE2ELNS1_3repE0EEENS1_48merge_mergepath_partition_config_static_selectorELNS0_4arch9wavefront6targetE1EEEvSJ_.num_vgpr, 0
	.set _ZN7rocprim17ROCPRIM_400000_NS6detail17trampoline_kernelINS0_14default_configENS1_38merge_sort_block_merge_config_selectorIiiEEZZNS1_27merge_sort_block_merge_implIS3_N6thrust23THRUST_200600_302600_NS6detail15normal_iteratorINS8_10device_ptrIiEEEESD_jNS1_19radix_merge_compareILb1ELb1EiNS0_19identity_decomposerEEEEE10hipError_tT0_T1_T2_jT3_P12ihipStream_tbPNSt15iterator_traitsISI_E10value_typeEPNSO_ISJ_E10value_typeEPSK_NS1_7vsmem_tEENKUlT_SI_SJ_SK_E_clISD_PiSD_S10_EESH_SX_SI_SJ_SK_EUlSX_E_NS1_11comp_targetILNS1_3genE8ELNS1_11target_archE1030ELNS1_3gpuE2ELNS1_3repE0EEENS1_48merge_mergepath_partition_config_static_selectorELNS0_4arch9wavefront6targetE1EEEvSJ_.num_agpr, 0
	.set _ZN7rocprim17ROCPRIM_400000_NS6detail17trampoline_kernelINS0_14default_configENS1_38merge_sort_block_merge_config_selectorIiiEEZZNS1_27merge_sort_block_merge_implIS3_N6thrust23THRUST_200600_302600_NS6detail15normal_iteratorINS8_10device_ptrIiEEEESD_jNS1_19radix_merge_compareILb1ELb1EiNS0_19identity_decomposerEEEEE10hipError_tT0_T1_T2_jT3_P12ihipStream_tbPNSt15iterator_traitsISI_E10value_typeEPNSO_ISJ_E10value_typeEPSK_NS1_7vsmem_tEENKUlT_SI_SJ_SK_E_clISD_PiSD_S10_EESH_SX_SI_SJ_SK_EUlSX_E_NS1_11comp_targetILNS1_3genE8ELNS1_11target_archE1030ELNS1_3gpuE2ELNS1_3repE0EEENS1_48merge_mergepath_partition_config_static_selectorELNS0_4arch9wavefront6targetE1EEEvSJ_.numbered_sgpr, 0
	.set _ZN7rocprim17ROCPRIM_400000_NS6detail17trampoline_kernelINS0_14default_configENS1_38merge_sort_block_merge_config_selectorIiiEEZZNS1_27merge_sort_block_merge_implIS3_N6thrust23THRUST_200600_302600_NS6detail15normal_iteratorINS8_10device_ptrIiEEEESD_jNS1_19radix_merge_compareILb1ELb1EiNS0_19identity_decomposerEEEEE10hipError_tT0_T1_T2_jT3_P12ihipStream_tbPNSt15iterator_traitsISI_E10value_typeEPNSO_ISJ_E10value_typeEPSK_NS1_7vsmem_tEENKUlT_SI_SJ_SK_E_clISD_PiSD_S10_EESH_SX_SI_SJ_SK_EUlSX_E_NS1_11comp_targetILNS1_3genE8ELNS1_11target_archE1030ELNS1_3gpuE2ELNS1_3repE0EEENS1_48merge_mergepath_partition_config_static_selectorELNS0_4arch9wavefront6targetE1EEEvSJ_.num_named_barrier, 0
	.set _ZN7rocprim17ROCPRIM_400000_NS6detail17trampoline_kernelINS0_14default_configENS1_38merge_sort_block_merge_config_selectorIiiEEZZNS1_27merge_sort_block_merge_implIS3_N6thrust23THRUST_200600_302600_NS6detail15normal_iteratorINS8_10device_ptrIiEEEESD_jNS1_19radix_merge_compareILb1ELb1EiNS0_19identity_decomposerEEEEE10hipError_tT0_T1_T2_jT3_P12ihipStream_tbPNSt15iterator_traitsISI_E10value_typeEPNSO_ISJ_E10value_typeEPSK_NS1_7vsmem_tEENKUlT_SI_SJ_SK_E_clISD_PiSD_S10_EESH_SX_SI_SJ_SK_EUlSX_E_NS1_11comp_targetILNS1_3genE8ELNS1_11target_archE1030ELNS1_3gpuE2ELNS1_3repE0EEENS1_48merge_mergepath_partition_config_static_selectorELNS0_4arch9wavefront6targetE1EEEvSJ_.private_seg_size, 0
	.set _ZN7rocprim17ROCPRIM_400000_NS6detail17trampoline_kernelINS0_14default_configENS1_38merge_sort_block_merge_config_selectorIiiEEZZNS1_27merge_sort_block_merge_implIS3_N6thrust23THRUST_200600_302600_NS6detail15normal_iteratorINS8_10device_ptrIiEEEESD_jNS1_19radix_merge_compareILb1ELb1EiNS0_19identity_decomposerEEEEE10hipError_tT0_T1_T2_jT3_P12ihipStream_tbPNSt15iterator_traitsISI_E10value_typeEPNSO_ISJ_E10value_typeEPSK_NS1_7vsmem_tEENKUlT_SI_SJ_SK_E_clISD_PiSD_S10_EESH_SX_SI_SJ_SK_EUlSX_E_NS1_11comp_targetILNS1_3genE8ELNS1_11target_archE1030ELNS1_3gpuE2ELNS1_3repE0EEENS1_48merge_mergepath_partition_config_static_selectorELNS0_4arch9wavefront6targetE1EEEvSJ_.uses_vcc, 0
	.set _ZN7rocprim17ROCPRIM_400000_NS6detail17trampoline_kernelINS0_14default_configENS1_38merge_sort_block_merge_config_selectorIiiEEZZNS1_27merge_sort_block_merge_implIS3_N6thrust23THRUST_200600_302600_NS6detail15normal_iteratorINS8_10device_ptrIiEEEESD_jNS1_19radix_merge_compareILb1ELb1EiNS0_19identity_decomposerEEEEE10hipError_tT0_T1_T2_jT3_P12ihipStream_tbPNSt15iterator_traitsISI_E10value_typeEPNSO_ISJ_E10value_typeEPSK_NS1_7vsmem_tEENKUlT_SI_SJ_SK_E_clISD_PiSD_S10_EESH_SX_SI_SJ_SK_EUlSX_E_NS1_11comp_targetILNS1_3genE8ELNS1_11target_archE1030ELNS1_3gpuE2ELNS1_3repE0EEENS1_48merge_mergepath_partition_config_static_selectorELNS0_4arch9wavefront6targetE1EEEvSJ_.uses_flat_scratch, 0
	.set _ZN7rocprim17ROCPRIM_400000_NS6detail17trampoline_kernelINS0_14default_configENS1_38merge_sort_block_merge_config_selectorIiiEEZZNS1_27merge_sort_block_merge_implIS3_N6thrust23THRUST_200600_302600_NS6detail15normal_iteratorINS8_10device_ptrIiEEEESD_jNS1_19radix_merge_compareILb1ELb1EiNS0_19identity_decomposerEEEEE10hipError_tT0_T1_T2_jT3_P12ihipStream_tbPNSt15iterator_traitsISI_E10value_typeEPNSO_ISJ_E10value_typeEPSK_NS1_7vsmem_tEENKUlT_SI_SJ_SK_E_clISD_PiSD_S10_EESH_SX_SI_SJ_SK_EUlSX_E_NS1_11comp_targetILNS1_3genE8ELNS1_11target_archE1030ELNS1_3gpuE2ELNS1_3repE0EEENS1_48merge_mergepath_partition_config_static_selectorELNS0_4arch9wavefront6targetE1EEEvSJ_.has_dyn_sized_stack, 0
	.set _ZN7rocprim17ROCPRIM_400000_NS6detail17trampoline_kernelINS0_14default_configENS1_38merge_sort_block_merge_config_selectorIiiEEZZNS1_27merge_sort_block_merge_implIS3_N6thrust23THRUST_200600_302600_NS6detail15normal_iteratorINS8_10device_ptrIiEEEESD_jNS1_19radix_merge_compareILb1ELb1EiNS0_19identity_decomposerEEEEE10hipError_tT0_T1_T2_jT3_P12ihipStream_tbPNSt15iterator_traitsISI_E10value_typeEPNSO_ISJ_E10value_typeEPSK_NS1_7vsmem_tEENKUlT_SI_SJ_SK_E_clISD_PiSD_S10_EESH_SX_SI_SJ_SK_EUlSX_E_NS1_11comp_targetILNS1_3genE8ELNS1_11target_archE1030ELNS1_3gpuE2ELNS1_3repE0EEENS1_48merge_mergepath_partition_config_static_selectorELNS0_4arch9wavefront6targetE1EEEvSJ_.has_recursion, 0
	.set _ZN7rocprim17ROCPRIM_400000_NS6detail17trampoline_kernelINS0_14default_configENS1_38merge_sort_block_merge_config_selectorIiiEEZZNS1_27merge_sort_block_merge_implIS3_N6thrust23THRUST_200600_302600_NS6detail15normal_iteratorINS8_10device_ptrIiEEEESD_jNS1_19radix_merge_compareILb1ELb1EiNS0_19identity_decomposerEEEEE10hipError_tT0_T1_T2_jT3_P12ihipStream_tbPNSt15iterator_traitsISI_E10value_typeEPNSO_ISJ_E10value_typeEPSK_NS1_7vsmem_tEENKUlT_SI_SJ_SK_E_clISD_PiSD_S10_EESH_SX_SI_SJ_SK_EUlSX_E_NS1_11comp_targetILNS1_3genE8ELNS1_11target_archE1030ELNS1_3gpuE2ELNS1_3repE0EEENS1_48merge_mergepath_partition_config_static_selectorELNS0_4arch9wavefront6targetE1EEEvSJ_.has_indirect_call, 0
	.section	.AMDGPU.csdata,"",@progbits
; Kernel info:
; codeLenInByte = 0
; TotalNumSgprs: 6
; NumVgprs: 0
; NumAgprs: 0
; TotalNumVgprs: 0
; ScratchSize: 0
; MemoryBound: 0
; FloatMode: 240
; IeeeMode: 1
; LDSByteSize: 0 bytes/workgroup (compile time only)
; SGPRBlocks: 0
; VGPRBlocks: 0
; NumSGPRsForWavesPerEU: 6
; NumVGPRsForWavesPerEU: 1
; AccumOffset: 4
; Occupancy: 8
; WaveLimiterHint : 0
; COMPUTE_PGM_RSRC2:SCRATCH_EN: 0
; COMPUTE_PGM_RSRC2:USER_SGPR: 2
; COMPUTE_PGM_RSRC2:TRAP_HANDLER: 0
; COMPUTE_PGM_RSRC2:TGID_X_EN: 1
; COMPUTE_PGM_RSRC2:TGID_Y_EN: 0
; COMPUTE_PGM_RSRC2:TGID_Z_EN: 0
; COMPUTE_PGM_RSRC2:TIDIG_COMP_CNT: 0
; COMPUTE_PGM_RSRC3_GFX90A:ACCUM_OFFSET: 0
; COMPUTE_PGM_RSRC3_GFX90A:TG_SPLIT: 0
	.section	.text._ZN7rocprim17ROCPRIM_400000_NS6detail17trampoline_kernelINS0_14default_configENS1_38merge_sort_block_merge_config_selectorIiiEEZZNS1_27merge_sort_block_merge_implIS3_N6thrust23THRUST_200600_302600_NS6detail15normal_iteratorINS8_10device_ptrIiEEEESD_jNS1_19radix_merge_compareILb1ELb1EiNS0_19identity_decomposerEEEEE10hipError_tT0_T1_T2_jT3_P12ihipStream_tbPNSt15iterator_traitsISI_E10value_typeEPNSO_ISJ_E10value_typeEPSK_NS1_7vsmem_tEENKUlT_SI_SJ_SK_E_clISD_PiSD_S10_EESH_SX_SI_SJ_SK_EUlSX_E0_NS1_11comp_targetILNS1_3genE0ELNS1_11target_archE4294967295ELNS1_3gpuE0ELNS1_3repE0EEENS1_38merge_mergepath_config_static_selectorELNS0_4arch9wavefront6targetE1EEEvSJ_,"axG",@progbits,_ZN7rocprim17ROCPRIM_400000_NS6detail17trampoline_kernelINS0_14default_configENS1_38merge_sort_block_merge_config_selectorIiiEEZZNS1_27merge_sort_block_merge_implIS3_N6thrust23THRUST_200600_302600_NS6detail15normal_iteratorINS8_10device_ptrIiEEEESD_jNS1_19radix_merge_compareILb1ELb1EiNS0_19identity_decomposerEEEEE10hipError_tT0_T1_T2_jT3_P12ihipStream_tbPNSt15iterator_traitsISI_E10value_typeEPNSO_ISJ_E10value_typeEPSK_NS1_7vsmem_tEENKUlT_SI_SJ_SK_E_clISD_PiSD_S10_EESH_SX_SI_SJ_SK_EUlSX_E0_NS1_11comp_targetILNS1_3genE0ELNS1_11target_archE4294967295ELNS1_3gpuE0ELNS1_3repE0EEENS1_38merge_mergepath_config_static_selectorELNS0_4arch9wavefront6targetE1EEEvSJ_,comdat
	.protected	_ZN7rocprim17ROCPRIM_400000_NS6detail17trampoline_kernelINS0_14default_configENS1_38merge_sort_block_merge_config_selectorIiiEEZZNS1_27merge_sort_block_merge_implIS3_N6thrust23THRUST_200600_302600_NS6detail15normal_iteratorINS8_10device_ptrIiEEEESD_jNS1_19radix_merge_compareILb1ELb1EiNS0_19identity_decomposerEEEEE10hipError_tT0_T1_T2_jT3_P12ihipStream_tbPNSt15iterator_traitsISI_E10value_typeEPNSO_ISJ_E10value_typeEPSK_NS1_7vsmem_tEENKUlT_SI_SJ_SK_E_clISD_PiSD_S10_EESH_SX_SI_SJ_SK_EUlSX_E0_NS1_11comp_targetILNS1_3genE0ELNS1_11target_archE4294967295ELNS1_3gpuE0ELNS1_3repE0EEENS1_38merge_mergepath_config_static_selectorELNS0_4arch9wavefront6targetE1EEEvSJ_ ; -- Begin function _ZN7rocprim17ROCPRIM_400000_NS6detail17trampoline_kernelINS0_14default_configENS1_38merge_sort_block_merge_config_selectorIiiEEZZNS1_27merge_sort_block_merge_implIS3_N6thrust23THRUST_200600_302600_NS6detail15normal_iteratorINS8_10device_ptrIiEEEESD_jNS1_19radix_merge_compareILb1ELb1EiNS0_19identity_decomposerEEEEE10hipError_tT0_T1_T2_jT3_P12ihipStream_tbPNSt15iterator_traitsISI_E10value_typeEPNSO_ISJ_E10value_typeEPSK_NS1_7vsmem_tEENKUlT_SI_SJ_SK_E_clISD_PiSD_S10_EESH_SX_SI_SJ_SK_EUlSX_E0_NS1_11comp_targetILNS1_3genE0ELNS1_11target_archE4294967295ELNS1_3gpuE0ELNS1_3repE0EEENS1_38merge_mergepath_config_static_selectorELNS0_4arch9wavefront6targetE1EEEvSJ_
	.globl	_ZN7rocprim17ROCPRIM_400000_NS6detail17trampoline_kernelINS0_14default_configENS1_38merge_sort_block_merge_config_selectorIiiEEZZNS1_27merge_sort_block_merge_implIS3_N6thrust23THRUST_200600_302600_NS6detail15normal_iteratorINS8_10device_ptrIiEEEESD_jNS1_19radix_merge_compareILb1ELb1EiNS0_19identity_decomposerEEEEE10hipError_tT0_T1_T2_jT3_P12ihipStream_tbPNSt15iterator_traitsISI_E10value_typeEPNSO_ISJ_E10value_typeEPSK_NS1_7vsmem_tEENKUlT_SI_SJ_SK_E_clISD_PiSD_S10_EESH_SX_SI_SJ_SK_EUlSX_E0_NS1_11comp_targetILNS1_3genE0ELNS1_11target_archE4294967295ELNS1_3gpuE0ELNS1_3repE0EEENS1_38merge_mergepath_config_static_selectorELNS0_4arch9wavefront6targetE1EEEvSJ_
	.p2align	8
	.type	_ZN7rocprim17ROCPRIM_400000_NS6detail17trampoline_kernelINS0_14default_configENS1_38merge_sort_block_merge_config_selectorIiiEEZZNS1_27merge_sort_block_merge_implIS3_N6thrust23THRUST_200600_302600_NS6detail15normal_iteratorINS8_10device_ptrIiEEEESD_jNS1_19radix_merge_compareILb1ELb1EiNS0_19identity_decomposerEEEEE10hipError_tT0_T1_T2_jT3_P12ihipStream_tbPNSt15iterator_traitsISI_E10value_typeEPNSO_ISJ_E10value_typeEPSK_NS1_7vsmem_tEENKUlT_SI_SJ_SK_E_clISD_PiSD_S10_EESH_SX_SI_SJ_SK_EUlSX_E0_NS1_11comp_targetILNS1_3genE0ELNS1_11target_archE4294967295ELNS1_3gpuE0ELNS1_3repE0EEENS1_38merge_mergepath_config_static_selectorELNS0_4arch9wavefront6targetE1EEEvSJ_,@function
_ZN7rocprim17ROCPRIM_400000_NS6detail17trampoline_kernelINS0_14default_configENS1_38merge_sort_block_merge_config_selectorIiiEEZZNS1_27merge_sort_block_merge_implIS3_N6thrust23THRUST_200600_302600_NS6detail15normal_iteratorINS8_10device_ptrIiEEEESD_jNS1_19radix_merge_compareILb1ELb1EiNS0_19identity_decomposerEEEEE10hipError_tT0_T1_T2_jT3_P12ihipStream_tbPNSt15iterator_traitsISI_E10value_typeEPNSO_ISJ_E10value_typeEPSK_NS1_7vsmem_tEENKUlT_SI_SJ_SK_E_clISD_PiSD_S10_EESH_SX_SI_SJ_SK_EUlSX_E0_NS1_11comp_targetILNS1_3genE0ELNS1_11target_archE4294967295ELNS1_3gpuE0ELNS1_3repE0EEENS1_38merge_mergepath_config_static_selectorELNS0_4arch9wavefront6targetE1EEEvSJ_: ; @_ZN7rocprim17ROCPRIM_400000_NS6detail17trampoline_kernelINS0_14default_configENS1_38merge_sort_block_merge_config_selectorIiiEEZZNS1_27merge_sort_block_merge_implIS3_N6thrust23THRUST_200600_302600_NS6detail15normal_iteratorINS8_10device_ptrIiEEEESD_jNS1_19radix_merge_compareILb1ELb1EiNS0_19identity_decomposerEEEEE10hipError_tT0_T1_T2_jT3_P12ihipStream_tbPNSt15iterator_traitsISI_E10value_typeEPNSO_ISJ_E10value_typeEPSK_NS1_7vsmem_tEENKUlT_SI_SJ_SK_E_clISD_PiSD_S10_EESH_SX_SI_SJ_SK_EUlSX_E0_NS1_11comp_targetILNS1_3genE0ELNS1_11target_archE4294967295ELNS1_3gpuE0ELNS1_3repE0EEENS1_38merge_mergepath_config_static_selectorELNS0_4arch9wavefront6targetE1EEEvSJ_
; %bb.0:
	s_load_dwordx2 s[28:29], s[0:1], 0x40
	s_load_dwordx2 s[16:17], s[0:1], 0x30
	s_add_u32 s24, s0, 64
	s_addc_u32 s25, s1, 0
	s_waitcnt lgkmcnt(0)
	s_mul_i32 s4, s29, s4
	s_add_i32 s3, s4, s3
	s_mul_i32 s3, s3, s28
	s_add_i32 s26, s3, s2
	s_cmp_ge_u32 s26, s16
	s_cbranch_scc1 .LBB965_46
; %bb.1:
	s_load_dwordx8 s[8:15], s[0:1], 0x10
	s_load_dwordx2 s[20:21], s[0:1], 0x8
	s_load_dwordx2 s[4:5], s[0:1], 0x38
	s_mov_b32 s27, 0
	s_mov_b32 s23, s27
	s_waitcnt lgkmcnt(0)
	s_lshr_b32 s30, s14, 10
	s_cmp_lg_u32 s26, s30
	s_cselect_b64 s[18:19], -1, 0
	s_lshl_b64 s[0:1], s[26:27], 2
	s_add_u32 s0, s4, s0
	s_addc_u32 s1, s5, s1
	s_load_dwordx2 s[4:5], s[0:1], 0x0
	s_lshr_b32 s0, s15, 9
	s_and_b32 s0, s0, 0x7ffffe
	s_sub_i32 s0, 0, s0
	s_and_b32 s1, s26, s0
	s_lshl_b32 s3, s1, 10
	s_lshl_b32 s16, s26, 10
	;; [unrolled: 1-line block ×3, first 2 shown]
	s_sub_i32 s6, s16, s3
	s_add_i32 s1, s1, s15
	s_add_i32 s6, s1, s6
	s_waitcnt lgkmcnt(0)
	s_sub_i32 s7, s6, s4
	s_sub_i32 s6, s6, s5
	;; [unrolled: 1-line block ×3, first 2 shown]
	s_min_u32 s22, s14, s7
	s_addk_i32 s6, 0x400
	s_or_b32 s0, s26, s0
	s_min_u32 s3, s14, s1
	s_add_i32 s1, s1, s15
	s_cmp_eq_u32 s0, -1
	s_cselect_b32 s0, s1, s6
	s_cselect_b32 s1, s3, s5
	s_mov_b32 s5, s27
	s_min_u32 s29, s0, s14
	s_sub_i32 s15, s1, s4
	s_lshl_b64 s[0:1], s[4:5], 2
	s_add_u32 s6, s20, s0
	s_addc_u32 s7, s21, s1
	s_lshl_b64 s[4:5], s[22:23], 2
	s_add_u32 s20, s20, s4
	s_addc_u32 s21, s21, s5
	s_cmp_lt_u32 s2, s28
	v_mov_b32_e32 v5, 0
	s_cselect_b32 s2, 12, 18
	global_load_dword v1, v5, s[24:25] offset:14
	s_add_u32 s2, s24, s2
	s_addc_u32 s3, s25, 0
	global_load_ushort v2, v5, s[2:3]
	s_cmp_eq_u32 s26, s30
	v_lshlrev_b32_e32 v10, 2, v0
	s_waitcnt vmcnt(1)
	v_lshrrev_b32_e32 v3, 16, v1
	v_and_b32_e32 v1, 0xffff, v1
	v_mul_lo_u32 v1, v1, v3
	s_waitcnt vmcnt(0)
	v_mul_lo_u32 v1, v1, v2
	v_add_u32_e32 v14, v1, v0
	v_add_u32_e32 v12, v14, v1
	s_cbranch_scc1 .LBB965_3
; %bb.2:
	v_mov_b32_e32 v11, v5
	v_subrev_co_u32_e32 v4, vcc, s15, v0
	v_lshl_add_u64 v[2:3], s[6:7], 0, v[10:11]
	v_lshl_add_u64 v[6:7], v[4:5], 2, s[20:21]
	v_cndmask_b32_e32 v3, v7, v3, vcc
	v_cndmask_b32_e32 v2, v6, v2, vcc
	v_mov_b32_e32 v15, v5
	v_subrev_co_u32_e32 v4, vcc, s15, v14
	v_lshl_add_u64 v[6:7], v[14:15], 2, s[6:7]
	v_lshl_add_u64 v[8:9], v[4:5], 2, s[20:21]
	v_cndmask_b32_e32 v7, v9, v7, vcc
	v_cndmask_b32_e32 v6, v8, v6, vcc
	v_mov_b32_e32 v13, v5
	v_subrev_co_u32_e32 v4, vcc, s15, v12
	global_load_dword v2, v[2:3], off
	v_lshl_add_u64 v[8:9], v[4:5], 2, s[20:21]
	global_load_dword v3, v[6:7], off
	v_lshl_add_u64 v[6:7], v[12:13], 2, s[6:7]
	v_cndmask_b32_e32 v7, v9, v7, vcc
	v_cndmask_b32_e32 v6, v8, v6, vcc
	global_load_dword v4, v[6:7], off
	v_add_u32_e32 v6, v12, v1
	s_mov_b64 s[2:3], -1
	s_sub_i32 s24, s29, s22
	s_cbranch_execz .LBB965_4
	s_branch .LBB965_9
.LBB965_3:
	s_mov_b64 s[2:3], 0
                                        ; implicit-def: $vgpr6
                                        ; implicit-def: $vgpr2_vgpr3_vgpr4_vgpr5
	s_sub_i32 s24, s29, s22
.LBB965_4:
	s_add_i32 s22, s24, s15
	s_waitcnt vmcnt(2)
	v_mov_b32_e32 v2, 0
	v_cmp_gt_u32_e32 vcc, s22, v0
	s_waitcnt vmcnt(1)
	v_mov_b32_e32 v3, v2
	s_waitcnt vmcnt(0)
	v_mov_b32_e32 v4, v2
	v_mov_b32_e32 v5, v2
	s_and_saveexec_b64 s[2:3], vcc
	s_cbranch_execnz .LBB965_47
; %bb.5:
	s_or_b64 exec, exec, s[2:3]
	v_cmp_gt_u32_e32 vcc, s22, v14
	s_and_saveexec_b64 s[2:3], vcc
	s_cbranch_execnz .LBB965_48
.LBB965_6:
	s_or_b64 exec, exec, s[2:3]
	v_cmp_gt_u32_e32 vcc, s22, v12
	s_and_saveexec_b64 s[2:3], vcc
	s_cbranch_execz .LBB965_8
.LBB965_7:
	v_mov_b32_e32 v13, 0
	v_subrev_co_u32_e32 v8, vcc, s15, v12
	v_mov_b32_e32 v9, v13
	v_lshl_add_u64 v[6:7], v[12:13], 2, s[6:7]
	v_lshl_add_u64 v[8:9], v[8:9], 2, s[20:21]
	v_cndmask_b32_e32 v7, v9, v7, vcc
	v_cndmask_b32_e32 v6, v8, v6, vcc
	global_load_dword v4, v[6:7], off
.LBB965_8:
	s_or_b64 exec, exec, s[2:3]
	v_add_u32_e32 v6, v12, v1
	v_cmp_gt_u32_e64 s[2:3], s22, v6
.LBB965_9:
	s_and_saveexec_b64 s[22:23], s[2:3]
	s_cbranch_execz .LBB965_11
; %bb.10:
	v_mov_b32_e32 v9, 0
	v_mov_b32_e32 v7, v9
	v_subrev_co_u32_e32 v8, vcc, s15, v6
	v_lshl_add_u64 v[16:17], v[6:7], 2, s[6:7]
	v_lshl_add_u64 v[6:7], v[8:9], 2, s[20:21]
	v_cndmask_b32_e32 v7, v7, v17, vcc
	v_cndmask_b32_e32 v6, v6, v16, vcc
	global_load_dword v5, v[6:7], off
.LBB965_11:
	s_or_b64 exec, exec, s[22:23]
	s_add_u32 s0, s10, s0
	s_addc_u32 s1, s11, s1
	s_add_u32 s2, s10, s4
	v_mov_b32_e32 v9, 0
	s_addc_u32 s3, s11, s5
	s_andn2_b64 vcc, exec, s[18:19]
	s_waitcnt vmcnt(0)
	ds_write2st64_b32 v10, v2, v3 offset1:4
	ds_write2st64_b32 v10, v4, v5 offset0:8 offset1:12
	s_cbranch_vccnz .LBB965_13
; %bb.12:
	v_mov_b32_e32 v11, v9
	v_subrev_co_u32_e32 v8, vcc, s15, v0
	v_lshl_add_u64 v[6:7], s[0:1], 0, v[10:11]
	v_lshl_add_u64 v[16:17], v[8:9], 2, s[2:3]
	v_cndmask_b32_e32 v7, v17, v7, vcc
	v_cndmask_b32_e32 v6, v16, v6, vcc
	v_mov_b32_e32 v15, v9
	v_subrev_co_u32_e32 v8, vcc, s15, v14
	v_lshl_add_u64 v[16:17], v[14:15], 2, s[0:1]
	v_lshl_add_u64 v[18:19], v[8:9], 2, s[2:3]
	v_cndmask_b32_e32 v17, v19, v17, vcc
	v_cndmask_b32_e32 v16, v18, v16, vcc
	v_mov_b32_e32 v13, v9
	v_subrev_co_u32_e32 v8, vcc, s15, v12
	global_load_dword v6, v[6:7], off
	v_lshl_add_u64 v[18:19], v[8:9], 2, s[2:3]
	global_load_dword v7, v[16:17], off
	v_lshl_add_u64 v[16:17], v[12:13], 2, s[0:1]
	v_cndmask_b32_e32 v17, v19, v17, vcc
	v_cndmask_b32_e32 v16, v18, v16, vcc
	global_load_dword v8, v[16:17], off
	s_add_i32 s10, s24, s15
	v_add_u32_e32 v16, v12, v1
	s_mov_b64 s[4:5], -1
	v_mov_b32_e32 v11, s10
	s_cbranch_execz .LBB965_14
	s_branch .LBB965_19
.LBB965_13:
	s_mov_b64 s[4:5], 0
                                        ; implicit-def: $vgpr16
                                        ; implicit-def: $vgpr6_vgpr7_vgpr8_vgpr9
                                        ; implicit-def: $vgpr11
.LBB965_14:
	s_add_i32 s6, s24, s15
	s_waitcnt vmcnt(2)
	v_mov_b32_e32 v6, 0
	v_cmp_gt_u32_e32 vcc, s6, v0
	s_waitcnt vmcnt(1)
	v_mov_b32_e32 v7, v6
	s_waitcnt vmcnt(0)
	v_mov_b32_e32 v8, v6
	v_mov_b32_e32 v9, v6
	s_and_saveexec_b64 s[4:5], vcc
	s_cbranch_execnz .LBB965_49
; %bb.15:
	s_or_b64 exec, exec, s[4:5]
	v_cmp_gt_u32_e32 vcc, s6, v14
	s_and_saveexec_b64 s[4:5], vcc
	s_cbranch_execnz .LBB965_50
.LBB965_16:
	s_or_b64 exec, exec, s[4:5]
	v_cmp_gt_u32_e32 vcc, s6, v12
	s_and_saveexec_b64 s[4:5], vcc
	s_cbranch_execz .LBB965_18
.LBB965_17:
	v_mov_b32_e32 v13, 0
	v_subrev_co_u32_e32 v16, vcc, s15, v12
	v_mov_b32_e32 v17, v13
	v_lshl_add_u64 v[14:15], v[12:13], 2, s[0:1]
	v_lshl_add_u64 v[16:17], v[16:17], 2, s[2:3]
	v_cndmask_b32_e32 v15, v17, v15, vcc
	v_cndmask_b32_e32 v14, v16, v14, vcc
	global_load_dword v8, v[14:15], off
.LBB965_18:
	s_or_b64 exec, exec, s[4:5]
	v_add_u32_e32 v16, v12, v1
	v_cmp_gt_u32_e64 s[4:5], s6, v16
	v_mov_b32_e32 v11, s6
.LBB965_19:
	s_and_saveexec_b64 s[6:7], s[4:5]
	s_cbranch_execz .LBB965_21
; %bb.20:
	v_mov_b32_e32 v13, 0
	v_mov_b32_e32 v17, v13
	v_subrev_co_u32_e32 v12, vcc, s15, v16
	v_lshl_add_u64 v[14:15], v[16:17], 2, s[0:1]
	v_lshl_add_u64 v[12:13], v[12:13], 2, s[2:3]
	v_cndmask_b32_e32 v13, v13, v15, vcc
	v_cndmask_b32_e32 v12, v12, v14, vcc
	global_load_dword v9, v[12:13], off
.LBB965_21:
	s_or_b64 exec, exec, s[6:7]
	v_min_u32_e32 v12, v11, v10
	v_sub_u32_e64 v1, v12, s24 clamp
	v_min_u32_e32 v13, s15, v12
	v_cmp_lt_u32_e32 vcc, v1, v13
	s_waitcnt lgkmcnt(0)
	s_barrier
	s_and_saveexec_b64 s[0:1], vcc
	s_cbranch_execz .LBB965_25
; %bb.22:
	v_lshlrev_b32_e32 v14, 2, v12
	v_lshl_add_u32 v14, s15, 2, v14
	s_mov_b64 s[2:3], 0
.LBB965_23:                             ; =>This Inner Loop Header: Depth=1
	v_add_u32_e32 v15, v13, v1
	v_lshrrev_b32_e32 v15, 1, v15
	v_not_b32_e32 v16, v15
	v_lshlrev_b32_e32 v17, 2, v15
	v_lshl_add_u32 v16, v16, 2, v14
	ds_read_b32 v17, v17
	ds_read_b32 v16, v16
	v_add_u32_e32 v18, 1, v15
	s_waitcnt lgkmcnt(1)
	v_and_b32_e32 v17, s17, v17
	s_waitcnt lgkmcnt(0)
	v_and_b32_e32 v16, s17, v16
	v_cmp_gt_i32_e32 vcc, v16, v17
	s_nop 1
	v_cndmask_b32_e32 v13, v13, v15, vcc
	v_cndmask_b32_e32 v1, v18, v1, vcc
	v_cmp_ge_u32_e32 vcc, v1, v13
	s_or_b64 s[2:3], vcc, s[2:3]
	s_andn2_b64 exec, exec, s[2:3]
	s_cbranch_execnz .LBB965_23
; %bb.24:
	s_or_b64 exec, exec, s[2:3]
.LBB965_25:
	s_or_b64 exec, exec, s[0:1]
	v_sub_u32_e32 v12, v12, v1
	v_add_u32_e32 v15, s15, v12
	v_cmp_ge_u32_e32 vcc, s15, v1
	v_cmp_le_u32_e64 s[0:1], v15, v11
	s_or_b64 s[0:1], vcc, s[0:1]
	v_mov_b32_e32 v16, 0
	v_mov_b32_e32 v14, 0
	;; [unrolled: 1-line block ×4, first 2 shown]
	s_and_saveexec_b64 s[10:11], s[0:1]
	s_cbranch_execz .LBB965_31
; %bb.26:
	v_cmp_gt_u32_e32 vcc, s15, v1
                                        ; implicit-def: $vgpr2
	s_and_saveexec_b64 s[0:1], vcc
; %bb.27:
	v_lshlrev_b32_e32 v2, 2, v1
	ds_read_b32 v2, v2
; %bb.28:
	s_or_b64 exec, exec, s[0:1]
	v_cmp_ge_u32_e64 s[0:1], v15, v11
	v_cmp_lt_u32_e64 s[2:3], v15, v11
                                        ; implicit-def: $vgpr3
	s_and_saveexec_b64 s[4:5], s[2:3]
; %bb.29:
	v_lshlrev_b32_e32 v3, 2, v15
	ds_read_b32 v3, v3
; %bb.30:
	s_or_b64 exec, exec, s[4:5]
	s_waitcnt lgkmcnt(0)
	v_and_b32_e32 v4, s17, v3
	v_and_b32_e32 v5, s17, v2
	v_cmp_le_i32_e64 s[2:3], v4, v5
	s_and_b64 s[2:3], vcc, s[2:3]
	s_or_b64 vcc, s[0:1], s[2:3]
	v_mov_b32_e32 v4, s15
	v_cndmask_b32_e32 v12, v15, v1, vcc
	v_cndmask_b32_e32 v5, v11, v4, vcc
	v_add_u32_e32 v13, 1, v12
	v_add_u32_e32 v5, -1, v5
	v_min_u32_e32 v5, v13, v5
	v_lshlrev_b32_e32 v5, 2, v5
	ds_read_b32 v5, v5
	v_cndmask_b32_e32 v14, v13, v15, vcc
	v_cndmask_b32_e32 v1, v1, v13, vcc
	v_cmp_gt_u32_e64 s[2:3], s15, v1
	v_cmp_ge_u32_e64 s[0:1], v14, v11
	s_waitcnt lgkmcnt(0)
	v_cndmask_b32_e32 v16, v5, v3, vcc
	v_cndmask_b32_e32 v5, v2, v5, vcc
	v_and_b32_e32 v13, s17, v16
	v_and_b32_e32 v15, s17, v5
	v_cmp_le_i32_e64 s[4:5], v13, v15
	s_and_b64 s[2:3], s[2:3], s[4:5]
	s_or_b64 s[0:1], s[0:1], s[2:3]
	v_cndmask_b32_e64 v13, v14, v1, s[0:1]
	v_cndmask_b32_e64 v15, v11, v4, s[0:1]
	v_add_u32_e32 v17, 1, v13
	v_add_u32_e32 v15, -1, v15
	v_min_u32_e32 v15, v17, v15
	v_lshlrev_b32_e32 v15, 2, v15
	ds_read_b32 v15, v15
	v_cndmask_b32_e64 v19, v17, v14, s[0:1]
	v_cndmask_b32_e64 v1, v1, v17, s[0:1]
	v_cmp_gt_u32_e64 s[4:5], s15, v1
	v_cmp_ge_u32_e64 s[2:3], v19, v11
	s_waitcnt lgkmcnt(0)
	v_cndmask_b32_e64 v18, v15, v16, s[0:1]
	v_cndmask_b32_e64 v15, v5, v15, s[0:1]
	v_and_b32_e32 v14, s17, v18
	v_and_b32_e32 v17, s17, v15
	v_cmp_le_i32_e64 s[6:7], v14, v17
	s_and_b64 s[4:5], s[4:5], s[6:7]
	s_or_b64 s[2:3], s[2:3], s[4:5]
	v_cndmask_b32_e64 v14, v19, v1, s[2:3]
	v_cndmask_b32_e64 v4, v11, v4, s[2:3]
	v_add_u32_e32 v17, 1, v14
	v_add_u32_e32 v4, -1, v4
	v_min_u32_e32 v4, v17, v4
	v_lshlrev_b32_e32 v4, 2, v4
	ds_read_b32 v20, v4
	v_cndmask_b32_e32 v2, v3, v2, vcc
	v_cndmask_b32_e64 v3, v16, v5, s[0:1]
	v_cndmask_b32_e64 v4, v18, v15, s[2:3]
	;; [unrolled: 1-line block ×3, first 2 shown]
	s_waitcnt lgkmcnt(0)
	v_cndmask_b32_e64 v5, v20, v18, s[2:3]
	v_cndmask_b32_e64 v15, v15, v20, s[2:3]
	;; [unrolled: 1-line block ×3, first 2 shown]
	v_cmp_ge_u32_e32 vcc, v16, v11
	v_and_b32_e32 v11, s17, v5
	v_and_b32_e32 v17, s17, v15
	v_cmp_gt_u32_e64 s[0:1], s15, v1
	v_cmp_le_i32_e64 s[2:3], v11, v17
	s_and_b64 s[0:1], s[0:1], s[2:3]
	s_or_b64 vcc, vcc, s[0:1]
	v_cndmask_b32_e32 v16, v16, v1, vcc
	v_cndmask_b32_e32 v5, v5, v15, vcc
.LBB965_31:
	s_or_b64 exec, exec, s[10:11]
	s_barrier
	s_waitcnt vmcnt(0)
	ds_write2st64_b32 v10, v6, v7 offset1:4
	ds_write2st64_b32 v10, v8, v9 offset0:8 offset1:12
	v_lshrrev_b32_e32 v11, 3, v0
	v_lshlrev_b32_e32 v9, 2, v10
	v_lshlrev_b32_e32 v1, 2, v12
	;; [unrolled: 1-line block ×5, first 2 shown]
	v_lshl_add_u32 v9, v11, 2, v9
	s_waitcnt lgkmcnt(0)
	s_barrier
	ds_read_b32 v1, v1
	ds_read_b32 v6, v6
	;; [unrolled: 1-line block ×4, first 2 shown]
	s_waitcnt lgkmcnt(0)
	s_barrier
	s_barrier
	ds_write2_b32 v9, v2, v3 offset1:1
	ds_write2_b32 v9, v4, v5 offset0:2 offset1:3
	v_and_b32_e32 v2, 28, v11
	v_or_b32_e32 v16, 0x100, v0
	v_add_u32_e32 v4, v2, v10
	v_lshrrev_b32_e32 v2, 3, v16
	v_and_b32_e32 v2, 60, v2
	v_or_b32_e32 v15, 0x200, v0
	s_mov_b32 s17, 0
	v_add_u32_e32 v5, v2, v10
	v_lshrrev_b32_e32 v2, 3, v15
	s_lshl_b64 s[4:5], s[16:17], 2
	v_and_b32_e32 v2, 0x5c, v2
	v_or_b32_e32 v14, 0x300, v0
	s_add_u32 s0, s8, s4
	v_add_u32_e32 v12, v2, v10
	v_lshrrev_b32_e32 v2, 3, v14
	s_addc_u32 s1, s9, s5
	v_and_b32_e32 v2, 0x7c, v2
	v_mov_b32_e32 v11, 0
	v_add_u32_e32 v13, v2, v10
	v_lshl_add_u64 v[2:3], s[0:1], 0, v[10:11]
	s_and_b64 vcc, exec, s[18:19]
	s_waitcnt lgkmcnt(0)
	s_cbranch_vccz .LBB965_33
; %bb.32:
	s_barrier
	ds_read_b32 v11, v4
	ds_read_b32 v17, v5 offset:1024
	ds_read_b32 v18, v12 offset:2048
	;; [unrolled: 1-line block ×3, first 2 shown]
	s_add_u32 s0, s12, s4
	s_addc_u32 s1, s13, s5
	s_waitcnt lgkmcnt(3)
	global_store_dword v[2:3], v11, off
	s_waitcnt lgkmcnt(2)
	global_store_dword v[2:3], v17, off offset:1024
	s_waitcnt lgkmcnt(1)
	global_store_dword v[2:3], v18, off offset:2048
	;; [unrolled: 2-line block ×3, first 2 shown]
	s_barrier
	ds_write2_b32 v9, v1, v6 offset1:1
	ds_write2_b32 v9, v7, v8 offset0:2 offset1:3
	s_waitcnt lgkmcnt(0)
	s_barrier
	ds_read_b32 v11, v4
	ds_read_b32 v18, v5 offset:1024
	ds_read_b32 v19, v12 offset:2048
	ds_read_b32 v17, v13 offset:3072
	s_waitcnt lgkmcnt(3)
	global_store_dword v10, v11, s[0:1]
	s_waitcnt lgkmcnt(2)
	global_store_dword v10, v18, s[0:1] offset:1024
	s_waitcnt lgkmcnt(1)
	global_store_dword v10, v19, s[0:1] offset:2048
	s_mov_b64 s[6:7], -1
	s_cbranch_execz .LBB965_34
	s_branch .LBB965_44
.LBB965_33:
	s_mov_b64 s[6:7], 0
                                        ; implicit-def: $vgpr17
.LBB965_34:
	s_barrier
	s_waitcnt lgkmcnt(0)
	ds_read_b32 v18, v5 offset:1024
	ds_read_b32 v17, v12 offset:2048
	;; [unrolled: 1-line block ×3, first 2 shown]
	s_sub_i32 s8, s14, s16
	v_cmp_gt_u32_e32 vcc, s8, v0
	s_and_saveexec_b64 s[0:1], vcc
	s_cbranch_execnz .LBB965_51
; %bb.35:
	s_or_b64 exec, exec, s[0:1]
	v_cmp_gt_u32_e64 s[0:1], s8, v16
	s_and_saveexec_b64 s[2:3], s[0:1]
	s_cbranch_execnz .LBB965_52
.LBB965_36:
	s_or_b64 exec, exec, s[2:3]
	v_cmp_gt_u32_e64 s[2:3], s8, v15
	s_and_saveexec_b64 s[6:7], s[2:3]
	s_cbranch_execnz .LBB965_53
.LBB965_37:
	s_or_b64 exec, exec, s[6:7]
	v_cmp_gt_u32_e64 s[6:7], s8, v14
	s_and_saveexec_b64 s[8:9], s[6:7]
	s_cbranch_execz .LBB965_39
.LBB965_38:
	s_waitcnt lgkmcnt(0)
	global_store_dword v[2:3], v11, off offset:3072
.LBB965_39:
	s_or_b64 exec, exec, s[8:9]
	s_waitcnt lgkmcnt(0)
	s_barrier
	ds_write2_b32 v9, v1, v6 offset1:1
	ds_write2_b32 v9, v7, v8 offset0:2 offset1:3
	s_waitcnt lgkmcnt(0)
	s_barrier
	ds_read_b32 v3, v5 offset:1024
	ds_read_b32 v2, v12 offset:2048
	;; [unrolled: 1-line block ×3, first 2 shown]
	s_add_u32 s8, s12, s4
	s_addc_u32 s9, s13, s5
	v_mov_b32_e32 v11, 0
	v_lshl_add_u64 v[0:1], s[8:9], 0, v[10:11]
	s_and_saveexec_b64 s[8:9], vcc
	s_cbranch_execnz .LBB965_54
; %bb.40:
	s_or_b64 exec, exec, s[8:9]
	s_and_saveexec_b64 s[8:9], s[0:1]
	s_cbranch_execnz .LBB965_55
.LBB965_41:
	s_or_b64 exec, exec, s[8:9]
	s_and_saveexec_b64 s[0:1], s[2:3]
	s_cbranch_execz .LBB965_43
.LBB965_42:
	s_waitcnt lgkmcnt(1)
	global_store_dword v[0:1], v2, off offset:2048
.LBB965_43:
	s_or_b64 exec, exec, s[0:1]
.LBB965_44:
	s_and_saveexec_b64 s[0:1], s[6:7]
	s_cbranch_execz .LBB965_46
; %bb.45:
	s_add_u32 s0, s12, s4
	s_addc_u32 s1, s13, s5
	s_waitcnt lgkmcnt(0)
	global_store_dword v10, v17, s[0:1] offset:3072
.LBB965_46:
	s_endpgm
.LBB965_47:
	v_mov_b32_e32 v11, v2
	v_subrev_co_u32_e32 v6, vcc, s15, v0
	v_mov_b32_e32 v7, v2
	v_lshl_add_u64 v[4:5], s[6:7], 0, v[10:11]
	v_lshl_add_u64 v[6:7], v[6:7], 2, s[20:21]
	v_cndmask_b32_e32 v5, v7, v5, vcc
	v_cndmask_b32_e32 v4, v6, v4, vcc
	global_load_dword v4, v[4:5], off
	v_mov_b32_e32 v5, v2
	v_mov_b32_e32 v6, v2
	;; [unrolled: 1-line block ×3, first 2 shown]
	s_waitcnt vmcnt(0)
	v_mov_b64_e32 v[2:3], v[4:5]
	v_mov_b64_e32 v[4:5], v[6:7]
	s_or_b64 exec, exec, s[2:3]
	v_cmp_gt_u32_e32 vcc, s22, v14
	s_and_saveexec_b64 s[2:3], vcc
	s_cbranch_execz .LBB965_6
.LBB965_48:
	v_mov_b32_e32 v15, 0
	v_subrev_co_u32_e32 v8, vcc, s15, v14
	v_mov_b32_e32 v9, v15
	v_lshl_add_u64 v[6:7], v[14:15], 2, s[6:7]
	v_lshl_add_u64 v[8:9], v[8:9], 2, s[20:21]
	v_cndmask_b32_e32 v7, v9, v7, vcc
	v_cndmask_b32_e32 v6, v8, v6, vcc
	global_load_dword v3, v[6:7], off
	s_or_b64 exec, exec, s[2:3]
	v_cmp_gt_u32_e32 vcc, s22, v12
	s_and_saveexec_b64 s[2:3], vcc
	s_cbranch_execnz .LBB965_7
	s_branch .LBB965_8
.LBB965_49:
	v_mov_b32_e32 v11, v6
	v_subrev_co_u32_e32 v16, vcc, s15, v0
	v_mov_b32_e32 v17, v6
	v_lshl_add_u64 v[8:9], s[0:1], 0, v[10:11]
	v_lshl_add_u64 v[16:17], v[16:17], 2, s[2:3]
	v_cndmask_b32_e32 v9, v17, v9, vcc
	v_cndmask_b32_e32 v8, v16, v8, vcc
	global_load_dword v16, v[8:9], off
	v_mov_b32_e32 v17, v6
	v_mov_b32_e32 v18, v6
	;; [unrolled: 1-line block ×3, first 2 shown]
	s_waitcnt vmcnt(0)
	v_mov_b64_e32 v[6:7], v[16:17]
	v_mov_b64_e32 v[8:9], v[18:19]
	s_or_b64 exec, exec, s[4:5]
	v_cmp_gt_u32_e32 vcc, s6, v14
	s_and_saveexec_b64 s[4:5], vcc
	s_cbranch_execz .LBB965_16
.LBB965_50:
	v_mov_b32_e32 v15, 0
	v_lshl_add_u64 v[16:17], v[14:15], 2, s[0:1]
	v_subrev_co_u32_e32 v14, vcc, s15, v14
	v_lshl_add_u64 v[14:15], v[14:15], 2, s[2:3]
	s_nop 0
	v_cndmask_b32_e32 v15, v15, v17, vcc
	v_cndmask_b32_e32 v14, v14, v16, vcc
	global_load_dword v7, v[14:15], off
	s_or_b64 exec, exec, s[4:5]
	v_cmp_gt_u32_e32 vcc, s6, v12
	s_and_saveexec_b64 s[4:5], vcc
	s_cbranch_execnz .LBB965_17
	s_branch .LBB965_18
.LBB965_51:
	ds_read_b32 v0, v4
	s_waitcnt lgkmcnt(0)
	global_store_dword v[2:3], v0, off
	s_or_b64 exec, exec, s[0:1]
	v_cmp_gt_u32_e64 s[0:1], s8, v16
	s_and_saveexec_b64 s[2:3], s[0:1]
	s_cbranch_execz .LBB965_36
.LBB965_52:
	s_waitcnt lgkmcnt(2)
	global_store_dword v[2:3], v18, off offset:1024
	s_or_b64 exec, exec, s[2:3]
	v_cmp_gt_u32_e64 s[2:3], s8, v15
	s_and_saveexec_b64 s[6:7], s[2:3]
	s_cbranch_execz .LBB965_37
.LBB965_53:
	s_waitcnt lgkmcnt(1)
	global_store_dword v[2:3], v17, off offset:2048
	s_or_b64 exec, exec, s[6:7]
	v_cmp_gt_u32_e64 s[6:7], s8, v14
	s_and_saveexec_b64 s[8:9], s[6:7]
	s_cbranch_execnz .LBB965_38
	s_branch .LBB965_39
.LBB965_54:
	ds_read_b32 v4, v4
	s_waitcnt lgkmcnt(0)
	global_store_dword v[0:1], v4, off
	s_or_b64 exec, exec, s[8:9]
	s_and_saveexec_b64 s[8:9], s[0:1]
	s_cbranch_execz .LBB965_41
.LBB965_55:
	s_waitcnt lgkmcnt(2)
	global_store_dword v[0:1], v3, off offset:1024
	s_or_b64 exec, exec, s[8:9]
	s_and_saveexec_b64 s[0:1], s[2:3]
	s_cbranch_execnz .LBB965_42
	s_branch .LBB965_43
	.section	.rodata,"a",@progbits
	.p2align	6, 0x0
	.amdhsa_kernel _ZN7rocprim17ROCPRIM_400000_NS6detail17trampoline_kernelINS0_14default_configENS1_38merge_sort_block_merge_config_selectorIiiEEZZNS1_27merge_sort_block_merge_implIS3_N6thrust23THRUST_200600_302600_NS6detail15normal_iteratorINS8_10device_ptrIiEEEESD_jNS1_19radix_merge_compareILb1ELb1EiNS0_19identity_decomposerEEEEE10hipError_tT0_T1_T2_jT3_P12ihipStream_tbPNSt15iterator_traitsISI_E10value_typeEPNSO_ISJ_E10value_typeEPSK_NS1_7vsmem_tEENKUlT_SI_SJ_SK_E_clISD_PiSD_S10_EESH_SX_SI_SJ_SK_EUlSX_E0_NS1_11comp_targetILNS1_3genE0ELNS1_11target_archE4294967295ELNS1_3gpuE0ELNS1_3repE0EEENS1_38merge_mergepath_config_static_selectorELNS0_4arch9wavefront6targetE1EEEvSJ_
		.amdhsa_group_segment_fixed_size 4224
		.amdhsa_private_segment_fixed_size 0
		.amdhsa_kernarg_size 320
		.amdhsa_user_sgpr_count 2
		.amdhsa_user_sgpr_dispatch_ptr 0
		.amdhsa_user_sgpr_queue_ptr 0
		.amdhsa_user_sgpr_kernarg_segment_ptr 1
		.amdhsa_user_sgpr_dispatch_id 0
		.amdhsa_user_sgpr_kernarg_preload_length 0
		.amdhsa_user_sgpr_kernarg_preload_offset 0
		.amdhsa_user_sgpr_private_segment_size 0
		.amdhsa_uses_dynamic_stack 0
		.amdhsa_enable_private_segment 0
		.amdhsa_system_sgpr_workgroup_id_x 1
		.amdhsa_system_sgpr_workgroup_id_y 1
		.amdhsa_system_sgpr_workgroup_id_z 1
		.amdhsa_system_sgpr_workgroup_info 0
		.amdhsa_system_vgpr_workitem_id 0
		.amdhsa_next_free_vgpr 21
		.amdhsa_next_free_sgpr 31
		.amdhsa_accum_offset 24
		.amdhsa_reserve_vcc 1
		.amdhsa_float_round_mode_32 0
		.amdhsa_float_round_mode_16_64 0
		.amdhsa_float_denorm_mode_32 3
		.amdhsa_float_denorm_mode_16_64 3
		.amdhsa_dx10_clamp 1
		.amdhsa_ieee_mode 1
		.amdhsa_fp16_overflow 0
		.amdhsa_tg_split 0
		.amdhsa_exception_fp_ieee_invalid_op 0
		.amdhsa_exception_fp_denorm_src 0
		.amdhsa_exception_fp_ieee_div_zero 0
		.amdhsa_exception_fp_ieee_overflow 0
		.amdhsa_exception_fp_ieee_underflow 0
		.amdhsa_exception_fp_ieee_inexact 0
		.amdhsa_exception_int_div_zero 0
	.end_amdhsa_kernel
	.section	.text._ZN7rocprim17ROCPRIM_400000_NS6detail17trampoline_kernelINS0_14default_configENS1_38merge_sort_block_merge_config_selectorIiiEEZZNS1_27merge_sort_block_merge_implIS3_N6thrust23THRUST_200600_302600_NS6detail15normal_iteratorINS8_10device_ptrIiEEEESD_jNS1_19radix_merge_compareILb1ELb1EiNS0_19identity_decomposerEEEEE10hipError_tT0_T1_T2_jT3_P12ihipStream_tbPNSt15iterator_traitsISI_E10value_typeEPNSO_ISJ_E10value_typeEPSK_NS1_7vsmem_tEENKUlT_SI_SJ_SK_E_clISD_PiSD_S10_EESH_SX_SI_SJ_SK_EUlSX_E0_NS1_11comp_targetILNS1_3genE0ELNS1_11target_archE4294967295ELNS1_3gpuE0ELNS1_3repE0EEENS1_38merge_mergepath_config_static_selectorELNS0_4arch9wavefront6targetE1EEEvSJ_,"axG",@progbits,_ZN7rocprim17ROCPRIM_400000_NS6detail17trampoline_kernelINS0_14default_configENS1_38merge_sort_block_merge_config_selectorIiiEEZZNS1_27merge_sort_block_merge_implIS3_N6thrust23THRUST_200600_302600_NS6detail15normal_iteratorINS8_10device_ptrIiEEEESD_jNS1_19radix_merge_compareILb1ELb1EiNS0_19identity_decomposerEEEEE10hipError_tT0_T1_T2_jT3_P12ihipStream_tbPNSt15iterator_traitsISI_E10value_typeEPNSO_ISJ_E10value_typeEPSK_NS1_7vsmem_tEENKUlT_SI_SJ_SK_E_clISD_PiSD_S10_EESH_SX_SI_SJ_SK_EUlSX_E0_NS1_11comp_targetILNS1_3genE0ELNS1_11target_archE4294967295ELNS1_3gpuE0ELNS1_3repE0EEENS1_38merge_mergepath_config_static_selectorELNS0_4arch9wavefront6targetE1EEEvSJ_,comdat
.Lfunc_end965:
	.size	_ZN7rocprim17ROCPRIM_400000_NS6detail17trampoline_kernelINS0_14default_configENS1_38merge_sort_block_merge_config_selectorIiiEEZZNS1_27merge_sort_block_merge_implIS3_N6thrust23THRUST_200600_302600_NS6detail15normal_iteratorINS8_10device_ptrIiEEEESD_jNS1_19radix_merge_compareILb1ELb1EiNS0_19identity_decomposerEEEEE10hipError_tT0_T1_T2_jT3_P12ihipStream_tbPNSt15iterator_traitsISI_E10value_typeEPNSO_ISJ_E10value_typeEPSK_NS1_7vsmem_tEENKUlT_SI_SJ_SK_E_clISD_PiSD_S10_EESH_SX_SI_SJ_SK_EUlSX_E0_NS1_11comp_targetILNS1_3genE0ELNS1_11target_archE4294967295ELNS1_3gpuE0ELNS1_3repE0EEENS1_38merge_mergepath_config_static_selectorELNS0_4arch9wavefront6targetE1EEEvSJ_, .Lfunc_end965-_ZN7rocprim17ROCPRIM_400000_NS6detail17trampoline_kernelINS0_14default_configENS1_38merge_sort_block_merge_config_selectorIiiEEZZNS1_27merge_sort_block_merge_implIS3_N6thrust23THRUST_200600_302600_NS6detail15normal_iteratorINS8_10device_ptrIiEEEESD_jNS1_19radix_merge_compareILb1ELb1EiNS0_19identity_decomposerEEEEE10hipError_tT0_T1_T2_jT3_P12ihipStream_tbPNSt15iterator_traitsISI_E10value_typeEPNSO_ISJ_E10value_typeEPSK_NS1_7vsmem_tEENKUlT_SI_SJ_SK_E_clISD_PiSD_S10_EESH_SX_SI_SJ_SK_EUlSX_E0_NS1_11comp_targetILNS1_3genE0ELNS1_11target_archE4294967295ELNS1_3gpuE0ELNS1_3repE0EEENS1_38merge_mergepath_config_static_selectorELNS0_4arch9wavefront6targetE1EEEvSJ_
                                        ; -- End function
	.set _ZN7rocprim17ROCPRIM_400000_NS6detail17trampoline_kernelINS0_14default_configENS1_38merge_sort_block_merge_config_selectorIiiEEZZNS1_27merge_sort_block_merge_implIS3_N6thrust23THRUST_200600_302600_NS6detail15normal_iteratorINS8_10device_ptrIiEEEESD_jNS1_19radix_merge_compareILb1ELb1EiNS0_19identity_decomposerEEEEE10hipError_tT0_T1_T2_jT3_P12ihipStream_tbPNSt15iterator_traitsISI_E10value_typeEPNSO_ISJ_E10value_typeEPSK_NS1_7vsmem_tEENKUlT_SI_SJ_SK_E_clISD_PiSD_S10_EESH_SX_SI_SJ_SK_EUlSX_E0_NS1_11comp_targetILNS1_3genE0ELNS1_11target_archE4294967295ELNS1_3gpuE0ELNS1_3repE0EEENS1_38merge_mergepath_config_static_selectorELNS0_4arch9wavefront6targetE1EEEvSJ_.num_vgpr, 21
	.set _ZN7rocprim17ROCPRIM_400000_NS6detail17trampoline_kernelINS0_14default_configENS1_38merge_sort_block_merge_config_selectorIiiEEZZNS1_27merge_sort_block_merge_implIS3_N6thrust23THRUST_200600_302600_NS6detail15normal_iteratorINS8_10device_ptrIiEEEESD_jNS1_19radix_merge_compareILb1ELb1EiNS0_19identity_decomposerEEEEE10hipError_tT0_T1_T2_jT3_P12ihipStream_tbPNSt15iterator_traitsISI_E10value_typeEPNSO_ISJ_E10value_typeEPSK_NS1_7vsmem_tEENKUlT_SI_SJ_SK_E_clISD_PiSD_S10_EESH_SX_SI_SJ_SK_EUlSX_E0_NS1_11comp_targetILNS1_3genE0ELNS1_11target_archE4294967295ELNS1_3gpuE0ELNS1_3repE0EEENS1_38merge_mergepath_config_static_selectorELNS0_4arch9wavefront6targetE1EEEvSJ_.num_agpr, 0
	.set _ZN7rocprim17ROCPRIM_400000_NS6detail17trampoline_kernelINS0_14default_configENS1_38merge_sort_block_merge_config_selectorIiiEEZZNS1_27merge_sort_block_merge_implIS3_N6thrust23THRUST_200600_302600_NS6detail15normal_iteratorINS8_10device_ptrIiEEEESD_jNS1_19radix_merge_compareILb1ELb1EiNS0_19identity_decomposerEEEEE10hipError_tT0_T1_T2_jT3_P12ihipStream_tbPNSt15iterator_traitsISI_E10value_typeEPNSO_ISJ_E10value_typeEPSK_NS1_7vsmem_tEENKUlT_SI_SJ_SK_E_clISD_PiSD_S10_EESH_SX_SI_SJ_SK_EUlSX_E0_NS1_11comp_targetILNS1_3genE0ELNS1_11target_archE4294967295ELNS1_3gpuE0ELNS1_3repE0EEENS1_38merge_mergepath_config_static_selectorELNS0_4arch9wavefront6targetE1EEEvSJ_.numbered_sgpr, 31
	.set _ZN7rocprim17ROCPRIM_400000_NS6detail17trampoline_kernelINS0_14default_configENS1_38merge_sort_block_merge_config_selectorIiiEEZZNS1_27merge_sort_block_merge_implIS3_N6thrust23THRUST_200600_302600_NS6detail15normal_iteratorINS8_10device_ptrIiEEEESD_jNS1_19radix_merge_compareILb1ELb1EiNS0_19identity_decomposerEEEEE10hipError_tT0_T1_T2_jT3_P12ihipStream_tbPNSt15iterator_traitsISI_E10value_typeEPNSO_ISJ_E10value_typeEPSK_NS1_7vsmem_tEENKUlT_SI_SJ_SK_E_clISD_PiSD_S10_EESH_SX_SI_SJ_SK_EUlSX_E0_NS1_11comp_targetILNS1_3genE0ELNS1_11target_archE4294967295ELNS1_3gpuE0ELNS1_3repE0EEENS1_38merge_mergepath_config_static_selectorELNS0_4arch9wavefront6targetE1EEEvSJ_.num_named_barrier, 0
	.set _ZN7rocprim17ROCPRIM_400000_NS6detail17trampoline_kernelINS0_14default_configENS1_38merge_sort_block_merge_config_selectorIiiEEZZNS1_27merge_sort_block_merge_implIS3_N6thrust23THRUST_200600_302600_NS6detail15normal_iteratorINS8_10device_ptrIiEEEESD_jNS1_19radix_merge_compareILb1ELb1EiNS0_19identity_decomposerEEEEE10hipError_tT0_T1_T2_jT3_P12ihipStream_tbPNSt15iterator_traitsISI_E10value_typeEPNSO_ISJ_E10value_typeEPSK_NS1_7vsmem_tEENKUlT_SI_SJ_SK_E_clISD_PiSD_S10_EESH_SX_SI_SJ_SK_EUlSX_E0_NS1_11comp_targetILNS1_3genE0ELNS1_11target_archE4294967295ELNS1_3gpuE0ELNS1_3repE0EEENS1_38merge_mergepath_config_static_selectorELNS0_4arch9wavefront6targetE1EEEvSJ_.private_seg_size, 0
	.set _ZN7rocprim17ROCPRIM_400000_NS6detail17trampoline_kernelINS0_14default_configENS1_38merge_sort_block_merge_config_selectorIiiEEZZNS1_27merge_sort_block_merge_implIS3_N6thrust23THRUST_200600_302600_NS6detail15normal_iteratorINS8_10device_ptrIiEEEESD_jNS1_19radix_merge_compareILb1ELb1EiNS0_19identity_decomposerEEEEE10hipError_tT0_T1_T2_jT3_P12ihipStream_tbPNSt15iterator_traitsISI_E10value_typeEPNSO_ISJ_E10value_typeEPSK_NS1_7vsmem_tEENKUlT_SI_SJ_SK_E_clISD_PiSD_S10_EESH_SX_SI_SJ_SK_EUlSX_E0_NS1_11comp_targetILNS1_3genE0ELNS1_11target_archE4294967295ELNS1_3gpuE0ELNS1_3repE0EEENS1_38merge_mergepath_config_static_selectorELNS0_4arch9wavefront6targetE1EEEvSJ_.uses_vcc, 1
	.set _ZN7rocprim17ROCPRIM_400000_NS6detail17trampoline_kernelINS0_14default_configENS1_38merge_sort_block_merge_config_selectorIiiEEZZNS1_27merge_sort_block_merge_implIS3_N6thrust23THRUST_200600_302600_NS6detail15normal_iteratorINS8_10device_ptrIiEEEESD_jNS1_19radix_merge_compareILb1ELb1EiNS0_19identity_decomposerEEEEE10hipError_tT0_T1_T2_jT3_P12ihipStream_tbPNSt15iterator_traitsISI_E10value_typeEPNSO_ISJ_E10value_typeEPSK_NS1_7vsmem_tEENKUlT_SI_SJ_SK_E_clISD_PiSD_S10_EESH_SX_SI_SJ_SK_EUlSX_E0_NS1_11comp_targetILNS1_3genE0ELNS1_11target_archE4294967295ELNS1_3gpuE0ELNS1_3repE0EEENS1_38merge_mergepath_config_static_selectorELNS0_4arch9wavefront6targetE1EEEvSJ_.uses_flat_scratch, 0
	.set _ZN7rocprim17ROCPRIM_400000_NS6detail17trampoline_kernelINS0_14default_configENS1_38merge_sort_block_merge_config_selectorIiiEEZZNS1_27merge_sort_block_merge_implIS3_N6thrust23THRUST_200600_302600_NS6detail15normal_iteratorINS8_10device_ptrIiEEEESD_jNS1_19radix_merge_compareILb1ELb1EiNS0_19identity_decomposerEEEEE10hipError_tT0_T1_T2_jT3_P12ihipStream_tbPNSt15iterator_traitsISI_E10value_typeEPNSO_ISJ_E10value_typeEPSK_NS1_7vsmem_tEENKUlT_SI_SJ_SK_E_clISD_PiSD_S10_EESH_SX_SI_SJ_SK_EUlSX_E0_NS1_11comp_targetILNS1_3genE0ELNS1_11target_archE4294967295ELNS1_3gpuE0ELNS1_3repE0EEENS1_38merge_mergepath_config_static_selectorELNS0_4arch9wavefront6targetE1EEEvSJ_.has_dyn_sized_stack, 0
	.set _ZN7rocprim17ROCPRIM_400000_NS6detail17trampoline_kernelINS0_14default_configENS1_38merge_sort_block_merge_config_selectorIiiEEZZNS1_27merge_sort_block_merge_implIS3_N6thrust23THRUST_200600_302600_NS6detail15normal_iteratorINS8_10device_ptrIiEEEESD_jNS1_19radix_merge_compareILb1ELb1EiNS0_19identity_decomposerEEEEE10hipError_tT0_T1_T2_jT3_P12ihipStream_tbPNSt15iterator_traitsISI_E10value_typeEPNSO_ISJ_E10value_typeEPSK_NS1_7vsmem_tEENKUlT_SI_SJ_SK_E_clISD_PiSD_S10_EESH_SX_SI_SJ_SK_EUlSX_E0_NS1_11comp_targetILNS1_3genE0ELNS1_11target_archE4294967295ELNS1_3gpuE0ELNS1_3repE0EEENS1_38merge_mergepath_config_static_selectorELNS0_4arch9wavefront6targetE1EEEvSJ_.has_recursion, 0
	.set _ZN7rocprim17ROCPRIM_400000_NS6detail17trampoline_kernelINS0_14default_configENS1_38merge_sort_block_merge_config_selectorIiiEEZZNS1_27merge_sort_block_merge_implIS3_N6thrust23THRUST_200600_302600_NS6detail15normal_iteratorINS8_10device_ptrIiEEEESD_jNS1_19radix_merge_compareILb1ELb1EiNS0_19identity_decomposerEEEEE10hipError_tT0_T1_T2_jT3_P12ihipStream_tbPNSt15iterator_traitsISI_E10value_typeEPNSO_ISJ_E10value_typeEPSK_NS1_7vsmem_tEENKUlT_SI_SJ_SK_E_clISD_PiSD_S10_EESH_SX_SI_SJ_SK_EUlSX_E0_NS1_11comp_targetILNS1_3genE0ELNS1_11target_archE4294967295ELNS1_3gpuE0ELNS1_3repE0EEENS1_38merge_mergepath_config_static_selectorELNS0_4arch9wavefront6targetE1EEEvSJ_.has_indirect_call, 0
	.section	.AMDGPU.csdata,"",@progbits
; Kernel info:
; codeLenInByte = 2904
; TotalNumSgprs: 37
; NumVgprs: 21
; NumAgprs: 0
; TotalNumVgprs: 21
; ScratchSize: 0
; MemoryBound: 0
; FloatMode: 240
; IeeeMode: 1
; LDSByteSize: 4224 bytes/workgroup (compile time only)
; SGPRBlocks: 4
; VGPRBlocks: 2
; NumSGPRsForWavesPerEU: 37
; NumVGPRsForWavesPerEU: 21
; AccumOffset: 24
; Occupancy: 8
; WaveLimiterHint : 1
; COMPUTE_PGM_RSRC2:SCRATCH_EN: 0
; COMPUTE_PGM_RSRC2:USER_SGPR: 2
; COMPUTE_PGM_RSRC2:TRAP_HANDLER: 0
; COMPUTE_PGM_RSRC2:TGID_X_EN: 1
; COMPUTE_PGM_RSRC2:TGID_Y_EN: 1
; COMPUTE_PGM_RSRC2:TGID_Z_EN: 1
; COMPUTE_PGM_RSRC2:TIDIG_COMP_CNT: 0
; COMPUTE_PGM_RSRC3_GFX90A:ACCUM_OFFSET: 5
; COMPUTE_PGM_RSRC3_GFX90A:TG_SPLIT: 0
	.section	.text._ZN7rocprim17ROCPRIM_400000_NS6detail17trampoline_kernelINS0_14default_configENS1_38merge_sort_block_merge_config_selectorIiiEEZZNS1_27merge_sort_block_merge_implIS3_N6thrust23THRUST_200600_302600_NS6detail15normal_iteratorINS8_10device_ptrIiEEEESD_jNS1_19radix_merge_compareILb1ELb1EiNS0_19identity_decomposerEEEEE10hipError_tT0_T1_T2_jT3_P12ihipStream_tbPNSt15iterator_traitsISI_E10value_typeEPNSO_ISJ_E10value_typeEPSK_NS1_7vsmem_tEENKUlT_SI_SJ_SK_E_clISD_PiSD_S10_EESH_SX_SI_SJ_SK_EUlSX_E0_NS1_11comp_targetILNS1_3genE10ELNS1_11target_archE1201ELNS1_3gpuE5ELNS1_3repE0EEENS1_38merge_mergepath_config_static_selectorELNS0_4arch9wavefront6targetE1EEEvSJ_,"axG",@progbits,_ZN7rocprim17ROCPRIM_400000_NS6detail17trampoline_kernelINS0_14default_configENS1_38merge_sort_block_merge_config_selectorIiiEEZZNS1_27merge_sort_block_merge_implIS3_N6thrust23THRUST_200600_302600_NS6detail15normal_iteratorINS8_10device_ptrIiEEEESD_jNS1_19radix_merge_compareILb1ELb1EiNS0_19identity_decomposerEEEEE10hipError_tT0_T1_T2_jT3_P12ihipStream_tbPNSt15iterator_traitsISI_E10value_typeEPNSO_ISJ_E10value_typeEPSK_NS1_7vsmem_tEENKUlT_SI_SJ_SK_E_clISD_PiSD_S10_EESH_SX_SI_SJ_SK_EUlSX_E0_NS1_11comp_targetILNS1_3genE10ELNS1_11target_archE1201ELNS1_3gpuE5ELNS1_3repE0EEENS1_38merge_mergepath_config_static_selectorELNS0_4arch9wavefront6targetE1EEEvSJ_,comdat
	.protected	_ZN7rocprim17ROCPRIM_400000_NS6detail17trampoline_kernelINS0_14default_configENS1_38merge_sort_block_merge_config_selectorIiiEEZZNS1_27merge_sort_block_merge_implIS3_N6thrust23THRUST_200600_302600_NS6detail15normal_iteratorINS8_10device_ptrIiEEEESD_jNS1_19radix_merge_compareILb1ELb1EiNS0_19identity_decomposerEEEEE10hipError_tT0_T1_T2_jT3_P12ihipStream_tbPNSt15iterator_traitsISI_E10value_typeEPNSO_ISJ_E10value_typeEPSK_NS1_7vsmem_tEENKUlT_SI_SJ_SK_E_clISD_PiSD_S10_EESH_SX_SI_SJ_SK_EUlSX_E0_NS1_11comp_targetILNS1_3genE10ELNS1_11target_archE1201ELNS1_3gpuE5ELNS1_3repE0EEENS1_38merge_mergepath_config_static_selectorELNS0_4arch9wavefront6targetE1EEEvSJ_ ; -- Begin function _ZN7rocprim17ROCPRIM_400000_NS6detail17trampoline_kernelINS0_14default_configENS1_38merge_sort_block_merge_config_selectorIiiEEZZNS1_27merge_sort_block_merge_implIS3_N6thrust23THRUST_200600_302600_NS6detail15normal_iteratorINS8_10device_ptrIiEEEESD_jNS1_19radix_merge_compareILb1ELb1EiNS0_19identity_decomposerEEEEE10hipError_tT0_T1_T2_jT3_P12ihipStream_tbPNSt15iterator_traitsISI_E10value_typeEPNSO_ISJ_E10value_typeEPSK_NS1_7vsmem_tEENKUlT_SI_SJ_SK_E_clISD_PiSD_S10_EESH_SX_SI_SJ_SK_EUlSX_E0_NS1_11comp_targetILNS1_3genE10ELNS1_11target_archE1201ELNS1_3gpuE5ELNS1_3repE0EEENS1_38merge_mergepath_config_static_selectorELNS0_4arch9wavefront6targetE1EEEvSJ_
	.globl	_ZN7rocprim17ROCPRIM_400000_NS6detail17trampoline_kernelINS0_14default_configENS1_38merge_sort_block_merge_config_selectorIiiEEZZNS1_27merge_sort_block_merge_implIS3_N6thrust23THRUST_200600_302600_NS6detail15normal_iteratorINS8_10device_ptrIiEEEESD_jNS1_19radix_merge_compareILb1ELb1EiNS0_19identity_decomposerEEEEE10hipError_tT0_T1_T2_jT3_P12ihipStream_tbPNSt15iterator_traitsISI_E10value_typeEPNSO_ISJ_E10value_typeEPSK_NS1_7vsmem_tEENKUlT_SI_SJ_SK_E_clISD_PiSD_S10_EESH_SX_SI_SJ_SK_EUlSX_E0_NS1_11comp_targetILNS1_3genE10ELNS1_11target_archE1201ELNS1_3gpuE5ELNS1_3repE0EEENS1_38merge_mergepath_config_static_selectorELNS0_4arch9wavefront6targetE1EEEvSJ_
	.p2align	8
	.type	_ZN7rocprim17ROCPRIM_400000_NS6detail17trampoline_kernelINS0_14default_configENS1_38merge_sort_block_merge_config_selectorIiiEEZZNS1_27merge_sort_block_merge_implIS3_N6thrust23THRUST_200600_302600_NS6detail15normal_iteratorINS8_10device_ptrIiEEEESD_jNS1_19radix_merge_compareILb1ELb1EiNS0_19identity_decomposerEEEEE10hipError_tT0_T1_T2_jT3_P12ihipStream_tbPNSt15iterator_traitsISI_E10value_typeEPNSO_ISJ_E10value_typeEPSK_NS1_7vsmem_tEENKUlT_SI_SJ_SK_E_clISD_PiSD_S10_EESH_SX_SI_SJ_SK_EUlSX_E0_NS1_11comp_targetILNS1_3genE10ELNS1_11target_archE1201ELNS1_3gpuE5ELNS1_3repE0EEENS1_38merge_mergepath_config_static_selectorELNS0_4arch9wavefront6targetE1EEEvSJ_,@function
_ZN7rocprim17ROCPRIM_400000_NS6detail17trampoline_kernelINS0_14default_configENS1_38merge_sort_block_merge_config_selectorIiiEEZZNS1_27merge_sort_block_merge_implIS3_N6thrust23THRUST_200600_302600_NS6detail15normal_iteratorINS8_10device_ptrIiEEEESD_jNS1_19radix_merge_compareILb1ELb1EiNS0_19identity_decomposerEEEEE10hipError_tT0_T1_T2_jT3_P12ihipStream_tbPNSt15iterator_traitsISI_E10value_typeEPNSO_ISJ_E10value_typeEPSK_NS1_7vsmem_tEENKUlT_SI_SJ_SK_E_clISD_PiSD_S10_EESH_SX_SI_SJ_SK_EUlSX_E0_NS1_11comp_targetILNS1_3genE10ELNS1_11target_archE1201ELNS1_3gpuE5ELNS1_3repE0EEENS1_38merge_mergepath_config_static_selectorELNS0_4arch9wavefront6targetE1EEEvSJ_: ; @_ZN7rocprim17ROCPRIM_400000_NS6detail17trampoline_kernelINS0_14default_configENS1_38merge_sort_block_merge_config_selectorIiiEEZZNS1_27merge_sort_block_merge_implIS3_N6thrust23THRUST_200600_302600_NS6detail15normal_iteratorINS8_10device_ptrIiEEEESD_jNS1_19radix_merge_compareILb1ELb1EiNS0_19identity_decomposerEEEEE10hipError_tT0_T1_T2_jT3_P12ihipStream_tbPNSt15iterator_traitsISI_E10value_typeEPNSO_ISJ_E10value_typeEPSK_NS1_7vsmem_tEENKUlT_SI_SJ_SK_E_clISD_PiSD_S10_EESH_SX_SI_SJ_SK_EUlSX_E0_NS1_11comp_targetILNS1_3genE10ELNS1_11target_archE1201ELNS1_3gpuE5ELNS1_3repE0EEENS1_38merge_mergepath_config_static_selectorELNS0_4arch9wavefront6targetE1EEEvSJ_
; %bb.0:
	.section	.rodata,"a",@progbits
	.p2align	6, 0x0
	.amdhsa_kernel _ZN7rocprim17ROCPRIM_400000_NS6detail17trampoline_kernelINS0_14default_configENS1_38merge_sort_block_merge_config_selectorIiiEEZZNS1_27merge_sort_block_merge_implIS3_N6thrust23THRUST_200600_302600_NS6detail15normal_iteratorINS8_10device_ptrIiEEEESD_jNS1_19radix_merge_compareILb1ELb1EiNS0_19identity_decomposerEEEEE10hipError_tT0_T1_T2_jT3_P12ihipStream_tbPNSt15iterator_traitsISI_E10value_typeEPNSO_ISJ_E10value_typeEPSK_NS1_7vsmem_tEENKUlT_SI_SJ_SK_E_clISD_PiSD_S10_EESH_SX_SI_SJ_SK_EUlSX_E0_NS1_11comp_targetILNS1_3genE10ELNS1_11target_archE1201ELNS1_3gpuE5ELNS1_3repE0EEENS1_38merge_mergepath_config_static_selectorELNS0_4arch9wavefront6targetE1EEEvSJ_
		.amdhsa_group_segment_fixed_size 0
		.amdhsa_private_segment_fixed_size 0
		.amdhsa_kernarg_size 64
		.amdhsa_user_sgpr_count 2
		.amdhsa_user_sgpr_dispatch_ptr 0
		.amdhsa_user_sgpr_queue_ptr 0
		.amdhsa_user_sgpr_kernarg_segment_ptr 1
		.amdhsa_user_sgpr_dispatch_id 0
		.amdhsa_user_sgpr_kernarg_preload_length 0
		.amdhsa_user_sgpr_kernarg_preload_offset 0
		.amdhsa_user_sgpr_private_segment_size 0
		.amdhsa_uses_dynamic_stack 0
		.amdhsa_enable_private_segment 0
		.amdhsa_system_sgpr_workgroup_id_x 1
		.amdhsa_system_sgpr_workgroup_id_y 0
		.amdhsa_system_sgpr_workgroup_id_z 0
		.amdhsa_system_sgpr_workgroup_info 0
		.amdhsa_system_vgpr_workitem_id 0
		.amdhsa_next_free_vgpr 1
		.amdhsa_next_free_sgpr 0
		.amdhsa_accum_offset 4
		.amdhsa_reserve_vcc 0
		.amdhsa_float_round_mode_32 0
		.amdhsa_float_round_mode_16_64 0
		.amdhsa_float_denorm_mode_32 3
		.amdhsa_float_denorm_mode_16_64 3
		.amdhsa_dx10_clamp 1
		.amdhsa_ieee_mode 1
		.amdhsa_fp16_overflow 0
		.amdhsa_tg_split 0
		.amdhsa_exception_fp_ieee_invalid_op 0
		.amdhsa_exception_fp_denorm_src 0
		.amdhsa_exception_fp_ieee_div_zero 0
		.amdhsa_exception_fp_ieee_overflow 0
		.amdhsa_exception_fp_ieee_underflow 0
		.amdhsa_exception_fp_ieee_inexact 0
		.amdhsa_exception_int_div_zero 0
	.end_amdhsa_kernel
	.section	.text._ZN7rocprim17ROCPRIM_400000_NS6detail17trampoline_kernelINS0_14default_configENS1_38merge_sort_block_merge_config_selectorIiiEEZZNS1_27merge_sort_block_merge_implIS3_N6thrust23THRUST_200600_302600_NS6detail15normal_iteratorINS8_10device_ptrIiEEEESD_jNS1_19radix_merge_compareILb1ELb1EiNS0_19identity_decomposerEEEEE10hipError_tT0_T1_T2_jT3_P12ihipStream_tbPNSt15iterator_traitsISI_E10value_typeEPNSO_ISJ_E10value_typeEPSK_NS1_7vsmem_tEENKUlT_SI_SJ_SK_E_clISD_PiSD_S10_EESH_SX_SI_SJ_SK_EUlSX_E0_NS1_11comp_targetILNS1_3genE10ELNS1_11target_archE1201ELNS1_3gpuE5ELNS1_3repE0EEENS1_38merge_mergepath_config_static_selectorELNS0_4arch9wavefront6targetE1EEEvSJ_,"axG",@progbits,_ZN7rocprim17ROCPRIM_400000_NS6detail17trampoline_kernelINS0_14default_configENS1_38merge_sort_block_merge_config_selectorIiiEEZZNS1_27merge_sort_block_merge_implIS3_N6thrust23THRUST_200600_302600_NS6detail15normal_iteratorINS8_10device_ptrIiEEEESD_jNS1_19radix_merge_compareILb1ELb1EiNS0_19identity_decomposerEEEEE10hipError_tT0_T1_T2_jT3_P12ihipStream_tbPNSt15iterator_traitsISI_E10value_typeEPNSO_ISJ_E10value_typeEPSK_NS1_7vsmem_tEENKUlT_SI_SJ_SK_E_clISD_PiSD_S10_EESH_SX_SI_SJ_SK_EUlSX_E0_NS1_11comp_targetILNS1_3genE10ELNS1_11target_archE1201ELNS1_3gpuE5ELNS1_3repE0EEENS1_38merge_mergepath_config_static_selectorELNS0_4arch9wavefront6targetE1EEEvSJ_,comdat
.Lfunc_end966:
	.size	_ZN7rocprim17ROCPRIM_400000_NS6detail17trampoline_kernelINS0_14default_configENS1_38merge_sort_block_merge_config_selectorIiiEEZZNS1_27merge_sort_block_merge_implIS3_N6thrust23THRUST_200600_302600_NS6detail15normal_iteratorINS8_10device_ptrIiEEEESD_jNS1_19radix_merge_compareILb1ELb1EiNS0_19identity_decomposerEEEEE10hipError_tT0_T1_T2_jT3_P12ihipStream_tbPNSt15iterator_traitsISI_E10value_typeEPNSO_ISJ_E10value_typeEPSK_NS1_7vsmem_tEENKUlT_SI_SJ_SK_E_clISD_PiSD_S10_EESH_SX_SI_SJ_SK_EUlSX_E0_NS1_11comp_targetILNS1_3genE10ELNS1_11target_archE1201ELNS1_3gpuE5ELNS1_3repE0EEENS1_38merge_mergepath_config_static_selectorELNS0_4arch9wavefront6targetE1EEEvSJ_, .Lfunc_end966-_ZN7rocprim17ROCPRIM_400000_NS6detail17trampoline_kernelINS0_14default_configENS1_38merge_sort_block_merge_config_selectorIiiEEZZNS1_27merge_sort_block_merge_implIS3_N6thrust23THRUST_200600_302600_NS6detail15normal_iteratorINS8_10device_ptrIiEEEESD_jNS1_19radix_merge_compareILb1ELb1EiNS0_19identity_decomposerEEEEE10hipError_tT0_T1_T2_jT3_P12ihipStream_tbPNSt15iterator_traitsISI_E10value_typeEPNSO_ISJ_E10value_typeEPSK_NS1_7vsmem_tEENKUlT_SI_SJ_SK_E_clISD_PiSD_S10_EESH_SX_SI_SJ_SK_EUlSX_E0_NS1_11comp_targetILNS1_3genE10ELNS1_11target_archE1201ELNS1_3gpuE5ELNS1_3repE0EEENS1_38merge_mergepath_config_static_selectorELNS0_4arch9wavefront6targetE1EEEvSJ_
                                        ; -- End function
	.set _ZN7rocprim17ROCPRIM_400000_NS6detail17trampoline_kernelINS0_14default_configENS1_38merge_sort_block_merge_config_selectorIiiEEZZNS1_27merge_sort_block_merge_implIS3_N6thrust23THRUST_200600_302600_NS6detail15normal_iteratorINS8_10device_ptrIiEEEESD_jNS1_19radix_merge_compareILb1ELb1EiNS0_19identity_decomposerEEEEE10hipError_tT0_T1_T2_jT3_P12ihipStream_tbPNSt15iterator_traitsISI_E10value_typeEPNSO_ISJ_E10value_typeEPSK_NS1_7vsmem_tEENKUlT_SI_SJ_SK_E_clISD_PiSD_S10_EESH_SX_SI_SJ_SK_EUlSX_E0_NS1_11comp_targetILNS1_3genE10ELNS1_11target_archE1201ELNS1_3gpuE5ELNS1_3repE0EEENS1_38merge_mergepath_config_static_selectorELNS0_4arch9wavefront6targetE1EEEvSJ_.num_vgpr, 0
	.set _ZN7rocprim17ROCPRIM_400000_NS6detail17trampoline_kernelINS0_14default_configENS1_38merge_sort_block_merge_config_selectorIiiEEZZNS1_27merge_sort_block_merge_implIS3_N6thrust23THRUST_200600_302600_NS6detail15normal_iteratorINS8_10device_ptrIiEEEESD_jNS1_19radix_merge_compareILb1ELb1EiNS0_19identity_decomposerEEEEE10hipError_tT0_T1_T2_jT3_P12ihipStream_tbPNSt15iterator_traitsISI_E10value_typeEPNSO_ISJ_E10value_typeEPSK_NS1_7vsmem_tEENKUlT_SI_SJ_SK_E_clISD_PiSD_S10_EESH_SX_SI_SJ_SK_EUlSX_E0_NS1_11comp_targetILNS1_3genE10ELNS1_11target_archE1201ELNS1_3gpuE5ELNS1_3repE0EEENS1_38merge_mergepath_config_static_selectorELNS0_4arch9wavefront6targetE1EEEvSJ_.num_agpr, 0
	.set _ZN7rocprim17ROCPRIM_400000_NS6detail17trampoline_kernelINS0_14default_configENS1_38merge_sort_block_merge_config_selectorIiiEEZZNS1_27merge_sort_block_merge_implIS3_N6thrust23THRUST_200600_302600_NS6detail15normal_iteratorINS8_10device_ptrIiEEEESD_jNS1_19radix_merge_compareILb1ELb1EiNS0_19identity_decomposerEEEEE10hipError_tT0_T1_T2_jT3_P12ihipStream_tbPNSt15iterator_traitsISI_E10value_typeEPNSO_ISJ_E10value_typeEPSK_NS1_7vsmem_tEENKUlT_SI_SJ_SK_E_clISD_PiSD_S10_EESH_SX_SI_SJ_SK_EUlSX_E0_NS1_11comp_targetILNS1_3genE10ELNS1_11target_archE1201ELNS1_3gpuE5ELNS1_3repE0EEENS1_38merge_mergepath_config_static_selectorELNS0_4arch9wavefront6targetE1EEEvSJ_.numbered_sgpr, 0
	.set _ZN7rocprim17ROCPRIM_400000_NS6detail17trampoline_kernelINS0_14default_configENS1_38merge_sort_block_merge_config_selectorIiiEEZZNS1_27merge_sort_block_merge_implIS3_N6thrust23THRUST_200600_302600_NS6detail15normal_iteratorINS8_10device_ptrIiEEEESD_jNS1_19radix_merge_compareILb1ELb1EiNS0_19identity_decomposerEEEEE10hipError_tT0_T1_T2_jT3_P12ihipStream_tbPNSt15iterator_traitsISI_E10value_typeEPNSO_ISJ_E10value_typeEPSK_NS1_7vsmem_tEENKUlT_SI_SJ_SK_E_clISD_PiSD_S10_EESH_SX_SI_SJ_SK_EUlSX_E0_NS1_11comp_targetILNS1_3genE10ELNS1_11target_archE1201ELNS1_3gpuE5ELNS1_3repE0EEENS1_38merge_mergepath_config_static_selectorELNS0_4arch9wavefront6targetE1EEEvSJ_.num_named_barrier, 0
	.set _ZN7rocprim17ROCPRIM_400000_NS6detail17trampoline_kernelINS0_14default_configENS1_38merge_sort_block_merge_config_selectorIiiEEZZNS1_27merge_sort_block_merge_implIS3_N6thrust23THRUST_200600_302600_NS6detail15normal_iteratorINS8_10device_ptrIiEEEESD_jNS1_19radix_merge_compareILb1ELb1EiNS0_19identity_decomposerEEEEE10hipError_tT0_T1_T2_jT3_P12ihipStream_tbPNSt15iterator_traitsISI_E10value_typeEPNSO_ISJ_E10value_typeEPSK_NS1_7vsmem_tEENKUlT_SI_SJ_SK_E_clISD_PiSD_S10_EESH_SX_SI_SJ_SK_EUlSX_E0_NS1_11comp_targetILNS1_3genE10ELNS1_11target_archE1201ELNS1_3gpuE5ELNS1_3repE0EEENS1_38merge_mergepath_config_static_selectorELNS0_4arch9wavefront6targetE1EEEvSJ_.private_seg_size, 0
	.set _ZN7rocprim17ROCPRIM_400000_NS6detail17trampoline_kernelINS0_14default_configENS1_38merge_sort_block_merge_config_selectorIiiEEZZNS1_27merge_sort_block_merge_implIS3_N6thrust23THRUST_200600_302600_NS6detail15normal_iteratorINS8_10device_ptrIiEEEESD_jNS1_19radix_merge_compareILb1ELb1EiNS0_19identity_decomposerEEEEE10hipError_tT0_T1_T2_jT3_P12ihipStream_tbPNSt15iterator_traitsISI_E10value_typeEPNSO_ISJ_E10value_typeEPSK_NS1_7vsmem_tEENKUlT_SI_SJ_SK_E_clISD_PiSD_S10_EESH_SX_SI_SJ_SK_EUlSX_E0_NS1_11comp_targetILNS1_3genE10ELNS1_11target_archE1201ELNS1_3gpuE5ELNS1_3repE0EEENS1_38merge_mergepath_config_static_selectorELNS0_4arch9wavefront6targetE1EEEvSJ_.uses_vcc, 0
	.set _ZN7rocprim17ROCPRIM_400000_NS6detail17trampoline_kernelINS0_14default_configENS1_38merge_sort_block_merge_config_selectorIiiEEZZNS1_27merge_sort_block_merge_implIS3_N6thrust23THRUST_200600_302600_NS6detail15normal_iteratorINS8_10device_ptrIiEEEESD_jNS1_19radix_merge_compareILb1ELb1EiNS0_19identity_decomposerEEEEE10hipError_tT0_T1_T2_jT3_P12ihipStream_tbPNSt15iterator_traitsISI_E10value_typeEPNSO_ISJ_E10value_typeEPSK_NS1_7vsmem_tEENKUlT_SI_SJ_SK_E_clISD_PiSD_S10_EESH_SX_SI_SJ_SK_EUlSX_E0_NS1_11comp_targetILNS1_3genE10ELNS1_11target_archE1201ELNS1_3gpuE5ELNS1_3repE0EEENS1_38merge_mergepath_config_static_selectorELNS0_4arch9wavefront6targetE1EEEvSJ_.uses_flat_scratch, 0
	.set _ZN7rocprim17ROCPRIM_400000_NS6detail17trampoline_kernelINS0_14default_configENS1_38merge_sort_block_merge_config_selectorIiiEEZZNS1_27merge_sort_block_merge_implIS3_N6thrust23THRUST_200600_302600_NS6detail15normal_iteratorINS8_10device_ptrIiEEEESD_jNS1_19radix_merge_compareILb1ELb1EiNS0_19identity_decomposerEEEEE10hipError_tT0_T1_T2_jT3_P12ihipStream_tbPNSt15iterator_traitsISI_E10value_typeEPNSO_ISJ_E10value_typeEPSK_NS1_7vsmem_tEENKUlT_SI_SJ_SK_E_clISD_PiSD_S10_EESH_SX_SI_SJ_SK_EUlSX_E0_NS1_11comp_targetILNS1_3genE10ELNS1_11target_archE1201ELNS1_3gpuE5ELNS1_3repE0EEENS1_38merge_mergepath_config_static_selectorELNS0_4arch9wavefront6targetE1EEEvSJ_.has_dyn_sized_stack, 0
	.set _ZN7rocprim17ROCPRIM_400000_NS6detail17trampoline_kernelINS0_14default_configENS1_38merge_sort_block_merge_config_selectorIiiEEZZNS1_27merge_sort_block_merge_implIS3_N6thrust23THRUST_200600_302600_NS6detail15normal_iteratorINS8_10device_ptrIiEEEESD_jNS1_19radix_merge_compareILb1ELb1EiNS0_19identity_decomposerEEEEE10hipError_tT0_T1_T2_jT3_P12ihipStream_tbPNSt15iterator_traitsISI_E10value_typeEPNSO_ISJ_E10value_typeEPSK_NS1_7vsmem_tEENKUlT_SI_SJ_SK_E_clISD_PiSD_S10_EESH_SX_SI_SJ_SK_EUlSX_E0_NS1_11comp_targetILNS1_3genE10ELNS1_11target_archE1201ELNS1_3gpuE5ELNS1_3repE0EEENS1_38merge_mergepath_config_static_selectorELNS0_4arch9wavefront6targetE1EEEvSJ_.has_recursion, 0
	.set _ZN7rocprim17ROCPRIM_400000_NS6detail17trampoline_kernelINS0_14default_configENS1_38merge_sort_block_merge_config_selectorIiiEEZZNS1_27merge_sort_block_merge_implIS3_N6thrust23THRUST_200600_302600_NS6detail15normal_iteratorINS8_10device_ptrIiEEEESD_jNS1_19radix_merge_compareILb1ELb1EiNS0_19identity_decomposerEEEEE10hipError_tT0_T1_T2_jT3_P12ihipStream_tbPNSt15iterator_traitsISI_E10value_typeEPNSO_ISJ_E10value_typeEPSK_NS1_7vsmem_tEENKUlT_SI_SJ_SK_E_clISD_PiSD_S10_EESH_SX_SI_SJ_SK_EUlSX_E0_NS1_11comp_targetILNS1_3genE10ELNS1_11target_archE1201ELNS1_3gpuE5ELNS1_3repE0EEENS1_38merge_mergepath_config_static_selectorELNS0_4arch9wavefront6targetE1EEEvSJ_.has_indirect_call, 0
	.section	.AMDGPU.csdata,"",@progbits
; Kernel info:
; codeLenInByte = 0
; TotalNumSgprs: 6
; NumVgprs: 0
; NumAgprs: 0
; TotalNumVgprs: 0
; ScratchSize: 0
; MemoryBound: 0
; FloatMode: 240
; IeeeMode: 1
; LDSByteSize: 0 bytes/workgroup (compile time only)
; SGPRBlocks: 0
; VGPRBlocks: 0
; NumSGPRsForWavesPerEU: 6
; NumVGPRsForWavesPerEU: 1
; AccumOffset: 4
; Occupancy: 8
; WaveLimiterHint : 0
; COMPUTE_PGM_RSRC2:SCRATCH_EN: 0
; COMPUTE_PGM_RSRC2:USER_SGPR: 2
; COMPUTE_PGM_RSRC2:TRAP_HANDLER: 0
; COMPUTE_PGM_RSRC2:TGID_X_EN: 1
; COMPUTE_PGM_RSRC2:TGID_Y_EN: 0
; COMPUTE_PGM_RSRC2:TGID_Z_EN: 0
; COMPUTE_PGM_RSRC2:TIDIG_COMP_CNT: 0
; COMPUTE_PGM_RSRC3_GFX90A:ACCUM_OFFSET: 0
; COMPUTE_PGM_RSRC3_GFX90A:TG_SPLIT: 0
	.section	.text._ZN7rocprim17ROCPRIM_400000_NS6detail17trampoline_kernelINS0_14default_configENS1_38merge_sort_block_merge_config_selectorIiiEEZZNS1_27merge_sort_block_merge_implIS3_N6thrust23THRUST_200600_302600_NS6detail15normal_iteratorINS8_10device_ptrIiEEEESD_jNS1_19radix_merge_compareILb1ELb1EiNS0_19identity_decomposerEEEEE10hipError_tT0_T1_T2_jT3_P12ihipStream_tbPNSt15iterator_traitsISI_E10value_typeEPNSO_ISJ_E10value_typeEPSK_NS1_7vsmem_tEENKUlT_SI_SJ_SK_E_clISD_PiSD_S10_EESH_SX_SI_SJ_SK_EUlSX_E0_NS1_11comp_targetILNS1_3genE5ELNS1_11target_archE942ELNS1_3gpuE9ELNS1_3repE0EEENS1_38merge_mergepath_config_static_selectorELNS0_4arch9wavefront6targetE1EEEvSJ_,"axG",@progbits,_ZN7rocprim17ROCPRIM_400000_NS6detail17trampoline_kernelINS0_14default_configENS1_38merge_sort_block_merge_config_selectorIiiEEZZNS1_27merge_sort_block_merge_implIS3_N6thrust23THRUST_200600_302600_NS6detail15normal_iteratorINS8_10device_ptrIiEEEESD_jNS1_19radix_merge_compareILb1ELb1EiNS0_19identity_decomposerEEEEE10hipError_tT0_T1_T2_jT3_P12ihipStream_tbPNSt15iterator_traitsISI_E10value_typeEPNSO_ISJ_E10value_typeEPSK_NS1_7vsmem_tEENKUlT_SI_SJ_SK_E_clISD_PiSD_S10_EESH_SX_SI_SJ_SK_EUlSX_E0_NS1_11comp_targetILNS1_3genE5ELNS1_11target_archE942ELNS1_3gpuE9ELNS1_3repE0EEENS1_38merge_mergepath_config_static_selectorELNS0_4arch9wavefront6targetE1EEEvSJ_,comdat
	.protected	_ZN7rocprim17ROCPRIM_400000_NS6detail17trampoline_kernelINS0_14default_configENS1_38merge_sort_block_merge_config_selectorIiiEEZZNS1_27merge_sort_block_merge_implIS3_N6thrust23THRUST_200600_302600_NS6detail15normal_iteratorINS8_10device_ptrIiEEEESD_jNS1_19radix_merge_compareILb1ELb1EiNS0_19identity_decomposerEEEEE10hipError_tT0_T1_T2_jT3_P12ihipStream_tbPNSt15iterator_traitsISI_E10value_typeEPNSO_ISJ_E10value_typeEPSK_NS1_7vsmem_tEENKUlT_SI_SJ_SK_E_clISD_PiSD_S10_EESH_SX_SI_SJ_SK_EUlSX_E0_NS1_11comp_targetILNS1_3genE5ELNS1_11target_archE942ELNS1_3gpuE9ELNS1_3repE0EEENS1_38merge_mergepath_config_static_selectorELNS0_4arch9wavefront6targetE1EEEvSJ_ ; -- Begin function _ZN7rocprim17ROCPRIM_400000_NS6detail17trampoline_kernelINS0_14default_configENS1_38merge_sort_block_merge_config_selectorIiiEEZZNS1_27merge_sort_block_merge_implIS3_N6thrust23THRUST_200600_302600_NS6detail15normal_iteratorINS8_10device_ptrIiEEEESD_jNS1_19radix_merge_compareILb1ELb1EiNS0_19identity_decomposerEEEEE10hipError_tT0_T1_T2_jT3_P12ihipStream_tbPNSt15iterator_traitsISI_E10value_typeEPNSO_ISJ_E10value_typeEPSK_NS1_7vsmem_tEENKUlT_SI_SJ_SK_E_clISD_PiSD_S10_EESH_SX_SI_SJ_SK_EUlSX_E0_NS1_11comp_targetILNS1_3genE5ELNS1_11target_archE942ELNS1_3gpuE9ELNS1_3repE0EEENS1_38merge_mergepath_config_static_selectorELNS0_4arch9wavefront6targetE1EEEvSJ_
	.globl	_ZN7rocprim17ROCPRIM_400000_NS6detail17trampoline_kernelINS0_14default_configENS1_38merge_sort_block_merge_config_selectorIiiEEZZNS1_27merge_sort_block_merge_implIS3_N6thrust23THRUST_200600_302600_NS6detail15normal_iteratorINS8_10device_ptrIiEEEESD_jNS1_19radix_merge_compareILb1ELb1EiNS0_19identity_decomposerEEEEE10hipError_tT0_T1_T2_jT3_P12ihipStream_tbPNSt15iterator_traitsISI_E10value_typeEPNSO_ISJ_E10value_typeEPSK_NS1_7vsmem_tEENKUlT_SI_SJ_SK_E_clISD_PiSD_S10_EESH_SX_SI_SJ_SK_EUlSX_E0_NS1_11comp_targetILNS1_3genE5ELNS1_11target_archE942ELNS1_3gpuE9ELNS1_3repE0EEENS1_38merge_mergepath_config_static_selectorELNS0_4arch9wavefront6targetE1EEEvSJ_
	.p2align	8
	.type	_ZN7rocprim17ROCPRIM_400000_NS6detail17trampoline_kernelINS0_14default_configENS1_38merge_sort_block_merge_config_selectorIiiEEZZNS1_27merge_sort_block_merge_implIS3_N6thrust23THRUST_200600_302600_NS6detail15normal_iteratorINS8_10device_ptrIiEEEESD_jNS1_19radix_merge_compareILb1ELb1EiNS0_19identity_decomposerEEEEE10hipError_tT0_T1_T2_jT3_P12ihipStream_tbPNSt15iterator_traitsISI_E10value_typeEPNSO_ISJ_E10value_typeEPSK_NS1_7vsmem_tEENKUlT_SI_SJ_SK_E_clISD_PiSD_S10_EESH_SX_SI_SJ_SK_EUlSX_E0_NS1_11comp_targetILNS1_3genE5ELNS1_11target_archE942ELNS1_3gpuE9ELNS1_3repE0EEENS1_38merge_mergepath_config_static_selectorELNS0_4arch9wavefront6targetE1EEEvSJ_,@function
_ZN7rocprim17ROCPRIM_400000_NS6detail17trampoline_kernelINS0_14default_configENS1_38merge_sort_block_merge_config_selectorIiiEEZZNS1_27merge_sort_block_merge_implIS3_N6thrust23THRUST_200600_302600_NS6detail15normal_iteratorINS8_10device_ptrIiEEEESD_jNS1_19radix_merge_compareILb1ELb1EiNS0_19identity_decomposerEEEEE10hipError_tT0_T1_T2_jT3_P12ihipStream_tbPNSt15iterator_traitsISI_E10value_typeEPNSO_ISJ_E10value_typeEPSK_NS1_7vsmem_tEENKUlT_SI_SJ_SK_E_clISD_PiSD_S10_EESH_SX_SI_SJ_SK_EUlSX_E0_NS1_11comp_targetILNS1_3genE5ELNS1_11target_archE942ELNS1_3gpuE9ELNS1_3repE0EEENS1_38merge_mergepath_config_static_selectorELNS0_4arch9wavefront6targetE1EEEvSJ_: ; @_ZN7rocprim17ROCPRIM_400000_NS6detail17trampoline_kernelINS0_14default_configENS1_38merge_sort_block_merge_config_selectorIiiEEZZNS1_27merge_sort_block_merge_implIS3_N6thrust23THRUST_200600_302600_NS6detail15normal_iteratorINS8_10device_ptrIiEEEESD_jNS1_19radix_merge_compareILb1ELb1EiNS0_19identity_decomposerEEEEE10hipError_tT0_T1_T2_jT3_P12ihipStream_tbPNSt15iterator_traitsISI_E10value_typeEPNSO_ISJ_E10value_typeEPSK_NS1_7vsmem_tEENKUlT_SI_SJ_SK_E_clISD_PiSD_S10_EESH_SX_SI_SJ_SK_EUlSX_E0_NS1_11comp_targetILNS1_3genE5ELNS1_11target_archE942ELNS1_3gpuE9ELNS1_3repE0EEENS1_38merge_mergepath_config_static_selectorELNS0_4arch9wavefront6targetE1EEEvSJ_
; %bb.0:
	.section	.rodata,"a",@progbits
	.p2align	6, 0x0
	.amdhsa_kernel _ZN7rocprim17ROCPRIM_400000_NS6detail17trampoline_kernelINS0_14default_configENS1_38merge_sort_block_merge_config_selectorIiiEEZZNS1_27merge_sort_block_merge_implIS3_N6thrust23THRUST_200600_302600_NS6detail15normal_iteratorINS8_10device_ptrIiEEEESD_jNS1_19radix_merge_compareILb1ELb1EiNS0_19identity_decomposerEEEEE10hipError_tT0_T1_T2_jT3_P12ihipStream_tbPNSt15iterator_traitsISI_E10value_typeEPNSO_ISJ_E10value_typeEPSK_NS1_7vsmem_tEENKUlT_SI_SJ_SK_E_clISD_PiSD_S10_EESH_SX_SI_SJ_SK_EUlSX_E0_NS1_11comp_targetILNS1_3genE5ELNS1_11target_archE942ELNS1_3gpuE9ELNS1_3repE0EEENS1_38merge_mergepath_config_static_selectorELNS0_4arch9wavefront6targetE1EEEvSJ_
		.amdhsa_group_segment_fixed_size 0
		.amdhsa_private_segment_fixed_size 0
		.amdhsa_kernarg_size 64
		.amdhsa_user_sgpr_count 2
		.amdhsa_user_sgpr_dispatch_ptr 0
		.amdhsa_user_sgpr_queue_ptr 0
		.amdhsa_user_sgpr_kernarg_segment_ptr 1
		.amdhsa_user_sgpr_dispatch_id 0
		.amdhsa_user_sgpr_kernarg_preload_length 0
		.amdhsa_user_sgpr_kernarg_preload_offset 0
		.amdhsa_user_sgpr_private_segment_size 0
		.amdhsa_uses_dynamic_stack 0
		.amdhsa_enable_private_segment 0
		.amdhsa_system_sgpr_workgroup_id_x 1
		.amdhsa_system_sgpr_workgroup_id_y 0
		.amdhsa_system_sgpr_workgroup_id_z 0
		.amdhsa_system_sgpr_workgroup_info 0
		.amdhsa_system_vgpr_workitem_id 0
		.amdhsa_next_free_vgpr 1
		.amdhsa_next_free_sgpr 0
		.amdhsa_accum_offset 4
		.amdhsa_reserve_vcc 0
		.amdhsa_float_round_mode_32 0
		.amdhsa_float_round_mode_16_64 0
		.amdhsa_float_denorm_mode_32 3
		.amdhsa_float_denorm_mode_16_64 3
		.amdhsa_dx10_clamp 1
		.amdhsa_ieee_mode 1
		.amdhsa_fp16_overflow 0
		.amdhsa_tg_split 0
		.amdhsa_exception_fp_ieee_invalid_op 0
		.amdhsa_exception_fp_denorm_src 0
		.amdhsa_exception_fp_ieee_div_zero 0
		.amdhsa_exception_fp_ieee_overflow 0
		.amdhsa_exception_fp_ieee_underflow 0
		.amdhsa_exception_fp_ieee_inexact 0
		.amdhsa_exception_int_div_zero 0
	.end_amdhsa_kernel
	.section	.text._ZN7rocprim17ROCPRIM_400000_NS6detail17trampoline_kernelINS0_14default_configENS1_38merge_sort_block_merge_config_selectorIiiEEZZNS1_27merge_sort_block_merge_implIS3_N6thrust23THRUST_200600_302600_NS6detail15normal_iteratorINS8_10device_ptrIiEEEESD_jNS1_19radix_merge_compareILb1ELb1EiNS0_19identity_decomposerEEEEE10hipError_tT0_T1_T2_jT3_P12ihipStream_tbPNSt15iterator_traitsISI_E10value_typeEPNSO_ISJ_E10value_typeEPSK_NS1_7vsmem_tEENKUlT_SI_SJ_SK_E_clISD_PiSD_S10_EESH_SX_SI_SJ_SK_EUlSX_E0_NS1_11comp_targetILNS1_3genE5ELNS1_11target_archE942ELNS1_3gpuE9ELNS1_3repE0EEENS1_38merge_mergepath_config_static_selectorELNS0_4arch9wavefront6targetE1EEEvSJ_,"axG",@progbits,_ZN7rocprim17ROCPRIM_400000_NS6detail17trampoline_kernelINS0_14default_configENS1_38merge_sort_block_merge_config_selectorIiiEEZZNS1_27merge_sort_block_merge_implIS3_N6thrust23THRUST_200600_302600_NS6detail15normal_iteratorINS8_10device_ptrIiEEEESD_jNS1_19radix_merge_compareILb1ELb1EiNS0_19identity_decomposerEEEEE10hipError_tT0_T1_T2_jT3_P12ihipStream_tbPNSt15iterator_traitsISI_E10value_typeEPNSO_ISJ_E10value_typeEPSK_NS1_7vsmem_tEENKUlT_SI_SJ_SK_E_clISD_PiSD_S10_EESH_SX_SI_SJ_SK_EUlSX_E0_NS1_11comp_targetILNS1_3genE5ELNS1_11target_archE942ELNS1_3gpuE9ELNS1_3repE0EEENS1_38merge_mergepath_config_static_selectorELNS0_4arch9wavefront6targetE1EEEvSJ_,comdat
.Lfunc_end967:
	.size	_ZN7rocprim17ROCPRIM_400000_NS6detail17trampoline_kernelINS0_14default_configENS1_38merge_sort_block_merge_config_selectorIiiEEZZNS1_27merge_sort_block_merge_implIS3_N6thrust23THRUST_200600_302600_NS6detail15normal_iteratorINS8_10device_ptrIiEEEESD_jNS1_19radix_merge_compareILb1ELb1EiNS0_19identity_decomposerEEEEE10hipError_tT0_T1_T2_jT3_P12ihipStream_tbPNSt15iterator_traitsISI_E10value_typeEPNSO_ISJ_E10value_typeEPSK_NS1_7vsmem_tEENKUlT_SI_SJ_SK_E_clISD_PiSD_S10_EESH_SX_SI_SJ_SK_EUlSX_E0_NS1_11comp_targetILNS1_3genE5ELNS1_11target_archE942ELNS1_3gpuE9ELNS1_3repE0EEENS1_38merge_mergepath_config_static_selectorELNS0_4arch9wavefront6targetE1EEEvSJ_, .Lfunc_end967-_ZN7rocprim17ROCPRIM_400000_NS6detail17trampoline_kernelINS0_14default_configENS1_38merge_sort_block_merge_config_selectorIiiEEZZNS1_27merge_sort_block_merge_implIS3_N6thrust23THRUST_200600_302600_NS6detail15normal_iteratorINS8_10device_ptrIiEEEESD_jNS1_19radix_merge_compareILb1ELb1EiNS0_19identity_decomposerEEEEE10hipError_tT0_T1_T2_jT3_P12ihipStream_tbPNSt15iterator_traitsISI_E10value_typeEPNSO_ISJ_E10value_typeEPSK_NS1_7vsmem_tEENKUlT_SI_SJ_SK_E_clISD_PiSD_S10_EESH_SX_SI_SJ_SK_EUlSX_E0_NS1_11comp_targetILNS1_3genE5ELNS1_11target_archE942ELNS1_3gpuE9ELNS1_3repE0EEENS1_38merge_mergepath_config_static_selectorELNS0_4arch9wavefront6targetE1EEEvSJ_
                                        ; -- End function
	.set _ZN7rocprim17ROCPRIM_400000_NS6detail17trampoline_kernelINS0_14default_configENS1_38merge_sort_block_merge_config_selectorIiiEEZZNS1_27merge_sort_block_merge_implIS3_N6thrust23THRUST_200600_302600_NS6detail15normal_iteratorINS8_10device_ptrIiEEEESD_jNS1_19radix_merge_compareILb1ELb1EiNS0_19identity_decomposerEEEEE10hipError_tT0_T1_T2_jT3_P12ihipStream_tbPNSt15iterator_traitsISI_E10value_typeEPNSO_ISJ_E10value_typeEPSK_NS1_7vsmem_tEENKUlT_SI_SJ_SK_E_clISD_PiSD_S10_EESH_SX_SI_SJ_SK_EUlSX_E0_NS1_11comp_targetILNS1_3genE5ELNS1_11target_archE942ELNS1_3gpuE9ELNS1_3repE0EEENS1_38merge_mergepath_config_static_selectorELNS0_4arch9wavefront6targetE1EEEvSJ_.num_vgpr, 0
	.set _ZN7rocprim17ROCPRIM_400000_NS6detail17trampoline_kernelINS0_14default_configENS1_38merge_sort_block_merge_config_selectorIiiEEZZNS1_27merge_sort_block_merge_implIS3_N6thrust23THRUST_200600_302600_NS6detail15normal_iteratorINS8_10device_ptrIiEEEESD_jNS1_19radix_merge_compareILb1ELb1EiNS0_19identity_decomposerEEEEE10hipError_tT0_T1_T2_jT3_P12ihipStream_tbPNSt15iterator_traitsISI_E10value_typeEPNSO_ISJ_E10value_typeEPSK_NS1_7vsmem_tEENKUlT_SI_SJ_SK_E_clISD_PiSD_S10_EESH_SX_SI_SJ_SK_EUlSX_E0_NS1_11comp_targetILNS1_3genE5ELNS1_11target_archE942ELNS1_3gpuE9ELNS1_3repE0EEENS1_38merge_mergepath_config_static_selectorELNS0_4arch9wavefront6targetE1EEEvSJ_.num_agpr, 0
	.set _ZN7rocprim17ROCPRIM_400000_NS6detail17trampoline_kernelINS0_14default_configENS1_38merge_sort_block_merge_config_selectorIiiEEZZNS1_27merge_sort_block_merge_implIS3_N6thrust23THRUST_200600_302600_NS6detail15normal_iteratorINS8_10device_ptrIiEEEESD_jNS1_19radix_merge_compareILb1ELb1EiNS0_19identity_decomposerEEEEE10hipError_tT0_T1_T2_jT3_P12ihipStream_tbPNSt15iterator_traitsISI_E10value_typeEPNSO_ISJ_E10value_typeEPSK_NS1_7vsmem_tEENKUlT_SI_SJ_SK_E_clISD_PiSD_S10_EESH_SX_SI_SJ_SK_EUlSX_E0_NS1_11comp_targetILNS1_3genE5ELNS1_11target_archE942ELNS1_3gpuE9ELNS1_3repE0EEENS1_38merge_mergepath_config_static_selectorELNS0_4arch9wavefront6targetE1EEEvSJ_.numbered_sgpr, 0
	.set _ZN7rocprim17ROCPRIM_400000_NS6detail17trampoline_kernelINS0_14default_configENS1_38merge_sort_block_merge_config_selectorIiiEEZZNS1_27merge_sort_block_merge_implIS3_N6thrust23THRUST_200600_302600_NS6detail15normal_iteratorINS8_10device_ptrIiEEEESD_jNS1_19radix_merge_compareILb1ELb1EiNS0_19identity_decomposerEEEEE10hipError_tT0_T1_T2_jT3_P12ihipStream_tbPNSt15iterator_traitsISI_E10value_typeEPNSO_ISJ_E10value_typeEPSK_NS1_7vsmem_tEENKUlT_SI_SJ_SK_E_clISD_PiSD_S10_EESH_SX_SI_SJ_SK_EUlSX_E0_NS1_11comp_targetILNS1_3genE5ELNS1_11target_archE942ELNS1_3gpuE9ELNS1_3repE0EEENS1_38merge_mergepath_config_static_selectorELNS0_4arch9wavefront6targetE1EEEvSJ_.num_named_barrier, 0
	.set _ZN7rocprim17ROCPRIM_400000_NS6detail17trampoline_kernelINS0_14default_configENS1_38merge_sort_block_merge_config_selectorIiiEEZZNS1_27merge_sort_block_merge_implIS3_N6thrust23THRUST_200600_302600_NS6detail15normal_iteratorINS8_10device_ptrIiEEEESD_jNS1_19radix_merge_compareILb1ELb1EiNS0_19identity_decomposerEEEEE10hipError_tT0_T1_T2_jT3_P12ihipStream_tbPNSt15iterator_traitsISI_E10value_typeEPNSO_ISJ_E10value_typeEPSK_NS1_7vsmem_tEENKUlT_SI_SJ_SK_E_clISD_PiSD_S10_EESH_SX_SI_SJ_SK_EUlSX_E0_NS1_11comp_targetILNS1_3genE5ELNS1_11target_archE942ELNS1_3gpuE9ELNS1_3repE0EEENS1_38merge_mergepath_config_static_selectorELNS0_4arch9wavefront6targetE1EEEvSJ_.private_seg_size, 0
	.set _ZN7rocprim17ROCPRIM_400000_NS6detail17trampoline_kernelINS0_14default_configENS1_38merge_sort_block_merge_config_selectorIiiEEZZNS1_27merge_sort_block_merge_implIS3_N6thrust23THRUST_200600_302600_NS6detail15normal_iteratorINS8_10device_ptrIiEEEESD_jNS1_19radix_merge_compareILb1ELb1EiNS0_19identity_decomposerEEEEE10hipError_tT0_T1_T2_jT3_P12ihipStream_tbPNSt15iterator_traitsISI_E10value_typeEPNSO_ISJ_E10value_typeEPSK_NS1_7vsmem_tEENKUlT_SI_SJ_SK_E_clISD_PiSD_S10_EESH_SX_SI_SJ_SK_EUlSX_E0_NS1_11comp_targetILNS1_3genE5ELNS1_11target_archE942ELNS1_3gpuE9ELNS1_3repE0EEENS1_38merge_mergepath_config_static_selectorELNS0_4arch9wavefront6targetE1EEEvSJ_.uses_vcc, 0
	.set _ZN7rocprim17ROCPRIM_400000_NS6detail17trampoline_kernelINS0_14default_configENS1_38merge_sort_block_merge_config_selectorIiiEEZZNS1_27merge_sort_block_merge_implIS3_N6thrust23THRUST_200600_302600_NS6detail15normal_iteratorINS8_10device_ptrIiEEEESD_jNS1_19radix_merge_compareILb1ELb1EiNS0_19identity_decomposerEEEEE10hipError_tT0_T1_T2_jT3_P12ihipStream_tbPNSt15iterator_traitsISI_E10value_typeEPNSO_ISJ_E10value_typeEPSK_NS1_7vsmem_tEENKUlT_SI_SJ_SK_E_clISD_PiSD_S10_EESH_SX_SI_SJ_SK_EUlSX_E0_NS1_11comp_targetILNS1_3genE5ELNS1_11target_archE942ELNS1_3gpuE9ELNS1_3repE0EEENS1_38merge_mergepath_config_static_selectorELNS0_4arch9wavefront6targetE1EEEvSJ_.uses_flat_scratch, 0
	.set _ZN7rocprim17ROCPRIM_400000_NS6detail17trampoline_kernelINS0_14default_configENS1_38merge_sort_block_merge_config_selectorIiiEEZZNS1_27merge_sort_block_merge_implIS3_N6thrust23THRUST_200600_302600_NS6detail15normal_iteratorINS8_10device_ptrIiEEEESD_jNS1_19radix_merge_compareILb1ELb1EiNS0_19identity_decomposerEEEEE10hipError_tT0_T1_T2_jT3_P12ihipStream_tbPNSt15iterator_traitsISI_E10value_typeEPNSO_ISJ_E10value_typeEPSK_NS1_7vsmem_tEENKUlT_SI_SJ_SK_E_clISD_PiSD_S10_EESH_SX_SI_SJ_SK_EUlSX_E0_NS1_11comp_targetILNS1_3genE5ELNS1_11target_archE942ELNS1_3gpuE9ELNS1_3repE0EEENS1_38merge_mergepath_config_static_selectorELNS0_4arch9wavefront6targetE1EEEvSJ_.has_dyn_sized_stack, 0
	.set _ZN7rocprim17ROCPRIM_400000_NS6detail17trampoline_kernelINS0_14default_configENS1_38merge_sort_block_merge_config_selectorIiiEEZZNS1_27merge_sort_block_merge_implIS3_N6thrust23THRUST_200600_302600_NS6detail15normal_iteratorINS8_10device_ptrIiEEEESD_jNS1_19radix_merge_compareILb1ELb1EiNS0_19identity_decomposerEEEEE10hipError_tT0_T1_T2_jT3_P12ihipStream_tbPNSt15iterator_traitsISI_E10value_typeEPNSO_ISJ_E10value_typeEPSK_NS1_7vsmem_tEENKUlT_SI_SJ_SK_E_clISD_PiSD_S10_EESH_SX_SI_SJ_SK_EUlSX_E0_NS1_11comp_targetILNS1_3genE5ELNS1_11target_archE942ELNS1_3gpuE9ELNS1_3repE0EEENS1_38merge_mergepath_config_static_selectorELNS0_4arch9wavefront6targetE1EEEvSJ_.has_recursion, 0
	.set _ZN7rocprim17ROCPRIM_400000_NS6detail17trampoline_kernelINS0_14default_configENS1_38merge_sort_block_merge_config_selectorIiiEEZZNS1_27merge_sort_block_merge_implIS3_N6thrust23THRUST_200600_302600_NS6detail15normal_iteratorINS8_10device_ptrIiEEEESD_jNS1_19radix_merge_compareILb1ELb1EiNS0_19identity_decomposerEEEEE10hipError_tT0_T1_T2_jT3_P12ihipStream_tbPNSt15iterator_traitsISI_E10value_typeEPNSO_ISJ_E10value_typeEPSK_NS1_7vsmem_tEENKUlT_SI_SJ_SK_E_clISD_PiSD_S10_EESH_SX_SI_SJ_SK_EUlSX_E0_NS1_11comp_targetILNS1_3genE5ELNS1_11target_archE942ELNS1_3gpuE9ELNS1_3repE0EEENS1_38merge_mergepath_config_static_selectorELNS0_4arch9wavefront6targetE1EEEvSJ_.has_indirect_call, 0
	.section	.AMDGPU.csdata,"",@progbits
; Kernel info:
; codeLenInByte = 0
; TotalNumSgprs: 6
; NumVgprs: 0
; NumAgprs: 0
; TotalNumVgprs: 0
; ScratchSize: 0
; MemoryBound: 0
; FloatMode: 240
; IeeeMode: 1
; LDSByteSize: 0 bytes/workgroup (compile time only)
; SGPRBlocks: 0
; VGPRBlocks: 0
; NumSGPRsForWavesPerEU: 6
; NumVGPRsForWavesPerEU: 1
; AccumOffset: 4
; Occupancy: 8
; WaveLimiterHint : 0
; COMPUTE_PGM_RSRC2:SCRATCH_EN: 0
; COMPUTE_PGM_RSRC2:USER_SGPR: 2
; COMPUTE_PGM_RSRC2:TRAP_HANDLER: 0
; COMPUTE_PGM_RSRC2:TGID_X_EN: 1
; COMPUTE_PGM_RSRC2:TGID_Y_EN: 0
; COMPUTE_PGM_RSRC2:TGID_Z_EN: 0
; COMPUTE_PGM_RSRC2:TIDIG_COMP_CNT: 0
; COMPUTE_PGM_RSRC3_GFX90A:ACCUM_OFFSET: 0
; COMPUTE_PGM_RSRC3_GFX90A:TG_SPLIT: 0
	.section	.text._ZN7rocprim17ROCPRIM_400000_NS6detail17trampoline_kernelINS0_14default_configENS1_38merge_sort_block_merge_config_selectorIiiEEZZNS1_27merge_sort_block_merge_implIS3_N6thrust23THRUST_200600_302600_NS6detail15normal_iteratorINS8_10device_ptrIiEEEESD_jNS1_19radix_merge_compareILb1ELb1EiNS0_19identity_decomposerEEEEE10hipError_tT0_T1_T2_jT3_P12ihipStream_tbPNSt15iterator_traitsISI_E10value_typeEPNSO_ISJ_E10value_typeEPSK_NS1_7vsmem_tEENKUlT_SI_SJ_SK_E_clISD_PiSD_S10_EESH_SX_SI_SJ_SK_EUlSX_E0_NS1_11comp_targetILNS1_3genE4ELNS1_11target_archE910ELNS1_3gpuE8ELNS1_3repE0EEENS1_38merge_mergepath_config_static_selectorELNS0_4arch9wavefront6targetE1EEEvSJ_,"axG",@progbits,_ZN7rocprim17ROCPRIM_400000_NS6detail17trampoline_kernelINS0_14default_configENS1_38merge_sort_block_merge_config_selectorIiiEEZZNS1_27merge_sort_block_merge_implIS3_N6thrust23THRUST_200600_302600_NS6detail15normal_iteratorINS8_10device_ptrIiEEEESD_jNS1_19radix_merge_compareILb1ELb1EiNS0_19identity_decomposerEEEEE10hipError_tT0_T1_T2_jT3_P12ihipStream_tbPNSt15iterator_traitsISI_E10value_typeEPNSO_ISJ_E10value_typeEPSK_NS1_7vsmem_tEENKUlT_SI_SJ_SK_E_clISD_PiSD_S10_EESH_SX_SI_SJ_SK_EUlSX_E0_NS1_11comp_targetILNS1_3genE4ELNS1_11target_archE910ELNS1_3gpuE8ELNS1_3repE0EEENS1_38merge_mergepath_config_static_selectorELNS0_4arch9wavefront6targetE1EEEvSJ_,comdat
	.protected	_ZN7rocprim17ROCPRIM_400000_NS6detail17trampoline_kernelINS0_14default_configENS1_38merge_sort_block_merge_config_selectorIiiEEZZNS1_27merge_sort_block_merge_implIS3_N6thrust23THRUST_200600_302600_NS6detail15normal_iteratorINS8_10device_ptrIiEEEESD_jNS1_19radix_merge_compareILb1ELb1EiNS0_19identity_decomposerEEEEE10hipError_tT0_T1_T2_jT3_P12ihipStream_tbPNSt15iterator_traitsISI_E10value_typeEPNSO_ISJ_E10value_typeEPSK_NS1_7vsmem_tEENKUlT_SI_SJ_SK_E_clISD_PiSD_S10_EESH_SX_SI_SJ_SK_EUlSX_E0_NS1_11comp_targetILNS1_3genE4ELNS1_11target_archE910ELNS1_3gpuE8ELNS1_3repE0EEENS1_38merge_mergepath_config_static_selectorELNS0_4arch9wavefront6targetE1EEEvSJ_ ; -- Begin function _ZN7rocprim17ROCPRIM_400000_NS6detail17trampoline_kernelINS0_14default_configENS1_38merge_sort_block_merge_config_selectorIiiEEZZNS1_27merge_sort_block_merge_implIS3_N6thrust23THRUST_200600_302600_NS6detail15normal_iteratorINS8_10device_ptrIiEEEESD_jNS1_19radix_merge_compareILb1ELb1EiNS0_19identity_decomposerEEEEE10hipError_tT0_T1_T2_jT3_P12ihipStream_tbPNSt15iterator_traitsISI_E10value_typeEPNSO_ISJ_E10value_typeEPSK_NS1_7vsmem_tEENKUlT_SI_SJ_SK_E_clISD_PiSD_S10_EESH_SX_SI_SJ_SK_EUlSX_E0_NS1_11comp_targetILNS1_3genE4ELNS1_11target_archE910ELNS1_3gpuE8ELNS1_3repE0EEENS1_38merge_mergepath_config_static_selectorELNS0_4arch9wavefront6targetE1EEEvSJ_
	.globl	_ZN7rocprim17ROCPRIM_400000_NS6detail17trampoline_kernelINS0_14default_configENS1_38merge_sort_block_merge_config_selectorIiiEEZZNS1_27merge_sort_block_merge_implIS3_N6thrust23THRUST_200600_302600_NS6detail15normal_iteratorINS8_10device_ptrIiEEEESD_jNS1_19radix_merge_compareILb1ELb1EiNS0_19identity_decomposerEEEEE10hipError_tT0_T1_T2_jT3_P12ihipStream_tbPNSt15iterator_traitsISI_E10value_typeEPNSO_ISJ_E10value_typeEPSK_NS1_7vsmem_tEENKUlT_SI_SJ_SK_E_clISD_PiSD_S10_EESH_SX_SI_SJ_SK_EUlSX_E0_NS1_11comp_targetILNS1_3genE4ELNS1_11target_archE910ELNS1_3gpuE8ELNS1_3repE0EEENS1_38merge_mergepath_config_static_selectorELNS0_4arch9wavefront6targetE1EEEvSJ_
	.p2align	8
	.type	_ZN7rocprim17ROCPRIM_400000_NS6detail17trampoline_kernelINS0_14default_configENS1_38merge_sort_block_merge_config_selectorIiiEEZZNS1_27merge_sort_block_merge_implIS3_N6thrust23THRUST_200600_302600_NS6detail15normal_iteratorINS8_10device_ptrIiEEEESD_jNS1_19radix_merge_compareILb1ELb1EiNS0_19identity_decomposerEEEEE10hipError_tT0_T1_T2_jT3_P12ihipStream_tbPNSt15iterator_traitsISI_E10value_typeEPNSO_ISJ_E10value_typeEPSK_NS1_7vsmem_tEENKUlT_SI_SJ_SK_E_clISD_PiSD_S10_EESH_SX_SI_SJ_SK_EUlSX_E0_NS1_11comp_targetILNS1_3genE4ELNS1_11target_archE910ELNS1_3gpuE8ELNS1_3repE0EEENS1_38merge_mergepath_config_static_selectorELNS0_4arch9wavefront6targetE1EEEvSJ_,@function
_ZN7rocprim17ROCPRIM_400000_NS6detail17trampoline_kernelINS0_14default_configENS1_38merge_sort_block_merge_config_selectorIiiEEZZNS1_27merge_sort_block_merge_implIS3_N6thrust23THRUST_200600_302600_NS6detail15normal_iteratorINS8_10device_ptrIiEEEESD_jNS1_19radix_merge_compareILb1ELb1EiNS0_19identity_decomposerEEEEE10hipError_tT0_T1_T2_jT3_P12ihipStream_tbPNSt15iterator_traitsISI_E10value_typeEPNSO_ISJ_E10value_typeEPSK_NS1_7vsmem_tEENKUlT_SI_SJ_SK_E_clISD_PiSD_S10_EESH_SX_SI_SJ_SK_EUlSX_E0_NS1_11comp_targetILNS1_3genE4ELNS1_11target_archE910ELNS1_3gpuE8ELNS1_3repE0EEENS1_38merge_mergepath_config_static_selectorELNS0_4arch9wavefront6targetE1EEEvSJ_: ; @_ZN7rocprim17ROCPRIM_400000_NS6detail17trampoline_kernelINS0_14default_configENS1_38merge_sort_block_merge_config_selectorIiiEEZZNS1_27merge_sort_block_merge_implIS3_N6thrust23THRUST_200600_302600_NS6detail15normal_iteratorINS8_10device_ptrIiEEEESD_jNS1_19radix_merge_compareILb1ELb1EiNS0_19identity_decomposerEEEEE10hipError_tT0_T1_T2_jT3_P12ihipStream_tbPNSt15iterator_traitsISI_E10value_typeEPNSO_ISJ_E10value_typeEPSK_NS1_7vsmem_tEENKUlT_SI_SJ_SK_E_clISD_PiSD_S10_EESH_SX_SI_SJ_SK_EUlSX_E0_NS1_11comp_targetILNS1_3genE4ELNS1_11target_archE910ELNS1_3gpuE8ELNS1_3repE0EEENS1_38merge_mergepath_config_static_selectorELNS0_4arch9wavefront6targetE1EEEvSJ_
; %bb.0:
	.section	.rodata,"a",@progbits
	.p2align	6, 0x0
	.amdhsa_kernel _ZN7rocprim17ROCPRIM_400000_NS6detail17trampoline_kernelINS0_14default_configENS1_38merge_sort_block_merge_config_selectorIiiEEZZNS1_27merge_sort_block_merge_implIS3_N6thrust23THRUST_200600_302600_NS6detail15normal_iteratorINS8_10device_ptrIiEEEESD_jNS1_19radix_merge_compareILb1ELb1EiNS0_19identity_decomposerEEEEE10hipError_tT0_T1_T2_jT3_P12ihipStream_tbPNSt15iterator_traitsISI_E10value_typeEPNSO_ISJ_E10value_typeEPSK_NS1_7vsmem_tEENKUlT_SI_SJ_SK_E_clISD_PiSD_S10_EESH_SX_SI_SJ_SK_EUlSX_E0_NS1_11comp_targetILNS1_3genE4ELNS1_11target_archE910ELNS1_3gpuE8ELNS1_3repE0EEENS1_38merge_mergepath_config_static_selectorELNS0_4arch9wavefront6targetE1EEEvSJ_
		.amdhsa_group_segment_fixed_size 0
		.amdhsa_private_segment_fixed_size 0
		.amdhsa_kernarg_size 64
		.amdhsa_user_sgpr_count 2
		.amdhsa_user_sgpr_dispatch_ptr 0
		.amdhsa_user_sgpr_queue_ptr 0
		.amdhsa_user_sgpr_kernarg_segment_ptr 1
		.amdhsa_user_sgpr_dispatch_id 0
		.amdhsa_user_sgpr_kernarg_preload_length 0
		.amdhsa_user_sgpr_kernarg_preload_offset 0
		.amdhsa_user_sgpr_private_segment_size 0
		.amdhsa_uses_dynamic_stack 0
		.amdhsa_enable_private_segment 0
		.amdhsa_system_sgpr_workgroup_id_x 1
		.amdhsa_system_sgpr_workgroup_id_y 0
		.amdhsa_system_sgpr_workgroup_id_z 0
		.amdhsa_system_sgpr_workgroup_info 0
		.amdhsa_system_vgpr_workitem_id 0
		.amdhsa_next_free_vgpr 1
		.amdhsa_next_free_sgpr 0
		.amdhsa_accum_offset 4
		.amdhsa_reserve_vcc 0
		.amdhsa_float_round_mode_32 0
		.amdhsa_float_round_mode_16_64 0
		.amdhsa_float_denorm_mode_32 3
		.amdhsa_float_denorm_mode_16_64 3
		.amdhsa_dx10_clamp 1
		.amdhsa_ieee_mode 1
		.amdhsa_fp16_overflow 0
		.amdhsa_tg_split 0
		.amdhsa_exception_fp_ieee_invalid_op 0
		.amdhsa_exception_fp_denorm_src 0
		.amdhsa_exception_fp_ieee_div_zero 0
		.amdhsa_exception_fp_ieee_overflow 0
		.amdhsa_exception_fp_ieee_underflow 0
		.amdhsa_exception_fp_ieee_inexact 0
		.amdhsa_exception_int_div_zero 0
	.end_amdhsa_kernel
	.section	.text._ZN7rocprim17ROCPRIM_400000_NS6detail17trampoline_kernelINS0_14default_configENS1_38merge_sort_block_merge_config_selectorIiiEEZZNS1_27merge_sort_block_merge_implIS3_N6thrust23THRUST_200600_302600_NS6detail15normal_iteratorINS8_10device_ptrIiEEEESD_jNS1_19radix_merge_compareILb1ELb1EiNS0_19identity_decomposerEEEEE10hipError_tT0_T1_T2_jT3_P12ihipStream_tbPNSt15iterator_traitsISI_E10value_typeEPNSO_ISJ_E10value_typeEPSK_NS1_7vsmem_tEENKUlT_SI_SJ_SK_E_clISD_PiSD_S10_EESH_SX_SI_SJ_SK_EUlSX_E0_NS1_11comp_targetILNS1_3genE4ELNS1_11target_archE910ELNS1_3gpuE8ELNS1_3repE0EEENS1_38merge_mergepath_config_static_selectorELNS0_4arch9wavefront6targetE1EEEvSJ_,"axG",@progbits,_ZN7rocprim17ROCPRIM_400000_NS6detail17trampoline_kernelINS0_14default_configENS1_38merge_sort_block_merge_config_selectorIiiEEZZNS1_27merge_sort_block_merge_implIS3_N6thrust23THRUST_200600_302600_NS6detail15normal_iteratorINS8_10device_ptrIiEEEESD_jNS1_19radix_merge_compareILb1ELb1EiNS0_19identity_decomposerEEEEE10hipError_tT0_T1_T2_jT3_P12ihipStream_tbPNSt15iterator_traitsISI_E10value_typeEPNSO_ISJ_E10value_typeEPSK_NS1_7vsmem_tEENKUlT_SI_SJ_SK_E_clISD_PiSD_S10_EESH_SX_SI_SJ_SK_EUlSX_E0_NS1_11comp_targetILNS1_3genE4ELNS1_11target_archE910ELNS1_3gpuE8ELNS1_3repE0EEENS1_38merge_mergepath_config_static_selectorELNS0_4arch9wavefront6targetE1EEEvSJ_,comdat
.Lfunc_end968:
	.size	_ZN7rocprim17ROCPRIM_400000_NS6detail17trampoline_kernelINS0_14default_configENS1_38merge_sort_block_merge_config_selectorIiiEEZZNS1_27merge_sort_block_merge_implIS3_N6thrust23THRUST_200600_302600_NS6detail15normal_iteratorINS8_10device_ptrIiEEEESD_jNS1_19radix_merge_compareILb1ELb1EiNS0_19identity_decomposerEEEEE10hipError_tT0_T1_T2_jT3_P12ihipStream_tbPNSt15iterator_traitsISI_E10value_typeEPNSO_ISJ_E10value_typeEPSK_NS1_7vsmem_tEENKUlT_SI_SJ_SK_E_clISD_PiSD_S10_EESH_SX_SI_SJ_SK_EUlSX_E0_NS1_11comp_targetILNS1_3genE4ELNS1_11target_archE910ELNS1_3gpuE8ELNS1_3repE0EEENS1_38merge_mergepath_config_static_selectorELNS0_4arch9wavefront6targetE1EEEvSJ_, .Lfunc_end968-_ZN7rocprim17ROCPRIM_400000_NS6detail17trampoline_kernelINS0_14default_configENS1_38merge_sort_block_merge_config_selectorIiiEEZZNS1_27merge_sort_block_merge_implIS3_N6thrust23THRUST_200600_302600_NS6detail15normal_iteratorINS8_10device_ptrIiEEEESD_jNS1_19radix_merge_compareILb1ELb1EiNS0_19identity_decomposerEEEEE10hipError_tT0_T1_T2_jT3_P12ihipStream_tbPNSt15iterator_traitsISI_E10value_typeEPNSO_ISJ_E10value_typeEPSK_NS1_7vsmem_tEENKUlT_SI_SJ_SK_E_clISD_PiSD_S10_EESH_SX_SI_SJ_SK_EUlSX_E0_NS1_11comp_targetILNS1_3genE4ELNS1_11target_archE910ELNS1_3gpuE8ELNS1_3repE0EEENS1_38merge_mergepath_config_static_selectorELNS0_4arch9wavefront6targetE1EEEvSJ_
                                        ; -- End function
	.set _ZN7rocprim17ROCPRIM_400000_NS6detail17trampoline_kernelINS0_14default_configENS1_38merge_sort_block_merge_config_selectorIiiEEZZNS1_27merge_sort_block_merge_implIS3_N6thrust23THRUST_200600_302600_NS6detail15normal_iteratorINS8_10device_ptrIiEEEESD_jNS1_19radix_merge_compareILb1ELb1EiNS0_19identity_decomposerEEEEE10hipError_tT0_T1_T2_jT3_P12ihipStream_tbPNSt15iterator_traitsISI_E10value_typeEPNSO_ISJ_E10value_typeEPSK_NS1_7vsmem_tEENKUlT_SI_SJ_SK_E_clISD_PiSD_S10_EESH_SX_SI_SJ_SK_EUlSX_E0_NS1_11comp_targetILNS1_3genE4ELNS1_11target_archE910ELNS1_3gpuE8ELNS1_3repE0EEENS1_38merge_mergepath_config_static_selectorELNS0_4arch9wavefront6targetE1EEEvSJ_.num_vgpr, 0
	.set _ZN7rocprim17ROCPRIM_400000_NS6detail17trampoline_kernelINS0_14default_configENS1_38merge_sort_block_merge_config_selectorIiiEEZZNS1_27merge_sort_block_merge_implIS3_N6thrust23THRUST_200600_302600_NS6detail15normal_iteratorINS8_10device_ptrIiEEEESD_jNS1_19radix_merge_compareILb1ELb1EiNS0_19identity_decomposerEEEEE10hipError_tT0_T1_T2_jT3_P12ihipStream_tbPNSt15iterator_traitsISI_E10value_typeEPNSO_ISJ_E10value_typeEPSK_NS1_7vsmem_tEENKUlT_SI_SJ_SK_E_clISD_PiSD_S10_EESH_SX_SI_SJ_SK_EUlSX_E0_NS1_11comp_targetILNS1_3genE4ELNS1_11target_archE910ELNS1_3gpuE8ELNS1_3repE0EEENS1_38merge_mergepath_config_static_selectorELNS0_4arch9wavefront6targetE1EEEvSJ_.num_agpr, 0
	.set _ZN7rocprim17ROCPRIM_400000_NS6detail17trampoline_kernelINS0_14default_configENS1_38merge_sort_block_merge_config_selectorIiiEEZZNS1_27merge_sort_block_merge_implIS3_N6thrust23THRUST_200600_302600_NS6detail15normal_iteratorINS8_10device_ptrIiEEEESD_jNS1_19radix_merge_compareILb1ELb1EiNS0_19identity_decomposerEEEEE10hipError_tT0_T1_T2_jT3_P12ihipStream_tbPNSt15iterator_traitsISI_E10value_typeEPNSO_ISJ_E10value_typeEPSK_NS1_7vsmem_tEENKUlT_SI_SJ_SK_E_clISD_PiSD_S10_EESH_SX_SI_SJ_SK_EUlSX_E0_NS1_11comp_targetILNS1_3genE4ELNS1_11target_archE910ELNS1_3gpuE8ELNS1_3repE0EEENS1_38merge_mergepath_config_static_selectorELNS0_4arch9wavefront6targetE1EEEvSJ_.numbered_sgpr, 0
	.set _ZN7rocprim17ROCPRIM_400000_NS6detail17trampoline_kernelINS0_14default_configENS1_38merge_sort_block_merge_config_selectorIiiEEZZNS1_27merge_sort_block_merge_implIS3_N6thrust23THRUST_200600_302600_NS6detail15normal_iteratorINS8_10device_ptrIiEEEESD_jNS1_19radix_merge_compareILb1ELb1EiNS0_19identity_decomposerEEEEE10hipError_tT0_T1_T2_jT3_P12ihipStream_tbPNSt15iterator_traitsISI_E10value_typeEPNSO_ISJ_E10value_typeEPSK_NS1_7vsmem_tEENKUlT_SI_SJ_SK_E_clISD_PiSD_S10_EESH_SX_SI_SJ_SK_EUlSX_E0_NS1_11comp_targetILNS1_3genE4ELNS1_11target_archE910ELNS1_3gpuE8ELNS1_3repE0EEENS1_38merge_mergepath_config_static_selectorELNS0_4arch9wavefront6targetE1EEEvSJ_.num_named_barrier, 0
	.set _ZN7rocprim17ROCPRIM_400000_NS6detail17trampoline_kernelINS0_14default_configENS1_38merge_sort_block_merge_config_selectorIiiEEZZNS1_27merge_sort_block_merge_implIS3_N6thrust23THRUST_200600_302600_NS6detail15normal_iteratorINS8_10device_ptrIiEEEESD_jNS1_19radix_merge_compareILb1ELb1EiNS0_19identity_decomposerEEEEE10hipError_tT0_T1_T2_jT3_P12ihipStream_tbPNSt15iterator_traitsISI_E10value_typeEPNSO_ISJ_E10value_typeEPSK_NS1_7vsmem_tEENKUlT_SI_SJ_SK_E_clISD_PiSD_S10_EESH_SX_SI_SJ_SK_EUlSX_E0_NS1_11comp_targetILNS1_3genE4ELNS1_11target_archE910ELNS1_3gpuE8ELNS1_3repE0EEENS1_38merge_mergepath_config_static_selectorELNS0_4arch9wavefront6targetE1EEEvSJ_.private_seg_size, 0
	.set _ZN7rocprim17ROCPRIM_400000_NS6detail17trampoline_kernelINS0_14default_configENS1_38merge_sort_block_merge_config_selectorIiiEEZZNS1_27merge_sort_block_merge_implIS3_N6thrust23THRUST_200600_302600_NS6detail15normal_iteratorINS8_10device_ptrIiEEEESD_jNS1_19radix_merge_compareILb1ELb1EiNS0_19identity_decomposerEEEEE10hipError_tT0_T1_T2_jT3_P12ihipStream_tbPNSt15iterator_traitsISI_E10value_typeEPNSO_ISJ_E10value_typeEPSK_NS1_7vsmem_tEENKUlT_SI_SJ_SK_E_clISD_PiSD_S10_EESH_SX_SI_SJ_SK_EUlSX_E0_NS1_11comp_targetILNS1_3genE4ELNS1_11target_archE910ELNS1_3gpuE8ELNS1_3repE0EEENS1_38merge_mergepath_config_static_selectorELNS0_4arch9wavefront6targetE1EEEvSJ_.uses_vcc, 0
	.set _ZN7rocprim17ROCPRIM_400000_NS6detail17trampoline_kernelINS0_14default_configENS1_38merge_sort_block_merge_config_selectorIiiEEZZNS1_27merge_sort_block_merge_implIS3_N6thrust23THRUST_200600_302600_NS6detail15normal_iteratorINS8_10device_ptrIiEEEESD_jNS1_19radix_merge_compareILb1ELb1EiNS0_19identity_decomposerEEEEE10hipError_tT0_T1_T2_jT3_P12ihipStream_tbPNSt15iterator_traitsISI_E10value_typeEPNSO_ISJ_E10value_typeEPSK_NS1_7vsmem_tEENKUlT_SI_SJ_SK_E_clISD_PiSD_S10_EESH_SX_SI_SJ_SK_EUlSX_E0_NS1_11comp_targetILNS1_3genE4ELNS1_11target_archE910ELNS1_3gpuE8ELNS1_3repE0EEENS1_38merge_mergepath_config_static_selectorELNS0_4arch9wavefront6targetE1EEEvSJ_.uses_flat_scratch, 0
	.set _ZN7rocprim17ROCPRIM_400000_NS6detail17trampoline_kernelINS0_14default_configENS1_38merge_sort_block_merge_config_selectorIiiEEZZNS1_27merge_sort_block_merge_implIS3_N6thrust23THRUST_200600_302600_NS6detail15normal_iteratorINS8_10device_ptrIiEEEESD_jNS1_19radix_merge_compareILb1ELb1EiNS0_19identity_decomposerEEEEE10hipError_tT0_T1_T2_jT3_P12ihipStream_tbPNSt15iterator_traitsISI_E10value_typeEPNSO_ISJ_E10value_typeEPSK_NS1_7vsmem_tEENKUlT_SI_SJ_SK_E_clISD_PiSD_S10_EESH_SX_SI_SJ_SK_EUlSX_E0_NS1_11comp_targetILNS1_3genE4ELNS1_11target_archE910ELNS1_3gpuE8ELNS1_3repE0EEENS1_38merge_mergepath_config_static_selectorELNS0_4arch9wavefront6targetE1EEEvSJ_.has_dyn_sized_stack, 0
	.set _ZN7rocprim17ROCPRIM_400000_NS6detail17trampoline_kernelINS0_14default_configENS1_38merge_sort_block_merge_config_selectorIiiEEZZNS1_27merge_sort_block_merge_implIS3_N6thrust23THRUST_200600_302600_NS6detail15normal_iteratorINS8_10device_ptrIiEEEESD_jNS1_19radix_merge_compareILb1ELb1EiNS0_19identity_decomposerEEEEE10hipError_tT0_T1_T2_jT3_P12ihipStream_tbPNSt15iterator_traitsISI_E10value_typeEPNSO_ISJ_E10value_typeEPSK_NS1_7vsmem_tEENKUlT_SI_SJ_SK_E_clISD_PiSD_S10_EESH_SX_SI_SJ_SK_EUlSX_E0_NS1_11comp_targetILNS1_3genE4ELNS1_11target_archE910ELNS1_3gpuE8ELNS1_3repE0EEENS1_38merge_mergepath_config_static_selectorELNS0_4arch9wavefront6targetE1EEEvSJ_.has_recursion, 0
	.set _ZN7rocprim17ROCPRIM_400000_NS6detail17trampoline_kernelINS0_14default_configENS1_38merge_sort_block_merge_config_selectorIiiEEZZNS1_27merge_sort_block_merge_implIS3_N6thrust23THRUST_200600_302600_NS6detail15normal_iteratorINS8_10device_ptrIiEEEESD_jNS1_19radix_merge_compareILb1ELb1EiNS0_19identity_decomposerEEEEE10hipError_tT0_T1_T2_jT3_P12ihipStream_tbPNSt15iterator_traitsISI_E10value_typeEPNSO_ISJ_E10value_typeEPSK_NS1_7vsmem_tEENKUlT_SI_SJ_SK_E_clISD_PiSD_S10_EESH_SX_SI_SJ_SK_EUlSX_E0_NS1_11comp_targetILNS1_3genE4ELNS1_11target_archE910ELNS1_3gpuE8ELNS1_3repE0EEENS1_38merge_mergepath_config_static_selectorELNS0_4arch9wavefront6targetE1EEEvSJ_.has_indirect_call, 0
	.section	.AMDGPU.csdata,"",@progbits
; Kernel info:
; codeLenInByte = 0
; TotalNumSgprs: 6
; NumVgprs: 0
; NumAgprs: 0
; TotalNumVgprs: 0
; ScratchSize: 0
; MemoryBound: 0
; FloatMode: 240
; IeeeMode: 1
; LDSByteSize: 0 bytes/workgroup (compile time only)
; SGPRBlocks: 0
; VGPRBlocks: 0
; NumSGPRsForWavesPerEU: 6
; NumVGPRsForWavesPerEU: 1
; AccumOffset: 4
; Occupancy: 8
; WaveLimiterHint : 0
; COMPUTE_PGM_RSRC2:SCRATCH_EN: 0
; COMPUTE_PGM_RSRC2:USER_SGPR: 2
; COMPUTE_PGM_RSRC2:TRAP_HANDLER: 0
; COMPUTE_PGM_RSRC2:TGID_X_EN: 1
; COMPUTE_PGM_RSRC2:TGID_Y_EN: 0
; COMPUTE_PGM_RSRC2:TGID_Z_EN: 0
; COMPUTE_PGM_RSRC2:TIDIG_COMP_CNT: 0
; COMPUTE_PGM_RSRC3_GFX90A:ACCUM_OFFSET: 0
; COMPUTE_PGM_RSRC3_GFX90A:TG_SPLIT: 0
	.section	.text._ZN7rocprim17ROCPRIM_400000_NS6detail17trampoline_kernelINS0_14default_configENS1_38merge_sort_block_merge_config_selectorIiiEEZZNS1_27merge_sort_block_merge_implIS3_N6thrust23THRUST_200600_302600_NS6detail15normal_iteratorINS8_10device_ptrIiEEEESD_jNS1_19radix_merge_compareILb1ELb1EiNS0_19identity_decomposerEEEEE10hipError_tT0_T1_T2_jT3_P12ihipStream_tbPNSt15iterator_traitsISI_E10value_typeEPNSO_ISJ_E10value_typeEPSK_NS1_7vsmem_tEENKUlT_SI_SJ_SK_E_clISD_PiSD_S10_EESH_SX_SI_SJ_SK_EUlSX_E0_NS1_11comp_targetILNS1_3genE3ELNS1_11target_archE908ELNS1_3gpuE7ELNS1_3repE0EEENS1_38merge_mergepath_config_static_selectorELNS0_4arch9wavefront6targetE1EEEvSJ_,"axG",@progbits,_ZN7rocprim17ROCPRIM_400000_NS6detail17trampoline_kernelINS0_14default_configENS1_38merge_sort_block_merge_config_selectorIiiEEZZNS1_27merge_sort_block_merge_implIS3_N6thrust23THRUST_200600_302600_NS6detail15normal_iteratorINS8_10device_ptrIiEEEESD_jNS1_19radix_merge_compareILb1ELb1EiNS0_19identity_decomposerEEEEE10hipError_tT0_T1_T2_jT3_P12ihipStream_tbPNSt15iterator_traitsISI_E10value_typeEPNSO_ISJ_E10value_typeEPSK_NS1_7vsmem_tEENKUlT_SI_SJ_SK_E_clISD_PiSD_S10_EESH_SX_SI_SJ_SK_EUlSX_E0_NS1_11comp_targetILNS1_3genE3ELNS1_11target_archE908ELNS1_3gpuE7ELNS1_3repE0EEENS1_38merge_mergepath_config_static_selectorELNS0_4arch9wavefront6targetE1EEEvSJ_,comdat
	.protected	_ZN7rocprim17ROCPRIM_400000_NS6detail17trampoline_kernelINS0_14default_configENS1_38merge_sort_block_merge_config_selectorIiiEEZZNS1_27merge_sort_block_merge_implIS3_N6thrust23THRUST_200600_302600_NS6detail15normal_iteratorINS8_10device_ptrIiEEEESD_jNS1_19radix_merge_compareILb1ELb1EiNS0_19identity_decomposerEEEEE10hipError_tT0_T1_T2_jT3_P12ihipStream_tbPNSt15iterator_traitsISI_E10value_typeEPNSO_ISJ_E10value_typeEPSK_NS1_7vsmem_tEENKUlT_SI_SJ_SK_E_clISD_PiSD_S10_EESH_SX_SI_SJ_SK_EUlSX_E0_NS1_11comp_targetILNS1_3genE3ELNS1_11target_archE908ELNS1_3gpuE7ELNS1_3repE0EEENS1_38merge_mergepath_config_static_selectorELNS0_4arch9wavefront6targetE1EEEvSJ_ ; -- Begin function _ZN7rocprim17ROCPRIM_400000_NS6detail17trampoline_kernelINS0_14default_configENS1_38merge_sort_block_merge_config_selectorIiiEEZZNS1_27merge_sort_block_merge_implIS3_N6thrust23THRUST_200600_302600_NS6detail15normal_iteratorINS8_10device_ptrIiEEEESD_jNS1_19radix_merge_compareILb1ELb1EiNS0_19identity_decomposerEEEEE10hipError_tT0_T1_T2_jT3_P12ihipStream_tbPNSt15iterator_traitsISI_E10value_typeEPNSO_ISJ_E10value_typeEPSK_NS1_7vsmem_tEENKUlT_SI_SJ_SK_E_clISD_PiSD_S10_EESH_SX_SI_SJ_SK_EUlSX_E0_NS1_11comp_targetILNS1_3genE3ELNS1_11target_archE908ELNS1_3gpuE7ELNS1_3repE0EEENS1_38merge_mergepath_config_static_selectorELNS0_4arch9wavefront6targetE1EEEvSJ_
	.globl	_ZN7rocprim17ROCPRIM_400000_NS6detail17trampoline_kernelINS0_14default_configENS1_38merge_sort_block_merge_config_selectorIiiEEZZNS1_27merge_sort_block_merge_implIS3_N6thrust23THRUST_200600_302600_NS6detail15normal_iteratorINS8_10device_ptrIiEEEESD_jNS1_19radix_merge_compareILb1ELb1EiNS0_19identity_decomposerEEEEE10hipError_tT0_T1_T2_jT3_P12ihipStream_tbPNSt15iterator_traitsISI_E10value_typeEPNSO_ISJ_E10value_typeEPSK_NS1_7vsmem_tEENKUlT_SI_SJ_SK_E_clISD_PiSD_S10_EESH_SX_SI_SJ_SK_EUlSX_E0_NS1_11comp_targetILNS1_3genE3ELNS1_11target_archE908ELNS1_3gpuE7ELNS1_3repE0EEENS1_38merge_mergepath_config_static_selectorELNS0_4arch9wavefront6targetE1EEEvSJ_
	.p2align	8
	.type	_ZN7rocprim17ROCPRIM_400000_NS6detail17trampoline_kernelINS0_14default_configENS1_38merge_sort_block_merge_config_selectorIiiEEZZNS1_27merge_sort_block_merge_implIS3_N6thrust23THRUST_200600_302600_NS6detail15normal_iteratorINS8_10device_ptrIiEEEESD_jNS1_19radix_merge_compareILb1ELb1EiNS0_19identity_decomposerEEEEE10hipError_tT0_T1_T2_jT3_P12ihipStream_tbPNSt15iterator_traitsISI_E10value_typeEPNSO_ISJ_E10value_typeEPSK_NS1_7vsmem_tEENKUlT_SI_SJ_SK_E_clISD_PiSD_S10_EESH_SX_SI_SJ_SK_EUlSX_E0_NS1_11comp_targetILNS1_3genE3ELNS1_11target_archE908ELNS1_3gpuE7ELNS1_3repE0EEENS1_38merge_mergepath_config_static_selectorELNS0_4arch9wavefront6targetE1EEEvSJ_,@function
_ZN7rocprim17ROCPRIM_400000_NS6detail17trampoline_kernelINS0_14default_configENS1_38merge_sort_block_merge_config_selectorIiiEEZZNS1_27merge_sort_block_merge_implIS3_N6thrust23THRUST_200600_302600_NS6detail15normal_iteratorINS8_10device_ptrIiEEEESD_jNS1_19radix_merge_compareILb1ELb1EiNS0_19identity_decomposerEEEEE10hipError_tT0_T1_T2_jT3_P12ihipStream_tbPNSt15iterator_traitsISI_E10value_typeEPNSO_ISJ_E10value_typeEPSK_NS1_7vsmem_tEENKUlT_SI_SJ_SK_E_clISD_PiSD_S10_EESH_SX_SI_SJ_SK_EUlSX_E0_NS1_11comp_targetILNS1_3genE3ELNS1_11target_archE908ELNS1_3gpuE7ELNS1_3repE0EEENS1_38merge_mergepath_config_static_selectorELNS0_4arch9wavefront6targetE1EEEvSJ_: ; @_ZN7rocprim17ROCPRIM_400000_NS6detail17trampoline_kernelINS0_14default_configENS1_38merge_sort_block_merge_config_selectorIiiEEZZNS1_27merge_sort_block_merge_implIS3_N6thrust23THRUST_200600_302600_NS6detail15normal_iteratorINS8_10device_ptrIiEEEESD_jNS1_19radix_merge_compareILb1ELb1EiNS0_19identity_decomposerEEEEE10hipError_tT0_T1_T2_jT3_P12ihipStream_tbPNSt15iterator_traitsISI_E10value_typeEPNSO_ISJ_E10value_typeEPSK_NS1_7vsmem_tEENKUlT_SI_SJ_SK_E_clISD_PiSD_S10_EESH_SX_SI_SJ_SK_EUlSX_E0_NS1_11comp_targetILNS1_3genE3ELNS1_11target_archE908ELNS1_3gpuE7ELNS1_3repE0EEENS1_38merge_mergepath_config_static_selectorELNS0_4arch9wavefront6targetE1EEEvSJ_
; %bb.0:
	.section	.rodata,"a",@progbits
	.p2align	6, 0x0
	.amdhsa_kernel _ZN7rocprim17ROCPRIM_400000_NS6detail17trampoline_kernelINS0_14default_configENS1_38merge_sort_block_merge_config_selectorIiiEEZZNS1_27merge_sort_block_merge_implIS3_N6thrust23THRUST_200600_302600_NS6detail15normal_iteratorINS8_10device_ptrIiEEEESD_jNS1_19radix_merge_compareILb1ELb1EiNS0_19identity_decomposerEEEEE10hipError_tT0_T1_T2_jT3_P12ihipStream_tbPNSt15iterator_traitsISI_E10value_typeEPNSO_ISJ_E10value_typeEPSK_NS1_7vsmem_tEENKUlT_SI_SJ_SK_E_clISD_PiSD_S10_EESH_SX_SI_SJ_SK_EUlSX_E0_NS1_11comp_targetILNS1_3genE3ELNS1_11target_archE908ELNS1_3gpuE7ELNS1_3repE0EEENS1_38merge_mergepath_config_static_selectorELNS0_4arch9wavefront6targetE1EEEvSJ_
		.amdhsa_group_segment_fixed_size 0
		.amdhsa_private_segment_fixed_size 0
		.amdhsa_kernarg_size 64
		.amdhsa_user_sgpr_count 2
		.amdhsa_user_sgpr_dispatch_ptr 0
		.amdhsa_user_sgpr_queue_ptr 0
		.amdhsa_user_sgpr_kernarg_segment_ptr 1
		.amdhsa_user_sgpr_dispatch_id 0
		.amdhsa_user_sgpr_kernarg_preload_length 0
		.amdhsa_user_sgpr_kernarg_preload_offset 0
		.amdhsa_user_sgpr_private_segment_size 0
		.amdhsa_uses_dynamic_stack 0
		.amdhsa_enable_private_segment 0
		.amdhsa_system_sgpr_workgroup_id_x 1
		.amdhsa_system_sgpr_workgroup_id_y 0
		.amdhsa_system_sgpr_workgroup_id_z 0
		.amdhsa_system_sgpr_workgroup_info 0
		.amdhsa_system_vgpr_workitem_id 0
		.amdhsa_next_free_vgpr 1
		.amdhsa_next_free_sgpr 0
		.amdhsa_accum_offset 4
		.amdhsa_reserve_vcc 0
		.amdhsa_float_round_mode_32 0
		.amdhsa_float_round_mode_16_64 0
		.amdhsa_float_denorm_mode_32 3
		.amdhsa_float_denorm_mode_16_64 3
		.amdhsa_dx10_clamp 1
		.amdhsa_ieee_mode 1
		.amdhsa_fp16_overflow 0
		.amdhsa_tg_split 0
		.amdhsa_exception_fp_ieee_invalid_op 0
		.amdhsa_exception_fp_denorm_src 0
		.amdhsa_exception_fp_ieee_div_zero 0
		.amdhsa_exception_fp_ieee_overflow 0
		.amdhsa_exception_fp_ieee_underflow 0
		.amdhsa_exception_fp_ieee_inexact 0
		.amdhsa_exception_int_div_zero 0
	.end_amdhsa_kernel
	.section	.text._ZN7rocprim17ROCPRIM_400000_NS6detail17trampoline_kernelINS0_14default_configENS1_38merge_sort_block_merge_config_selectorIiiEEZZNS1_27merge_sort_block_merge_implIS3_N6thrust23THRUST_200600_302600_NS6detail15normal_iteratorINS8_10device_ptrIiEEEESD_jNS1_19radix_merge_compareILb1ELb1EiNS0_19identity_decomposerEEEEE10hipError_tT0_T1_T2_jT3_P12ihipStream_tbPNSt15iterator_traitsISI_E10value_typeEPNSO_ISJ_E10value_typeEPSK_NS1_7vsmem_tEENKUlT_SI_SJ_SK_E_clISD_PiSD_S10_EESH_SX_SI_SJ_SK_EUlSX_E0_NS1_11comp_targetILNS1_3genE3ELNS1_11target_archE908ELNS1_3gpuE7ELNS1_3repE0EEENS1_38merge_mergepath_config_static_selectorELNS0_4arch9wavefront6targetE1EEEvSJ_,"axG",@progbits,_ZN7rocprim17ROCPRIM_400000_NS6detail17trampoline_kernelINS0_14default_configENS1_38merge_sort_block_merge_config_selectorIiiEEZZNS1_27merge_sort_block_merge_implIS3_N6thrust23THRUST_200600_302600_NS6detail15normal_iteratorINS8_10device_ptrIiEEEESD_jNS1_19radix_merge_compareILb1ELb1EiNS0_19identity_decomposerEEEEE10hipError_tT0_T1_T2_jT3_P12ihipStream_tbPNSt15iterator_traitsISI_E10value_typeEPNSO_ISJ_E10value_typeEPSK_NS1_7vsmem_tEENKUlT_SI_SJ_SK_E_clISD_PiSD_S10_EESH_SX_SI_SJ_SK_EUlSX_E0_NS1_11comp_targetILNS1_3genE3ELNS1_11target_archE908ELNS1_3gpuE7ELNS1_3repE0EEENS1_38merge_mergepath_config_static_selectorELNS0_4arch9wavefront6targetE1EEEvSJ_,comdat
.Lfunc_end969:
	.size	_ZN7rocprim17ROCPRIM_400000_NS6detail17trampoline_kernelINS0_14default_configENS1_38merge_sort_block_merge_config_selectorIiiEEZZNS1_27merge_sort_block_merge_implIS3_N6thrust23THRUST_200600_302600_NS6detail15normal_iteratorINS8_10device_ptrIiEEEESD_jNS1_19radix_merge_compareILb1ELb1EiNS0_19identity_decomposerEEEEE10hipError_tT0_T1_T2_jT3_P12ihipStream_tbPNSt15iterator_traitsISI_E10value_typeEPNSO_ISJ_E10value_typeEPSK_NS1_7vsmem_tEENKUlT_SI_SJ_SK_E_clISD_PiSD_S10_EESH_SX_SI_SJ_SK_EUlSX_E0_NS1_11comp_targetILNS1_3genE3ELNS1_11target_archE908ELNS1_3gpuE7ELNS1_3repE0EEENS1_38merge_mergepath_config_static_selectorELNS0_4arch9wavefront6targetE1EEEvSJ_, .Lfunc_end969-_ZN7rocprim17ROCPRIM_400000_NS6detail17trampoline_kernelINS0_14default_configENS1_38merge_sort_block_merge_config_selectorIiiEEZZNS1_27merge_sort_block_merge_implIS3_N6thrust23THRUST_200600_302600_NS6detail15normal_iteratorINS8_10device_ptrIiEEEESD_jNS1_19radix_merge_compareILb1ELb1EiNS0_19identity_decomposerEEEEE10hipError_tT0_T1_T2_jT3_P12ihipStream_tbPNSt15iterator_traitsISI_E10value_typeEPNSO_ISJ_E10value_typeEPSK_NS1_7vsmem_tEENKUlT_SI_SJ_SK_E_clISD_PiSD_S10_EESH_SX_SI_SJ_SK_EUlSX_E0_NS1_11comp_targetILNS1_3genE3ELNS1_11target_archE908ELNS1_3gpuE7ELNS1_3repE0EEENS1_38merge_mergepath_config_static_selectorELNS0_4arch9wavefront6targetE1EEEvSJ_
                                        ; -- End function
	.set _ZN7rocprim17ROCPRIM_400000_NS6detail17trampoline_kernelINS0_14default_configENS1_38merge_sort_block_merge_config_selectorIiiEEZZNS1_27merge_sort_block_merge_implIS3_N6thrust23THRUST_200600_302600_NS6detail15normal_iteratorINS8_10device_ptrIiEEEESD_jNS1_19radix_merge_compareILb1ELb1EiNS0_19identity_decomposerEEEEE10hipError_tT0_T1_T2_jT3_P12ihipStream_tbPNSt15iterator_traitsISI_E10value_typeEPNSO_ISJ_E10value_typeEPSK_NS1_7vsmem_tEENKUlT_SI_SJ_SK_E_clISD_PiSD_S10_EESH_SX_SI_SJ_SK_EUlSX_E0_NS1_11comp_targetILNS1_3genE3ELNS1_11target_archE908ELNS1_3gpuE7ELNS1_3repE0EEENS1_38merge_mergepath_config_static_selectorELNS0_4arch9wavefront6targetE1EEEvSJ_.num_vgpr, 0
	.set _ZN7rocprim17ROCPRIM_400000_NS6detail17trampoline_kernelINS0_14default_configENS1_38merge_sort_block_merge_config_selectorIiiEEZZNS1_27merge_sort_block_merge_implIS3_N6thrust23THRUST_200600_302600_NS6detail15normal_iteratorINS8_10device_ptrIiEEEESD_jNS1_19radix_merge_compareILb1ELb1EiNS0_19identity_decomposerEEEEE10hipError_tT0_T1_T2_jT3_P12ihipStream_tbPNSt15iterator_traitsISI_E10value_typeEPNSO_ISJ_E10value_typeEPSK_NS1_7vsmem_tEENKUlT_SI_SJ_SK_E_clISD_PiSD_S10_EESH_SX_SI_SJ_SK_EUlSX_E0_NS1_11comp_targetILNS1_3genE3ELNS1_11target_archE908ELNS1_3gpuE7ELNS1_3repE0EEENS1_38merge_mergepath_config_static_selectorELNS0_4arch9wavefront6targetE1EEEvSJ_.num_agpr, 0
	.set _ZN7rocprim17ROCPRIM_400000_NS6detail17trampoline_kernelINS0_14default_configENS1_38merge_sort_block_merge_config_selectorIiiEEZZNS1_27merge_sort_block_merge_implIS3_N6thrust23THRUST_200600_302600_NS6detail15normal_iteratorINS8_10device_ptrIiEEEESD_jNS1_19radix_merge_compareILb1ELb1EiNS0_19identity_decomposerEEEEE10hipError_tT0_T1_T2_jT3_P12ihipStream_tbPNSt15iterator_traitsISI_E10value_typeEPNSO_ISJ_E10value_typeEPSK_NS1_7vsmem_tEENKUlT_SI_SJ_SK_E_clISD_PiSD_S10_EESH_SX_SI_SJ_SK_EUlSX_E0_NS1_11comp_targetILNS1_3genE3ELNS1_11target_archE908ELNS1_3gpuE7ELNS1_3repE0EEENS1_38merge_mergepath_config_static_selectorELNS0_4arch9wavefront6targetE1EEEvSJ_.numbered_sgpr, 0
	.set _ZN7rocprim17ROCPRIM_400000_NS6detail17trampoline_kernelINS0_14default_configENS1_38merge_sort_block_merge_config_selectorIiiEEZZNS1_27merge_sort_block_merge_implIS3_N6thrust23THRUST_200600_302600_NS6detail15normal_iteratorINS8_10device_ptrIiEEEESD_jNS1_19radix_merge_compareILb1ELb1EiNS0_19identity_decomposerEEEEE10hipError_tT0_T1_T2_jT3_P12ihipStream_tbPNSt15iterator_traitsISI_E10value_typeEPNSO_ISJ_E10value_typeEPSK_NS1_7vsmem_tEENKUlT_SI_SJ_SK_E_clISD_PiSD_S10_EESH_SX_SI_SJ_SK_EUlSX_E0_NS1_11comp_targetILNS1_3genE3ELNS1_11target_archE908ELNS1_3gpuE7ELNS1_3repE0EEENS1_38merge_mergepath_config_static_selectorELNS0_4arch9wavefront6targetE1EEEvSJ_.num_named_barrier, 0
	.set _ZN7rocprim17ROCPRIM_400000_NS6detail17trampoline_kernelINS0_14default_configENS1_38merge_sort_block_merge_config_selectorIiiEEZZNS1_27merge_sort_block_merge_implIS3_N6thrust23THRUST_200600_302600_NS6detail15normal_iteratorINS8_10device_ptrIiEEEESD_jNS1_19radix_merge_compareILb1ELb1EiNS0_19identity_decomposerEEEEE10hipError_tT0_T1_T2_jT3_P12ihipStream_tbPNSt15iterator_traitsISI_E10value_typeEPNSO_ISJ_E10value_typeEPSK_NS1_7vsmem_tEENKUlT_SI_SJ_SK_E_clISD_PiSD_S10_EESH_SX_SI_SJ_SK_EUlSX_E0_NS1_11comp_targetILNS1_3genE3ELNS1_11target_archE908ELNS1_3gpuE7ELNS1_3repE0EEENS1_38merge_mergepath_config_static_selectorELNS0_4arch9wavefront6targetE1EEEvSJ_.private_seg_size, 0
	.set _ZN7rocprim17ROCPRIM_400000_NS6detail17trampoline_kernelINS0_14default_configENS1_38merge_sort_block_merge_config_selectorIiiEEZZNS1_27merge_sort_block_merge_implIS3_N6thrust23THRUST_200600_302600_NS6detail15normal_iteratorINS8_10device_ptrIiEEEESD_jNS1_19radix_merge_compareILb1ELb1EiNS0_19identity_decomposerEEEEE10hipError_tT0_T1_T2_jT3_P12ihipStream_tbPNSt15iterator_traitsISI_E10value_typeEPNSO_ISJ_E10value_typeEPSK_NS1_7vsmem_tEENKUlT_SI_SJ_SK_E_clISD_PiSD_S10_EESH_SX_SI_SJ_SK_EUlSX_E0_NS1_11comp_targetILNS1_3genE3ELNS1_11target_archE908ELNS1_3gpuE7ELNS1_3repE0EEENS1_38merge_mergepath_config_static_selectorELNS0_4arch9wavefront6targetE1EEEvSJ_.uses_vcc, 0
	.set _ZN7rocprim17ROCPRIM_400000_NS6detail17trampoline_kernelINS0_14default_configENS1_38merge_sort_block_merge_config_selectorIiiEEZZNS1_27merge_sort_block_merge_implIS3_N6thrust23THRUST_200600_302600_NS6detail15normal_iteratorINS8_10device_ptrIiEEEESD_jNS1_19radix_merge_compareILb1ELb1EiNS0_19identity_decomposerEEEEE10hipError_tT0_T1_T2_jT3_P12ihipStream_tbPNSt15iterator_traitsISI_E10value_typeEPNSO_ISJ_E10value_typeEPSK_NS1_7vsmem_tEENKUlT_SI_SJ_SK_E_clISD_PiSD_S10_EESH_SX_SI_SJ_SK_EUlSX_E0_NS1_11comp_targetILNS1_3genE3ELNS1_11target_archE908ELNS1_3gpuE7ELNS1_3repE0EEENS1_38merge_mergepath_config_static_selectorELNS0_4arch9wavefront6targetE1EEEvSJ_.uses_flat_scratch, 0
	.set _ZN7rocprim17ROCPRIM_400000_NS6detail17trampoline_kernelINS0_14default_configENS1_38merge_sort_block_merge_config_selectorIiiEEZZNS1_27merge_sort_block_merge_implIS3_N6thrust23THRUST_200600_302600_NS6detail15normal_iteratorINS8_10device_ptrIiEEEESD_jNS1_19radix_merge_compareILb1ELb1EiNS0_19identity_decomposerEEEEE10hipError_tT0_T1_T2_jT3_P12ihipStream_tbPNSt15iterator_traitsISI_E10value_typeEPNSO_ISJ_E10value_typeEPSK_NS1_7vsmem_tEENKUlT_SI_SJ_SK_E_clISD_PiSD_S10_EESH_SX_SI_SJ_SK_EUlSX_E0_NS1_11comp_targetILNS1_3genE3ELNS1_11target_archE908ELNS1_3gpuE7ELNS1_3repE0EEENS1_38merge_mergepath_config_static_selectorELNS0_4arch9wavefront6targetE1EEEvSJ_.has_dyn_sized_stack, 0
	.set _ZN7rocprim17ROCPRIM_400000_NS6detail17trampoline_kernelINS0_14default_configENS1_38merge_sort_block_merge_config_selectorIiiEEZZNS1_27merge_sort_block_merge_implIS3_N6thrust23THRUST_200600_302600_NS6detail15normal_iteratorINS8_10device_ptrIiEEEESD_jNS1_19radix_merge_compareILb1ELb1EiNS0_19identity_decomposerEEEEE10hipError_tT0_T1_T2_jT3_P12ihipStream_tbPNSt15iterator_traitsISI_E10value_typeEPNSO_ISJ_E10value_typeEPSK_NS1_7vsmem_tEENKUlT_SI_SJ_SK_E_clISD_PiSD_S10_EESH_SX_SI_SJ_SK_EUlSX_E0_NS1_11comp_targetILNS1_3genE3ELNS1_11target_archE908ELNS1_3gpuE7ELNS1_3repE0EEENS1_38merge_mergepath_config_static_selectorELNS0_4arch9wavefront6targetE1EEEvSJ_.has_recursion, 0
	.set _ZN7rocprim17ROCPRIM_400000_NS6detail17trampoline_kernelINS0_14default_configENS1_38merge_sort_block_merge_config_selectorIiiEEZZNS1_27merge_sort_block_merge_implIS3_N6thrust23THRUST_200600_302600_NS6detail15normal_iteratorINS8_10device_ptrIiEEEESD_jNS1_19radix_merge_compareILb1ELb1EiNS0_19identity_decomposerEEEEE10hipError_tT0_T1_T2_jT3_P12ihipStream_tbPNSt15iterator_traitsISI_E10value_typeEPNSO_ISJ_E10value_typeEPSK_NS1_7vsmem_tEENKUlT_SI_SJ_SK_E_clISD_PiSD_S10_EESH_SX_SI_SJ_SK_EUlSX_E0_NS1_11comp_targetILNS1_3genE3ELNS1_11target_archE908ELNS1_3gpuE7ELNS1_3repE0EEENS1_38merge_mergepath_config_static_selectorELNS0_4arch9wavefront6targetE1EEEvSJ_.has_indirect_call, 0
	.section	.AMDGPU.csdata,"",@progbits
; Kernel info:
; codeLenInByte = 0
; TotalNumSgprs: 6
; NumVgprs: 0
; NumAgprs: 0
; TotalNumVgprs: 0
; ScratchSize: 0
; MemoryBound: 0
; FloatMode: 240
; IeeeMode: 1
; LDSByteSize: 0 bytes/workgroup (compile time only)
; SGPRBlocks: 0
; VGPRBlocks: 0
; NumSGPRsForWavesPerEU: 6
; NumVGPRsForWavesPerEU: 1
; AccumOffset: 4
; Occupancy: 8
; WaveLimiterHint : 0
; COMPUTE_PGM_RSRC2:SCRATCH_EN: 0
; COMPUTE_PGM_RSRC2:USER_SGPR: 2
; COMPUTE_PGM_RSRC2:TRAP_HANDLER: 0
; COMPUTE_PGM_RSRC2:TGID_X_EN: 1
; COMPUTE_PGM_RSRC2:TGID_Y_EN: 0
; COMPUTE_PGM_RSRC2:TGID_Z_EN: 0
; COMPUTE_PGM_RSRC2:TIDIG_COMP_CNT: 0
; COMPUTE_PGM_RSRC3_GFX90A:ACCUM_OFFSET: 0
; COMPUTE_PGM_RSRC3_GFX90A:TG_SPLIT: 0
	.section	.text._ZN7rocprim17ROCPRIM_400000_NS6detail17trampoline_kernelINS0_14default_configENS1_38merge_sort_block_merge_config_selectorIiiEEZZNS1_27merge_sort_block_merge_implIS3_N6thrust23THRUST_200600_302600_NS6detail15normal_iteratorINS8_10device_ptrIiEEEESD_jNS1_19radix_merge_compareILb1ELb1EiNS0_19identity_decomposerEEEEE10hipError_tT0_T1_T2_jT3_P12ihipStream_tbPNSt15iterator_traitsISI_E10value_typeEPNSO_ISJ_E10value_typeEPSK_NS1_7vsmem_tEENKUlT_SI_SJ_SK_E_clISD_PiSD_S10_EESH_SX_SI_SJ_SK_EUlSX_E0_NS1_11comp_targetILNS1_3genE2ELNS1_11target_archE906ELNS1_3gpuE6ELNS1_3repE0EEENS1_38merge_mergepath_config_static_selectorELNS0_4arch9wavefront6targetE1EEEvSJ_,"axG",@progbits,_ZN7rocprim17ROCPRIM_400000_NS6detail17trampoline_kernelINS0_14default_configENS1_38merge_sort_block_merge_config_selectorIiiEEZZNS1_27merge_sort_block_merge_implIS3_N6thrust23THRUST_200600_302600_NS6detail15normal_iteratorINS8_10device_ptrIiEEEESD_jNS1_19radix_merge_compareILb1ELb1EiNS0_19identity_decomposerEEEEE10hipError_tT0_T1_T2_jT3_P12ihipStream_tbPNSt15iterator_traitsISI_E10value_typeEPNSO_ISJ_E10value_typeEPSK_NS1_7vsmem_tEENKUlT_SI_SJ_SK_E_clISD_PiSD_S10_EESH_SX_SI_SJ_SK_EUlSX_E0_NS1_11comp_targetILNS1_3genE2ELNS1_11target_archE906ELNS1_3gpuE6ELNS1_3repE0EEENS1_38merge_mergepath_config_static_selectorELNS0_4arch9wavefront6targetE1EEEvSJ_,comdat
	.protected	_ZN7rocprim17ROCPRIM_400000_NS6detail17trampoline_kernelINS0_14default_configENS1_38merge_sort_block_merge_config_selectorIiiEEZZNS1_27merge_sort_block_merge_implIS3_N6thrust23THRUST_200600_302600_NS6detail15normal_iteratorINS8_10device_ptrIiEEEESD_jNS1_19radix_merge_compareILb1ELb1EiNS0_19identity_decomposerEEEEE10hipError_tT0_T1_T2_jT3_P12ihipStream_tbPNSt15iterator_traitsISI_E10value_typeEPNSO_ISJ_E10value_typeEPSK_NS1_7vsmem_tEENKUlT_SI_SJ_SK_E_clISD_PiSD_S10_EESH_SX_SI_SJ_SK_EUlSX_E0_NS1_11comp_targetILNS1_3genE2ELNS1_11target_archE906ELNS1_3gpuE6ELNS1_3repE0EEENS1_38merge_mergepath_config_static_selectorELNS0_4arch9wavefront6targetE1EEEvSJ_ ; -- Begin function _ZN7rocprim17ROCPRIM_400000_NS6detail17trampoline_kernelINS0_14default_configENS1_38merge_sort_block_merge_config_selectorIiiEEZZNS1_27merge_sort_block_merge_implIS3_N6thrust23THRUST_200600_302600_NS6detail15normal_iteratorINS8_10device_ptrIiEEEESD_jNS1_19radix_merge_compareILb1ELb1EiNS0_19identity_decomposerEEEEE10hipError_tT0_T1_T2_jT3_P12ihipStream_tbPNSt15iterator_traitsISI_E10value_typeEPNSO_ISJ_E10value_typeEPSK_NS1_7vsmem_tEENKUlT_SI_SJ_SK_E_clISD_PiSD_S10_EESH_SX_SI_SJ_SK_EUlSX_E0_NS1_11comp_targetILNS1_3genE2ELNS1_11target_archE906ELNS1_3gpuE6ELNS1_3repE0EEENS1_38merge_mergepath_config_static_selectorELNS0_4arch9wavefront6targetE1EEEvSJ_
	.globl	_ZN7rocprim17ROCPRIM_400000_NS6detail17trampoline_kernelINS0_14default_configENS1_38merge_sort_block_merge_config_selectorIiiEEZZNS1_27merge_sort_block_merge_implIS3_N6thrust23THRUST_200600_302600_NS6detail15normal_iteratorINS8_10device_ptrIiEEEESD_jNS1_19radix_merge_compareILb1ELb1EiNS0_19identity_decomposerEEEEE10hipError_tT0_T1_T2_jT3_P12ihipStream_tbPNSt15iterator_traitsISI_E10value_typeEPNSO_ISJ_E10value_typeEPSK_NS1_7vsmem_tEENKUlT_SI_SJ_SK_E_clISD_PiSD_S10_EESH_SX_SI_SJ_SK_EUlSX_E0_NS1_11comp_targetILNS1_3genE2ELNS1_11target_archE906ELNS1_3gpuE6ELNS1_3repE0EEENS1_38merge_mergepath_config_static_selectorELNS0_4arch9wavefront6targetE1EEEvSJ_
	.p2align	8
	.type	_ZN7rocprim17ROCPRIM_400000_NS6detail17trampoline_kernelINS0_14default_configENS1_38merge_sort_block_merge_config_selectorIiiEEZZNS1_27merge_sort_block_merge_implIS3_N6thrust23THRUST_200600_302600_NS6detail15normal_iteratorINS8_10device_ptrIiEEEESD_jNS1_19radix_merge_compareILb1ELb1EiNS0_19identity_decomposerEEEEE10hipError_tT0_T1_T2_jT3_P12ihipStream_tbPNSt15iterator_traitsISI_E10value_typeEPNSO_ISJ_E10value_typeEPSK_NS1_7vsmem_tEENKUlT_SI_SJ_SK_E_clISD_PiSD_S10_EESH_SX_SI_SJ_SK_EUlSX_E0_NS1_11comp_targetILNS1_3genE2ELNS1_11target_archE906ELNS1_3gpuE6ELNS1_3repE0EEENS1_38merge_mergepath_config_static_selectorELNS0_4arch9wavefront6targetE1EEEvSJ_,@function
_ZN7rocprim17ROCPRIM_400000_NS6detail17trampoline_kernelINS0_14default_configENS1_38merge_sort_block_merge_config_selectorIiiEEZZNS1_27merge_sort_block_merge_implIS3_N6thrust23THRUST_200600_302600_NS6detail15normal_iteratorINS8_10device_ptrIiEEEESD_jNS1_19radix_merge_compareILb1ELb1EiNS0_19identity_decomposerEEEEE10hipError_tT0_T1_T2_jT3_P12ihipStream_tbPNSt15iterator_traitsISI_E10value_typeEPNSO_ISJ_E10value_typeEPSK_NS1_7vsmem_tEENKUlT_SI_SJ_SK_E_clISD_PiSD_S10_EESH_SX_SI_SJ_SK_EUlSX_E0_NS1_11comp_targetILNS1_3genE2ELNS1_11target_archE906ELNS1_3gpuE6ELNS1_3repE0EEENS1_38merge_mergepath_config_static_selectorELNS0_4arch9wavefront6targetE1EEEvSJ_: ; @_ZN7rocprim17ROCPRIM_400000_NS6detail17trampoline_kernelINS0_14default_configENS1_38merge_sort_block_merge_config_selectorIiiEEZZNS1_27merge_sort_block_merge_implIS3_N6thrust23THRUST_200600_302600_NS6detail15normal_iteratorINS8_10device_ptrIiEEEESD_jNS1_19radix_merge_compareILb1ELb1EiNS0_19identity_decomposerEEEEE10hipError_tT0_T1_T2_jT3_P12ihipStream_tbPNSt15iterator_traitsISI_E10value_typeEPNSO_ISJ_E10value_typeEPSK_NS1_7vsmem_tEENKUlT_SI_SJ_SK_E_clISD_PiSD_S10_EESH_SX_SI_SJ_SK_EUlSX_E0_NS1_11comp_targetILNS1_3genE2ELNS1_11target_archE906ELNS1_3gpuE6ELNS1_3repE0EEENS1_38merge_mergepath_config_static_selectorELNS0_4arch9wavefront6targetE1EEEvSJ_
; %bb.0:
	.section	.rodata,"a",@progbits
	.p2align	6, 0x0
	.amdhsa_kernel _ZN7rocprim17ROCPRIM_400000_NS6detail17trampoline_kernelINS0_14default_configENS1_38merge_sort_block_merge_config_selectorIiiEEZZNS1_27merge_sort_block_merge_implIS3_N6thrust23THRUST_200600_302600_NS6detail15normal_iteratorINS8_10device_ptrIiEEEESD_jNS1_19radix_merge_compareILb1ELb1EiNS0_19identity_decomposerEEEEE10hipError_tT0_T1_T2_jT3_P12ihipStream_tbPNSt15iterator_traitsISI_E10value_typeEPNSO_ISJ_E10value_typeEPSK_NS1_7vsmem_tEENKUlT_SI_SJ_SK_E_clISD_PiSD_S10_EESH_SX_SI_SJ_SK_EUlSX_E0_NS1_11comp_targetILNS1_3genE2ELNS1_11target_archE906ELNS1_3gpuE6ELNS1_3repE0EEENS1_38merge_mergepath_config_static_selectorELNS0_4arch9wavefront6targetE1EEEvSJ_
		.amdhsa_group_segment_fixed_size 0
		.amdhsa_private_segment_fixed_size 0
		.amdhsa_kernarg_size 64
		.amdhsa_user_sgpr_count 2
		.amdhsa_user_sgpr_dispatch_ptr 0
		.amdhsa_user_sgpr_queue_ptr 0
		.amdhsa_user_sgpr_kernarg_segment_ptr 1
		.amdhsa_user_sgpr_dispatch_id 0
		.amdhsa_user_sgpr_kernarg_preload_length 0
		.amdhsa_user_sgpr_kernarg_preload_offset 0
		.amdhsa_user_sgpr_private_segment_size 0
		.amdhsa_uses_dynamic_stack 0
		.amdhsa_enable_private_segment 0
		.amdhsa_system_sgpr_workgroup_id_x 1
		.amdhsa_system_sgpr_workgroup_id_y 0
		.amdhsa_system_sgpr_workgroup_id_z 0
		.amdhsa_system_sgpr_workgroup_info 0
		.amdhsa_system_vgpr_workitem_id 0
		.amdhsa_next_free_vgpr 1
		.amdhsa_next_free_sgpr 0
		.amdhsa_accum_offset 4
		.amdhsa_reserve_vcc 0
		.amdhsa_float_round_mode_32 0
		.amdhsa_float_round_mode_16_64 0
		.amdhsa_float_denorm_mode_32 3
		.amdhsa_float_denorm_mode_16_64 3
		.amdhsa_dx10_clamp 1
		.amdhsa_ieee_mode 1
		.amdhsa_fp16_overflow 0
		.amdhsa_tg_split 0
		.amdhsa_exception_fp_ieee_invalid_op 0
		.amdhsa_exception_fp_denorm_src 0
		.amdhsa_exception_fp_ieee_div_zero 0
		.amdhsa_exception_fp_ieee_overflow 0
		.amdhsa_exception_fp_ieee_underflow 0
		.amdhsa_exception_fp_ieee_inexact 0
		.amdhsa_exception_int_div_zero 0
	.end_amdhsa_kernel
	.section	.text._ZN7rocprim17ROCPRIM_400000_NS6detail17trampoline_kernelINS0_14default_configENS1_38merge_sort_block_merge_config_selectorIiiEEZZNS1_27merge_sort_block_merge_implIS3_N6thrust23THRUST_200600_302600_NS6detail15normal_iteratorINS8_10device_ptrIiEEEESD_jNS1_19radix_merge_compareILb1ELb1EiNS0_19identity_decomposerEEEEE10hipError_tT0_T1_T2_jT3_P12ihipStream_tbPNSt15iterator_traitsISI_E10value_typeEPNSO_ISJ_E10value_typeEPSK_NS1_7vsmem_tEENKUlT_SI_SJ_SK_E_clISD_PiSD_S10_EESH_SX_SI_SJ_SK_EUlSX_E0_NS1_11comp_targetILNS1_3genE2ELNS1_11target_archE906ELNS1_3gpuE6ELNS1_3repE0EEENS1_38merge_mergepath_config_static_selectorELNS0_4arch9wavefront6targetE1EEEvSJ_,"axG",@progbits,_ZN7rocprim17ROCPRIM_400000_NS6detail17trampoline_kernelINS0_14default_configENS1_38merge_sort_block_merge_config_selectorIiiEEZZNS1_27merge_sort_block_merge_implIS3_N6thrust23THRUST_200600_302600_NS6detail15normal_iteratorINS8_10device_ptrIiEEEESD_jNS1_19radix_merge_compareILb1ELb1EiNS0_19identity_decomposerEEEEE10hipError_tT0_T1_T2_jT3_P12ihipStream_tbPNSt15iterator_traitsISI_E10value_typeEPNSO_ISJ_E10value_typeEPSK_NS1_7vsmem_tEENKUlT_SI_SJ_SK_E_clISD_PiSD_S10_EESH_SX_SI_SJ_SK_EUlSX_E0_NS1_11comp_targetILNS1_3genE2ELNS1_11target_archE906ELNS1_3gpuE6ELNS1_3repE0EEENS1_38merge_mergepath_config_static_selectorELNS0_4arch9wavefront6targetE1EEEvSJ_,comdat
.Lfunc_end970:
	.size	_ZN7rocprim17ROCPRIM_400000_NS6detail17trampoline_kernelINS0_14default_configENS1_38merge_sort_block_merge_config_selectorIiiEEZZNS1_27merge_sort_block_merge_implIS3_N6thrust23THRUST_200600_302600_NS6detail15normal_iteratorINS8_10device_ptrIiEEEESD_jNS1_19radix_merge_compareILb1ELb1EiNS0_19identity_decomposerEEEEE10hipError_tT0_T1_T2_jT3_P12ihipStream_tbPNSt15iterator_traitsISI_E10value_typeEPNSO_ISJ_E10value_typeEPSK_NS1_7vsmem_tEENKUlT_SI_SJ_SK_E_clISD_PiSD_S10_EESH_SX_SI_SJ_SK_EUlSX_E0_NS1_11comp_targetILNS1_3genE2ELNS1_11target_archE906ELNS1_3gpuE6ELNS1_3repE0EEENS1_38merge_mergepath_config_static_selectorELNS0_4arch9wavefront6targetE1EEEvSJ_, .Lfunc_end970-_ZN7rocprim17ROCPRIM_400000_NS6detail17trampoline_kernelINS0_14default_configENS1_38merge_sort_block_merge_config_selectorIiiEEZZNS1_27merge_sort_block_merge_implIS3_N6thrust23THRUST_200600_302600_NS6detail15normal_iteratorINS8_10device_ptrIiEEEESD_jNS1_19radix_merge_compareILb1ELb1EiNS0_19identity_decomposerEEEEE10hipError_tT0_T1_T2_jT3_P12ihipStream_tbPNSt15iterator_traitsISI_E10value_typeEPNSO_ISJ_E10value_typeEPSK_NS1_7vsmem_tEENKUlT_SI_SJ_SK_E_clISD_PiSD_S10_EESH_SX_SI_SJ_SK_EUlSX_E0_NS1_11comp_targetILNS1_3genE2ELNS1_11target_archE906ELNS1_3gpuE6ELNS1_3repE0EEENS1_38merge_mergepath_config_static_selectorELNS0_4arch9wavefront6targetE1EEEvSJ_
                                        ; -- End function
	.set _ZN7rocprim17ROCPRIM_400000_NS6detail17trampoline_kernelINS0_14default_configENS1_38merge_sort_block_merge_config_selectorIiiEEZZNS1_27merge_sort_block_merge_implIS3_N6thrust23THRUST_200600_302600_NS6detail15normal_iteratorINS8_10device_ptrIiEEEESD_jNS1_19radix_merge_compareILb1ELb1EiNS0_19identity_decomposerEEEEE10hipError_tT0_T1_T2_jT3_P12ihipStream_tbPNSt15iterator_traitsISI_E10value_typeEPNSO_ISJ_E10value_typeEPSK_NS1_7vsmem_tEENKUlT_SI_SJ_SK_E_clISD_PiSD_S10_EESH_SX_SI_SJ_SK_EUlSX_E0_NS1_11comp_targetILNS1_3genE2ELNS1_11target_archE906ELNS1_3gpuE6ELNS1_3repE0EEENS1_38merge_mergepath_config_static_selectorELNS0_4arch9wavefront6targetE1EEEvSJ_.num_vgpr, 0
	.set _ZN7rocprim17ROCPRIM_400000_NS6detail17trampoline_kernelINS0_14default_configENS1_38merge_sort_block_merge_config_selectorIiiEEZZNS1_27merge_sort_block_merge_implIS3_N6thrust23THRUST_200600_302600_NS6detail15normal_iteratorINS8_10device_ptrIiEEEESD_jNS1_19radix_merge_compareILb1ELb1EiNS0_19identity_decomposerEEEEE10hipError_tT0_T1_T2_jT3_P12ihipStream_tbPNSt15iterator_traitsISI_E10value_typeEPNSO_ISJ_E10value_typeEPSK_NS1_7vsmem_tEENKUlT_SI_SJ_SK_E_clISD_PiSD_S10_EESH_SX_SI_SJ_SK_EUlSX_E0_NS1_11comp_targetILNS1_3genE2ELNS1_11target_archE906ELNS1_3gpuE6ELNS1_3repE0EEENS1_38merge_mergepath_config_static_selectorELNS0_4arch9wavefront6targetE1EEEvSJ_.num_agpr, 0
	.set _ZN7rocprim17ROCPRIM_400000_NS6detail17trampoline_kernelINS0_14default_configENS1_38merge_sort_block_merge_config_selectorIiiEEZZNS1_27merge_sort_block_merge_implIS3_N6thrust23THRUST_200600_302600_NS6detail15normal_iteratorINS8_10device_ptrIiEEEESD_jNS1_19radix_merge_compareILb1ELb1EiNS0_19identity_decomposerEEEEE10hipError_tT0_T1_T2_jT3_P12ihipStream_tbPNSt15iterator_traitsISI_E10value_typeEPNSO_ISJ_E10value_typeEPSK_NS1_7vsmem_tEENKUlT_SI_SJ_SK_E_clISD_PiSD_S10_EESH_SX_SI_SJ_SK_EUlSX_E0_NS1_11comp_targetILNS1_3genE2ELNS1_11target_archE906ELNS1_3gpuE6ELNS1_3repE0EEENS1_38merge_mergepath_config_static_selectorELNS0_4arch9wavefront6targetE1EEEvSJ_.numbered_sgpr, 0
	.set _ZN7rocprim17ROCPRIM_400000_NS6detail17trampoline_kernelINS0_14default_configENS1_38merge_sort_block_merge_config_selectorIiiEEZZNS1_27merge_sort_block_merge_implIS3_N6thrust23THRUST_200600_302600_NS6detail15normal_iteratorINS8_10device_ptrIiEEEESD_jNS1_19radix_merge_compareILb1ELb1EiNS0_19identity_decomposerEEEEE10hipError_tT0_T1_T2_jT3_P12ihipStream_tbPNSt15iterator_traitsISI_E10value_typeEPNSO_ISJ_E10value_typeEPSK_NS1_7vsmem_tEENKUlT_SI_SJ_SK_E_clISD_PiSD_S10_EESH_SX_SI_SJ_SK_EUlSX_E0_NS1_11comp_targetILNS1_3genE2ELNS1_11target_archE906ELNS1_3gpuE6ELNS1_3repE0EEENS1_38merge_mergepath_config_static_selectorELNS0_4arch9wavefront6targetE1EEEvSJ_.num_named_barrier, 0
	.set _ZN7rocprim17ROCPRIM_400000_NS6detail17trampoline_kernelINS0_14default_configENS1_38merge_sort_block_merge_config_selectorIiiEEZZNS1_27merge_sort_block_merge_implIS3_N6thrust23THRUST_200600_302600_NS6detail15normal_iteratorINS8_10device_ptrIiEEEESD_jNS1_19radix_merge_compareILb1ELb1EiNS0_19identity_decomposerEEEEE10hipError_tT0_T1_T2_jT3_P12ihipStream_tbPNSt15iterator_traitsISI_E10value_typeEPNSO_ISJ_E10value_typeEPSK_NS1_7vsmem_tEENKUlT_SI_SJ_SK_E_clISD_PiSD_S10_EESH_SX_SI_SJ_SK_EUlSX_E0_NS1_11comp_targetILNS1_3genE2ELNS1_11target_archE906ELNS1_3gpuE6ELNS1_3repE0EEENS1_38merge_mergepath_config_static_selectorELNS0_4arch9wavefront6targetE1EEEvSJ_.private_seg_size, 0
	.set _ZN7rocprim17ROCPRIM_400000_NS6detail17trampoline_kernelINS0_14default_configENS1_38merge_sort_block_merge_config_selectorIiiEEZZNS1_27merge_sort_block_merge_implIS3_N6thrust23THRUST_200600_302600_NS6detail15normal_iteratorINS8_10device_ptrIiEEEESD_jNS1_19radix_merge_compareILb1ELb1EiNS0_19identity_decomposerEEEEE10hipError_tT0_T1_T2_jT3_P12ihipStream_tbPNSt15iterator_traitsISI_E10value_typeEPNSO_ISJ_E10value_typeEPSK_NS1_7vsmem_tEENKUlT_SI_SJ_SK_E_clISD_PiSD_S10_EESH_SX_SI_SJ_SK_EUlSX_E0_NS1_11comp_targetILNS1_3genE2ELNS1_11target_archE906ELNS1_3gpuE6ELNS1_3repE0EEENS1_38merge_mergepath_config_static_selectorELNS0_4arch9wavefront6targetE1EEEvSJ_.uses_vcc, 0
	.set _ZN7rocprim17ROCPRIM_400000_NS6detail17trampoline_kernelINS0_14default_configENS1_38merge_sort_block_merge_config_selectorIiiEEZZNS1_27merge_sort_block_merge_implIS3_N6thrust23THRUST_200600_302600_NS6detail15normal_iteratorINS8_10device_ptrIiEEEESD_jNS1_19radix_merge_compareILb1ELb1EiNS0_19identity_decomposerEEEEE10hipError_tT0_T1_T2_jT3_P12ihipStream_tbPNSt15iterator_traitsISI_E10value_typeEPNSO_ISJ_E10value_typeEPSK_NS1_7vsmem_tEENKUlT_SI_SJ_SK_E_clISD_PiSD_S10_EESH_SX_SI_SJ_SK_EUlSX_E0_NS1_11comp_targetILNS1_3genE2ELNS1_11target_archE906ELNS1_3gpuE6ELNS1_3repE0EEENS1_38merge_mergepath_config_static_selectorELNS0_4arch9wavefront6targetE1EEEvSJ_.uses_flat_scratch, 0
	.set _ZN7rocprim17ROCPRIM_400000_NS6detail17trampoline_kernelINS0_14default_configENS1_38merge_sort_block_merge_config_selectorIiiEEZZNS1_27merge_sort_block_merge_implIS3_N6thrust23THRUST_200600_302600_NS6detail15normal_iteratorINS8_10device_ptrIiEEEESD_jNS1_19radix_merge_compareILb1ELb1EiNS0_19identity_decomposerEEEEE10hipError_tT0_T1_T2_jT3_P12ihipStream_tbPNSt15iterator_traitsISI_E10value_typeEPNSO_ISJ_E10value_typeEPSK_NS1_7vsmem_tEENKUlT_SI_SJ_SK_E_clISD_PiSD_S10_EESH_SX_SI_SJ_SK_EUlSX_E0_NS1_11comp_targetILNS1_3genE2ELNS1_11target_archE906ELNS1_3gpuE6ELNS1_3repE0EEENS1_38merge_mergepath_config_static_selectorELNS0_4arch9wavefront6targetE1EEEvSJ_.has_dyn_sized_stack, 0
	.set _ZN7rocprim17ROCPRIM_400000_NS6detail17trampoline_kernelINS0_14default_configENS1_38merge_sort_block_merge_config_selectorIiiEEZZNS1_27merge_sort_block_merge_implIS3_N6thrust23THRUST_200600_302600_NS6detail15normal_iteratorINS8_10device_ptrIiEEEESD_jNS1_19radix_merge_compareILb1ELb1EiNS0_19identity_decomposerEEEEE10hipError_tT0_T1_T2_jT3_P12ihipStream_tbPNSt15iterator_traitsISI_E10value_typeEPNSO_ISJ_E10value_typeEPSK_NS1_7vsmem_tEENKUlT_SI_SJ_SK_E_clISD_PiSD_S10_EESH_SX_SI_SJ_SK_EUlSX_E0_NS1_11comp_targetILNS1_3genE2ELNS1_11target_archE906ELNS1_3gpuE6ELNS1_3repE0EEENS1_38merge_mergepath_config_static_selectorELNS0_4arch9wavefront6targetE1EEEvSJ_.has_recursion, 0
	.set _ZN7rocprim17ROCPRIM_400000_NS6detail17trampoline_kernelINS0_14default_configENS1_38merge_sort_block_merge_config_selectorIiiEEZZNS1_27merge_sort_block_merge_implIS3_N6thrust23THRUST_200600_302600_NS6detail15normal_iteratorINS8_10device_ptrIiEEEESD_jNS1_19radix_merge_compareILb1ELb1EiNS0_19identity_decomposerEEEEE10hipError_tT0_T1_T2_jT3_P12ihipStream_tbPNSt15iterator_traitsISI_E10value_typeEPNSO_ISJ_E10value_typeEPSK_NS1_7vsmem_tEENKUlT_SI_SJ_SK_E_clISD_PiSD_S10_EESH_SX_SI_SJ_SK_EUlSX_E0_NS1_11comp_targetILNS1_3genE2ELNS1_11target_archE906ELNS1_3gpuE6ELNS1_3repE0EEENS1_38merge_mergepath_config_static_selectorELNS0_4arch9wavefront6targetE1EEEvSJ_.has_indirect_call, 0
	.section	.AMDGPU.csdata,"",@progbits
; Kernel info:
; codeLenInByte = 0
; TotalNumSgprs: 6
; NumVgprs: 0
; NumAgprs: 0
; TotalNumVgprs: 0
; ScratchSize: 0
; MemoryBound: 0
; FloatMode: 240
; IeeeMode: 1
; LDSByteSize: 0 bytes/workgroup (compile time only)
; SGPRBlocks: 0
; VGPRBlocks: 0
; NumSGPRsForWavesPerEU: 6
; NumVGPRsForWavesPerEU: 1
; AccumOffset: 4
; Occupancy: 8
; WaveLimiterHint : 0
; COMPUTE_PGM_RSRC2:SCRATCH_EN: 0
; COMPUTE_PGM_RSRC2:USER_SGPR: 2
; COMPUTE_PGM_RSRC2:TRAP_HANDLER: 0
; COMPUTE_PGM_RSRC2:TGID_X_EN: 1
; COMPUTE_PGM_RSRC2:TGID_Y_EN: 0
; COMPUTE_PGM_RSRC2:TGID_Z_EN: 0
; COMPUTE_PGM_RSRC2:TIDIG_COMP_CNT: 0
; COMPUTE_PGM_RSRC3_GFX90A:ACCUM_OFFSET: 0
; COMPUTE_PGM_RSRC3_GFX90A:TG_SPLIT: 0
	.section	.text._ZN7rocprim17ROCPRIM_400000_NS6detail17trampoline_kernelINS0_14default_configENS1_38merge_sort_block_merge_config_selectorIiiEEZZNS1_27merge_sort_block_merge_implIS3_N6thrust23THRUST_200600_302600_NS6detail15normal_iteratorINS8_10device_ptrIiEEEESD_jNS1_19radix_merge_compareILb1ELb1EiNS0_19identity_decomposerEEEEE10hipError_tT0_T1_T2_jT3_P12ihipStream_tbPNSt15iterator_traitsISI_E10value_typeEPNSO_ISJ_E10value_typeEPSK_NS1_7vsmem_tEENKUlT_SI_SJ_SK_E_clISD_PiSD_S10_EESH_SX_SI_SJ_SK_EUlSX_E0_NS1_11comp_targetILNS1_3genE9ELNS1_11target_archE1100ELNS1_3gpuE3ELNS1_3repE0EEENS1_38merge_mergepath_config_static_selectorELNS0_4arch9wavefront6targetE1EEEvSJ_,"axG",@progbits,_ZN7rocprim17ROCPRIM_400000_NS6detail17trampoline_kernelINS0_14default_configENS1_38merge_sort_block_merge_config_selectorIiiEEZZNS1_27merge_sort_block_merge_implIS3_N6thrust23THRUST_200600_302600_NS6detail15normal_iteratorINS8_10device_ptrIiEEEESD_jNS1_19radix_merge_compareILb1ELb1EiNS0_19identity_decomposerEEEEE10hipError_tT0_T1_T2_jT3_P12ihipStream_tbPNSt15iterator_traitsISI_E10value_typeEPNSO_ISJ_E10value_typeEPSK_NS1_7vsmem_tEENKUlT_SI_SJ_SK_E_clISD_PiSD_S10_EESH_SX_SI_SJ_SK_EUlSX_E0_NS1_11comp_targetILNS1_3genE9ELNS1_11target_archE1100ELNS1_3gpuE3ELNS1_3repE0EEENS1_38merge_mergepath_config_static_selectorELNS0_4arch9wavefront6targetE1EEEvSJ_,comdat
	.protected	_ZN7rocprim17ROCPRIM_400000_NS6detail17trampoline_kernelINS0_14default_configENS1_38merge_sort_block_merge_config_selectorIiiEEZZNS1_27merge_sort_block_merge_implIS3_N6thrust23THRUST_200600_302600_NS6detail15normal_iteratorINS8_10device_ptrIiEEEESD_jNS1_19radix_merge_compareILb1ELb1EiNS0_19identity_decomposerEEEEE10hipError_tT0_T1_T2_jT3_P12ihipStream_tbPNSt15iterator_traitsISI_E10value_typeEPNSO_ISJ_E10value_typeEPSK_NS1_7vsmem_tEENKUlT_SI_SJ_SK_E_clISD_PiSD_S10_EESH_SX_SI_SJ_SK_EUlSX_E0_NS1_11comp_targetILNS1_3genE9ELNS1_11target_archE1100ELNS1_3gpuE3ELNS1_3repE0EEENS1_38merge_mergepath_config_static_selectorELNS0_4arch9wavefront6targetE1EEEvSJ_ ; -- Begin function _ZN7rocprim17ROCPRIM_400000_NS6detail17trampoline_kernelINS0_14default_configENS1_38merge_sort_block_merge_config_selectorIiiEEZZNS1_27merge_sort_block_merge_implIS3_N6thrust23THRUST_200600_302600_NS6detail15normal_iteratorINS8_10device_ptrIiEEEESD_jNS1_19radix_merge_compareILb1ELb1EiNS0_19identity_decomposerEEEEE10hipError_tT0_T1_T2_jT3_P12ihipStream_tbPNSt15iterator_traitsISI_E10value_typeEPNSO_ISJ_E10value_typeEPSK_NS1_7vsmem_tEENKUlT_SI_SJ_SK_E_clISD_PiSD_S10_EESH_SX_SI_SJ_SK_EUlSX_E0_NS1_11comp_targetILNS1_3genE9ELNS1_11target_archE1100ELNS1_3gpuE3ELNS1_3repE0EEENS1_38merge_mergepath_config_static_selectorELNS0_4arch9wavefront6targetE1EEEvSJ_
	.globl	_ZN7rocprim17ROCPRIM_400000_NS6detail17trampoline_kernelINS0_14default_configENS1_38merge_sort_block_merge_config_selectorIiiEEZZNS1_27merge_sort_block_merge_implIS3_N6thrust23THRUST_200600_302600_NS6detail15normal_iteratorINS8_10device_ptrIiEEEESD_jNS1_19radix_merge_compareILb1ELb1EiNS0_19identity_decomposerEEEEE10hipError_tT0_T1_T2_jT3_P12ihipStream_tbPNSt15iterator_traitsISI_E10value_typeEPNSO_ISJ_E10value_typeEPSK_NS1_7vsmem_tEENKUlT_SI_SJ_SK_E_clISD_PiSD_S10_EESH_SX_SI_SJ_SK_EUlSX_E0_NS1_11comp_targetILNS1_3genE9ELNS1_11target_archE1100ELNS1_3gpuE3ELNS1_3repE0EEENS1_38merge_mergepath_config_static_selectorELNS0_4arch9wavefront6targetE1EEEvSJ_
	.p2align	8
	.type	_ZN7rocprim17ROCPRIM_400000_NS6detail17trampoline_kernelINS0_14default_configENS1_38merge_sort_block_merge_config_selectorIiiEEZZNS1_27merge_sort_block_merge_implIS3_N6thrust23THRUST_200600_302600_NS6detail15normal_iteratorINS8_10device_ptrIiEEEESD_jNS1_19radix_merge_compareILb1ELb1EiNS0_19identity_decomposerEEEEE10hipError_tT0_T1_T2_jT3_P12ihipStream_tbPNSt15iterator_traitsISI_E10value_typeEPNSO_ISJ_E10value_typeEPSK_NS1_7vsmem_tEENKUlT_SI_SJ_SK_E_clISD_PiSD_S10_EESH_SX_SI_SJ_SK_EUlSX_E0_NS1_11comp_targetILNS1_3genE9ELNS1_11target_archE1100ELNS1_3gpuE3ELNS1_3repE0EEENS1_38merge_mergepath_config_static_selectorELNS0_4arch9wavefront6targetE1EEEvSJ_,@function
_ZN7rocprim17ROCPRIM_400000_NS6detail17trampoline_kernelINS0_14default_configENS1_38merge_sort_block_merge_config_selectorIiiEEZZNS1_27merge_sort_block_merge_implIS3_N6thrust23THRUST_200600_302600_NS6detail15normal_iteratorINS8_10device_ptrIiEEEESD_jNS1_19radix_merge_compareILb1ELb1EiNS0_19identity_decomposerEEEEE10hipError_tT0_T1_T2_jT3_P12ihipStream_tbPNSt15iterator_traitsISI_E10value_typeEPNSO_ISJ_E10value_typeEPSK_NS1_7vsmem_tEENKUlT_SI_SJ_SK_E_clISD_PiSD_S10_EESH_SX_SI_SJ_SK_EUlSX_E0_NS1_11comp_targetILNS1_3genE9ELNS1_11target_archE1100ELNS1_3gpuE3ELNS1_3repE0EEENS1_38merge_mergepath_config_static_selectorELNS0_4arch9wavefront6targetE1EEEvSJ_: ; @_ZN7rocprim17ROCPRIM_400000_NS6detail17trampoline_kernelINS0_14default_configENS1_38merge_sort_block_merge_config_selectorIiiEEZZNS1_27merge_sort_block_merge_implIS3_N6thrust23THRUST_200600_302600_NS6detail15normal_iteratorINS8_10device_ptrIiEEEESD_jNS1_19radix_merge_compareILb1ELb1EiNS0_19identity_decomposerEEEEE10hipError_tT0_T1_T2_jT3_P12ihipStream_tbPNSt15iterator_traitsISI_E10value_typeEPNSO_ISJ_E10value_typeEPSK_NS1_7vsmem_tEENKUlT_SI_SJ_SK_E_clISD_PiSD_S10_EESH_SX_SI_SJ_SK_EUlSX_E0_NS1_11comp_targetILNS1_3genE9ELNS1_11target_archE1100ELNS1_3gpuE3ELNS1_3repE0EEENS1_38merge_mergepath_config_static_selectorELNS0_4arch9wavefront6targetE1EEEvSJ_
; %bb.0:
	.section	.rodata,"a",@progbits
	.p2align	6, 0x0
	.amdhsa_kernel _ZN7rocprim17ROCPRIM_400000_NS6detail17trampoline_kernelINS0_14default_configENS1_38merge_sort_block_merge_config_selectorIiiEEZZNS1_27merge_sort_block_merge_implIS3_N6thrust23THRUST_200600_302600_NS6detail15normal_iteratorINS8_10device_ptrIiEEEESD_jNS1_19radix_merge_compareILb1ELb1EiNS0_19identity_decomposerEEEEE10hipError_tT0_T1_T2_jT3_P12ihipStream_tbPNSt15iterator_traitsISI_E10value_typeEPNSO_ISJ_E10value_typeEPSK_NS1_7vsmem_tEENKUlT_SI_SJ_SK_E_clISD_PiSD_S10_EESH_SX_SI_SJ_SK_EUlSX_E0_NS1_11comp_targetILNS1_3genE9ELNS1_11target_archE1100ELNS1_3gpuE3ELNS1_3repE0EEENS1_38merge_mergepath_config_static_selectorELNS0_4arch9wavefront6targetE1EEEvSJ_
		.amdhsa_group_segment_fixed_size 0
		.amdhsa_private_segment_fixed_size 0
		.amdhsa_kernarg_size 64
		.amdhsa_user_sgpr_count 2
		.amdhsa_user_sgpr_dispatch_ptr 0
		.amdhsa_user_sgpr_queue_ptr 0
		.amdhsa_user_sgpr_kernarg_segment_ptr 1
		.amdhsa_user_sgpr_dispatch_id 0
		.amdhsa_user_sgpr_kernarg_preload_length 0
		.amdhsa_user_sgpr_kernarg_preload_offset 0
		.amdhsa_user_sgpr_private_segment_size 0
		.amdhsa_uses_dynamic_stack 0
		.amdhsa_enable_private_segment 0
		.amdhsa_system_sgpr_workgroup_id_x 1
		.amdhsa_system_sgpr_workgroup_id_y 0
		.amdhsa_system_sgpr_workgroup_id_z 0
		.amdhsa_system_sgpr_workgroup_info 0
		.amdhsa_system_vgpr_workitem_id 0
		.amdhsa_next_free_vgpr 1
		.amdhsa_next_free_sgpr 0
		.amdhsa_accum_offset 4
		.amdhsa_reserve_vcc 0
		.amdhsa_float_round_mode_32 0
		.amdhsa_float_round_mode_16_64 0
		.amdhsa_float_denorm_mode_32 3
		.amdhsa_float_denorm_mode_16_64 3
		.amdhsa_dx10_clamp 1
		.amdhsa_ieee_mode 1
		.amdhsa_fp16_overflow 0
		.amdhsa_tg_split 0
		.amdhsa_exception_fp_ieee_invalid_op 0
		.amdhsa_exception_fp_denorm_src 0
		.amdhsa_exception_fp_ieee_div_zero 0
		.amdhsa_exception_fp_ieee_overflow 0
		.amdhsa_exception_fp_ieee_underflow 0
		.amdhsa_exception_fp_ieee_inexact 0
		.amdhsa_exception_int_div_zero 0
	.end_amdhsa_kernel
	.section	.text._ZN7rocprim17ROCPRIM_400000_NS6detail17trampoline_kernelINS0_14default_configENS1_38merge_sort_block_merge_config_selectorIiiEEZZNS1_27merge_sort_block_merge_implIS3_N6thrust23THRUST_200600_302600_NS6detail15normal_iteratorINS8_10device_ptrIiEEEESD_jNS1_19radix_merge_compareILb1ELb1EiNS0_19identity_decomposerEEEEE10hipError_tT0_T1_T2_jT3_P12ihipStream_tbPNSt15iterator_traitsISI_E10value_typeEPNSO_ISJ_E10value_typeEPSK_NS1_7vsmem_tEENKUlT_SI_SJ_SK_E_clISD_PiSD_S10_EESH_SX_SI_SJ_SK_EUlSX_E0_NS1_11comp_targetILNS1_3genE9ELNS1_11target_archE1100ELNS1_3gpuE3ELNS1_3repE0EEENS1_38merge_mergepath_config_static_selectorELNS0_4arch9wavefront6targetE1EEEvSJ_,"axG",@progbits,_ZN7rocprim17ROCPRIM_400000_NS6detail17trampoline_kernelINS0_14default_configENS1_38merge_sort_block_merge_config_selectorIiiEEZZNS1_27merge_sort_block_merge_implIS3_N6thrust23THRUST_200600_302600_NS6detail15normal_iteratorINS8_10device_ptrIiEEEESD_jNS1_19radix_merge_compareILb1ELb1EiNS0_19identity_decomposerEEEEE10hipError_tT0_T1_T2_jT3_P12ihipStream_tbPNSt15iterator_traitsISI_E10value_typeEPNSO_ISJ_E10value_typeEPSK_NS1_7vsmem_tEENKUlT_SI_SJ_SK_E_clISD_PiSD_S10_EESH_SX_SI_SJ_SK_EUlSX_E0_NS1_11comp_targetILNS1_3genE9ELNS1_11target_archE1100ELNS1_3gpuE3ELNS1_3repE0EEENS1_38merge_mergepath_config_static_selectorELNS0_4arch9wavefront6targetE1EEEvSJ_,comdat
.Lfunc_end971:
	.size	_ZN7rocprim17ROCPRIM_400000_NS6detail17trampoline_kernelINS0_14default_configENS1_38merge_sort_block_merge_config_selectorIiiEEZZNS1_27merge_sort_block_merge_implIS3_N6thrust23THRUST_200600_302600_NS6detail15normal_iteratorINS8_10device_ptrIiEEEESD_jNS1_19radix_merge_compareILb1ELb1EiNS0_19identity_decomposerEEEEE10hipError_tT0_T1_T2_jT3_P12ihipStream_tbPNSt15iterator_traitsISI_E10value_typeEPNSO_ISJ_E10value_typeEPSK_NS1_7vsmem_tEENKUlT_SI_SJ_SK_E_clISD_PiSD_S10_EESH_SX_SI_SJ_SK_EUlSX_E0_NS1_11comp_targetILNS1_3genE9ELNS1_11target_archE1100ELNS1_3gpuE3ELNS1_3repE0EEENS1_38merge_mergepath_config_static_selectorELNS0_4arch9wavefront6targetE1EEEvSJ_, .Lfunc_end971-_ZN7rocprim17ROCPRIM_400000_NS6detail17trampoline_kernelINS0_14default_configENS1_38merge_sort_block_merge_config_selectorIiiEEZZNS1_27merge_sort_block_merge_implIS3_N6thrust23THRUST_200600_302600_NS6detail15normal_iteratorINS8_10device_ptrIiEEEESD_jNS1_19radix_merge_compareILb1ELb1EiNS0_19identity_decomposerEEEEE10hipError_tT0_T1_T2_jT3_P12ihipStream_tbPNSt15iterator_traitsISI_E10value_typeEPNSO_ISJ_E10value_typeEPSK_NS1_7vsmem_tEENKUlT_SI_SJ_SK_E_clISD_PiSD_S10_EESH_SX_SI_SJ_SK_EUlSX_E0_NS1_11comp_targetILNS1_3genE9ELNS1_11target_archE1100ELNS1_3gpuE3ELNS1_3repE0EEENS1_38merge_mergepath_config_static_selectorELNS0_4arch9wavefront6targetE1EEEvSJ_
                                        ; -- End function
	.set _ZN7rocprim17ROCPRIM_400000_NS6detail17trampoline_kernelINS0_14default_configENS1_38merge_sort_block_merge_config_selectorIiiEEZZNS1_27merge_sort_block_merge_implIS3_N6thrust23THRUST_200600_302600_NS6detail15normal_iteratorINS8_10device_ptrIiEEEESD_jNS1_19radix_merge_compareILb1ELb1EiNS0_19identity_decomposerEEEEE10hipError_tT0_T1_T2_jT3_P12ihipStream_tbPNSt15iterator_traitsISI_E10value_typeEPNSO_ISJ_E10value_typeEPSK_NS1_7vsmem_tEENKUlT_SI_SJ_SK_E_clISD_PiSD_S10_EESH_SX_SI_SJ_SK_EUlSX_E0_NS1_11comp_targetILNS1_3genE9ELNS1_11target_archE1100ELNS1_3gpuE3ELNS1_3repE0EEENS1_38merge_mergepath_config_static_selectorELNS0_4arch9wavefront6targetE1EEEvSJ_.num_vgpr, 0
	.set _ZN7rocprim17ROCPRIM_400000_NS6detail17trampoline_kernelINS0_14default_configENS1_38merge_sort_block_merge_config_selectorIiiEEZZNS1_27merge_sort_block_merge_implIS3_N6thrust23THRUST_200600_302600_NS6detail15normal_iteratorINS8_10device_ptrIiEEEESD_jNS1_19radix_merge_compareILb1ELb1EiNS0_19identity_decomposerEEEEE10hipError_tT0_T1_T2_jT3_P12ihipStream_tbPNSt15iterator_traitsISI_E10value_typeEPNSO_ISJ_E10value_typeEPSK_NS1_7vsmem_tEENKUlT_SI_SJ_SK_E_clISD_PiSD_S10_EESH_SX_SI_SJ_SK_EUlSX_E0_NS1_11comp_targetILNS1_3genE9ELNS1_11target_archE1100ELNS1_3gpuE3ELNS1_3repE0EEENS1_38merge_mergepath_config_static_selectorELNS0_4arch9wavefront6targetE1EEEvSJ_.num_agpr, 0
	.set _ZN7rocprim17ROCPRIM_400000_NS6detail17trampoline_kernelINS0_14default_configENS1_38merge_sort_block_merge_config_selectorIiiEEZZNS1_27merge_sort_block_merge_implIS3_N6thrust23THRUST_200600_302600_NS6detail15normal_iteratorINS8_10device_ptrIiEEEESD_jNS1_19radix_merge_compareILb1ELb1EiNS0_19identity_decomposerEEEEE10hipError_tT0_T1_T2_jT3_P12ihipStream_tbPNSt15iterator_traitsISI_E10value_typeEPNSO_ISJ_E10value_typeEPSK_NS1_7vsmem_tEENKUlT_SI_SJ_SK_E_clISD_PiSD_S10_EESH_SX_SI_SJ_SK_EUlSX_E0_NS1_11comp_targetILNS1_3genE9ELNS1_11target_archE1100ELNS1_3gpuE3ELNS1_3repE0EEENS1_38merge_mergepath_config_static_selectorELNS0_4arch9wavefront6targetE1EEEvSJ_.numbered_sgpr, 0
	.set _ZN7rocprim17ROCPRIM_400000_NS6detail17trampoline_kernelINS0_14default_configENS1_38merge_sort_block_merge_config_selectorIiiEEZZNS1_27merge_sort_block_merge_implIS3_N6thrust23THRUST_200600_302600_NS6detail15normal_iteratorINS8_10device_ptrIiEEEESD_jNS1_19radix_merge_compareILb1ELb1EiNS0_19identity_decomposerEEEEE10hipError_tT0_T1_T2_jT3_P12ihipStream_tbPNSt15iterator_traitsISI_E10value_typeEPNSO_ISJ_E10value_typeEPSK_NS1_7vsmem_tEENKUlT_SI_SJ_SK_E_clISD_PiSD_S10_EESH_SX_SI_SJ_SK_EUlSX_E0_NS1_11comp_targetILNS1_3genE9ELNS1_11target_archE1100ELNS1_3gpuE3ELNS1_3repE0EEENS1_38merge_mergepath_config_static_selectorELNS0_4arch9wavefront6targetE1EEEvSJ_.num_named_barrier, 0
	.set _ZN7rocprim17ROCPRIM_400000_NS6detail17trampoline_kernelINS0_14default_configENS1_38merge_sort_block_merge_config_selectorIiiEEZZNS1_27merge_sort_block_merge_implIS3_N6thrust23THRUST_200600_302600_NS6detail15normal_iteratorINS8_10device_ptrIiEEEESD_jNS1_19radix_merge_compareILb1ELb1EiNS0_19identity_decomposerEEEEE10hipError_tT0_T1_T2_jT3_P12ihipStream_tbPNSt15iterator_traitsISI_E10value_typeEPNSO_ISJ_E10value_typeEPSK_NS1_7vsmem_tEENKUlT_SI_SJ_SK_E_clISD_PiSD_S10_EESH_SX_SI_SJ_SK_EUlSX_E0_NS1_11comp_targetILNS1_3genE9ELNS1_11target_archE1100ELNS1_3gpuE3ELNS1_3repE0EEENS1_38merge_mergepath_config_static_selectorELNS0_4arch9wavefront6targetE1EEEvSJ_.private_seg_size, 0
	.set _ZN7rocprim17ROCPRIM_400000_NS6detail17trampoline_kernelINS0_14default_configENS1_38merge_sort_block_merge_config_selectorIiiEEZZNS1_27merge_sort_block_merge_implIS3_N6thrust23THRUST_200600_302600_NS6detail15normal_iteratorINS8_10device_ptrIiEEEESD_jNS1_19radix_merge_compareILb1ELb1EiNS0_19identity_decomposerEEEEE10hipError_tT0_T1_T2_jT3_P12ihipStream_tbPNSt15iterator_traitsISI_E10value_typeEPNSO_ISJ_E10value_typeEPSK_NS1_7vsmem_tEENKUlT_SI_SJ_SK_E_clISD_PiSD_S10_EESH_SX_SI_SJ_SK_EUlSX_E0_NS1_11comp_targetILNS1_3genE9ELNS1_11target_archE1100ELNS1_3gpuE3ELNS1_3repE0EEENS1_38merge_mergepath_config_static_selectorELNS0_4arch9wavefront6targetE1EEEvSJ_.uses_vcc, 0
	.set _ZN7rocprim17ROCPRIM_400000_NS6detail17trampoline_kernelINS0_14default_configENS1_38merge_sort_block_merge_config_selectorIiiEEZZNS1_27merge_sort_block_merge_implIS3_N6thrust23THRUST_200600_302600_NS6detail15normal_iteratorINS8_10device_ptrIiEEEESD_jNS1_19radix_merge_compareILb1ELb1EiNS0_19identity_decomposerEEEEE10hipError_tT0_T1_T2_jT3_P12ihipStream_tbPNSt15iterator_traitsISI_E10value_typeEPNSO_ISJ_E10value_typeEPSK_NS1_7vsmem_tEENKUlT_SI_SJ_SK_E_clISD_PiSD_S10_EESH_SX_SI_SJ_SK_EUlSX_E0_NS1_11comp_targetILNS1_3genE9ELNS1_11target_archE1100ELNS1_3gpuE3ELNS1_3repE0EEENS1_38merge_mergepath_config_static_selectorELNS0_4arch9wavefront6targetE1EEEvSJ_.uses_flat_scratch, 0
	.set _ZN7rocprim17ROCPRIM_400000_NS6detail17trampoline_kernelINS0_14default_configENS1_38merge_sort_block_merge_config_selectorIiiEEZZNS1_27merge_sort_block_merge_implIS3_N6thrust23THRUST_200600_302600_NS6detail15normal_iteratorINS8_10device_ptrIiEEEESD_jNS1_19radix_merge_compareILb1ELb1EiNS0_19identity_decomposerEEEEE10hipError_tT0_T1_T2_jT3_P12ihipStream_tbPNSt15iterator_traitsISI_E10value_typeEPNSO_ISJ_E10value_typeEPSK_NS1_7vsmem_tEENKUlT_SI_SJ_SK_E_clISD_PiSD_S10_EESH_SX_SI_SJ_SK_EUlSX_E0_NS1_11comp_targetILNS1_3genE9ELNS1_11target_archE1100ELNS1_3gpuE3ELNS1_3repE0EEENS1_38merge_mergepath_config_static_selectorELNS0_4arch9wavefront6targetE1EEEvSJ_.has_dyn_sized_stack, 0
	.set _ZN7rocprim17ROCPRIM_400000_NS6detail17trampoline_kernelINS0_14default_configENS1_38merge_sort_block_merge_config_selectorIiiEEZZNS1_27merge_sort_block_merge_implIS3_N6thrust23THRUST_200600_302600_NS6detail15normal_iteratorINS8_10device_ptrIiEEEESD_jNS1_19radix_merge_compareILb1ELb1EiNS0_19identity_decomposerEEEEE10hipError_tT0_T1_T2_jT3_P12ihipStream_tbPNSt15iterator_traitsISI_E10value_typeEPNSO_ISJ_E10value_typeEPSK_NS1_7vsmem_tEENKUlT_SI_SJ_SK_E_clISD_PiSD_S10_EESH_SX_SI_SJ_SK_EUlSX_E0_NS1_11comp_targetILNS1_3genE9ELNS1_11target_archE1100ELNS1_3gpuE3ELNS1_3repE0EEENS1_38merge_mergepath_config_static_selectorELNS0_4arch9wavefront6targetE1EEEvSJ_.has_recursion, 0
	.set _ZN7rocprim17ROCPRIM_400000_NS6detail17trampoline_kernelINS0_14default_configENS1_38merge_sort_block_merge_config_selectorIiiEEZZNS1_27merge_sort_block_merge_implIS3_N6thrust23THRUST_200600_302600_NS6detail15normal_iteratorINS8_10device_ptrIiEEEESD_jNS1_19radix_merge_compareILb1ELb1EiNS0_19identity_decomposerEEEEE10hipError_tT0_T1_T2_jT3_P12ihipStream_tbPNSt15iterator_traitsISI_E10value_typeEPNSO_ISJ_E10value_typeEPSK_NS1_7vsmem_tEENKUlT_SI_SJ_SK_E_clISD_PiSD_S10_EESH_SX_SI_SJ_SK_EUlSX_E0_NS1_11comp_targetILNS1_3genE9ELNS1_11target_archE1100ELNS1_3gpuE3ELNS1_3repE0EEENS1_38merge_mergepath_config_static_selectorELNS0_4arch9wavefront6targetE1EEEvSJ_.has_indirect_call, 0
	.section	.AMDGPU.csdata,"",@progbits
; Kernel info:
; codeLenInByte = 0
; TotalNumSgprs: 6
; NumVgprs: 0
; NumAgprs: 0
; TotalNumVgprs: 0
; ScratchSize: 0
; MemoryBound: 0
; FloatMode: 240
; IeeeMode: 1
; LDSByteSize: 0 bytes/workgroup (compile time only)
; SGPRBlocks: 0
; VGPRBlocks: 0
; NumSGPRsForWavesPerEU: 6
; NumVGPRsForWavesPerEU: 1
; AccumOffset: 4
; Occupancy: 8
; WaveLimiterHint : 0
; COMPUTE_PGM_RSRC2:SCRATCH_EN: 0
; COMPUTE_PGM_RSRC2:USER_SGPR: 2
; COMPUTE_PGM_RSRC2:TRAP_HANDLER: 0
; COMPUTE_PGM_RSRC2:TGID_X_EN: 1
; COMPUTE_PGM_RSRC2:TGID_Y_EN: 0
; COMPUTE_PGM_RSRC2:TGID_Z_EN: 0
; COMPUTE_PGM_RSRC2:TIDIG_COMP_CNT: 0
; COMPUTE_PGM_RSRC3_GFX90A:ACCUM_OFFSET: 0
; COMPUTE_PGM_RSRC3_GFX90A:TG_SPLIT: 0
	.section	.text._ZN7rocprim17ROCPRIM_400000_NS6detail17trampoline_kernelINS0_14default_configENS1_38merge_sort_block_merge_config_selectorIiiEEZZNS1_27merge_sort_block_merge_implIS3_N6thrust23THRUST_200600_302600_NS6detail15normal_iteratorINS8_10device_ptrIiEEEESD_jNS1_19radix_merge_compareILb1ELb1EiNS0_19identity_decomposerEEEEE10hipError_tT0_T1_T2_jT3_P12ihipStream_tbPNSt15iterator_traitsISI_E10value_typeEPNSO_ISJ_E10value_typeEPSK_NS1_7vsmem_tEENKUlT_SI_SJ_SK_E_clISD_PiSD_S10_EESH_SX_SI_SJ_SK_EUlSX_E0_NS1_11comp_targetILNS1_3genE8ELNS1_11target_archE1030ELNS1_3gpuE2ELNS1_3repE0EEENS1_38merge_mergepath_config_static_selectorELNS0_4arch9wavefront6targetE1EEEvSJ_,"axG",@progbits,_ZN7rocprim17ROCPRIM_400000_NS6detail17trampoline_kernelINS0_14default_configENS1_38merge_sort_block_merge_config_selectorIiiEEZZNS1_27merge_sort_block_merge_implIS3_N6thrust23THRUST_200600_302600_NS6detail15normal_iteratorINS8_10device_ptrIiEEEESD_jNS1_19radix_merge_compareILb1ELb1EiNS0_19identity_decomposerEEEEE10hipError_tT0_T1_T2_jT3_P12ihipStream_tbPNSt15iterator_traitsISI_E10value_typeEPNSO_ISJ_E10value_typeEPSK_NS1_7vsmem_tEENKUlT_SI_SJ_SK_E_clISD_PiSD_S10_EESH_SX_SI_SJ_SK_EUlSX_E0_NS1_11comp_targetILNS1_3genE8ELNS1_11target_archE1030ELNS1_3gpuE2ELNS1_3repE0EEENS1_38merge_mergepath_config_static_selectorELNS0_4arch9wavefront6targetE1EEEvSJ_,comdat
	.protected	_ZN7rocprim17ROCPRIM_400000_NS6detail17trampoline_kernelINS0_14default_configENS1_38merge_sort_block_merge_config_selectorIiiEEZZNS1_27merge_sort_block_merge_implIS3_N6thrust23THRUST_200600_302600_NS6detail15normal_iteratorINS8_10device_ptrIiEEEESD_jNS1_19radix_merge_compareILb1ELb1EiNS0_19identity_decomposerEEEEE10hipError_tT0_T1_T2_jT3_P12ihipStream_tbPNSt15iterator_traitsISI_E10value_typeEPNSO_ISJ_E10value_typeEPSK_NS1_7vsmem_tEENKUlT_SI_SJ_SK_E_clISD_PiSD_S10_EESH_SX_SI_SJ_SK_EUlSX_E0_NS1_11comp_targetILNS1_3genE8ELNS1_11target_archE1030ELNS1_3gpuE2ELNS1_3repE0EEENS1_38merge_mergepath_config_static_selectorELNS0_4arch9wavefront6targetE1EEEvSJ_ ; -- Begin function _ZN7rocprim17ROCPRIM_400000_NS6detail17trampoline_kernelINS0_14default_configENS1_38merge_sort_block_merge_config_selectorIiiEEZZNS1_27merge_sort_block_merge_implIS3_N6thrust23THRUST_200600_302600_NS6detail15normal_iteratorINS8_10device_ptrIiEEEESD_jNS1_19radix_merge_compareILb1ELb1EiNS0_19identity_decomposerEEEEE10hipError_tT0_T1_T2_jT3_P12ihipStream_tbPNSt15iterator_traitsISI_E10value_typeEPNSO_ISJ_E10value_typeEPSK_NS1_7vsmem_tEENKUlT_SI_SJ_SK_E_clISD_PiSD_S10_EESH_SX_SI_SJ_SK_EUlSX_E0_NS1_11comp_targetILNS1_3genE8ELNS1_11target_archE1030ELNS1_3gpuE2ELNS1_3repE0EEENS1_38merge_mergepath_config_static_selectorELNS0_4arch9wavefront6targetE1EEEvSJ_
	.globl	_ZN7rocprim17ROCPRIM_400000_NS6detail17trampoline_kernelINS0_14default_configENS1_38merge_sort_block_merge_config_selectorIiiEEZZNS1_27merge_sort_block_merge_implIS3_N6thrust23THRUST_200600_302600_NS6detail15normal_iteratorINS8_10device_ptrIiEEEESD_jNS1_19radix_merge_compareILb1ELb1EiNS0_19identity_decomposerEEEEE10hipError_tT0_T1_T2_jT3_P12ihipStream_tbPNSt15iterator_traitsISI_E10value_typeEPNSO_ISJ_E10value_typeEPSK_NS1_7vsmem_tEENKUlT_SI_SJ_SK_E_clISD_PiSD_S10_EESH_SX_SI_SJ_SK_EUlSX_E0_NS1_11comp_targetILNS1_3genE8ELNS1_11target_archE1030ELNS1_3gpuE2ELNS1_3repE0EEENS1_38merge_mergepath_config_static_selectorELNS0_4arch9wavefront6targetE1EEEvSJ_
	.p2align	8
	.type	_ZN7rocprim17ROCPRIM_400000_NS6detail17trampoline_kernelINS0_14default_configENS1_38merge_sort_block_merge_config_selectorIiiEEZZNS1_27merge_sort_block_merge_implIS3_N6thrust23THRUST_200600_302600_NS6detail15normal_iteratorINS8_10device_ptrIiEEEESD_jNS1_19radix_merge_compareILb1ELb1EiNS0_19identity_decomposerEEEEE10hipError_tT0_T1_T2_jT3_P12ihipStream_tbPNSt15iterator_traitsISI_E10value_typeEPNSO_ISJ_E10value_typeEPSK_NS1_7vsmem_tEENKUlT_SI_SJ_SK_E_clISD_PiSD_S10_EESH_SX_SI_SJ_SK_EUlSX_E0_NS1_11comp_targetILNS1_3genE8ELNS1_11target_archE1030ELNS1_3gpuE2ELNS1_3repE0EEENS1_38merge_mergepath_config_static_selectorELNS0_4arch9wavefront6targetE1EEEvSJ_,@function
_ZN7rocprim17ROCPRIM_400000_NS6detail17trampoline_kernelINS0_14default_configENS1_38merge_sort_block_merge_config_selectorIiiEEZZNS1_27merge_sort_block_merge_implIS3_N6thrust23THRUST_200600_302600_NS6detail15normal_iteratorINS8_10device_ptrIiEEEESD_jNS1_19radix_merge_compareILb1ELb1EiNS0_19identity_decomposerEEEEE10hipError_tT0_T1_T2_jT3_P12ihipStream_tbPNSt15iterator_traitsISI_E10value_typeEPNSO_ISJ_E10value_typeEPSK_NS1_7vsmem_tEENKUlT_SI_SJ_SK_E_clISD_PiSD_S10_EESH_SX_SI_SJ_SK_EUlSX_E0_NS1_11comp_targetILNS1_3genE8ELNS1_11target_archE1030ELNS1_3gpuE2ELNS1_3repE0EEENS1_38merge_mergepath_config_static_selectorELNS0_4arch9wavefront6targetE1EEEvSJ_: ; @_ZN7rocprim17ROCPRIM_400000_NS6detail17trampoline_kernelINS0_14default_configENS1_38merge_sort_block_merge_config_selectorIiiEEZZNS1_27merge_sort_block_merge_implIS3_N6thrust23THRUST_200600_302600_NS6detail15normal_iteratorINS8_10device_ptrIiEEEESD_jNS1_19radix_merge_compareILb1ELb1EiNS0_19identity_decomposerEEEEE10hipError_tT0_T1_T2_jT3_P12ihipStream_tbPNSt15iterator_traitsISI_E10value_typeEPNSO_ISJ_E10value_typeEPSK_NS1_7vsmem_tEENKUlT_SI_SJ_SK_E_clISD_PiSD_S10_EESH_SX_SI_SJ_SK_EUlSX_E0_NS1_11comp_targetILNS1_3genE8ELNS1_11target_archE1030ELNS1_3gpuE2ELNS1_3repE0EEENS1_38merge_mergepath_config_static_selectorELNS0_4arch9wavefront6targetE1EEEvSJ_
; %bb.0:
	.section	.rodata,"a",@progbits
	.p2align	6, 0x0
	.amdhsa_kernel _ZN7rocprim17ROCPRIM_400000_NS6detail17trampoline_kernelINS0_14default_configENS1_38merge_sort_block_merge_config_selectorIiiEEZZNS1_27merge_sort_block_merge_implIS3_N6thrust23THRUST_200600_302600_NS6detail15normal_iteratorINS8_10device_ptrIiEEEESD_jNS1_19radix_merge_compareILb1ELb1EiNS0_19identity_decomposerEEEEE10hipError_tT0_T1_T2_jT3_P12ihipStream_tbPNSt15iterator_traitsISI_E10value_typeEPNSO_ISJ_E10value_typeEPSK_NS1_7vsmem_tEENKUlT_SI_SJ_SK_E_clISD_PiSD_S10_EESH_SX_SI_SJ_SK_EUlSX_E0_NS1_11comp_targetILNS1_3genE8ELNS1_11target_archE1030ELNS1_3gpuE2ELNS1_3repE0EEENS1_38merge_mergepath_config_static_selectorELNS0_4arch9wavefront6targetE1EEEvSJ_
		.amdhsa_group_segment_fixed_size 0
		.amdhsa_private_segment_fixed_size 0
		.amdhsa_kernarg_size 64
		.amdhsa_user_sgpr_count 2
		.amdhsa_user_sgpr_dispatch_ptr 0
		.amdhsa_user_sgpr_queue_ptr 0
		.amdhsa_user_sgpr_kernarg_segment_ptr 1
		.amdhsa_user_sgpr_dispatch_id 0
		.amdhsa_user_sgpr_kernarg_preload_length 0
		.amdhsa_user_sgpr_kernarg_preload_offset 0
		.amdhsa_user_sgpr_private_segment_size 0
		.amdhsa_uses_dynamic_stack 0
		.amdhsa_enable_private_segment 0
		.amdhsa_system_sgpr_workgroup_id_x 1
		.amdhsa_system_sgpr_workgroup_id_y 0
		.amdhsa_system_sgpr_workgroup_id_z 0
		.amdhsa_system_sgpr_workgroup_info 0
		.amdhsa_system_vgpr_workitem_id 0
		.amdhsa_next_free_vgpr 1
		.amdhsa_next_free_sgpr 0
		.amdhsa_accum_offset 4
		.amdhsa_reserve_vcc 0
		.amdhsa_float_round_mode_32 0
		.amdhsa_float_round_mode_16_64 0
		.amdhsa_float_denorm_mode_32 3
		.amdhsa_float_denorm_mode_16_64 3
		.amdhsa_dx10_clamp 1
		.amdhsa_ieee_mode 1
		.amdhsa_fp16_overflow 0
		.amdhsa_tg_split 0
		.amdhsa_exception_fp_ieee_invalid_op 0
		.amdhsa_exception_fp_denorm_src 0
		.amdhsa_exception_fp_ieee_div_zero 0
		.amdhsa_exception_fp_ieee_overflow 0
		.amdhsa_exception_fp_ieee_underflow 0
		.amdhsa_exception_fp_ieee_inexact 0
		.amdhsa_exception_int_div_zero 0
	.end_amdhsa_kernel
	.section	.text._ZN7rocprim17ROCPRIM_400000_NS6detail17trampoline_kernelINS0_14default_configENS1_38merge_sort_block_merge_config_selectorIiiEEZZNS1_27merge_sort_block_merge_implIS3_N6thrust23THRUST_200600_302600_NS6detail15normal_iteratorINS8_10device_ptrIiEEEESD_jNS1_19radix_merge_compareILb1ELb1EiNS0_19identity_decomposerEEEEE10hipError_tT0_T1_T2_jT3_P12ihipStream_tbPNSt15iterator_traitsISI_E10value_typeEPNSO_ISJ_E10value_typeEPSK_NS1_7vsmem_tEENKUlT_SI_SJ_SK_E_clISD_PiSD_S10_EESH_SX_SI_SJ_SK_EUlSX_E0_NS1_11comp_targetILNS1_3genE8ELNS1_11target_archE1030ELNS1_3gpuE2ELNS1_3repE0EEENS1_38merge_mergepath_config_static_selectorELNS0_4arch9wavefront6targetE1EEEvSJ_,"axG",@progbits,_ZN7rocprim17ROCPRIM_400000_NS6detail17trampoline_kernelINS0_14default_configENS1_38merge_sort_block_merge_config_selectorIiiEEZZNS1_27merge_sort_block_merge_implIS3_N6thrust23THRUST_200600_302600_NS6detail15normal_iteratorINS8_10device_ptrIiEEEESD_jNS1_19radix_merge_compareILb1ELb1EiNS0_19identity_decomposerEEEEE10hipError_tT0_T1_T2_jT3_P12ihipStream_tbPNSt15iterator_traitsISI_E10value_typeEPNSO_ISJ_E10value_typeEPSK_NS1_7vsmem_tEENKUlT_SI_SJ_SK_E_clISD_PiSD_S10_EESH_SX_SI_SJ_SK_EUlSX_E0_NS1_11comp_targetILNS1_3genE8ELNS1_11target_archE1030ELNS1_3gpuE2ELNS1_3repE0EEENS1_38merge_mergepath_config_static_selectorELNS0_4arch9wavefront6targetE1EEEvSJ_,comdat
.Lfunc_end972:
	.size	_ZN7rocprim17ROCPRIM_400000_NS6detail17trampoline_kernelINS0_14default_configENS1_38merge_sort_block_merge_config_selectorIiiEEZZNS1_27merge_sort_block_merge_implIS3_N6thrust23THRUST_200600_302600_NS6detail15normal_iteratorINS8_10device_ptrIiEEEESD_jNS1_19radix_merge_compareILb1ELb1EiNS0_19identity_decomposerEEEEE10hipError_tT0_T1_T2_jT3_P12ihipStream_tbPNSt15iterator_traitsISI_E10value_typeEPNSO_ISJ_E10value_typeEPSK_NS1_7vsmem_tEENKUlT_SI_SJ_SK_E_clISD_PiSD_S10_EESH_SX_SI_SJ_SK_EUlSX_E0_NS1_11comp_targetILNS1_3genE8ELNS1_11target_archE1030ELNS1_3gpuE2ELNS1_3repE0EEENS1_38merge_mergepath_config_static_selectorELNS0_4arch9wavefront6targetE1EEEvSJ_, .Lfunc_end972-_ZN7rocprim17ROCPRIM_400000_NS6detail17trampoline_kernelINS0_14default_configENS1_38merge_sort_block_merge_config_selectorIiiEEZZNS1_27merge_sort_block_merge_implIS3_N6thrust23THRUST_200600_302600_NS6detail15normal_iteratorINS8_10device_ptrIiEEEESD_jNS1_19radix_merge_compareILb1ELb1EiNS0_19identity_decomposerEEEEE10hipError_tT0_T1_T2_jT3_P12ihipStream_tbPNSt15iterator_traitsISI_E10value_typeEPNSO_ISJ_E10value_typeEPSK_NS1_7vsmem_tEENKUlT_SI_SJ_SK_E_clISD_PiSD_S10_EESH_SX_SI_SJ_SK_EUlSX_E0_NS1_11comp_targetILNS1_3genE8ELNS1_11target_archE1030ELNS1_3gpuE2ELNS1_3repE0EEENS1_38merge_mergepath_config_static_selectorELNS0_4arch9wavefront6targetE1EEEvSJ_
                                        ; -- End function
	.set _ZN7rocprim17ROCPRIM_400000_NS6detail17trampoline_kernelINS0_14default_configENS1_38merge_sort_block_merge_config_selectorIiiEEZZNS1_27merge_sort_block_merge_implIS3_N6thrust23THRUST_200600_302600_NS6detail15normal_iteratorINS8_10device_ptrIiEEEESD_jNS1_19radix_merge_compareILb1ELb1EiNS0_19identity_decomposerEEEEE10hipError_tT0_T1_T2_jT3_P12ihipStream_tbPNSt15iterator_traitsISI_E10value_typeEPNSO_ISJ_E10value_typeEPSK_NS1_7vsmem_tEENKUlT_SI_SJ_SK_E_clISD_PiSD_S10_EESH_SX_SI_SJ_SK_EUlSX_E0_NS1_11comp_targetILNS1_3genE8ELNS1_11target_archE1030ELNS1_3gpuE2ELNS1_3repE0EEENS1_38merge_mergepath_config_static_selectorELNS0_4arch9wavefront6targetE1EEEvSJ_.num_vgpr, 0
	.set _ZN7rocprim17ROCPRIM_400000_NS6detail17trampoline_kernelINS0_14default_configENS1_38merge_sort_block_merge_config_selectorIiiEEZZNS1_27merge_sort_block_merge_implIS3_N6thrust23THRUST_200600_302600_NS6detail15normal_iteratorINS8_10device_ptrIiEEEESD_jNS1_19radix_merge_compareILb1ELb1EiNS0_19identity_decomposerEEEEE10hipError_tT0_T1_T2_jT3_P12ihipStream_tbPNSt15iterator_traitsISI_E10value_typeEPNSO_ISJ_E10value_typeEPSK_NS1_7vsmem_tEENKUlT_SI_SJ_SK_E_clISD_PiSD_S10_EESH_SX_SI_SJ_SK_EUlSX_E0_NS1_11comp_targetILNS1_3genE8ELNS1_11target_archE1030ELNS1_3gpuE2ELNS1_3repE0EEENS1_38merge_mergepath_config_static_selectorELNS0_4arch9wavefront6targetE1EEEvSJ_.num_agpr, 0
	.set _ZN7rocprim17ROCPRIM_400000_NS6detail17trampoline_kernelINS0_14default_configENS1_38merge_sort_block_merge_config_selectorIiiEEZZNS1_27merge_sort_block_merge_implIS3_N6thrust23THRUST_200600_302600_NS6detail15normal_iteratorINS8_10device_ptrIiEEEESD_jNS1_19radix_merge_compareILb1ELb1EiNS0_19identity_decomposerEEEEE10hipError_tT0_T1_T2_jT3_P12ihipStream_tbPNSt15iterator_traitsISI_E10value_typeEPNSO_ISJ_E10value_typeEPSK_NS1_7vsmem_tEENKUlT_SI_SJ_SK_E_clISD_PiSD_S10_EESH_SX_SI_SJ_SK_EUlSX_E0_NS1_11comp_targetILNS1_3genE8ELNS1_11target_archE1030ELNS1_3gpuE2ELNS1_3repE0EEENS1_38merge_mergepath_config_static_selectorELNS0_4arch9wavefront6targetE1EEEvSJ_.numbered_sgpr, 0
	.set _ZN7rocprim17ROCPRIM_400000_NS6detail17trampoline_kernelINS0_14default_configENS1_38merge_sort_block_merge_config_selectorIiiEEZZNS1_27merge_sort_block_merge_implIS3_N6thrust23THRUST_200600_302600_NS6detail15normal_iteratorINS8_10device_ptrIiEEEESD_jNS1_19radix_merge_compareILb1ELb1EiNS0_19identity_decomposerEEEEE10hipError_tT0_T1_T2_jT3_P12ihipStream_tbPNSt15iterator_traitsISI_E10value_typeEPNSO_ISJ_E10value_typeEPSK_NS1_7vsmem_tEENKUlT_SI_SJ_SK_E_clISD_PiSD_S10_EESH_SX_SI_SJ_SK_EUlSX_E0_NS1_11comp_targetILNS1_3genE8ELNS1_11target_archE1030ELNS1_3gpuE2ELNS1_3repE0EEENS1_38merge_mergepath_config_static_selectorELNS0_4arch9wavefront6targetE1EEEvSJ_.num_named_barrier, 0
	.set _ZN7rocprim17ROCPRIM_400000_NS6detail17trampoline_kernelINS0_14default_configENS1_38merge_sort_block_merge_config_selectorIiiEEZZNS1_27merge_sort_block_merge_implIS3_N6thrust23THRUST_200600_302600_NS6detail15normal_iteratorINS8_10device_ptrIiEEEESD_jNS1_19radix_merge_compareILb1ELb1EiNS0_19identity_decomposerEEEEE10hipError_tT0_T1_T2_jT3_P12ihipStream_tbPNSt15iterator_traitsISI_E10value_typeEPNSO_ISJ_E10value_typeEPSK_NS1_7vsmem_tEENKUlT_SI_SJ_SK_E_clISD_PiSD_S10_EESH_SX_SI_SJ_SK_EUlSX_E0_NS1_11comp_targetILNS1_3genE8ELNS1_11target_archE1030ELNS1_3gpuE2ELNS1_3repE0EEENS1_38merge_mergepath_config_static_selectorELNS0_4arch9wavefront6targetE1EEEvSJ_.private_seg_size, 0
	.set _ZN7rocprim17ROCPRIM_400000_NS6detail17trampoline_kernelINS0_14default_configENS1_38merge_sort_block_merge_config_selectorIiiEEZZNS1_27merge_sort_block_merge_implIS3_N6thrust23THRUST_200600_302600_NS6detail15normal_iteratorINS8_10device_ptrIiEEEESD_jNS1_19radix_merge_compareILb1ELb1EiNS0_19identity_decomposerEEEEE10hipError_tT0_T1_T2_jT3_P12ihipStream_tbPNSt15iterator_traitsISI_E10value_typeEPNSO_ISJ_E10value_typeEPSK_NS1_7vsmem_tEENKUlT_SI_SJ_SK_E_clISD_PiSD_S10_EESH_SX_SI_SJ_SK_EUlSX_E0_NS1_11comp_targetILNS1_3genE8ELNS1_11target_archE1030ELNS1_3gpuE2ELNS1_3repE0EEENS1_38merge_mergepath_config_static_selectorELNS0_4arch9wavefront6targetE1EEEvSJ_.uses_vcc, 0
	.set _ZN7rocprim17ROCPRIM_400000_NS6detail17trampoline_kernelINS0_14default_configENS1_38merge_sort_block_merge_config_selectorIiiEEZZNS1_27merge_sort_block_merge_implIS3_N6thrust23THRUST_200600_302600_NS6detail15normal_iteratorINS8_10device_ptrIiEEEESD_jNS1_19radix_merge_compareILb1ELb1EiNS0_19identity_decomposerEEEEE10hipError_tT0_T1_T2_jT3_P12ihipStream_tbPNSt15iterator_traitsISI_E10value_typeEPNSO_ISJ_E10value_typeEPSK_NS1_7vsmem_tEENKUlT_SI_SJ_SK_E_clISD_PiSD_S10_EESH_SX_SI_SJ_SK_EUlSX_E0_NS1_11comp_targetILNS1_3genE8ELNS1_11target_archE1030ELNS1_3gpuE2ELNS1_3repE0EEENS1_38merge_mergepath_config_static_selectorELNS0_4arch9wavefront6targetE1EEEvSJ_.uses_flat_scratch, 0
	.set _ZN7rocprim17ROCPRIM_400000_NS6detail17trampoline_kernelINS0_14default_configENS1_38merge_sort_block_merge_config_selectorIiiEEZZNS1_27merge_sort_block_merge_implIS3_N6thrust23THRUST_200600_302600_NS6detail15normal_iteratorINS8_10device_ptrIiEEEESD_jNS1_19radix_merge_compareILb1ELb1EiNS0_19identity_decomposerEEEEE10hipError_tT0_T1_T2_jT3_P12ihipStream_tbPNSt15iterator_traitsISI_E10value_typeEPNSO_ISJ_E10value_typeEPSK_NS1_7vsmem_tEENKUlT_SI_SJ_SK_E_clISD_PiSD_S10_EESH_SX_SI_SJ_SK_EUlSX_E0_NS1_11comp_targetILNS1_3genE8ELNS1_11target_archE1030ELNS1_3gpuE2ELNS1_3repE0EEENS1_38merge_mergepath_config_static_selectorELNS0_4arch9wavefront6targetE1EEEvSJ_.has_dyn_sized_stack, 0
	.set _ZN7rocprim17ROCPRIM_400000_NS6detail17trampoline_kernelINS0_14default_configENS1_38merge_sort_block_merge_config_selectorIiiEEZZNS1_27merge_sort_block_merge_implIS3_N6thrust23THRUST_200600_302600_NS6detail15normal_iteratorINS8_10device_ptrIiEEEESD_jNS1_19radix_merge_compareILb1ELb1EiNS0_19identity_decomposerEEEEE10hipError_tT0_T1_T2_jT3_P12ihipStream_tbPNSt15iterator_traitsISI_E10value_typeEPNSO_ISJ_E10value_typeEPSK_NS1_7vsmem_tEENKUlT_SI_SJ_SK_E_clISD_PiSD_S10_EESH_SX_SI_SJ_SK_EUlSX_E0_NS1_11comp_targetILNS1_3genE8ELNS1_11target_archE1030ELNS1_3gpuE2ELNS1_3repE0EEENS1_38merge_mergepath_config_static_selectorELNS0_4arch9wavefront6targetE1EEEvSJ_.has_recursion, 0
	.set _ZN7rocprim17ROCPRIM_400000_NS6detail17trampoline_kernelINS0_14default_configENS1_38merge_sort_block_merge_config_selectorIiiEEZZNS1_27merge_sort_block_merge_implIS3_N6thrust23THRUST_200600_302600_NS6detail15normal_iteratorINS8_10device_ptrIiEEEESD_jNS1_19radix_merge_compareILb1ELb1EiNS0_19identity_decomposerEEEEE10hipError_tT0_T1_T2_jT3_P12ihipStream_tbPNSt15iterator_traitsISI_E10value_typeEPNSO_ISJ_E10value_typeEPSK_NS1_7vsmem_tEENKUlT_SI_SJ_SK_E_clISD_PiSD_S10_EESH_SX_SI_SJ_SK_EUlSX_E0_NS1_11comp_targetILNS1_3genE8ELNS1_11target_archE1030ELNS1_3gpuE2ELNS1_3repE0EEENS1_38merge_mergepath_config_static_selectorELNS0_4arch9wavefront6targetE1EEEvSJ_.has_indirect_call, 0
	.section	.AMDGPU.csdata,"",@progbits
; Kernel info:
; codeLenInByte = 0
; TotalNumSgprs: 6
; NumVgprs: 0
; NumAgprs: 0
; TotalNumVgprs: 0
; ScratchSize: 0
; MemoryBound: 0
; FloatMode: 240
; IeeeMode: 1
; LDSByteSize: 0 bytes/workgroup (compile time only)
; SGPRBlocks: 0
; VGPRBlocks: 0
; NumSGPRsForWavesPerEU: 6
; NumVGPRsForWavesPerEU: 1
; AccumOffset: 4
; Occupancy: 8
; WaveLimiterHint : 0
; COMPUTE_PGM_RSRC2:SCRATCH_EN: 0
; COMPUTE_PGM_RSRC2:USER_SGPR: 2
; COMPUTE_PGM_RSRC2:TRAP_HANDLER: 0
; COMPUTE_PGM_RSRC2:TGID_X_EN: 1
; COMPUTE_PGM_RSRC2:TGID_Y_EN: 0
; COMPUTE_PGM_RSRC2:TGID_Z_EN: 0
; COMPUTE_PGM_RSRC2:TIDIG_COMP_CNT: 0
; COMPUTE_PGM_RSRC3_GFX90A:ACCUM_OFFSET: 0
; COMPUTE_PGM_RSRC3_GFX90A:TG_SPLIT: 0
	.section	.text._ZN7rocprim17ROCPRIM_400000_NS6detail17trampoline_kernelINS0_14default_configENS1_38merge_sort_block_merge_config_selectorIiiEEZZNS1_27merge_sort_block_merge_implIS3_N6thrust23THRUST_200600_302600_NS6detail15normal_iteratorINS8_10device_ptrIiEEEESD_jNS1_19radix_merge_compareILb1ELb1EiNS0_19identity_decomposerEEEEE10hipError_tT0_T1_T2_jT3_P12ihipStream_tbPNSt15iterator_traitsISI_E10value_typeEPNSO_ISJ_E10value_typeEPSK_NS1_7vsmem_tEENKUlT_SI_SJ_SK_E_clISD_PiSD_S10_EESH_SX_SI_SJ_SK_EUlSX_E1_NS1_11comp_targetILNS1_3genE0ELNS1_11target_archE4294967295ELNS1_3gpuE0ELNS1_3repE0EEENS1_36merge_oddeven_config_static_selectorELNS0_4arch9wavefront6targetE1EEEvSJ_,"axG",@progbits,_ZN7rocprim17ROCPRIM_400000_NS6detail17trampoline_kernelINS0_14default_configENS1_38merge_sort_block_merge_config_selectorIiiEEZZNS1_27merge_sort_block_merge_implIS3_N6thrust23THRUST_200600_302600_NS6detail15normal_iteratorINS8_10device_ptrIiEEEESD_jNS1_19radix_merge_compareILb1ELb1EiNS0_19identity_decomposerEEEEE10hipError_tT0_T1_T2_jT3_P12ihipStream_tbPNSt15iterator_traitsISI_E10value_typeEPNSO_ISJ_E10value_typeEPSK_NS1_7vsmem_tEENKUlT_SI_SJ_SK_E_clISD_PiSD_S10_EESH_SX_SI_SJ_SK_EUlSX_E1_NS1_11comp_targetILNS1_3genE0ELNS1_11target_archE4294967295ELNS1_3gpuE0ELNS1_3repE0EEENS1_36merge_oddeven_config_static_selectorELNS0_4arch9wavefront6targetE1EEEvSJ_,comdat
	.protected	_ZN7rocprim17ROCPRIM_400000_NS6detail17trampoline_kernelINS0_14default_configENS1_38merge_sort_block_merge_config_selectorIiiEEZZNS1_27merge_sort_block_merge_implIS3_N6thrust23THRUST_200600_302600_NS6detail15normal_iteratorINS8_10device_ptrIiEEEESD_jNS1_19radix_merge_compareILb1ELb1EiNS0_19identity_decomposerEEEEE10hipError_tT0_T1_T2_jT3_P12ihipStream_tbPNSt15iterator_traitsISI_E10value_typeEPNSO_ISJ_E10value_typeEPSK_NS1_7vsmem_tEENKUlT_SI_SJ_SK_E_clISD_PiSD_S10_EESH_SX_SI_SJ_SK_EUlSX_E1_NS1_11comp_targetILNS1_3genE0ELNS1_11target_archE4294967295ELNS1_3gpuE0ELNS1_3repE0EEENS1_36merge_oddeven_config_static_selectorELNS0_4arch9wavefront6targetE1EEEvSJ_ ; -- Begin function _ZN7rocprim17ROCPRIM_400000_NS6detail17trampoline_kernelINS0_14default_configENS1_38merge_sort_block_merge_config_selectorIiiEEZZNS1_27merge_sort_block_merge_implIS3_N6thrust23THRUST_200600_302600_NS6detail15normal_iteratorINS8_10device_ptrIiEEEESD_jNS1_19radix_merge_compareILb1ELb1EiNS0_19identity_decomposerEEEEE10hipError_tT0_T1_T2_jT3_P12ihipStream_tbPNSt15iterator_traitsISI_E10value_typeEPNSO_ISJ_E10value_typeEPSK_NS1_7vsmem_tEENKUlT_SI_SJ_SK_E_clISD_PiSD_S10_EESH_SX_SI_SJ_SK_EUlSX_E1_NS1_11comp_targetILNS1_3genE0ELNS1_11target_archE4294967295ELNS1_3gpuE0ELNS1_3repE0EEENS1_36merge_oddeven_config_static_selectorELNS0_4arch9wavefront6targetE1EEEvSJ_
	.globl	_ZN7rocprim17ROCPRIM_400000_NS6detail17trampoline_kernelINS0_14default_configENS1_38merge_sort_block_merge_config_selectorIiiEEZZNS1_27merge_sort_block_merge_implIS3_N6thrust23THRUST_200600_302600_NS6detail15normal_iteratorINS8_10device_ptrIiEEEESD_jNS1_19radix_merge_compareILb1ELb1EiNS0_19identity_decomposerEEEEE10hipError_tT0_T1_T2_jT3_P12ihipStream_tbPNSt15iterator_traitsISI_E10value_typeEPNSO_ISJ_E10value_typeEPSK_NS1_7vsmem_tEENKUlT_SI_SJ_SK_E_clISD_PiSD_S10_EESH_SX_SI_SJ_SK_EUlSX_E1_NS1_11comp_targetILNS1_3genE0ELNS1_11target_archE4294967295ELNS1_3gpuE0ELNS1_3repE0EEENS1_36merge_oddeven_config_static_selectorELNS0_4arch9wavefront6targetE1EEEvSJ_
	.p2align	8
	.type	_ZN7rocprim17ROCPRIM_400000_NS6detail17trampoline_kernelINS0_14default_configENS1_38merge_sort_block_merge_config_selectorIiiEEZZNS1_27merge_sort_block_merge_implIS3_N6thrust23THRUST_200600_302600_NS6detail15normal_iteratorINS8_10device_ptrIiEEEESD_jNS1_19radix_merge_compareILb1ELb1EiNS0_19identity_decomposerEEEEE10hipError_tT0_T1_T2_jT3_P12ihipStream_tbPNSt15iterator_traitsISI_E10value_typeEPNSO_ISJ_E10value_typeEPSK_NS1_7vsmem_tEENKUlT_SI_SJ_SK_E_clISD_PiSD_S10_EESH_SX_SI_SJ_SK_EUlSX_E1_NS1_11comp_targetILNS1_3genE0ELNS1_11target_archE4294967295ELNS1_3gpuE0ELNS1_3repE0EEENS1_36merge_oddeven_config_static_selectorELNS0_4arch9wavefront6targetE1EEEvSJ_,@function
_ZN7rocprim17ROCPRIM_400000_NS6detail17trampoline_kernelINS0_14default_configENS1_38merge_sort_block_merge_config_selectorIiiEEZZNS1_27merge_sort_block_merge_implIS3_N6thrust23THRUST_200600_302600_NS6detail15normal_iteratorINS8_10device_ptrIiEEEESD_jNS1_19radix_merge_compareILb1ELb1EiNS0_19identity_decomposerEEEEE10hipError_tT0_T1_T2_jT3_P12ihipStream_tbPNSt15iterator_traitsISI_E10value_typeEPNSO_ISJ_E10value_typeEPSK_NS1_7vsmem_tEENKUlT_SI_SJ_SK_E_clISD_PiSD_S10_EESH_SX_SI_SJ_SK_EUlSX_E1_NS1_11comp_targetILNS1_3genE0ELNS1_11target_archE4294967295ELNS1_3gpuE0ELNS1_3repE0EEENS1_36merge_oddeven_config_static_selectorELNS0_4arch9wavefront6targetE1EEEvSJ_: ; @_ZN7rocprim17ROCPRIM_400000_NS6detail17trampoline_kernelINS0_14default_configENS1_38merge_sort_block_merge_config_selectorIiiEEZZNS1_27merge_sort_block_merge_implIS3_N6thrust23THRUST_200600_302600_NS6detail15normal_iteratorINS8_10device_ptrIiEEEESD_jNS1_19radix_merge_compareILb1ELb1EiNS0_19identity_decomposerEEEEE10hipError_tT0_T1_T2_jT3_P12ihipStream_tbPNSt15iterator_traitsISI_E10value_typeEPNSO_ISJ_E10value_typeEPSK_NS1_7vsmem_tEENKUlT_SI_SJ_SK_E_clISD_PiSD_S10_EESH_SX_SI_SJ_SK_EUlSX_E1_NS1_11comp_targetILNS1_3genE0ELNS1_11target_archE4294967295ELNS1_3gpuE0ELNS1_3repE0EEENS1_36merge_oddeven_config_static_selectorELNS0_4arch9wavefront6targetE1EEEvSJ_
; %bb.0:
	s_load_dword s20, s[0:1], 0x20
	s_waitcnt lgkmcnt(0)
	s_lshr_b32 s3, s20, 8
	s_cmp_eq_u32 s2, s3
	s_cselect_b64 s[16:17], -1, 0
	s_cmp_lg_u32 s2, s3
	s_cselect_b64 s[4:5], -1, 0
	s_lshl_b32 s18, s2, 8
	s_sub_i32 s3, s20, s18
	v_cmp_gt_u32_e64 s[6:7], s3, v0
	s_or_b64 s[4:5], s[4:5], s[6:7]
	s_and_saveexec_b64 s[8:9], s[4:5]
	s_cbranch_execz .LBB973_24
; %bb.1:
	s_load_dwordx8 s[8:15], s[0:1], 0x0
	s_mov_b32 s19, 0
	s_lshl_b64 s[4:5], s[18:19], 2
	v_lshlrev_b32_e32 v1, 2, v0
	s_load_dword s19, s[0:1], 0x24
	s_waitcnt lgkmcnt(0)
	s_add_u32 s22, s8, s4
	s_addc_u32 s23, s9, s5
	s_add_u32 s4, s12, s4
	s_addc_u32 s5, s13, s5
	global_load_dword v2, v1, s[4:5]
	global_load_dword v3, v1, s[22:23]
	s_lshr_b32 s3, s19, 8
	s_sub_i32 s4, 0, s3
	s_and_b32 s2, s2, s4
	s_and_b32 s3, s2, s3
	s_lshl_b32 s21, s2, 8
	s_sub_i32 s12, 0, s19
	s_cmp_eq_u32 s3, 0
	s_cselect_b64 s[4:5], -1, 0
	s_and_b64 s[2:3], s[4:5], exec
	s_cselect_b32 s12, s19, s12
	s_add_i32 s12, s12, s21
	s_mov_b64 s[2:3], -1
	s_cmp_gt_u32 s20, s12
	v_add_u32_e32 v0, s18, v0
	s_cbranch_scc1 .LBB973_9
; %bb.2:
	s_and_b64 vcc, exec, s[16:17]
	s_cbranch_vccz .LBB973_6
; %bb.3:
	v_cmp_gt_u32_e32 vcc, s20, v0
	s_and_saveexec_b64 s[2:3], vcc
	s_cbranch_execz .LBB973_5
; %bb.4:
	v_mov_b32_e32 v1, 0
	v_lshlrev_b64 v[4:5], 2, v[0:1]
	v_lshl_add_u64 v[6:7], s[10:11], 0, v[4:5]
	v_lshl_add_u64 v[4:5], s[14:15], 0, v[4:5]
	s_waitcnt vmcnt(0)
	global_store_dword v[6:7], v3, off
	global_store_dword v[4:5], v2, off
.LBB973_5:
	s_or_b64 exec, exec, s[2:3]
	s_mov_b64 s[2:3], 0
.LBB973_6:
	s_andn2_b64 vcc, exec, s[2:3]
	s_cbranch_vccnz .LBB973_8
; %bb.7:
	v_mov_b32_e32 v1, 0
	v_lshlrev_b64 v[4:5], 2, v[0:1]
	v_lshl_add_u64 v[6:7], s[10:11], 0, v[4:5]
	v_lshl_add_u64 v[4:5], s[14:15], 0, v[4:5]
	s_waitcnt vmcnt(0)
	global_store_dword v[6:7], v3, off
	global_store_dword v[4:5], v2, off
.LBB973_8:
	s_mov_b64 s[2:3], 0
.LBB973_9:
	s_andn2_b64 vcc, exec, s[2:3]
	s_cbranch_vccnz .LBB973_24
; %bb.10:
	s_load_dword s13, s[0:1], 0x28
	s_min_u32 s18, s12, s20
	s_add_i32 s0, s18, s19
	s_min_u32 s19, s0, s20
	s_min_u32 s0, s21, s18
	s_add_i32 s21, s21, s18
	v_subrev_u32_e32 v0, s21, v0
	v_add_u32_e32 v4, s0, v0
	s_waitcnt vmcnt(0) lgkmcnt(0)
	v_and_b32_e32 v5, s13, v3
	s_mov_b64 s[0:1], -1
	s_and_b64 vcc, exec, s[16:17]
	s_cbranch_vccz .LBB973_18
; %bb.11:
	s_and_saveexec_b64 s[0:1], s[6:7]
	s_cbranch_execz .LBB973_17
; %bb.12:
	s_cmp_ge_u32 s12, s19
	v_mov_b32_e32 v6, s18
	s_cbranch_scc1 .LBB973_16
; %bb.13:
	s_mov_b64 s[2:3], 0
	v_mov_b32_e32 v7, s19
	v_mov_b32_e32 v6, s18
	;; [unrolled: 1-line block ×3, first 2 shown]
.LBB973_14:                             ; =>This Inner Loop Header: Depth=1
	v_add_u32_e32 v0, v6, v7
	v_lshrrev_b32_e32 v0, 1, v0
	v_lshl_add_u64 v[8:9], v[0:1], 2, s[8:9]
	global_load_dword v8, v[8:9], off
	v_add_u32_e32 v9, 1, v0
	s_waitcnt vmcnt(0)
	v_and_b32_e32 v8, s13, v8
	v_cmp_gt_i32_e32 vcc, v8, v5
	s_nop 1
	v_cndmask_b32_e64 v10, 0, 1, vcc
	v_cmp_le_i32_e32 vcc, v5, v8
	s_nop 1
	v_cndmask_b32_e64 v8, 0, 1, vcc
	v_cndmask_b32_e64 v8, v8, v10, s[4:5]
	v_and_b32_e32 v8, 1, v8
	v_cmp_eq_u32_e32 vcc, 1, v8
	s_nop 1
	v_cndmask_b32_e32 v7, v0, v7, vcc
	v_cndmask_b32_e32 v6, v6, v9, vcc
	v_cmp_ge_u32_e32 vcc, v6, v7
	s_or_b64 s[2:3], vcc, s[2:3]
	s_andn2_b64 exec, exec, s[2:3]
	s_cbranch_execnz .LBB973_14
; %bb.15:
	s_or_b64 exec, exec, s[2:3]
.LBB973_16:
	v_add_u32_e32 v0, v6, v4
	v_mov_b32_e32 v1, 0
	v_lshlrev_b64 v[0:1], 2, v[0:1]
	v_lshl_add_u64 v[6:7], s[10:11], 0, v[0:1]
	v_lshl_add_u64 v[0:1], s[14:15], 0, v[0:1]
	global_store_dword v[6:7], v3, off
	global_store_dword v[0:1], v2, off
.LBB973_17:
	s_or_b64 exec, exec, s[0:1]
	s_mov_b64 s[0:1], 0
.LBB973_18:
	s_andn2_b64 vcc, exec, s[0:1]
	s_cbranch_vccnz .LBB973_24
; %bb.19:
	s_cmp_ge_u32 s12, s19
	v_mov_b32_e32 v6, s18
	s_cbranch_scc1 .LBB973_23
; %bb.20:
	s_mov_b64 s[0:1], 0
	v_mov_b32_e32 v7, s19
	v_mov_b32_e32 v6, s18
	v_mov_b32_e32 v1, 0
.LBB973_21:                             ; =>This Inner Loop Header: Depth=1
	v_add_u32_e32 v0, v6, v7
	v_lshrrev_b32_e32 v0, 1, v0
	v_lshl_add_u64 v[8:9], v[0:1], 2, s[8:9]
	global_load_dword v8, v[8:9], off
	v_add_u32_e32 v9, 1, v0
	s_waitcnt vmcnt(0)
	v_and_b32_e32 v8, s13, v8
	v_cmp_gt_i32_e32 vcc, v8, v5
	s_nop 1
	v_cndmask_b32_e64 v10, 0, 1, vcc
	v_cmp_le_i32_e32 vcc, v5, v8
	s_nop 1
	v_cndmask_b32_e64 v8, 0, 1, vcc
	v_cndmask_b32_e64 v8, v8, v10, s[4:5]
	v_and_b32_e32 v8, 1, v8
	v_cmp_eq_u32_e32 vcc, 1, v8
	s_nop 1
	v_cndmask_b32_e32 v7, v0, v7, vcc
	v_cndmask_b32_e32 v6, v6, v9, vcc
	v_cmp_ge_u32_e32 vcc, v6, v7
	s_or_b64 s[0:1], vcc, s[0:1]
	s_andn2_b64 exec, exec, s[0:1]
	s_cbranch_execnz .LBB973_21
; %bb.22:
	s_or_b64 exec, exec, s[0:1]
.LBB973_23:
	v_add_u32_e32 v0, v6, v4
	v_mov_b32_e32 v1, 0
	v_lshlrev_b64 v[0:1], 2, v[0:1]
	v_lshl_add_u64 v[4:5], s[10:11], 0, v[0:1]
	v_lshl_add_u64 v[0:1], s[14:15], 0, v[0:1]
	global_store_dword v[4:5], v3, off
	global_store_dword v[0:1], v2, off
.LBB973_24:
	s_endpgm
	.section	.rodata,"a",@progbits
	.p2align	6, 0x0
	.amdhsa_kernel _ZN7rocprim17ROCPRIM_400000_NS6detail17trampoline_kernelINS0_14default_configENS1_38merge_sort_block_merge_config_selectorIiiEEZZNS1_27merge_sort_block_merge_implIS3_N6thrust23THRUST_200600_302600_NS6detail15normal_iteratorINS8_10device_ptrIiEEEESD_jNS1_19radix_merge_compareILb1ELb1EiNS0_19identity_decomposerEEEEE10hipError_tT0_T1_T2_jT3_P12ihipStream_tbPNSt15iterator_traitsISI_E10value_typeEPNSO_ISJ_E10value_typeEPSK_NS1_7vsmem_tEENKUlT_SI_SJ_SK_E_clISD_PiSD_S10_EESH_SX_SI_SJ_SK_EUlSX_E1_NS1_11comp_targetILNS1_3genE0ELNS1_11target_archE4294967295ELNS1_3gpuE0ELNS1_3repE0EEENS1_36merge_oddeven_config_static_selectorELNS0_4arch9wavefront6targetE1EEEvSJ_
		.amdhsa_group_segment_fixed_size 0
		.amdhsa_private_segment_fixed_size 0
		.amdhsa_kernarg_size 48
		.amdhsa_user_sgpr_count 2
		.amdhsa_user_sgpr_dispatch_ptr 0
		.amdhsa_user_sgpr_queue_ptr 0
		.amdhsa_user_sgpr_kernarg_segment_ptr 1
		.amdhsa_user_sgpr_dispatch_id 0
		.amdhsa_user_sgpr_kernarg_preload_length 0
		.amdhsa_user_sgpr_kernarg_preload_offset 0
		.amdhsa_user_sgpr_private_segment_size 0
		.amdhsa_uses_dynamic_stack 0
		.amdhsa_enable_private_segment 0
		.amdhsa_system_sgpr_workgroup_id_x 1
		.amdhsa_system_sgpr_workgroup_id_y 0
		.amdhsa_system_sgpr_workgroup_id_z 0
		.amdhsa_system_sgpr_workgroup_info 0
		.amdhsa_system_vgpr_workitem_id 0
		.amdhsa_next_free_vgpr 11
		.amdhsa_next_free_sgpr 24
		.amdhsa_accum_offset 12
		.amdhsa_reserve_vcc 1
		.amdhsa_float_round_mode_32 0
		.amdhsa_float_round_mode_16_64 0
		.amdhsa_float_denorm_mode_32 3
		.amdhsa_float_denorm_mode_16_64 3
		.amdhsa_dx10_clamp 1
		.amdhsa_ieee_mode 1
		.amdhsa_fp16_overflow 0
		.amdhsa_tg_split 0
		.amdhsa_exception_fp_ieee_invalid_op 0
		.amdhsa_exception_fp_denorm_src 0
		.amdhsa_exception_fp_ieee_div_zero 0
		.amdhsa_exception_fp_ieee_overflow 0
		.amdhsa_exception_fp_ieee_underflow 0
		.amdhsa_exception_fp_ieee_inexact 0
		.amdhsa_exception_int_div_zero 0
	.end_amdhsa_kernel
	.section	.text._ZN7rocprim17ROCPRIM_400000_NS6detail17trampoline_kernelINS0_14default_configENS1_38merge_sort_block_merge_config_selectorIiiEEZZNS1_27merge_sort_block_merge_implIS3_N6thrust23THRUST_200600_302600_NS6detail15normal_iteratorINS8_10device_ptrIiEEEESD_jNS1_19radix_merge_compareILb1ELb1EiNS0_19identity_decomposerEEEEE10hipError_tT0_T1_T2_jT3_P12ihipStream_tbPNSt15iterator_traitsISI_E10value_typeEPNSO_ISJ_E10value_typeEPSK_NS1_7vsmem_tEENKUlT_SI_SJ_SK_E_clISD_PiSD_S10_EESH_SX_SI_SJ_SK_EUlSX_E1_NS1_11comp_targetILNS1_3genE0ELNS1_11target_archE4294967295ELNS1_3gpuE0ELNS1_3repE0EEENS1_36merge_oddeven_config_static_selectorELNS0_4arch9wavefront6targetE1EEEvSJ_,"axG",@progbits,_ZN7rocprim17ROCPRIM_400000_NS6detail17trampoline_kernelINS0_14default_configENS1_38merge_sort_block_merge_config_selectorIiiEEZZNS1_27merge_sort_block_merge_implIS3_N6thrust23THRUST_200600_302600_NS6detail15normal_iteratorINS8_10device_ptrIiEEEESD_jNS1_19radix_merge_compareILb1ELb1EiNS0_19identity_decomposerEEEEE10hipError_tT0_T1_T2_jT3_P12ihipStream_tbPNSt15iterator_traitsISI_E10value_typeEPNSO_ISJ_E10value_typeEPSK_NS1_7vsmem_tEENKUlT_SI_SJ_SK_E_clISD_PiSD_S10_EESH_SX_SI_SJ_SK_EUlSX_E1_NS1_11comp_targetILNS1_3genE0ELNS1_11target_archE4294967295ELNS1_3gpuE0ELNS1_3repE0EEENS1_36merge_oddeven_config_static_selectorELNS0_4arch9wavefront6targetE1EEEvSJ_,comdat
.Lfunc_end973:
	.size	_ZN7rocprim17ROCPRIM_400000_NS6detail17trampoline_kernelINS0_14default_configENS1_38merge_sort_block_merge_config_selectorIiiEEZZNS1_27merge_sort_block_merge_implIS3_N6thrust23THRUST_200600_302600_NS6detail15normal_iteratorINS8_10device_ptrIiEEEESD_jNS1_19radix_merge_compareILb1ELb1EiNS0_19identity_decomposerEEEEE10hipError_tT0_T1_T2_jT3_P12ihipStream_tbPNSt15iterator_traitsISI_E10value_typeEPNSO_ISJ_E10value_typeEPSK_NS1_7vsmem_tEENKUlT_SI_SJ_SK_E_clISD_PiSD_S10_EESH_SX_SI_SJ_SK_EUlSX_E1_NS1_11comp_targetILNS1_3genE0ELNS1_11target_archE4294967295ELNS1_3gpuE0ELNS1_3repE0EEENS1_36merge_oddeven_config_static_selectorELNS0_4arch9wavefront6targetE1EEEvSJ_, .Lfunc_end973-_ZN7rocprim17ROCPRIM_400000_NS6detail17trampoline_kernelINS0_14default_configENS1_38merge_sort_block_merge_config_selectorIiiEEZZNS1_27merge_sort_block_merge_implIS3_N6thrust23THRUST_200600_302600_NS6detail15normal_iteratorINS8_10device_ptrIiEEEESD_jNS1_19radix_merge_compareILb1ELb1EiNS0_19identity_decomposerEEEEE10hipError_tT0_T1_T2_jT3_P12ihipStream_tbPNSt15iterator_traitsISI_E10value_typeEPNSO_ISJ_E10value_typeEPSK_NS1_7vsmem_tEENKUlT_SI_SJ_SK_E_clISD_PiSD_S10_EESH_SX_SI_SJ_SK_EUlSX_E1_NS1_11comp_targetILNS1_3genE0ELNS1_11target_archE4294967295ELNS1_3gpuE0ELNS1_3repE0EEENS1_36merge_oddeven_config_static_selectorELNS0_4arch9wavefront6targetE1EEEvSJ_
                                        ; -- End function
	.set _ZN7rocprim17ROCPRIM_400000_NS6detail17trampoline_kernelINS0_14default_configENS1_38merge_sort_block_merge_config_selectorIiiEEZZNS1_27merge_sort_block_merge_implIS3_N6thrust23THRUST_200600_302600_NS6detail15normal_iteratorINS8_10device_ptrIiEEEESD_jNS1_19radix_merge_compareILb1ELb1EiNS0_19identity_decomposerEEEEE10hipError_tT0_T1_T2_jT3_P12ihipStream_tbPNSt15iterator_traitsISI_E10value_typeEPNSO_ISJ_E10value_typeEPSK_NS1_7vsmem_tEENKUlT_SI_SJ_SK_E_clISD_PiSD_S10_EESH_SX_SI_SJ_SK_EUlSX_E1_NS1_11comp_targetILNS1_3genE0ELNS1_11target_archE4294967295ELNS1_3gpuE0ELNS1_3repE0EEENS1_36merge_oddeven_config_static_selectorELNS0_4arch9wavefront6targetE1EEEvSJ_.num_vgpr, 11
	.set _ZN7rocprim17ROCPRIM_400000_NS6detail17trampoline_kernelINS0_14default_configENS1_38merge_sort_block_merge_config_selectorIiiEEZZNS1_27merge_sort_block_merge_implIS3_N6thrust23THRUST_200600_302600_NS6detail15normal_iteratorINS8_10device_ptrIiEEEESD_jNS1_19radix_merge_compareILb1ELb1EiNS0_19identity_decomposerEEEEE10hipError_tT0_T1_T2_jT3_P12ihipStream_tbPNSt15iterator_traitsISI_E10value_typeEPNSO_ISJ_E10value_typeEPSK_NS1_7vsmem_tEENKUlT_SI_SJ_SK_E_clISD_PiSD_S10_EESH_SX_SI_SJ_SK_EUlSX_E1_NS1_11comp_targetILNS1_3genE0ELNS1_11target_archE4294967295ELNS1_3gpuE0ELNS1_3repE0EEENS1_36merge_oddeven_config_static_selectorELNS0_4arch9wavefront6targetE1EEEvSJ_.num_agpr, 0
	.set _ZN7rocprim17ROCPRIM_400000_NS6detail17trampoline_kernelINS0_14default_configENS1_38merge_sort_block_merge_config_selectorIiiEEZZNS1_27merge_sort_block_merge_implIS3_N6thrust23THRUST_200600_302600_NS6detail15normal_iteratorINS8_10device_ptrIiEEEESD_jNS1_19radix_merge_compareILb1ELb1EiNS0_19identity_decomposerEEEEE10hipError_tT0_T1_T2_jT3_P12ihipStream_tbPNSt15iterator_traitsISI_E10value_typeEPNSO_ISJ_E10value_typeEPSK_NS1_7vsmem_tEENKUlT_SI_SJ_SK_E_clISD_PiSD_S10_EESH_SX_SI_SJ_SK_EUlSX_E1_NS1_11comp_targetILNS1_3genE0ELNS1_11target_archE4294967295ELNS1_3gpuE0ELNS1_3repE0EEENS1_36merge_oddeven_config_static_selectorELNS0_4arch9wavefront6targetE1EEEvSJ_.numbered_sgpr, 24
	.set _ZN7rocprim17ROCPRIM_400000_NS6detail17trampoline_kernelINS0_14default_configENS1_38merge_sort_block_merge_config_selectorIiiEEZZNS1_27merge_sort_block_merge_implIS3_N6thrust23THRUST_200600_302600_NS6detail15normal_iteratorINS8_10device_ptrIiEEEESD_jNS1_19radix_merge_compareILb1ELb1EiNS0_19identity_decomposerEEEEE10hipError_tT0_T1_T2_jT3_P12ihipStream_tbPNSt15iterator_traitsISI_E10value_typeEPNSO_ISJ_E10value_typeEPSK_NS1_7vsmem_tEENKUlT_SI_SJ_SK_E_clISD_PiSD_S10_EESH_SX_SI_SJ_SK_EUlSX_E1_NS1_11comp_targetILNS1_3genE0ELNS1_11target_archE4294967295ELNS1_3gpuE0ELNS1_3repE0EEENS1_36merge_oddeven_config_static_selectorELNS0_4arch9wavefront6targetE1EEEvSJ_.num_named_barrier, 0
	.set _ZN7rocprim17ROCPRIM_400000_NS6detail17trampoline_kernelINS0_14default_configENS1_38merge_sort_block_merge_config_selectorIiiEEZZNS1_27merge_sort_block_merge_implIS3_N6thrust23THRUST_200600_302600_NS6detail15normal_iteratorINS8_10device_ptrIiEEEESD_jNS1_19radix_merge_compareILb1ELb1EiNS0_19identity_decomposerEEEEE10hipError_tT0_T1_T2_jT3_P12ihipStream_tbPNSt15iterator_traitsISI_E10value_typeEPNSO_ISJ_E10value_typeEPSK_NS1_7vsmem_tEENKUlT_SI_SJ_SK_E_clISD_PiSD_S10_EESH_SX_SI_SJ_SK_EUlSX_E1_NS1_11comp_targetILNS1_3genE0ELNS1_11target_archE4294967295ELNS1_3gpuE0ELNS1_3repE0EEENS1_36merge_oddeven_config_static_selectorELNS0_4arch9wavefront6targetE1EEEvSJ_.private_seg_size, 0
	.set _ZN7rocprim17ROCPRIM_400000_NS6detail17trampoline_kernelINS0_14default_configENS1_38merge_sort_block_merge_config_selectorIiiEEZZNS1_27merge_sort_block_merge_implIS3_N6thrust23THRUST_200600_302600_NS6detail15normal_iteratorINS8_10device_ptrIiEEEESD_jNS1_19radix_merge_compareILb1ELb1EiNS0_19identity_decomposerEEEEE10hipError_tT0_T1_T2_jT3_P12ihipStream_tbPNSt15iterator_traitsISI_E10value_typeEPNSO_ISJ_E10value_typeEPSK_NS1_7vsmem_tEENKUlT_SI_SJ_SK_E_clISD_PiSD_S10_EESH_SX_SI_SJ_SK_EUlSX_E1_NS1_11comp_targetILNS1_3genE0ELNS1_11target_archE4294967295ELNS1_3gpuE0ELNS1_3repE0EEENS1_36merge_oddeven_config_static_selectorELNS0_4arch9wavefront6targetE1EEEvSJ_.uses_vcc, 1
	.set _ZN7rocprim17ROCPRIM_400000_NS6detail17trampoline_kernelINS0_14default_configENS1_38merge_sort_block_merge_config_selectorIiiEEZZNS1_27merge_sort_block_merge_implIS3_N6thrust23THRUST_200600_302600_NS6detail15normal_iteratorINS8_10device_ptrIiEEEESD_jNS1_19radix_merge_compareILb1ELb1EiNS0_19identity_decomposerEEEEE10hipError_tT0_T1_T2_jT3_P12ihipStream_tbPNSt15iterator_traitsISI_E10value_typeEPNSO_ISJ_E10value_typeEPSK_NS1_7vsmem_tEENKUlT_SI_SJ_SK_E_clISD_PiSD_S10_EESH_SX_SI_SJ_SK_EUlSX_E1_NS1_11comp_targetILNS1_3genE0ELNS1_11target_archE4294967295ELNS1_3gpuE0ELNS1_3repE0EEENS1_36merge_oddeven_config_static_selectorELNS0_4arch9wavefront6targetE1EEEvSJ_.uses_flat_scratch, 0
	.set _ZN7rocprim17ROCPRIM_400000_NS6detail17trampoline_kernelINS0_14default_configENS1_38merge_sort_block_merge_config_selectorIiiEEZZNS1_27merge_sort_block_merge_implIS3_N6thrust23THRUST_200600_302600_NS6detail15normal_iteratorINS8_10device_ptrIiEEEESD_jNS1_19radix_merge_compareILb1ELb1EiNS0_19identity_decomposerEEEEE10hipError_tT0_T1_T2_jT3_P12ihipStream_tbPNSt15iterator_traitsISI_E10value_typeEPNSO_ISJ_E10value_typeEPSK_NS1_7vsmem_tEENKUlT_SI_SJ_SK_E_clISD_PiSD_S10_EESH_SX_SI_SJ_SK_EUlSX_E1_NS1_11comp_targetILNS1_3genE0ELNS1_11target_archE4294967295ELNS1_3gpuE0ELNS1_3repE0EEENS1_36merge_oddeven_config_static_selectorELNS0_4arch9wavefront6targetE1EEEvSJ_.has_dyn_sized_stack, 0
	.set _ZN7rocprim17ROCPRIM_400000_NS6detail17trampoline_kernelINS0_14default_configENS1_38merge_sort_block_merge_config_selectorIiiEEZZNS1_27merge_sort_block_merge_implIS3_N6thrust23THRUST_200600_302600_NS6detail15normal_iteratorINS8_10device_ptrIiEEEESD_jNS1_19radix_merge_compareILb1ELb1EiNS0_19identity_decomposerEEEEE10hipError_tT0_T1_T2_jT3_P12ihipStream_tbPNSt15iterator_traitsISI_E10value_typeEPNSO_ISJ_E10value_typeEPSK_NS1_7vsmem_tEENKUlT_SI_SJ_SK_E_clISD_PiSD_S10_EESH_SX_SI_SJ_SK_EUlSX_E1_NS1_11comp_targetILNS1_3genE0ELNS1_11target_archE4294967295ELNS1_3gpuE0ELNS1_3repE0EEENS1_36merge_oddeven_config_static_selectorELNS0_4arch9wavefront6targetE1EEEvSJ_.has_recursion, 0
	.set _ZN7rocprim17ROCPRIM_400000_NS6detail17trampoline_kernelINS0_14default_configENS1_38merge_sort_block_merge_config_selectorIiiEEZZNS1_27merge_sort_block_merge_implIS3_N6thrust23THRUST_200600_302600_NS6detail15normal_iteratorINS8_10device_ptrIiEEEESD_jNS1_19radix_merge_compareILb1ELb1EiNS0_19identity_decomposerEEEEE10hipError_tT0_T1_T2_jT3_P12ihipStream_tbPNSt15iterator_traitsISI_E10value_typeEPNSO_ISJ_E10value_typeEPSK_NS1_7vsmem_tEENKUlT_SI_SJ_SK_E_clISD_PiSD_S10_EESH_SX_SI_SJ_SK_EUlSX_E1_NS1_11comp_targetILNS1_3genE0ELNS1_11target_archE4294967295ELNS1_3gpuE0ELNS1_3repE0EEENS1_36merge_oddeven_config_static_selectorELNS0_4arch9wavefront6targetE1EEEvSJ_.has_indirect_call, 0
	.section	.AMDGPU.csdata,"",@progbits
; Kernel info:
; codeLenInByte = 796
; TotalNumSgprs: 30
; NumVgprs: 11
; NumAgprs: 0
; TotalNumVgprs: 11
; ScratchSize: 0
; MemoryBound: 0
; FloatMode: 240
; IeeeMode: 1
; LDSByteSize: 0 bytes/workgroup (compile time only)
; SGPRBlocks: 3
; VGPRBlocks: 1
; NumSGPRsForWavesPerEU: 30
; NumVGPRsForWavesPerEU: 11
; AccumOffset: 12
; Occupancy: 8
; WaveLimiterHint : 0
; COMPUTE_PGM_RSRC2:SCRATCH_EN: 0
; COMPUTE_PGM_RSRC2:USER_SGPR: 2
; COMPUTE_PGM_RSRC2:TRAP_HANDLER: 0
; COMPUTE_PGM_RSRC2:TGID_X_EN: 1
; COMPUTE_PGM_RSRC2:TGID_Y_EN: 0
; COMPUTE_PGM_RSRC2:TGID_Z_EN: 0
; COMPUTE_PGM_RSRC2:TIDIG_COMP_CNT: 0
; COMPUTE_PGM_RSRC3_GFX90A:ACCUM_OFFSET: 2
; COMPUTE_PGM_RSRC3_GFX90A:TG_SPLIT: 0
	.section	.text._ZN7rocprim17ROCPRIM_400000_NS6detail17trampoline_kernelINS0_14default_configENS1_38merge_sort_block_merge_config_selectorIiiEEZZNS1_27merge_sort_block_merge_implIS3_N6thrust23THRUST_200600_302600_NS6detail15normal_iteratorINS8_10device_ptrIiEEEESD_jNS1_19radix_merge_compareILb1ELb1EiNS0_19identity_decomposerEEEEE10hipError_tT0_T1_T2_jT3_P12ihipStream_tbPNSt15iterator_traitsISI_E10value_typeEPNSO_ISJ_E10value_typeEPSK_NS1_7vsmem_tEENKUlT_SI_SJ_SK_E_clISD_PiSD_S10_EESH_SX_SI_SJ_SK_EUlSX_E1_NS1_11comp_targetILNS1_3genE10ELNS1_11target_archE1201ELNS1_3gpuE5ELNS1_3repE0EEENS1_36merge_oddeven_config_static_selectorELNS0_4arch9wavefront6targetE1EEEvSJ_,"axG",@progbits,_ZN7rocprim17ROCPRIM_400000_NS6detail17trampoline_kernelINS0_14default_configENS1_38merge_sort_block_merge_config_selectorIiiEEZZNS1_27merge_sort_block_merge_implIS3_N6thrust23THRUST_200600_302600_NS6detail15normal_iteratorINS8_10device_ptrIiEEEESD_jNS1_19radix_merge_compareILb1ELb1EiNS0_19identity_decomposerEEEEE10hipError_tT0_T1_T2_jT3_P12ihipStream_tbPNSt15iterator_traitsISI_E10value_typeEPNSO_ISJ_E10value_typeEPSK_NS1_7vsmem_tEENKUlT_SI_SJ_SK_E_clISD_PiSD_S10_EESH_SX_SI_SJ_SK_EUlSX_E1_NS1_11comp_targetILNS1_3genE10ELNS1_11target_archE1201ELNS1_3gpuE5ELNS1_3repE0EEENS1_36merge_oddeven_config_static_selectorELNS0_4arch9wavefront6targetE1EEEvSJ_,comdat
	.protected	_ZN7rocprim17ROCPRIM_400000_NS6detail17trampoline_kernelINS0_14default_configENS1_38merge_sort_block_merge_config_selectorIiiEEZZNS1_27merge_sort_block_merge_implIS3_N6thrust23THRUST_200600_302600_NS6detail15normal_iteratorINS8_10device_ptrIiEEEESD_jNS1_19radix_merge_compareILb1ELb1EiNS0_19identity_decomposerEEEEE10hipError_tT0_T1_T2_jT3_P12ihipStream_tbPNSt15iterator_traitsISI_E10value_typeEPNSO_ISJ_E10value_typeEPSK_NS1_7vsmem_tEENKUlT_SI_SJ_SK_E_clISD_PiSD_S10_EESH_SX_SI_SJ_SK_EUlSX_E1_NS1_11comp_targetILNS1_3genE10ELNS1_11target_archE1201ELNS1_3gpuE5ELNS1_3repE0EEENS1_36merge_oddeven_config_static_selectorELNS0_4arch9wavefront6targetE1EEEvSJ_ ; -- Begin function _ZN7rocprim17ROCPRIM_400000_NS6detail17trampoline_kernelINS0_14default_configENS1_38merge_sort_block_merge_config_selectorIiiEEZZNS1_27merge_sort_block_merge_implIS3_N6thrust23THRUST_200600_302600_NS6detail15normal_iteratorINS8_10device_ptrIiEEEESD_jNS1_19radix_merge_compareILb1ELb1EiNS0_19identity_decomposerEEEEE10hipError_tT0_T1_T2_jT3_P12ihipStream_tbPNSt15iterator_traitsISI_E10value_typeEPNSO_ISJ_E10value_typeEPSK_NS1_7vsmem_tEENKUlT_SI_SJ_SK_E_clISD_PiSD_S10_EESH_SX_SI_SJ_SK_EUlSX_E1_NS1_11comp_targetILNS1_3genE10ELNS1_11target_archE1201ELNS1_3gpuE5ELNS1_3repE0EEENS1_36merge_oddeven_config_static_selectorELNS0_4arch9wavefront6targetE1EEEvSJ_
	.globl	_ZN7rocprim17ROCPRIM_400000_NS6detail17trampoline_kernelINS0_14default_configENS1_38merge_sort_block_merge_config_selectorIiiEEZZNS1_27merge_sort_block_merge_implIS3_N6thrust23THRUST_200600_302600_NS6detail15normal_iteratorINS8_10device_ptrIiEEEESD_jNS1_19radix_merge_compareILb1ELb1EiNS0_19identity_decomposerEEEEE10hipError_tT0_T1_T2_jT3_P12ihipStream_tbPNSt15iterator_traitsISI_E10value_typeEPNSO_ISJ_E10value_typeEPSK_NS1_7vsmem_tEENKUlT_SI_SJ_SK_E_clISD_PiSD_S10_EESH_SX_SI_SJ_SK_EUlSX_E1_NS1_11comp_targetILNS1_3genE10ELNS1_11target_archE1201ELNS1_3gpuE5ELNS1_3repE0EEENS1_36merge_oddeven_config_static_selectorELNS0_4arch9wavefront6targetE1EEEvSJ_
	.p2align	8
	.type	_ZN7rocprim17ROCPRIM_400000_NS6detail17trampoline_kernelINS0_14default_configENS1_38merge_sort_block_merge_config_selectorIiiEEZZNS1_27merge_sort_block_merge_implIS3_N6thrust23THRUST_200600_302600_NS6detail15normal_iteratorINS8_10device_ptrIiEEEESD_jNS1_19radix_merge_compareILb1ELb1EiNS0_19identity_decomposerEEEEE10hipError_tT0_T1_T2_jT3_P12ihipStream_tbPNSt15iterator_traitsISI_E10value_typeEPNSO_ISJ_E10value_typeEPSK_NS1_7vsmem_tEENKUlT_SI_SJ_SK_E_clISD_PiSD_S10_EESH_SX_SI_SJ_SK_EUlSX_E1_NS1_11comp_targetILNS1_3genE10ELNS1_11target_archE1201ELNS1_3gpuE5ELNS1_3repE0EEENS1_36merge_oddeven_config_static_selectorELNS0_4arch9wavefront6targetE1EEEvSJ_,@function
_ZN7rocprim17ROCPRIM_400000_NS6detail17trampoline_kernelINS0_14default_configENS1_38merge_sort_block_merge_config_selectorIiiEEZZNS1_27merge_sort_block_merge_implIS3_N6thrust23THRUST_200600_302600_NS6detail15normal_iteratorINS8_10device_ptrIiEEEESD_jNS1_19radix_merge_compareILb1ELb1EiNS0_19identity_decomposerEEEEE10hipError_tT0_T1_T2_jT3_P12ihipStream_tbPNSt15iterator_traitsISI_E10value_typeEPNSO_ISJ_E10value_typeEPSK_NS1_7vsmem_tEENKUlT_SI_SJ_SK_E_clISD_PiSD_S10_EESH_SX_SI_SJ_SK_EUlSX_E1_NS1_11comp_targetILNS1_3genE10ELNS1_11target_archE1201ELNS1_3gpuE5ELNS1_3repE0EEENS1_36merge_oddeven_config_static_selectorELNS0_4arch9wavefront6targetE1EEEvSJ_: ; @_ZN7rocprim17ROCPRIM_400000_NS6detail17trampoline_kernelINS0_14default_configENS1_38merge_sort_block_merge_config_selectorIiiEEZZNS1_27merge_sort_block_merge_implIS3_N6thrust23THRUST_200600_302600_NS6detail15normal_iteratorINS8_10device_ptrIiEEEESD_jNS1_19radix_merge_compareILb1ELb1EiNS0_19identity_decomposerEEEEE10hipError_tT0_T1_T2_jT3_P12ihipStream_tbPNSt15iterator_traitsISI_E10value_typeEPNSO_ISJ_E10value_typeEPSK_NS1_7vsmem_tEENKUlT_SI_SJ_SK_E_clISD_PiSD_S10_EESH_SX_SI_SJ_SK_EUlSX_E1_NS1_11comp_targetILNS1_3genE10ELNS1_11target_archE1201ELNS1_3gpuE5ELNS1_3repE0EEENS1_36merge_oddeven_config_static_selectorELNS0_4arch9wavefront6targetE1EEEvSJ_
; %bb.0:
	.section	.rodata,"a",@progbits
	.p2align	6, 0x0
	.amdhsa_kernel _ZN7rocprim17ROCPRIM_400000_NS6detail17trampoline_kernelINS0_14default_configENS1_38merge_sort_block_merge_config_selectorIiiEEZZNS1_27merge_sort_block_merge_implIS3_N6thrust23THRUST_200600_302600_NS6detail15normal_iteratorINS8_10device_ptrIiEEEESD_jNS1_19radix_merge_compareILb1ELb1EiNS0_19identity_decomposerEEEEE10hipError_tT0_T1_T2_jT3_P12ihipStream_tbPNSt15iterator_traitsISI_E10value_typeEPNSO_ISJ_E10value_typeEPSK_NS1_7vsmem_tEENKUlT_SI_SJ_SK_E_clISD_PiSD_S10_EESH_SX_SI_SJ_SK_EUlSX_E1_NS1_11comp_targetILNS1_3genE10ELNS1_11target_archE1201ELNS1_3gpuE5ELNS1_3repE0EEENS1_36merge_oddeven_config_static_selectorELNS0_4arch9wavefront6targetE1EEEvSJ_
		.amdhsa_group_segment_fixed_size 0
		.amdhsa_private_segment_fixed_size 0
		.amdhsa_kernarg_size 48
		.amdhsa_user_sgpr_count 2
		.amdhsa_user_sgpr_dispatch_ptr 0
		.amdhsa_user_sgpr_queue_ptr 0
		.amdhsa_user_sgpr_kernarg_segment_ptr 1
		.amdhsa_user_sgpr_dispatch_id 0
		.amdhsa_user_sgpr_kernarg_preload_length 0
		.amdhsa_user_sgpr_kernarg_preload_offset 0
		.amdhsa_user_sgpr_private_segment_size 0
		.amdhsa_uses_dynamic_stack 0
		.amdhsa_enable_private_segment 0
		.amdhsa_system_sgpr_workgroup_id_x 1
		.amdhsa_system_sgpr_workgroup_id_y 0
		.amdhsa_system_sgpr_workgroup_id_z 0
		.amdhsa_system_sgpr_workgroup_info 0
		.amdhsa_system_vgpr_workitem_id 0
		.amdhsa_next_free_vgpr 1
		.amdhsa_next_free_sgpr 0
		.amdhsa_accum_offset 4
		.amdhsa_reserve_vcc 0
		.amdhsa_float_round_mode_32 0
		.amdhsa_float_round_mode_16_64 0
		.amdhsa_float_denorm_mode_32 3
		.amdhsa_float_denorm_mode_16_64 3
		.amdhsa_dx10_clamp 1
		.amdhsa_ieee_mode 1
		.amdhsa_fp16_overflow 0
		.amdhsa_tg_split 0
		.amdhsa_exception_fp_ieee_invalid_op 0
		.amdhsa_exception_fp_denorm_src 0
		.amdhsa_exception_fp_ieee_div_zero 0
		.amdhsa_exception_fp_ieee_overflow 0
		.amdhsa_exception_fp_ieee_underflow 0
		.amdhsa_exception_fp_ieee_inexact 0
		.amdhsa_exception_int_div_zero 0
	.end_amdhsa_kernel
	.section	.text._ZN7rocprim17ROCPRIM_400000_NS6detail17trampoline_kernelINS0_14default_configENS1_38merge_sort_block_merge_config_selectorIiiEEZZNS1_27merge_sort_block_merge_implIS3_N6thrust23THRUST_200600_302600_NS6detail15normal_iteratorINS8_10device_ptrIiEEEESD_jNS1_19radix_merge_compareILb1ELb1EiNS0_19identity_decomposerEEEEE10hipError_tT0_T1_T2_jT3_P12ihipStream_tbPNSt15iterator_traitsISI_E10value_typeEPNSO_ISJ_E10value_typeEPSK_NS1_7vsmem_tEENKUlT_SI_SJ_SK_E_clISD_PiSD_S10_EESH_SX_SI_SJ_SK_EUlSX_E1_NS1_11comp_targetILNS1_3genE10ELNS1_11target_archE1201ELNS1_3gpuE5ELNS1_3repE0EEENS1_36merge_oddeven_config_static_selectorELNS0_4arch9wavefront6targetE1EEEvSJ_,"axG",@progbits,_ZN7rocprim17ROCPRIM_400000_NS6detail17trampoline_kernelINS0_14default_configENS1_38merge_sort_block_merge_config_selectorIiiEEZZNS1_27merge_sort_block_merge_implIS3_N6thrust23THRUST_200600_302600_NS6detail15normal_iteratorINS8_10device_ptrIiEEEESD_jNS1_19radix_merge_compareILb1ELb1EiNS0_19identity_decomposerEEEEE10hipError_tT0_T1_T2_jT3_P12ihipStream_tbPNSt15iterator_traitsISI_E10value_typeEPNSO_ISJ_E10value_typeEPSK_NS1_7vsmem_tEENKUlT_SI_SJ_SK_E_clISD_PiSD_S10_EESH_SX_SI_SJ_SK_EUlSX_E1_NS1_11comp_targetILNS1_3genE10ELNS1_11target_archE1201ELNS1_3gpuE5ELNS1_3repE0EEENS1_36merge_oddeven_config_static_selectorELNS0_4arch9wavefront6targetE1EEEvSJ_,comdat
.Lfunc_end974:
	.size	_ZN7rocprim17ROCPRIM_400000_NS6detail17trampoline_kernelINS0_14default_configENS1_38merge_sort_block_merge_config_selectorIiiEEZZNS1_27merge_sort_block_merge_implIS3_N6thrust23THRUST_200600_302600_NS6detail15normal_iteratorINS8_10device_ptrIiEEEESD_jNS1_19radix_merge_compareILb1ELb1EiNS0_19identity_decomposerEEEEE10hipError_tT0_T1_T2_jT3_P12ihipStream_tbPNSt15iterator_traitsISI_E10value_typeEPNSO_ISJ_E10value_typeEPSK_NS1_7vsmem_tEENKUlT_SI_SJ_SK_E_clISD_PiSD_S10_EESH_SX_SI_SJ_SK_EUlSX_E1_NS1_11comp_targetILNS1_3genE10ELNS1_11target_archE1201ELNS1_3gpuE5ELNS1_3repE0EEENS1_36merge_oddeven_config_static_selectorELNS0_4arch9wavefront6targetE1EEEvSJ_, .Lfunc_end974-_ZN7rocprim17ROCPRIM_400000_NS6detail17trampoline_kernelINS0_14default_configENS1_38merge_sort_block_merge_config_selectorIiiEEZZNS1_27merge_sort_block_merge_implIS3_N6thrust23THRUST_200600_302600_NS6detail15normal_iteratorINS8_10device_ptrIiEEEESD_jNS1_19radix_merge_compareILb1ELb1EiNS0_19identity_decomposerEEEEE10hipError_tT0_T1_T2_jT3_P12ihipStream_tbPNSt15iterator_traitsISI_E10value_typeEPNSO_ISJ_E10value_typeEPSK_NS1_7vsmem_tEENKUlT_SI_SJ_SK_E_clISD_PiSD_S10_EESH_SX_SI_SJ_SK_EUlSX_E1_NS1_11comp_targetILNS1_3genE10ELNS1_11target_archE1201ELNS1_3gpuE5ELNS1_3repE0EEENS1_36merge_oddeven_config_static_selectorELNS0_4arch9wavefront6targetE1EEEvSJ_
                                        ; -- End function
	.set _ZN7rocprim17ROCPRIM_400000_NS6detail17trampoline_kernelINS0_14default_configENS1_38merge_sort_block_merge_config_selectorIiiEEZZNS1_27merge_sort_block_merge_implIS3_N6thrust23THRUST_200600_302600_NS6detail15normal_iteratorINS8_10device_ptrIiEEEESD_jNS1_19radix_merge_compareILb1ELb1EiNS0_19identity_decomposerEEEEE10hipError_tT0_T1_T2_jT3_P12ihipStream_tbPNSt15iterator_traitsISI_E10value_typeEPNSO_ISJ_E10value_typeEPSK_NS1_7vsmem_tEENKUlT_SI_SJ_SK_E_clISD_PiSD_S10_EESH_SX_SI_SJ_SK_EUlSX_E1_NS1_11comp_targetILNS1_3genE10ELNS1_11target_archE1201ELNS1_3gpuE5ELNS1_3repE0EEENS1_36merge_oddeven_config_static_selectorELNS0_4arch9wavefront6targetE1EEEvSJ_.num_vgpr, 0
	.set _ZN7rocprim17ROCPRIM_400000_NS6detail17trampoline_kernelINS0_14default_configENS1_38merge_sort_block_merge_config_selectorIiiEEZZNS1_27merge_sort_block_merge_implIS3_N6thrust23THRUST_200600_302600_NS6detail15normal_iteratorINS8_10device_ptrIiEEEESD_jNS1_19radix_merge_compareILb1ELb1EiNS0_19identity_decomposerEEEEE10hipError_tT0_T1_T2_jT3_P12ihipStream_tbPNSt15iterator_traitsISI_E10value_typeEPNSO_ISJ_E10value_typeEPSK_NS1_7vsmem_tEENKUlT_SI_SJ_SK_E_clISD_PiSD_S10_EESH_SX_SI_SJ_SK_EUlSX_E1_NS1_11comp_targetILNS1_3genE10ELNS1_11target_archE1201ELNS1_3gpuE5ELNS1_3repE0EEENS1_36merge_oddeven_config_static_selectorELNS0_4arch9wavefront6targetE1EEEvSJ_.num_agpr, 0
	.set _ZN7rocprim17ROCPRIM_400000_NS6detail17trampoline_kernelINS0_14default_configENS1_38merge_sort_block_merge_config_selectorIiiEEZZNS1_27merge_sort_block_merge_implIS3_N6thrust23THRUST_200600_302600_NS6detail15normal_iteratorINS8_10device_ptrIiEEEESD_jNS1_19radix_merge_compareILb1ELb1EiNS0_19identity_decomposerEEEEE10hipError_tT0_T1_T2_jT3_P12ihipStream_tbPNSt15iterator_traitsISI_E10value_typeEPNSO_ISJ_E10value_typeEPSK_NS1_7vsmem_tEENKUlT_SI_SJ_SK_E_clISD_PiSD_S10_EESH_SX_SI_SJ_SK_EUlSX_E1_NS1_11comp_targetILNS1_3genE10ELNS1_11target_archE1201ELNS1_3gpuE5ELNS1_3repE0EEENS1_36merge_oddeven_config_static_selectorELNS0_4arch9wavefront6targetE1EEEvSJ_.numbered_sgpr, 0
	.set _ZN7rocprim17ROCPRIM_400000_NS6detail17trampoline_kernelINS0_14default_configENS1_38merge_sort_block_merge_config_selectorIiiEEZZNS1_27merge_sort_block_merge_implIS3_N6thrust23THRUST_200600_302600_NS6detail15normal_iteratorINS8_10device_ptrIiEEEESD_jNS1_19radix_merge_compareILb1ELb1EiNS0_19identity_decomposerEEEEE10hipError_tT0_T1_T2_jT3_P12ihipStream_tbPNSt15iterator_traitsISI_E10value_typeEPNSO_ISJ_E10value_typeEPSK_NS1_7vsmem_tEENKUlT_SI_SJ_SK_E_clISD_PiSD_S10_EESH_SX_SI_SJ_SK_EUlSX_E1_NS1_11comp_targetILNS1_3genE10ELNS1_11target_archE1201ELNS1_3gpuE5ELNS1_3repE0EEENS1_36merge_oddeven_config_static_selectorELNS0_4arch9wavefront6targetE1EEEvSJ_.num_named_barrier, 0
	.set _ZN7rocprim17ROCPRIM_400000_NS6detail17trampoline_kernelINS0_14default_configENS1_38merge_sort_block_merge_config_selectorIiiEEZZNS1_27merge_sort_block_merge_implIS3_N6thrust23THRUST_200600_302600_NS6detail15normal_iteratorINS8_10device_ptrIiEEEESD_jNS1_19radix_merge_compareILb1ELb1EiNS0_19identity_decomposerEEEEE10hipError_tT0_T1_T2_jT3_P12ihipStream_tbPNSt15iterator_traitsISI_E10value_typeEPNSO_ISJ_E10value_typeEPSK_NS1_7vsmem_tEENKUlT_SI_SJ_SK_E_clISD_PiSD_S10_EESH_SX_SI_SJ_SK_EUlSX_E1_NS1_11comp_targetILNS1_3genE10ELNS1_11target_archE1201ELNS1_3gpuE5ELNS1_3repE0EEENS1_36merge_oddeven_config_static_selectorELNS0_4arch9wavefront6targetE1EEEvSJ_.private_seg_size, 0
	.set _ZN7rocprim17ROCPRIM_400000_NS6detail17trampoline_kernelINS0_14default_configENS1_38merge_sort_block_merge_config_selectorIiiEEZZNS1_27merge_sort_block_merge_implIS3_N6thrust23THRUST_200600_302600_NS6detail15normal_iteratorINS8_10device_ptrIiEEEESD_jNS1_19radix_merge_compareILb1ELb1EiNS0_19identity_decomposerEEEEE10hipError_tT0_T1_T2_jT3_P12ihipStream_tbPNSt15iterator_traitsISI_E10value_typeEPNSO_ISJ_E10value_typeEPSK_NS1_7vsmem_tEENKUlT_SI_SJ_SK_E_clISD_PiSD_S10_EESH_SX_SI_SJ_SK_EUlSX_E1_NS1_11comp_targetILNS1_3genE10ELNS1_11target_archE1201ELNS1_3gpuE5ELNS1_3repE0EEENS1_36merge_oddeven_config_static_selectorELNS0_4arch9wavefront6targetE1EEEvSJ_.uses_vcc, 0
	.set _ZN7rocprim17ROCPRIM_400000_NS6detail17trampoline_kernelINS0_14default_configENS1_38merge_sort_block_merge_config_selectorIiiEEZZNS1_27merge_sort_block_merge_implIS3_N6thrust23THRUST_200600_302600_NS6detail15normal_iteratorINS8_10device_ptrIiEEEESD_jNS1_19radix_merge_compareILb1ELb1EiNS0_19identity_decomposerEEEEE10hipError_tT0_T1_T2_jT3_P12ihipStream_tbPNSt15iterator_traitsISI_E10value_typeEPNSO_ISJ_E10value_typeEPSK_NS1_7vsmem_tEENKUlT_SI_SJ_SK_E_clISD_PiSD_S10_EESH_SX_SI_SJ_SK_EUlSX_E1_NS1_11comp_targetILNS1_3genE10ELNS1_11target_archE1201ELNS1_3gpuE5ELNS1_3repE0EEENS1_36merge_oddeven_config_static_selectorELNS0_4arch9wavefront6targetE1EEEvSJ_.uses_flat_scratch, 0
	.set _ZN7rocprim17ROCPRIM_400000_NS6detail17trampoline_kernelINS0_14default_configENS1_38merge_sort_block_merge_config_selectorIiiEEZZNS1_27merge_sort_block_merge_implIS3_N6thrust23THRUST_200600_302600_NS6detail15normal_iteratorINS8_10device_ptrIiEEEESD_jNS1_19radix_merge_compareILb1ELb1EiNS0_19identity_decomposerEEEEE10hipError_tT0_T1_T2_jT3_P12ihipStream_tbPNSt15iterator_traitsISI_E10value_typeEPNSO_ISJ_E10value_typeEPSK_NS1_7vsmem_tEENKUlT_SI_SJ_SK_E_clISD_PiSD_S10_EESH_SX_SI_SJ_SK_EUlSX_E1_NS1_11comp_targetILNS1_3genE10ELNS1_11target_archE1201ELNS1_3gpuE5ELNS1_3repE0EEENS1_36merge_oddeven_config_static_selectorELNS0_4arch9wavefront6targetE1EEEvSJ_.has_dyn_sized_stack, 0
	.set _ZN7rocprim17ROCPRIM_400000_NS6detail17trampoline_kernelINS0_14default_configENS1_38merge_sort_block_merge_config_selectorIiiEEZZNS1_27merge_sort_block_merge_implIS3_N6thrust23THRUST_200600_302600_NS6detail15normal_iteratorINS8_10device_ptrIiEEEESD_jNS1_19radix_merge_compareILb1ELb1EiNS0_19identity_decomposerEEEEE10hipError_tT0_T1_T2_jT3_P12ihipStream_tbPNSt15iterator_traitsISI_E10value_typeEPNSO_ISJ_E10value_typeEPSK_NS1_7vsmem_tEENKUlT_SI_SJ_SK_E_clISD_PiSD_S10_EESH_SX_SI_SJ_SK_EUlSX_E1_NS1_11comp_targetILNS1_3genE10ELNS1_11target_archE1201ELNS1_3gpuE5ELNS1_3repE0EEENS1_36merge_oddeven_config_static_selectorELNS0_4arch9wavefront6targetE1EEEvSJ_.has_recursion, 0
	.set _ZN7rocprim17ROCPRIM_400000_NS6detail17trampoline_kernelINS0_14default_configENS1_38merge_sort_block_merge_config_selectorIiiEEZZNS1_27merge_sort_block_merge_implIS3_N6thrust23THRUST_200600_302600_NS6detail15normal_iteratorINS8_10device_ptrIiEEEESD_jNS1_19radix_merge_compareILb1ELb1EiNS0_19identity_decomposerEEEEE10hipError_tT0_T1_T2_jT3_P12ihipStream_tbPNSt15iterator_traitsISI_E10value_typeEPNSO_ISJ_E10value_typeEPSK_NS1_7vsmem_tEENKUlT_SI_SJ_SK_E_clISD_PiSD_S10_EESH_SX_SI_SJ_SK_EUlSX_E1_NS1_11comp_targetILNS1_3genE10ELNS1_11target_archE1201ELNS1_3gpuE5ELNS1_3repE0EEENS1_36merge_oddeven_config_static_selectorELNS0_4arch9wavefront6targetE1EEEvSJ_.has_indirect_call, 0
	.section	.AMDGPU.csdata,"",@progbits
; Kernel info:
; codeLenInByte = 0
; TotalNumSgprs: 6
; NumVgprs: 0
; NumAgprs: 0
; TotalNumVgprs: 0
; ScratchSize: 0
; MemoryBound: 0
; FloatMode: 240
; IeeeMode: 1
; LDSByteSize: 0 bytes/workgroup (compile time only)
; SGPRBlocks: 0
; VGPRBlocks: 0
; NumSGPRsForWavesPerEU: 6
; NumVGPRsForWavesPerEU: 1
; AccumOffset: 4
; Occupancy: 8
; WaveLimiterHint : 0
; COMPUTE_PGM_RSRC2:SCRATCH_EN: 0
; COMPUTE_PGM_RSRC2:USER_SGPR: 2
; COMPUTE_PGM_RSRC2:TRAP_HANDLER: 0
; COMPUTE_PGM_RSRC2:TGID_X_EN: 1
; COMPUTE_PGM_RSRC2:TGID_Y_EN: 0
; COMPUTE_PGM_RSRC2:TGID_Z_EN: 0
; COMPUTE_PGM_RSRC2:TIDIG_COMP_CNT: 0
; COMPUTE_PGM_RSRC3_GFX90A:ACCUM_OFFSET: 0
; COMPUTE_PGM_RSRC3_GFX90A:TG_SPLIT: 0
	.section	.text._ZN7rocprim17ROCPRIM_400000_NS6detail17trampoline_kernelINS0_14default_configENS1_38merge_sort_block_merge_config_selectorIiiEEZZNS1_27merge_sort_block_merge_implIS3_N6thrust23THRUST_200600_302600_NS6detail15normal_iteratorINS8_10device_ptrIiEEEESD_jNS1_19radix_merge_compareILb1ELb1EiNS0_19identity_decomposerEEEEE10hipError_tT0_T1_T2_jT3_P12ihipStream_tbPNSt15iterator_traitsISI_E10value_typeEPNSO_ISJ_E10value_typeEPSK_NS1_7vsmem_tEENKUlT_SI_SJ_SK_E_clISD_PiSD_S10_EESH_SX_SI_SJ_SK_EUlSX_E1_NS1_11comp_targetILNS1_3genE5ELNS1_11target_archE942ELNS1_3gpuE9ELNS1_3repE0EEENS1_36merge_oddeven_config_static_selectorELNS0_4arch9wavefront6targetE1EEEvSJ_,"axG",@progbits,_ZN7rocprim17ROCPRIM_400000_NS6detail17trampoline_kernelINS0_14default_configENS1_38merge_sort_block_merge_config_selectorIiiEEZZNS1_27merge_sort_block_merge_implIS3_N6thrust23THRUST_200600_302600_NS6detail15normal_iteratorINS8_10device_ptrIiEEEESD_jNS1_19radix_merge_compareILb1ELb1EiNS0_19identity_decomposerEEEEE10hipError_tT0_T1_T2_jT3_P12ihipStream_tbPNSt15iterator_traitsISI_E10value_typeEPNSO_ISJ_E10value_typeEPSK_NS1_7vsmem_tEENKUlT_SI_SJ_SK_E_clISD_PiSD_S10_EESH_SX_SI_SJ_SK_EUlSX_E1_NS1_11comp_targetILNS1_3genE5ELNS1_11target_archE942ELNS1_3gpuE9ELNS1_3repE0EEENS1_36merge_oddeven_config_static_selectorELNS0_4arch9wavefront6targetE1EEEvSJ_,comdat
	.protected	_ZN7rocprim17ROCPRIM_400000_NS6detail17trampoline_kernelINS0_14default_configENS1_38merge_sort_block_merge_config_selectorIiiEEZZNS1_27merge_sort_block_merge_implIS3_N6thrust23THRUST_200600_302600_NS6detail15normal_iteratorINS8_10device_ptrIiEEEESD_jNS1_19radix_merge_compareILb1ELb1EiNS0_19identity_decomposerEEEEE10hipError_tT0_T1_T2_jT3_P12ihipStream_tbPNSt15iterator_traitsISI_E10value_typeEPNSO_ISJ_E10value_typeEPSK_NS1_7vsmem_tEENKUlT_SI_SJ_SK_E_clISD_PiSD_S10_EESH_SX_SI_SJ_SK_EUlSX_E1_NS1_11comp_targetILNS1_3genE5ELNS1_11target_archE942ELNS1_3gpuE9ELNS1_3repE0EEENS1_36merge_oddeven_config_static_selectorELNS0_4arch9wavefront6targetE1EEEvSJ_ ; -- Begin function _ZN7rocprim17ROCPRIM_400000_NS6detail17trampoline_kernelINS0_14default_configENS1_38merge_sort_block_merge_config_selectorIiiEEZZNS1_27merge_sort_block_merge_implIS3_N6thrust23THRUST_200600_302600_NS6detail15normal_iteratorINS8_10device_ptrIiEEEESD_jNS1_19radix_merge_compareILb1ELb1EiNS0_19identity_decomposerEEEEE10hipError_tT0_T1_T2_jT3_P12ihipStream_tbPNSt15iterator_traitsISI_E10value_typeEPNSO_ISJ_E10value_typeEPSK_NS1_7vsmem_tEENKUlT_SI_SJ_SK_E_clISD_PiSD_S10_EESH_SX_SI_SJ_SK_EUlSX_E1_NS1_11comp_targetILNS1_3genE5ELNS1_11target_archE942ELNS1_3gpuE9ELNS1_3repE0EEENS1_36merge_oddeven_config_static_selectorELNS0_4arch9wavefront6targetE1EEEvSJ_
	.globl	_ZN7rocprim17ROCPRIM_400000_NS6detail17trampoline_kernelINS0_14default_configENS1_38merge_sort_block_merge_config_selectorIiiEEZZNS1_27merge_sort_block_merge_implIS3_N6thrust23THRUST_200600_302600_NS6detail15normal_iteratorINS8_10device_ptrIiEEEESD_jNS1_19radix_merge_compareILb1ELb1EiNS0_19identity_decomposerEEEEE10hipError_tT0_T1_T2_jT3_P12ihipStream_tbPNSt15iterator_traitsISI_E10value_typeEPNSO_ISJ_E10value_typeEPSK_NS1_7vsmem_tEENKUlT_SI_SJ_SK_E_clISD_PiSD_S10_EESH_SX_SI_SJ_SK_EUlSX_E1_NS1_11comp_targetILNS1_3genE5ELNS1_11target_archE942ELNS1_3gpuE9ELNS1_3repE0EEENS1_36merge_oddeven_config_static_selectorELNS0_4arch9wavefront6targetE1EEEvSJ_
	.p2align	8
	.type	_ZN7rocprim17ROCPRIM_400000_NS6detail17trampoline_kernelINS0_14default_configENS1_38merge_sort_block_merge_config_selectorIiiEEZZNS1_27merge_sort_block_merge_implIS3_N6thrust23THRUST_200600_302600_NS6detail15normal_iteratorINS8_10device_ptrIiEEEESD_jNS1_19radix_merge_compareILb1ELb1EiNS0_19identity_decomposerEEEEE10hipError_tT0_T1_T2_jT3_P12ihipStream_tbPNSt15iterator_traitsISI_E10value_typeEPNSO_ISJ_E10value_typeEPSK_NS1_7vsmem_tEENKUlT_SI_SJ_SK_E_clISD_PiSD_S10_EESH_SX_SI_SJ_SK_EUlSX_E1_NS1_11comp_targetILNS1_3genE5ELNS1_11target_archE942ELNS1_3gpuE9ELNS1_3repE0EEENS1_36merge_oddeven_config_static_selectorELNS0_4arch9wavefront6targetE1EEEvSJ_,@function
_ZN7rocprim17ROCPRIM_400000_NS6detail17trampoline_kernelINS0_14default_configENS1_38merge_sort_block_merge_config_selectorIiiEEZZNS1_27merge_sort_block_merge_implIS3_N6thrust23THRUST_200600_302600_NS6detail15normal_iteratorINS8_10device_ptrIiEEEESD_jNS1_19radix_merge_compareILb1ELb1EiNS0_19identity_decomposerEEEEE10hipError_tT0_T1_T2_jT3_P12ihipStream_tbPNSt15iterator_traitsISI_E10value_typeEPNSO_ISJ_E10value_typeEPSK_NS1_7vsmem_tEENKUlT_SI_SJ_SK_E_clISD_PiSD_S10_EESH_SX_SI_SJ_SK_EUlSX_E1_NS1_11comp_targetILNS1_3genE5ELNS1_11target_archE942ELNS1_3gpuE9ELNS1_3repE0EEENS1_36merge_oddeven_config_static_selectorELNS0_4arch9wavefront6targetE1EEEvSJ_: ; @_ZN7rocprim17ROCPRIM_400000_NS6detail17trampoline_kernelINS0_14default_configENS1_38merge_sort_block_merge_config_selectorIiiEEZZNS1_27merge_sort_block_merge_implIS3_N6thrust23THRUST_200600_302600_NS6detail15normal_iteratorINS8_10device_ptrIiEEEESD_jNS1_19radix_merge_compareILb1ELb1EiNS0_19identity_decomposerEEEEE10hipError_tT0_T1_T2_jT3_P12ihipStream_tbPNSt15iterator_traitsISI_E10value_typeEPNSO_ISJ_E10value_typeEPSK_NS1_7vsmem_tEENKUlT_SI_SJ_SK_E_clISD_PiSD_S10_EESH_SX_SI_SJ_SK_EUlSX_E1_NS1_11comp_targetILNS1_3genE5ELNS1_11target_archE942ELNS1_3gpuE9ELNS1_3repE0EEENS1_36merge_oddeven_config_static_selectorELNS0_4arch9wavefront6targetE1EEEvSJ_
; %bb.0:
	.section	.rodata,"a",@progbits
	.p2align	6, 0x0
	.amdhsa_kernel _ZN7rocprim17ROCPRIM_400000_NS6detail17trampoline_kernelINS0_14default_configENS1_38merge_sort_block_merge_config_selectorIiiEEZZNS1_27merge_sort_block_merge_implIS3_N6thrust23THRUST_200600_302600_NS6detail15normal_iteratorINS8_10device_ptrIiEEEESD_jNS1_19radix_merge_compareILb1ELb1EiNS0_19identity_decomposerEEEEE10hipError_tT0_T1_T2_jT3_P12ihipStream_tbPNSt15iterator_traitsISI_E10value_typeEPNSO_ISJ_E10value_typeEPSK_NS1_7vsmem_tEENKUlT_SI_SJ_SK_E_clISD_PiSD_S10_EESH_SX_SI_SJ_SK_EUlSX_E1_NS1_11comp_targetILNS1_3genE5ELNS1_11target_archE942ELNS1_3gpuE9ELNS1_3repE0EEENS1_36merge_oddeven_config_static_selectorELNS0_4arch9wavefront6targetE1EEEvSJ_
		.amdhsa_group_segment_fixed_size 0
		.amdhsa_private_segment_fixed_size 0
		.amdhsa_kernarg_size 48
		.amdhsa_user_sgpr_count 2
		.amdhsa_user_sgpr_dispatch_ptr 0
		.amdhsa_user_sgpr_queue_ptr 0
		.amdhsa_user_sgpr_kernarg_segment_ptr 1
		.amdhsa_user_sgpr_dispatch_id 0
		.amdhsa_user_sgpr_kernarg_preload_length 0
		.amdhsa_user_sgpr_kernarg_preload_offset 0
		.amdhsa_user_sgpr_private_segment_size 0
		.amdhsa_uses_dynamic_stack 0
		.amdhsa_enable_private_segment 0
		.amdhsa_system_sgpr_workgroup_id_x 1
		.amdhsa_system_sgpr_workgroup_id_y 0
		.amdhsa_system_sgpr_workgroup_id_z 0
		.amdhsa_system_sgpr_workgroup_info 0
		.amdhsa_system_vgpr_workitem_id 0
		.amdhsa_next_free_vgpr 1
		.amdhsa_next_free_sgpr 0
		.amdhsa_accum_offset 4
		.amdhsa_reserve_vcc 0
		.amdhsa_float_round_mode_32 0
		.amdhsa_float_round_mode_16_64 0
		.amdhsa_float_denorm_mode_32 3
		.amdhsa_float_denorm_mode_16_64 3
		.amdhsa_dx10_clamp 1
		.amdhsa_ieee_mode 1
		.amdhsa_fp16_overflow 0
		.amdhsa_tg_split 0
		.amdhsa_exception_fp_ieee_invalid_op 0
		.amdhsa_exception_fp_denorm_src 0
		.amdhsa_exception_fp_ieee_div_zero 0
		.amdhsa_exception_fp_ieee_overflow 0
		.amdhsa_exception_fp_ieee_underflow 0
		.amdhsa_exception_fp_ieee_inexact 0
		.amdhsa_exception_int_div_zero 0
	.end_amdhsa_kernel
	.section	.text._ZN7rocprim17ROCPRIM_400000_NS6detail17trampoline_kernelINS0_14default_configENS1_38merge_sort_block_merge_config_selectorIiiEEZZNS1_27merge_sort_block_merge_implIS3_N6thrust23THRUST_200600_302600_NS6detail15normal_iteratorINS8_10device_ptrIiEEEESD_jNS1_19radix_merge_compareILb1ELb1EiNS0_19identity_decomposerEEEEE10hipError_tT0_T1_T2_jT3_P12ihipStream_tbPNSt15iterator_traitsISI_E10value_typeEPNSO_ISJ_E10value_typeEPSK_NS1_7vsmem_tEENKUlT_SI_SJ_SK_E_clISD_PiSD_S10_EESH_SX_SI_SJ_SK_EUlSX_E1_NS1_11comp_targetILNS1_3genE5ELNS1_11target_archE942ELNS1_3gpuE9ELNS1_3repE0EEENS1_36merge_oddeven_config_static_selectorELNS0_4arch9wavefront6targetE1EEEvSJ_,"axG",@progbits,_ZN7rocprim17ROCPRIM_400000_NS6detail17trampoline_kernelINS0_14default_configENS1_38merge_sort_block_merge_config_selectorIiiEEZZNS1_27merge_sort_block_merge_implIS3_N6thrust23THRUST_200600_302600_NS6detail15normal_iteratorINS8_10device_ptrIiEEEESD_jNS1_19radix_merge_compareILb1ELb1EiNS0_19identity_decomposerEEEEE10hipError_tT0_T1_T2_jT3_P12ihipStream_tbPNSt15iterator_traitsISI_E10value_typeEPNSO_ISJ_E10value_typeEPSK_NS1_7vsmem_tEENKUlT_SI_SJ_SK_E_clISD_PiSD_S10_EESH_SX_SI_SJ_SK_EUlSX_E1_NS1_11comp_targetILNS1_3genE5ELNS1_11target_archE942ELNS1_3gpuE9ELNS1_3repE0EEENS1_36merge_oddeven_config_static_selectorELNS0_4arch9wavefront6targetE1EEEvSJ_,comdat
.Lfunc_end975:
	.size	_ZN7rocprim17ROCPRIM_400000_NS6detail17trampoline_kernelINS0_14default_configENS1_38merge_sort_block_merge_config_selectorIiiEEZZNS1_27merge_sort_block_merge_implIS3_N6thrust23THRUST_200600_302600_NS6detail15normal_iteratorINS8_10device_ptrIiEEEESD_jNS1_19radix_merge_compareILb1ELb1EiNS0_19identity_decomposerEEEEE10hipError_tT0_T1_T2_jT3_P12ihipStream_tbPNSt15iterator_traitsISI_E10value_typeEPNSO_ISJ_E10value_typeEPSK_NS1_7vsmem_tEENKUlT_SI_SJ_SK_E_clISD_PiSD_S10_EESH_SX_SI_SJ_SK_EUlSX_E1_NS1_11comp_targetILNS1_3genE5ELNS1_11target_archE942ELNS1_3gpuE9ELNS1_3repE0EEENS1_36merge_oddeven_config_static_selectorELNS0_4arch9wavefront6targetE1EEEvSJ_, .Lfunc_end975-_ZN7rocprim17ROCPRIM_400000_NS6detail17trampoline_kernelINS0_14default_configENS1_38merge_sort_block_merge_config_selectorIiiEEZZNS1_27merge_sort_block_merge_implIS3_N6thrust23THRUST_200600_302600_NS6detail15normal_iteratorINS8_10device_ptrIiEEEESD_jNS1_19radix_merge_compareILb1ELb1EiNS0_19identity_decomposerEEEEE10hipError_tT0_T1_T2_jT3_P12ihipStream_tbPNSt15iterator_traitsISI_E10value_typeEPNSO_ISJ_E10value_typeEPSK_NS1_7vsmem_tEENKUlT_SI_SJ_SK_E_clISD_PiSD_S10_EESH_SX_SI_SJ_SK_EUlSX_E1_NS1_11comp_targetILNS1_3genE5ELNS1_11target_archE942ELNS1_3gpuE9ELNS1_3repE0EEENS1_36merge_oddeven_config_static_selectorELNS0_4arch9wavefront6targetE1EEEvSJ_
                                        ; -- End function
	.set _ZN7rocprim17ROCPRIM_400000_NS6detail17trampoline_kernelINS0_14default_configENS1_38merge_sort_block_merge_config_selectorIiiEEZZNS1_27merge_sort_block_merge_implIS3_N6thrust23THRUST_200600_302600_NS6detail15normal_iteratorINS8_10device_ptrIiEEEESD_jNS1_19radix_merge_compareILb1ELb1EiNS0_19identity_decomposerEEEEE10hipError_tT0_T1_T2_jT3_P12ihipStream_tbPNSt15iterator_traitsISI_E10value_typeEPNSO_ISJ_E10value_typeEPSK_NS1_7vsmem_tEENKUlT_SI_SJ_SK_E_clISD_PiSD_S10_EESH_SX_SI_SJ_SK_EUlSX_E1_NS1_11comp_targetILNS1_3genE5ELNS1_11target_archE942ELNS1_3gpuE9ELNS1_3repE0EEENS1_36merge_oddeven_config_static_selectorELNS0_4arch9wavefront6targetE1EEEvSJ_.num_vgpr, 0
	.set _ZN7rocprim17ROCPRIM_400000_NS6detail17trampoline_kernelINS0_14default_configENS1_38merge_sort_block_merge_config_selectorIiiEEZZNS1_27merge_sort_block_merge_implIS3_N6thrust23THRUST_200600_302600_NS6detail15normal_iteratorINS8_10device_ptrIiEEEESD_jNS1_19radix_merge_compareILb1ELb1EiNS0_19identity_decomposerEEEEE10hipError_tT0_T1_T2_jT3_P12ihipStream_tbPNSt15iterator_traitsISI_E10value_typeEPNSO_ISJ_E10value_typeEPSK_NS1_7vsmem_tEENKUlT_SI_SJ_SK_E_clISD_PiSD_S10_EESH_SX_SI_SJ_SK_EUlSX_E1_NS1_11comp_targetILNS1_3genE5ELNS1_11target_archE942ELNS1_3gpuE9ELNS1_3repE0EEENS1_36merge_oddeven_config_static_selectorELNS0_4arch9wavefront6targetE1EEEvSJ_.num_agpr, 0
	.set _ZN7rocprim17ROCPRIM_400000_NS6detail17trampoline_kernelINS0_14default_configENS1_38merge_sort_block_merge_config_selectorIiiEEZZNS1_27merge_sort_block_merge_implIS3_N6thrust23THRUST_200600_302600_NS6detail15normal_iteratorINS8_10device_ptrIiEEEESD_jNS1_19radix_merge_compareILb1ELb1EiNS0_19identity_decomposerEEEEE10hipError_tT0_T1_T2_jT3_P12ihipStream_tbPNSt15iterator_traitsISI_E10value_typeEPNSO_ISJ_E10value_typeEPSK_NS1_7vsmem_tEENKUlT_SI_SJ_SK_E_clISD_PiSD_S10_EESH_SX_SI_SJ_SK_EUlSX_E1_NS1_11comp_targetILNS1_3genE5ELNS1_11target_archE942ELNS1_3gpuE9ELNS1_3repE0EEENS1_36merge_oddeven_config_static_selectorELNS0_4arch9wavefront6targetE1EEEvSJ_.numbered_sgpr, 0
	.set _ZN7rocprim17ROCPRIM_400000_NS6detail17trampoline_kernelINS0_14default_configENS1_38merge_sort_block_merge_config_selectorIiiEEZZNS1_27merge_sort_block_merge_implIS3_N6thrust23THRUST_200600_302600_NS6detail15normal_iteratorINS8_10device_ptrIiEEEESD_jNS1_19radix_merge_compareILb1ELb1EiNS0_19identity_decomposerEEEEE10hipError_tT0_T1_T2_jT3_P12ihipStream_tbPNSt15iterator_traitsISI_E10value_typeEPNSO_ISJ_E10value_typeEPSK_NS1_7vsmem_tEENKUlT_SI_SJ_SK_E_clISD_PiSD_S10_EESH_SX_SI_SJ_SK_EUlSX_E1_NS1_11comp_targetILNS1_3genE5ELNS1_11target_archE942ELNS1_3gpuE9ELNS1_3repE0EEENS1_36merge_oddeven_config_static_selectorELNS0_4arch9wavefront6targetE1EEEvSJ_.num_named_barrier, 0
	.set _ZN7rocprim17ROCPRIM_400000_NS6detail17trampoline_kernelINS0_14default_configENS1_38merge_sort_block_merge_config_selectorIiiEEZZNS1_27merge_sort_block_merge_implIS3_N6thrust23THRUST_200600_302600_NS6detail15normal_iteratorINS8_10device_ptrIiEEEESD_jNS1_19radix_merge_compareILb1ELb1EiNS0_19identity_decomposerEEEEE10hipError_tT0_T1_T2_jT3_P12ihipStream_tbPNSt15iterator_traitsISI_E10value_typeEPNSO_ISJ_E10value_typeEPSK_NS1_7vsmem_tEENKUlT_SI_SJ_SK_E_clISD_PiSD_S10_EESH_SX_SI_SJ_SK_EUlSX_E1_NS1_11comp_targetILNS1_3genE5ELNS1_11target_archE942ELNS1_3gpuE9ELNS1_3repE0EEENS1_36merge_oddeven_config_static_selectorELNS0_4arch9wavefront6targetE1EEEvSJ_.private_seg_size, 0
	.set _ZN7rocprim17ROCPRIM_400000_NS6detail17trampoline_kernelINS0_14default_configENS1_38merge_sort_block_merge_config_selectorIiiEEZZNS1_27merge_sort_block_merge_implIS3_N6thrust23THRUST_200600_302600_NS6detail15normal_iteratorINS8_10device_ptrIiEEEESD_jNS1_19radix_merge_compareILb1ELb1EiNS0_19identity_decomposerEEEEE10hipError_tT0_T1_T2_jT3_P12ihipStream_tbPNSt15iterator_traitsISI_E10value_typeEPNSO_ISJ_E10value_typeEPSK_NS1_7vsmem_tEENKUlT_SI_SJ_SK_E_clISD_PiSD_S10_EESH_SX_SI_SJ_SK_EUlSX_E1_NS1_11comp_targetILNS1_3genE5ELNS1_11target_archE942ELNS1_3gpuE9ELNS1_3repE0EEENS1_36merge_oddeven_config_static_selectorELNS0_4arch9wavefront6targetE1EEEvSJ_.uses_vcc, 0
	.set _ZN7rocprim17ROCPRIM_400000_NS6detail17trampoline_kernelINS0_14default_configENS1_38merge_sort_block_merge_config_selectorIiiEEZZNS1_27merge_sort_block_merge_implIS3_N6thrust23THRUST_200600_302600_NS6detail15normal_iteratorINS8_10device_ptrIiEEEESD_jNS1_19radix_merge_compareILb1ELb1EiNS0_19identity_decomposerEEEEE10hipError_tT0_T1_T2_jT3_P12ihipStream_tbPNSt15iterator_traitsISI_E10value_typeEPNSO_ISJ_E10value_typeEPSK_NS1_7vsmem_tEENKUlT_SI_SJ_SK_E_clISD_PiSD_S10_EESH_SX_SI_SJ_SK_EUlSX_E1_NS1_11comp_targetILNS1_3genE5ELNS1_11target_archE942ELNS1_3gpuE9ELNS1_3repE0EEENS1_36merge_oddeven_config_static_selectorELNS0_4arch9wavefront6targetE1EEEvSJ_.uses_flat_scratch, 0
	.set _ZN7rocprim17ROCPRIM_400000_NS6detail17trampoline_kernelINS0_14default_configENS1_38merge_sort_block_merge_config_selectorIiiEEZZNS1_27merge_sort_block_merge_implIS3_N6thrust23THRUST_200600_302600_NS6detail15normal_iteratorINS8_10device_ptrIiEEEESD_jNS1_19radix_merge_compareILb1ELb1EiNS0_19identity_decomposerEEEEE10hipError_tT0_T1_T2_jT3_P12ihipStream_tbPNSt15iterator_traitsISI_E10value_typeEPNSO_ISJ_E10value_typeEPSK_NS1_7vsmem_tEENKUlT_SI_SJ_SK_E_clISD_PiSD_S10_EESH_SX_SI_SJ_SK_EUlSX_E1_NS1_11comp_targetILNS1_3genE5ELNS1_11target_archE942ELNS1_3gpuE9ELNS1_3repE0EEENS1_36merge_oddeven_config_static_selectorELNS0_4arch9wavefront6targetE1EEEvSJ_.has_dyn_sized_stack, 0
	.set _ZN7rocprim17ROCPRIM_400000_NS6detail17trampoline_kernelINS0_14default_configENS1_38merge_sort_block_merge_config_selectorIiiEEZZNS1_27merge_sort_block_merge_implIS3_N6thrust23THRUST_200600_302600_NS6detail15normal_iteratorINS8_10device_ptrIiEEEESD_jNS1_19radix_merge_compareILb1ELb1EiNS0_19identity_decomposerEEEEE10hipError_tT0_T1_T2_jT3_P12ihipStream_tbPNSt15iterator_traitsISI_E10value_typeEPNSO_ISJ_E10value_typeEPSK_NS1_7vsmem_tEENKUlT_SI_SJ_SK_E_clISD_PiSD_S10_EESH_SX_SI_SJ_SK_EUlSX_E1_NS1_11comp_targetILNS1_3genE5ELNS1_11target_archE942ELNS1_3gpuE9ELNS1_3repE0EEENS1_36merge_oddeven_config_static_selectorELNS0_4arch9wavefront6targetE1EEEvSJ_.has_recursion, 0
	.set _ZN7rocprim17ROCPRIM_400000_NS6detail17trampoline_kernelINS0_14default_configENS1_38merge_sort_block_merge_config_selectorIiiEEZZNS1_27merge_sort_block_merge_implIS3_N6thrust23THRUST_200600_302600_NS6detail15normal_iteratorINS8_10device_ptrIiEEEESD_jNS1_19radix_merge_compareILb1ELb1EiNS0_19identity_decomposerEEEEE10hipError_tT0_T1_T2_jT3_P12ihipStream_tbPNSt15iterator_traitsISI_E10value_typeEPNSO_ISJ_E10value_typeEPSK_NS1_7vsmem_tEENKUlT_SI_SJ_SK_E_clISD_PiSD_S10_EESH_SX_SI_SJ_SK_EUlSX_E1_NS1_11comp_targetILNS1_3genE5ELNS1_11target_archE942ELNS1_3gpuE9ELNS1_3repE0EEENS1_36merge_oddeven_config_static_selectorELNS0_4arch9wavefront6targetE1EEEvSJ_.has_indirect_call, 0
	.section	.AMDGPU.csdata,"",@progbits
; Kernel info:
; codeLenInByte = 0
; TotalNumSgprs: 6
; NumVgprs: 0
; NumAgprs: 0
; TotalNumVgprs: 0
; ScratchSize: 0
; MemoryBound: 0
; FloatMode: 240
; IeeeMode: 1
; LDSByteSize: 0 bytes/workgroup (compile time only)
; SGPRBlocks: 0
; VGPRBlocks: 0
; NumSGPRsForWavesPerEU: 6
; NumVGPRsForWavesPerEU: 1
; AccumOffset: 4
; Occupancy: 8
; WaveLimiterHint : 0
; COMPUTE_PGM_RSRC2:SCRATCH_EN: 0
; COMPUTE_PGM_RSRC2:USER_SGPR: 2
; COMPUTE_PGM_RSRC2:TRAP_HANDLER: 0
; COMPUTE_PGM_RSRC2:TGID_X_EN: 1
; COMPUTE_PGM_RSRC2:TGID_Y_EN: 0
; COMPUTE_PGM_RSRC2:TGID_Z_EN: 0
; COMPUTE_PGM_RSRC2:TIDIG_COMP_CNT: 0
; COMPUTE_PGM_RSRC3_GFX90A:ACCUM_OFFSET: 0
; COMPUTE_PGM_RSRC3_GFX90A:TG_SPLIT: 0
	.section	.text._ZN7rocprim17ROCPRIM_400000_NS6detail17trampoline_kernelINS0_14default_configENS1_38merge_sort_block_merge_config_selectorIiiEEZZNS1_27merge_sort_block_merge_implIS3_N6thrust23THRUST_200600_302600_NS6detail15normal_iteratorINS8_10device_ptrIiEEEESD_jNS1_19radix_merge_compareILb1ELb1EiNS0_19identity_decomposerEEEEE10hipError_tT0_T1_T2_jT3_P12ihipStream_tbPNSt15iterator_traitsISI_E10value_typeEPNSO_ISJ_E10value_typeEPSK_NS1_7vsmem_tEENKUlT_SI_SJ_SK_E_clISD_PiSD_S10_EESH_SX_SI_SJ_SK_EUlSX_E1_NS1_11comp_targetILNS1_3genE4ELNS1_11target_archE910ELNS1_3gpuE8ELNS1_3repE0EEENS1_36merge_oddeven_config_static_selectorELNS0_4arch9wavefront6targetE1EEEvSJ_,"axG",@progbits,_ZN7rocprim17ROCPRIM_400000_NS6detail17trampoline_kernelINS0_14default_configENS1_38merge_sort_block_merge_config_selectorIiiEEZZNS1_27merge_sort_block_merge_implIS3_N6thrust23THRUST_200600_302600_NS6detail15normal_iteratorINS8_10device_ptrIiEEEESD_jNS1_19radix_merge_compareILb1ELb1EiNS0_19identity_decomposerEEEEE10hipError_tT0_T1_T2_jT3_P12ihipStream_tbPNSt15iterator_traitsISI_E10value_typeEPNSO_ISJ_E10value_typeEPSK_NS1_7vsmem_tEENKUlT_SI_SJ_SK_E_clISD_PiSD_S10_EESH_SX_SI_SJ_SK_EUlSX_E1_NS1_11comp_targetILNS1_3genE4ELNS1_11target_archE910ELNS1_3gpuE8ELNS1_3repE0EEENS1_36merge_oddeven_config_static_selectorELNS0_4arch9wavefront6targetE1EEEvSJ_,comdat
	.protected	_ZN7rocprim17ROCPRIM_400000_NS6detail17trampoline_kernelINS0_14default_configENS1_38merge_sort_block_merge_config_selectorIiiEEZZNS1_27merge_sort_block_merge_implIS3_N6thrust23THRUST_200600_302600_NS6detail15normal_iteratorINS8_10device_ptrIiEEEESD_jNS1_19radix_merge_compareILb1ELb1EiNS0_19identity_decomposerEEEEE10hipError_tT0_T1_T2_jT3_P12ihipStream_tbPNSt15iterator_traitsISI_E10value_typeEPNSO_ISJ_E10value_typeEPSK_NS1_7vsmem_tEENKUlT_SI_SJ_SK_E_clISD_PiSD_S10_EESH_SX_SI_SJ_SK_EUlSX_E1_NS1_11comp_targetILNS1_3genE4ELNS1_11target_archE910ELNS1_3gpuE8ELNS1_3repE0EEENS1_36merge_oddeven_config_static_selectorELNS0_4arch9wavefront6targetE1EEEvSJ_ ; -- Begin function _ZN7rocprim17ROCPRIM_400000_NS6detail17trampoline_kernelINS0_14default_configENS1_38merge_sort_block_merge_config_selectorIiiEEZZNS1_27merge_sort_block_merge_implIS3_N6thrust23THRUST_200600_302600_NS6detail15normal_iteratorINS8_10device_ptrIiEEEESD_jNS1_19radix_merge_compareILb1ELb1EiNS0_19identity_decomposerEEEEE10hipError_tT0_T1_T2_jT3_P12ihipStream_tbPNSt15iterator_traitsISI_E10value_typeEPNSO_ISJ_E10value_typeEPSK_NS1_7vsmem_tEENKUlT_SI_SJ_SK_E_clISD_PiSD_S10_EESH_SX_SI_SJ_SK_EUlSX_E1_NS1_11comp_targetILNS1_3genE4ELNS1_11target_archE910ELNS1_3gpuE8ELNS1_3repE0EEENS1_36merge_oddeven_config_static_selectorELNS0_4arch9wavefront6targetE1EEEvSJ_
	.globl	_ZN7rocprim17ROCPRIM_400000_NS6detail17trampoline_kernelINS0_14default_configENS1_38merge_sort_block_merge_config_selectorIiiEEZZNS1_27merge_sort_block_merge_implIS3_N6thrust23THRUST_200600_302600_NS6detail15normal_iteratorINS8_10device_ptrIiEEEESD_jNS1_19radix_merge_compareILb1ELb1EiNS0_19identity_decomposerEEEEE10hipError_tT0_T1_T2_jT3_P12ihipStream_tbPNSt15iterator_traitsISI_E10value_typeEPNSO_ISJ_E10value_typeEPSK_NS1_7vsmem_tEENKUlT_SI_SJ_SK_E_clISD_PiSD_S10_EESH_SX_SI_SJ_SK_EUlSX_E1_NS1_11comp_targetILNS1_3genE4ELNS1_11target_archE910ELNS1_3gpuE8ELNS1_3repE0EEENS1_36merge_oddeven_config_static_selectorELNS0_4arch9wavefront6targetE1EEEvSJ_
	.p2align	8
	.type	_ZN7rocprim17ROCPRIM_400000_NS6detail17trampoline_kernelINS0_14default_configENS1_38merge_sort_block_merge_config_selectorIiiEEZZNS1_27merge_sort_block_merge_implIS3_N6thrust23THRUST_200600_302600_NS6detail15normal_iteratorINS8_10device_ptrIiEEEESD_jNS1_19radix_merge_compareILb1ELb1EiNS0_19identity_decomposerEEEEE10hipError_tT0_T1_T2_jT3_P12ihipStream_tbPNSt15iterator_traitsISI_E10value_typeEPNSO_ISJ_E10value_typeEPSK_NS1_7vsmem_tEENKUlT_SI_SJ_SK_E_clISD_PiSD_S10_EESH_SX_SI_SJ_SK_EUlSX_E1_NS1_11comp_targetILNS1_3genE4ELNS1_11target_archE910ELNS1_3gpuE8ELNS1_3repE0EEENS1_36merge_oddeven_config_static_selectorELNS0_4arch9wavefront6targetE1EEEvSJ_,@function
_ZN7rocprim17ROCPRIM_400000_NS6detail17trampoline_kernelINS0_14default_configENS1_38merge_sort_block_merge_config_selectorIiiEEZZNS1_27merge_sort_block_merge_implIS3_N6thrust23THRUST_200600_302600_NS6detail15normal_iteratorINS8_10device_ptrIiEEEESD_jNS1_19radix_merge_compareILb1ELb1EiNS0_19identity_decomposerEEEEE10hipError_tT0_T1_T2_jT3_P12ihipStream_tbPNSt15iterator_traitsISI_E10value_typeEPNSO_ISJ_E10value_typeEPSK_NS1_7vsmem_tEENKUlT_SI_SJ_SK_E_clISD_PiSD_S10_EESH_SX_SI_SJ_SK_EUlSX_E1_NS1_11comp_targetILNS1_3genE4ELNS1_11target_archE910ELNS1_3gpuE8ELNS1_3repE0EEENS1_36merge_oddeven_config_static_selectorELNS0_4arch9wavefront6targetE1EEEvSJ_: ; @_ZN7rocprim17ROCPRIM_400000_NS6detail17trampoline_kernelINS0_14default_configENS1_38merge_sort_block_merge_config_selectorIiiEEZZNS1_27merge_sort_block_merge_implIS3_N6thrust23THRUST_200600_302600_NS6detail15normal_iteratorINS8_10device_ptrIiEEEESD_jNS1_19radix_merge_compareILb1ELb1EiNS0_19identity_decomposerEEEEE10hipError_tT0_T1_T2_jT3_P12ihipStream_tbPNSt15iterator_traitsISI_E10value_typeEPNSO_ISJ_E10value_typeEPSK_NS1_7vsmem_tEENKUlT_SI_SJ_SK_E_clISD_PiSD_S10_EESH_SX_SI_SJ_SK_EUlSX_E1_NS1_11comp_targetILNS1_3genE4ELNS1_11target_archE910ELNS1_3gpuE8ELNS1_3repE0EEENS1_36merge_oddeven_config_static_selectorELNS0_4arch9wavefront6targetE1EEEvSJ_
; %bb.0:
	.section	.rodata,"a",@progbits
	.p2align	6, 0x0
	.amdhsa_kernel _ZN7rocprim17ROCPRIM_400000_NS6detail17trampoline_kernelINS0_14default_configENS1_38merge_sort_block_merge_config_selectorIiiEEZZNS1_27merge_sort_block_merge_implIS3_N6thrust23THRUST_200600_302600_NS6detail15normal_iteratorINS8_10device_ptrIiEEEESD_jNS1_19radix_merge_compareILb1ELb1EiNS0_19identity_decomposerEEEEE10hipError_tT0_T1_T2_jT3_P12ihipStream_tbPNSt15iterator_traitsISI_E10value_typeEPNSO_ISJ_E10value_typeEPSK_NS1_7vsmem_tEENKUlT_SI_SJ_SK_E_clISD_PiSD_S10_EESH_SX_SI_SJ_SK_EUlSX_E1_NS1_11comp_targetILNS1_3genE4ELNS1_11target_archE910ELNS1_3gpuE8ELNS1_3repE0EEENS1_36merge_oddeven_config_static_selectorELNS0_4arch9wavefront6targetE1EEEvSJ_
		.amdhsa_group_segment_fixed_size 0
		.amdhsa_private_segment_fixed_size 0
		.amdhsa_kernarg_size 48
		.amdhsa_user_sgpr_count 2
		.amdhsa_user_sgpr_dispatch_ptr 0
		.amdhsa_user_sgpr_queue_ptr 0
		.amdhsa_user_sgpr_kernarg_segment_ptr 1
		.amdhsa_user_sgpr_dispatch_id 0
		.amdhsa_user_sgpr_kernarg_preload_length 0
		.amdhsa_user_sgpr_kernarg_preload_offset 0
		.amdhsa_user_sgpr_private_segment_size 0
		.amdhsa_uses_dynamic_stack 0
		.amdhsa_enable_private_segment 0
		.amdhsa_system_sgpr_workgroup_id_x 1
		.amdhsa_system_sgpr_workgroup_id_y 0
		.amdhsa_system_sgpr_workgroup_id_z 0
		.amdhsa_system_sgpr_workgroup_info 0
		.amdhsa_system_vgpr_workitem_id 0
		.amdhsa_next_free_vgpr 1
		.amdhsa_next_free_sgpr 0
		.amdhsa_accum_offset 4
		.amdhsa_reserve_vcc 0
		.amdhsa_float_round_mode_32 0
		.amdhsa_float_round_mode_16_64 0
		.amdhsa_float_denorm_mode_32 3
		.amdhsa_float_denorm_mode_16_64 3
		.amdhsa_dx10_clamp 1
		.amdhsa_ieee_mode 1
		.amdhsa_fp16_overflow 0
		.amdhsa_tg_split 0
		.amdhsa_exception_fp_ieee_invalid_op 0
		.amdhsa_exception_fp_denorm_src 0
		.amdhsa_exception_fp_ieee_div_zero 0
		.amdhsa_exception_fp_ieee_overflow 0
		.amdhsa_exception_fp_ieee_underflow 0
		.amdhsa_exception_fp_ieee_inexact 0
		.amdhsa_exception_int_div_zero 0
	.end_amdhsa_kernel
	.section	.text._ZN7rocprim17ROCPRIM_400000_NS6detail17trampoline_kernelINS0_14default_configENS1_38merge_sort_block_merge_config_selectorIiiEEZZNS1_27merge_sort_block_merge_implIS3_N6thrust23THRUST_200600_302600_NS6detail15normal_iteratorINS8_10device_ptrIiEEEESD_jNS1_19radix_merge_compareILb1ELb1EiNS0_19identity_decomposerEEEEE10hipError_tT0_T1_T2_jT3_P12ihipStream_tbPNSt15iterator_traitsISI_E10value_typeEPNSO_ISJ_E10value_typeEPSK_NS1_7vsmem_tEENKUlT_SI_SJ_SK_E_clISD_PiSD_S10_EESH_SX_SI_SJ_SK_EUlSX_E1_NS1_11comp_targetILNS1_3genE4ELNS1_11target_archE910ELNS1_3gpuE8ELNS1_3repE0EEENS1_36merge_oddeven_config_static_selectorELNS0_4arch9wavefront6targetE1EEEvSJ_,"axG",@progbits,_ZN7rocprim17ROCPRIM_400000_NS6detail17trampoline_kernelINS0_14default_configENS1_38merge_sort_block_merge_config_selectorIiiEEZZNS1_27merge_sort_block_merge_implIS3_N6thrust23THRUST_200600_302600_NS6detail15normal_iteratorINS8_10device_ptrIiEEEESD_jNS1_19radix_merge_compareILb1ELb1EiNS0_19identity_decomposerEEEEE10hipError_tT0_T1_T2_jT3_P12ihipStream_tbPNSt15iterator_traitsISI_E10value_typeEPNSO_ISJ_E10value_typeEPSK_NS1_7vsmem_tEENKUlT_SI_SJ_SK_E_clISD_PiSD_S10_EESH_SX_SI_SJ_SK_EUlSX_E1_NS1_11comp_targetILNS1_3genE4ELNS1_11target_archE910ELNS1_3gpuE8ELNS1_3repE0EEENS1_36merge_oddeven_config_static_selectorELNS0_4arch9wavefront6targetE1EEEvSJ_,comdat
.Lfunc_end976:
	.size	_ZN7rocprim17ROCPRIM_400000_NS6detail17trampoline_kernelINS0_14default_configENS1_38merge_sort_block_merge_config_selectorIiiEEZZNS1_27merge_sort_block_merge_implIS3_N6thrust23THRUST_200600_302600_NS6detail15normal_iteratorINS8_10device_ptrIiEEEESD_jNS1_19radix_merge_compareILb1ELb1EiNS0_19identity_decomposerEEEEE10hipError_tT0_T1_T2_jT3_P12ihipStream_tbPNSt15iterator_traitsISI_E10value_typeEPNSO_ISJ_E10value_typeEPSK_NS1_7vsmem_tEENKUlT_SI_SJ_SK_E_clISD_PiSD_S10_EESH_SX_SI_SJ_SK_EUlSX_E1_NS1_11comp_targetILNS1_3genE4ELNS1_11target_archE910ELNS1_3gpuE8ELNS1_3repE0EEENS1_36merge_oddeven_config_static_selectorELNS0_4arch9wavefront6targetE1EEEvSJ_, .Lfunc_end976-_ZN7rocprim17ROCPRIM_400000_NS6detail17trampoline_kernelINS0_14default_configENS1_38merge_sort_block_merge_config_selectorIiiEEZZNS1_27merge_sort_block_merge_implIS3_N6thrust23THRUST_200600_302600_NS6detail15normal_iteratorINS8_10device_ptrIiEEEESD_jNS1_19radix_merge_compareILb1ELb1EiNS0_19identity_decomposerEEEEE10hipError_tT0_T1_T2_jT3_P12ihipStream_tbPNSt15iterator_traitsISI_E10value_typeEPNSO_ISJ_E10value_typeEPSK_NS1_7vsmem_tEENKUlT_SI_SJ_SK_E_clISD_PiSD_S10_EESH_SX_SI_SJ_SK_EUlSX_E1_NS1_11comp_targetILNS1_3genE4ELNS1_11target_archE910ELNS1_3gpuE8ELNS1_3repE0EEENS1_36merge_oddeven_config_static_selectorELNS0_4arch9wavefront6targetE1EEEvSJ_
                                        ; -- End function
	.set _ZN7rocprim17ROCPRIM_400000_NS6detail17trampoline_kernelINS0_14default_configENS1_38merge_sort_block_merge_config_selectorIiiEEZZNS1_27merge_sort_block_merge_implIS3_N6thrust23THRUST_200600_302600_NS6detail15normal_iteratorINS8_10device_ptrIiEEEESD_jNS1_19radix_merge_compareILb1ELb1EiNS0_19identity_decomposerEEEEE10hipError_tT0_T1_T2_jT3_P12ihipStream_tbPNSt15iterator_traitsISI_E10value_typeEPNSO_ISJ_E10value_typeEPSK_NS1_7vsmem_tEENKUlT_SI_SJ_SK_E_clISD_PiSD_S10_EESH_SX_SI_SJ_SK_EUlSX_E1_NS1_11comp_targetILNS1_3genE4ELNS1_11target_archE910ELNS1_3gpuE8ELNS1_3repE0EEENS1_36merge_oddeven_config_static_selectorELNS0_4arch9wavefront6targetE1EEEvSJ_.num_vgpr, 0
	.set _ZN7rocprim17ROCPRIM_400000_NS6detail17trampoline_kernelINS0_14default_configENS1_38merge_sort_block_merge_config_selectorIiiEEZZNS1_27merge_sort_block_merge_implIS3_N6thrust23THRUST_200600_302600_NS6detail15normal_iteratorINS8_10device_ptrIiEEEESD_jNS1_19radix_merge_compareILb1ELb1EiNS0_19identity_decomposerEEEEE10hipError_tT0_T1_T2_jT3_P12ihipStream_tbPNSt15iterator_traitsISI_E10value_typeEPNSO_ISJ_E10value_typeEPSK_NS1_7vsmem_tEENKUlT_SI_SJ_SK_E_clISD_PiSD_S10_EESH_SX_SI_SJ_SK_EUlSX_E1_NS1_11comp_targetILNS1_3genE4ELNS1_11target_archE910ELNS1_3gpuE8ELNS1_3repE0EEENS1_36merge_oddeven_config_static_selectorELNS0_4arch9wavefront6targetE1EEEvSJ_.num_agpr, 0
	.set _ZN7rocprim17ROCPRIM_400000_NS6detail17trampoline_kernelINS0_14default_configENS1_38merge_sort_block_merge_config_selectorIiiEEZZNS1_27merge_sort_block_merge_implIS3_N6thrust23THRUST_200600_302600_NS6detail15normal_iteratorINS8_10device_ptrIiEEEESD_jNS1_19radix_merge_compareILb1ELb1EiNS0_19identity_decomposerEEEEE10hipError_tT0_T1_T2_jT3_P12ihipStream_tbPNSt15iterator_traitsISI_E10value_typeEPNSO_ISJ_E10value_typeEPSK_NS1_7vsmem_tEENKUlT_SI_SJ_SK_E_clISD_PiSD_S10_EESH_SX_SI_SJ_SK_EUlSX_E1_NS1_11comp_targetILNS1_3genE4ELNS1_11target_archE910ELNS1_3gpuE8ELNS1_3repE0EEENS1_36merge_oddeven_config_static_selectorELNS0_4arch9wavefront6targetE1EEEvSJ_.numbered_sgpr, 0
	.set _ZN7rocprim17ROCPRIM_400000_NS6detail17trampoline_kernelINS0_14default_configENS1_38merge_sort_block_merge_config_selectorIiiEEZZNS1_27merge_sort_block_merge_implIS3_N6thrust23THRUST_200600_302600_NS6detail15normal_iteratorINS8_10device_ptrIiEEEESD_jNS1_19radix_merge_compareILb1ELb1EiNS0_19identity_decomposerEEEEE10hipError_tT0_T1_T2_jT3_P12ihipStream_tbPNSt15iterator_traitsISI_E10value_typeEPNSO_ISJ_E10value_typeEPSK_NS1_7vsmem_tEENKUlT_SI_SJ_SK_E_clISD_PiSD_S10_EESH_SX_SI_SJ_SK_EUlSX_E1_NS1_11comp_targetILNS1_3genE4ELNS1_11target_archE910ELNS1_3gpuE8ELNS1_3repE0EEENS1_36merge_oddeven_config_static_selectorELNS0_4arch9wavefront6targetE1EEEvSJ_.num_named_barrier, 0
	.set _ZN7rocprim17ROCPRIM_400000_NS6detail17trampoline_kernelINS0_14default_configENS1_38merge_sort_block_merge_config_selectorIiiEEZZNS1_27merge_sort_block_merge_implIS3_N6thrust23THRUST_200600_302600_NS6detail15normal_iteratorINS8_10device_ptrIiEEEESD_jNS1_19radix_merge_compareILb1ELb1EiNS0_19identity_decomposerEEEEE10hipError_tT0_T1_T2_jT3_P12ihipStream_tbPNSt15iterator_traitsISI_E10value_typeEPNSO_ISJ_E10value_typeEPSK_NS1_7vsmem_tEENKUlT_SI_SJ_SK_E_clISD_PiSD_S10_EESH_SX_SI_SJ_SK_EUlSX_E1_NS1_11comp_targetILNS1_3genE4ELNS1_11target_archE910ELNS1_3gpuE8ELNS1_3repE0EEENS1_36merge_oddeven_config_static_selectorELNS0_4arch9wavefront6targetE1EEEvSJ_.private_seg_size, 0
	.set _ZN7rocprim17ROCPRIM_400000_NS6detail17trampoline_kernelINS0_14default_configENS1_38merge_sort_block_merge_config_selectorIiiEEZZNS1_27merge_sort_block_merge_implIS3_N6thrust23THRUST_200600_302600_NS6detail15normal_iteratorINS8_10device_ptrIiEEEESD_jNS1_19radix_merge_compareILb1ELb1EiNS0_19identity_decomposerEEEEE10hipError_tT0_T1_T2_jT3_P12ihipStream_tbPNSt15iterator_traitsISI_E10value_typeEPNSO_ISJ_E10value_typeEPSK_NS1_7vsmem_tEENKUlT_SI_SJ_SK_E_clISD_PiSD_S10_EESH_SX_SI_SJ_SK_EUlSX_E1_NS1_11comp_targetILNS1_3genE4ELNS1_11target_archE910ELNS1_3gpuE8ELNS1_3repE0EEENS1_36merge_oddeven_config_static_selectorELNS0_4arch9wavefront6targetE1EEEvSJ_.uses_vcc, 0
	.set _ZN7rocprim17ROCPRIM_400000_NS6detail17trampoline_kernelINS0_14default_configENS1_38merge_sort_block_merge_config_selectorIiiEEZZNS1_27merge_sort_block_merge_implIS3_N6thrust23THRUST_200600_302600_NS6detail15normal_iteratorINS8_10device_ptrIiEEEESD_jNS1_19radix_merge_compareILb1ELb1EiNS0_19identity_decomposerEEEEE10hipError_tT0_T1_T2_jT3_P12ihipStream_tbPNSt15iterator_traitsISI_E10value_typeEPNSO_ISJ_E10value_typeEPSK_NS1_7vsmem_tEENKUlT_SI_SJ_SK_E_clISD_PiSD_S10_EESH_SX_SI_SJ_SK_EUlSX_E1_NS1_11comp_targetILNS1_3genE4ELNS1_11target_archE910ELNS1_3gpuE8ELNS1_3repE0EEENS1_36merge_oddeven_config_static_selectorELNS0_4arch9wavefront6targetE1EEEvSJ_.uses_flat_scratch, 0
	.set _ZN7rocprim17ROCPRIM_400000_NS6detail17trampoline_kernelINS0_14default_configENS1_38merge_sort_block_merge_config_selectorIiiEEZZNS1_27merge_sort_block_merge_implIS3_N6thrust23THRUST_200600_302600_NS6detail15normal_iteratorINS8_10device_ptrIiEEEESD_jNS1_19radix_merge_compareILb1ELb1EiNS0_19identity_decomposerEEEEE10hipError_tT0_T1_T2_jT3_P12ihipStream_tbPNSt15iterator_traitsISI_E10value_typeEPNSO_ISJ_E10value_typeEPSK_NS1_7vsmem_tEENKUlT_SI_SJ_SK_E_clISD_PiSD_S10_EESH_SX_SI_SJ_SK_EUlSX_E1_NS1_11comp_targetILNS1_3genE4ELNS1_11target_archE910ELNS1_3gpuE8ELNS1_3repE0EEENS1_36merge_oddeven_config_static_selectorELNS0_4arch9wavefront6targetE1EEEvSJ_.has_dyn_sized_stack, 0
	.set _ZN7rocprim17ROCPRIM_400000_NS6detail17trampoline_kernelINS0_14default_configENS1_38merge_sort_block_merge_config_selectorIiiEEZZNS1_27merge_sort_block_merge_implIS3_N6thrust23THRUST_200600_302600_NS6detail15normal_iteratorINS8_10device_ptrIiEEEESD_jNS1_19radix_merge_compareILb1ELb1EiNS0_19identity_decomposerEEEEE10hipError_tT0_T1_T2_jT3_P12ihipStream_tbPNSt15iterator_traitsISI_E10value_typeEPNSO_ISJ_E10value_typeEPSK_NS1_7vsmem_tEENKUlT_SI_SJ_SK_E_clISD_PiSD_S10_EESH_SX_SI_SJ_SK_EUlSX_E1_NS1_11comp_targetILNS1_3genE4ELNS1_11target_archE910ELNS1_3gpuE8ELNS1_3repE0EEENS1_36merge_oddeven_config_static_selectorELNS0_4arch9wavefront6targetE1EEEvSJ_.has_recursion, 0
	.set _ZN7rocprim17ROCPRIM_400000_NS6detail17trampoline_kernelINS0_14default_configENS1_38merge_sort_block_merge_config_selectorIiiEEZZNS1_27merge_sort_block_merge_implIS3_N6thrust23THRUST_200600_302600_NS6detail15normal_iteratorINS8_10device_ptrIiEEEESD_jNS1_19radix_merge_compareILb1ELb1EiNS0_19identity_decomposerEEEEE10hipError_tT0_T1_T2_jT3_P12ihipStream_tbPNSt15iterator_traitsISI_E10value_typeEPNSO_ISJ_E10value_typeEPSK_NS1_7vsmem_tEENKUlT_SI_SJ_SK_E_clISD_PiSD_S10_EESH_SX_SI_SJ_SK_EUlSX_E1_NS1_11comp_targetILNS1_3genE4ELNS1_11target_archE910ELNS1_3gpuE8ELNS1_3repE0EEENS1_36merge_oddeven_config_static_selectorELNS0_4arch9wavefront6targetE1EEEvSJ_.has_indirect_call, 0
	.section	.AMDGPU.csdata,"",@progbits
; Kernel info:
; codeLenInByte = 0
; TotalNumSgprs: 6
; NumVgprs: 0
; NumAgprs: 0
; TotalNumVgprs: 0
; ScratchSize: 0
; MemoryBound: 0
; FloatMode: 240
; IeeeMode: 1
; LDSByteSize: 0 bytes/workgroup (compile time only)
; SGPRBlocks: 0
; VGPRBlocks: 0
; NumSGPRsForWavesPerEU: 6
; NumVGPRsForWavesPerEU: 1
; AccumOffset: 4
; Occupancy: 8
; WaveLimiterHint : 0
; COMPUTE_PGM_RSRC2:SCRATCH_EN: 0
; COMPUTE_PGM_RSRC2:USER_SGPR: 2
; COMPUTE_PGM_RSRC2:TRAP_HANDLER: 0
; COMPUTE_PGM_RSRC2:TGID_X_EN: 1
; COMPUTE_PGM_RSRC2:TGID_Y_EN: 0
; COMPUTE_PGM_RSRC2:TGID_Z_EN: 0
; COMPUTE_PGM_RSRC2:TIDIG_COMP_CNT: 0
; COMPUTE_PGM_RSRC3_GFX90A:ACCUM_OFFSET: 0
; COMPUTE_PGM_RSRC3_GFX90A:TG_SPLIT: 0
	.section	.text._ZN7rocprim17ROCPRIM_400000_NS6detail17trampoline_kernelINS0_14default_configENS1_38merge_sort_block_merge_config_selectorIiiEEZZNS1_27merge_sort_block_merge_implIS3_N6thrust23THRUST_200600_302600_NS6detail15normal_iteratorINS8_10device_ptrIiEEEESD_jNS1_19radix_merge_compareILb1ELb1EiNS0_19identity_decomposerEEEEE10hipError_tT0_T1_T2_jT3_P12ihipStream_tbPNSt15iterator_traitsISI_E10value_typeEPNSO_ISJ_E10value_typeEPSK_NS1_7vsmem_tEENKUlT_SI_SJ_SK_E_clISD_PiSD_S10_EESH_SX_SI_SJ_SK_EUlSX_E1_NS1_11comp_targetILNS1_3genE3ELNS1_11target_archE908ELNS1_3gpuE7ELNS1_3repE0EEENS1_36merge_oddeven_config_static_selectorELNS0_4arch9wavefront6targetE1EEEvSJ_,"axG",@progbits,_ZN7rocprim17ROCPRIM_400000_NS6detail17trampoline_kernelINS0_14default_configENS1_38merge_sort_block_merge_config_selectorIiiEEZZNS1_27merge_sort_block_merge_implIS3_N6thrust23THRUST_200600_302600_NS6detail15normal_iteratorINS8_10device_ptrIiEEEESD_jNS1_19radix_merge_compareILb1ELb1EiNS0_19identity_decomposerEEEEE10hipError_tT0_T1_T2_jT3_P12ihipStream_tbPNSt15iterator_traitsISI_E10value_typeEPNSO_ISJ_E10value_typeEPSK_NS1_7vsmem_tEENKUlT_SI_SJ_SK_E_clISD_PiSD_S10_EESH_SX_SI_SJ_SK_EUlSX_E1_NS1_11comp_targetILNS1_3genE3ELNS1_11target_archE908ELNS1_3gpuE7ELNS1_3repE0EEENS1_36merge_oddeven_config_static_selectorELNS0_4arch9wavefront6targetE1EEEvSJ_,comdat
	.protected	_ZN7rocprim17ROCPRIM_400000_NS6detail17trampoline_kernelINS0_14default_configENS1_38merge_sort_block_merge_config_selectorIiiEEZZNS1_27merge_sort_block_merge_implIS3_N6thrust23THRUST_200600_302600_NS6detail15normal_iteratorINS8_10device_ptrIiEEEESD_jNS1_19radix_merge_compareILb1ELb1EiNS0_19identity_decomposerEEEEE10hipError_tT0_T1_T2_jT3_P12ihipStream_tbPNSt15iterator_traitsISI_E10value_typeEPNSO_ISJ_E10value_typeEPSK_NS1_7vsmem_tEENKUlT_SI_SJ_SK_E_clISD_PiSD_S10_EESH_SX_SI_SJ_SK_EUlSX_E1_NS1_11comp_targetILNS1_3genE3ELNS1_11target_archE908ELNS1_3gpuE7ELNS1_3repE0EEENS1_36merge_oddeven_config_static_selectorELNS0_4arch9wavefront6targetE1EEEvSJ_ ; -- Begin function _ZN7rocprim17ROCPRIM_400000_NS6detail17trampoline_kernelINS0_14default_configENS1_38merge_sort_block_merge_config_selectorIiiEEZZNS1_27merge_sort_block_merge_implIS3_N6thrust23THRUST_200600_302600_NS6detail15normal_iteratorINS8_10device_ptrIiEEEESD_jNS1_19radix_merge_compareILb1ELb1EiNS0_19identity_decomposerEEEEE10hipError_tT0_T1_T2_jT3_P12ihipStream_tbPNSt15iterator_traitsISI_E10value_typeEPNSO_ISJ_E10value_typeEPSK_NS1_7vsmem_tEENKUlT_SI_SJ_SK_E_clISD_PiSD_S10_EESH_SX_SI_SJ_SK_EUlSX_E1_NS1_11comp_targetILNS1_3genE3ELNS1_11target_archE908ELNS1_3gpuE7ELNS1_3repE0EEENS1_36merge_oddeven_config_static_selectorELNS0_4arch9wavefront6targetE1EEEvSJ_
	.globl	_ZN7rocprim17ROCPRIM_400000_NS6detail17trampoline_kernelINS0_14default_configENS1_38merge_sort_block_merge_config_selectorIiiEEZZNS1_27merge_sort_block_merge_implIS3_N6thrust23THRUST_200600_302600_NS6detail15normal_iteratorINS8_10device_ptrIiEEEESD_jNS1_19radix_merge_compareILb1ELb1EiNS0_19identity_decomposerEEEEE10hipError_tT0_T1_T2_jT3_P12ihipStream_tbPNSt15iterator_traitsISI_E10value_typeEPNSO_ISJ_E10value_typeEPSK_NS1_7vsmem_tEENKUlT_SI_SJ_SK_E_clISD_PiSD_S10_EESH_SX_SI_SJ_SK_EUlSX_E1_NS1_11comp_targetILNS1_3genE3ELNS1_11target_archE908ELNS1_3gpuE7ELNS1_3repE0EEENS1_36merge_oddeven_config_static_selectorELNS0_4arch9wavefront6targetE1EEEvSJ_
	.p2align	8
	.type	_ZN7rocprim17ROCPRIM_400000_NS6detail17trampoline_kernelINS0_14default_configENS1_38merge_sort_block_merge_config_selectorIiiEEZZNS1_27merge_sort_block_merge_implIS3_N6thrust23THRUST_200600_302600_NS6detail15normal_iteratorINS8_10device_ptrIiEEEESD_jNS1_19radix_merge_compareILb1ELb1EiNS0_19identity_decomposerEEEEE10hipError_tT0_T1_T2_jT3_P12ihipStream_tbPNSt15iterator_traitsISI_E10value_typeEPNSO_ISJ_E10value_typeEPSK_NS1_7vsmem_tEENKUlT_SI_SJ_SK_E_clISD_PiSD_S10_EESH_SX_SI_SJ_SK_EUlSX_E1_NS1_11comp_targetILNS1_3genE3ELNS1_11target_archE908ELNS1_3gpuE7ELNS1_3repE0EEENS1_36merge_oddeven_config_static_selectorELNS0_4arch9wavefront6targetE1EEEvSJ_,@function
_ZN7rocprim17ROCPRIM_400000_NS6detail17trampoline_kernelINS0_14default_configENS1_38merge_sort_block_merge_config_selectorIiiEEZZNS1_27merge_sort_block_merge_implIS3_N6thrust23THRUST_200600_302600_NS6detail15normal_iteratorINS8_10device_ptrIiEEEESD_jNS1_19radix_merge_compareILb1ELb1EiNS0_19identity_decomposerEEEEE10hipError_tT0_T1_T2_jT3_P12ihipStream_tbPNSt15iterator_traitsISI_E10value_typeEPNSO_ISJ_E10value_typeEPSK_NS1_7vsmem_tEENKUlT_SI_SJ_SK_E_clISD_PiSD_S10_EESH_SX_SI_SJ_SK_EUlSX_E1_NS1_11comp_targetILNS1_3genE3ELNS1_11target_archE908ELNS1_3gpuE7ELNS1_3repE0EEENS1_36merge_oddeven_config_static_selectorELNS0_4arch9wavefront6targetE1EEEvSJ_: ; @_ZN7rocprim17ROCPRIM_400000_NS6detail17trampoline_kernelINS0_14default_configENS1_38merge_sort_block_merge_config_selectorIiiEEZZNS1_27merge_sort_block_merge_implIS3_N6thrust23THRUST_200600_302600_NS6detail15normal_iteratorINS8_10device_ptrIiEEEESD_jNS1_19radix_merge_compareILb1ELb1EiNS0_19identity_decomposerEEEEE10hipError_tT0_T1_T2_jT3_P12ihipStream_tbPNSt15iterator_traitsISI_E10value_typeEPNSO_ISJ_E10value_typeEPSK_NS1_7vsmem_tEENKUlT_SI_SJ_SK_E_clISD_PiSD_S10_EESH_SX_SI_SJ_SK_EUlSX_E1_NS1_11comp_targetILNS1_3genE3ELNS1_11target_archE908ELNS1_3gpuE7ELNS1_3repE0EEENS1_36merge_oddeven_config_static_selectorELNS0_4arch9wavefront6targetE1EEEvSJ_
; %bb.0:
	.section	.rodata,"a",@progbits
	.p2align	6, 0x0
	.amdhsa_kernel _ZN7rocprim17ROCPRIM_400000_NS6detail17trampoline_kernelINS0_14default_configENS1_38merge_sort_block_merge_config_selectorIiiEEZZNS1_27merge_sort_block_merge_implIS3_N6thrust23THRUST_200600_302600_NS6detail15normal_iteratorINS8_10device_ptrIiEEEESD_jNS1_19radix_merge_compareILb1ELb1EiNS0_19identity_decomposerEEEEE10hipError_tT0_T1_T2_jT3_P12ihipStream_tbPNSt15iterator_traitsISI_E10value_typeEPNSO_ISJ_E10value_typeEPSK_NS1_7vsmem_tEENKUlT_SI_SJ_SK_E_clISD_PiSD_S10_EESH_SX_SI_SJ_SK_EUlSX_E1_NS1_11comp_targetILNS1_3genE3ELNS1_11target_archE908ELNS1_3gpuE7ELNS1_3repE0EEENS1_36merge_oddeven_config_static_selectorELNS0_4arch9wavefront6targetE1EEEvSJ_
		.amdhsa_group_segment_fixed_size 0
		.amdhsa_private_segment_fixed_size 0
		.amdhsa_kernarg_size 48
		.amdhsa_user_sgpr_count 2
		.amdhsa_user_sgpr_dispatch_ptr 0
		.amdhsa_user_sgpr_queue_ptr 0
		.amdhsa_user_sgpr_kernarg_segment_ptr 1
		.amdhsa_user_sgpr_dispatch_id 0
		.amdhsa_user_sgpr_kernarg_preload_length 0
		.amdhsa_user_sgpr_kernarg_preload_offset 0
		.amdhsa_user_sgpr_private_segment_size 0
		.amdhsa_uses_dynamic_stack 0
		.amdhsa_enable_private_segment 0
		.amdhsa_system_sgpr_workgroup_id_x 1
		.amdhsa_system_sgpr_workgroup_id_y 0
		.amdhsa_system_sgpr_workgroup_id_z 0
		.amdhsa_system_sgpr_workgroup_info 0
		.amdhsa_system_vgpr_workitem_id 0
		.amdhsa_next_free_vgpr 1
		.amdhsa_next_free_sgpr 0
		.amdhsa_accum_offset 4
		.amdhsa_reserve_vcc 0
		.amdhsa_float_round_mode_32 0
		.amdhsa_float_round_mode_16_64 0
		.amdhsa_float_denorm_mode_32 3
		.amdhsa_float_denorm_mode_16_64 3
		.amdhsa_dx10_clamp 1
		.amdhsa_ieee_mode 1
		.amdhsa_fp16_overflow 0
		.amdhsa_tg_split 0
		.amdhsa_exception_fp_ieee_invalid_op 0
		.amdhsa_exception_fp_denorm_src 0
		.amdhsa_exception_fp_ieee_div_zero 0
		.amdhsa_exception_fp_ieee_overflow 0
		.amdhsa_exception_fp_ieee_underflow 0
		.amdhsa_exception_fp_ieee_inexact 0
		.amdhsa_exception_int_div_zero 0
	.end_amdhsa_kernel
	.section	.text._ZN7rocprim17ROCPRIM_400000_NS6detail17trampoline_kernelINS0_14default_configENS1_38merge_sort_block_merge_config_selectorIiiEEZZNS1_27merge_sort_block_merge_implIS3_N6thrust23THRUST_200600_302600_NS6detail15normal_iteratorINS8_10device_ptrIiEEEESD_jNS1_19radix_merge_compareILb1ELb1EiNS0_19identity_decomposerEEEEE10hipError_tT0_T1_T2_jT3_P12ihipStream_tbPNSt15iterator_traitsISI_E10value_typeEPNSO_ISJ_E10value_typeEPSK_NS1_7vsmem_tEENKUlT_SI_SJ_SK_E_clISD_PiSD_S10_EESH_SX_SI_SJ_SK_EUlSX_E1_NS1_11comp_targetILNS1_3genE3ELNS1_11target_archE908ELNS1_3gpuE7ELNS1_3repE0EEENS1_36merge_oddeven_config_static_selectorELNS0_4arch9wavefront6targetE1EEEvSJ_,"axG",@progbits,_ZN7rocprim17ROCPRIM_400000_NS6detail17trampoline_kernelINS0_14default_configENS1_38merge_sort_block_merge_config_selectorIiiEEZZNS1_27merge_sort_block_merge_implIS3_N6thrust23THRUST_200600_302600_NS6detail15normal_iteratorINS8_10device_ptrIiEEEESD_jNS1_19radix_merge_compareILb1ELb1EiNS0_19identity_decomposerEEEEE10hipError_tT0_T1_T2_jT3_P12ihipStream_tbPNSt15iterator_traitsISI_E10value_typeEPNSO_ISJ_E10value_typeEPSK_NS1_7vsmem_tEENKUlT_SI_SJ_SK_E_clISD_PiSD_S10_EESH_SX_SI_SJ_SK_EUlSX_E1_NS1_11comp_targetILNS1_3genE3ELNS1_11target_archE908ELNS1_3gpuE7ELNS1_3repE0EEENS1_36merge_oddeven_config_static_selectorELNS0_4arch9wavefront6targetE1EEEvSJ_,comdat
.Lfunc_end977:
	.size	_ZN7rocprim17ROCPRIM_400000_NS6detail17trampoline_kernelINS0_14default_configENS1_38merge_sort_block_merge_config_selectorIiiEEZZNS1_27merge_sort_block_merge_implIS3_N6thrust23THRUST_200600_302600_NS6detail15normal_iteratorINS8_10device_ptrIiEEEESD_jNS1_19radix_merge_compareILb1ELb1EiNS0_19identity_decomposerEEEEE10hipError_tT0_T1_T2_jT3_P12ihipStream_tbPNSt15iterator_traitsISI_E10value_typeEPNSO_ISJ_E10value_typeEPSK_NS1_7vsmem_tEENKUlT_SI_SJ_SK_E_clISD_PiSD_S10_EESH_SX_SI_SJ_SK_EUlSX_E1_NS1_11comp_targetILNS1_3genE3ELNS1_11target_archE908ELNS1_3gpuE7ELNS1_3repE0EEENS1_36merge_oddeven_config_static_selectorELNS0_4arch9wavefront6targetE1EEEvSJ_, .Lfunc_end977-_ZN7rocprim17ROCPRIM_400000_NS6detail17trampoline_kernelINS0_14default_configENS1_38merge_sort_block_merge_config_selectorIiiEEZZNS1_27merge_sort_block_merge_implIS3_N6thrust23THRUST_200600_302600_NS6detail15normal_iteratorINS8_10device_ptrIiEEEESD_jNS1_19radix_merge_compareILb1ELb1EiNS0_19identity_decomposerEEEEE10hipError_tT0_T1_T2_jT3_P12ihipStream_tbPNSt15iterator_traitsISI_E10value_typeEPNSO_ISJ_E10value_typeEPSK_NS1_7vsmem_tEENKUlT_SI_SJ_SK_E_clISD_PiSD_S10_EESH_SX_SI_SJ_SK_EUlSX_E1_NS1_11comp_targetILNS1_3genE3ELNS1_11target_archE908ELNS1_3gpuE7ELNS1_3repE0EEENS1_36merge_oddeven_config_static_selectorELNS0_4arch9wavefront6targetE1EEEvSJ_
                                        ; -- End function
	.set _ZN7rocprim17ROCPRIM_400000_NS6detail17trampoline_kernelINS0_14default_configENS1_38merge_sort_block_merge_config_selectorIiiEEZZNS1_27merge_sort_block_merge_implIS3_N6thrust23THRUST_200600_302600_NS6detail15normal_iteratorINS8_10device_ptrIiEEEESD_jNS1_19radix_merge_compareILb1ELb1EiNS0_19identity_decomposerEEEEE10hipError_tT0_T1_T2_jT3_P12ihipStream_tbPNSt15iterator_traitsISI_E10value_typeEPNSO_ISJ_E10value_typeEPSK_NS1_7vsmem_tEENKUlT_SI_SJ_SK_E_clISD_PiSD_S10_EESH_SX_SI_SJ_SK_EUlSX_E1_NS1_11comp_targetILNS1_3genE3ELNS1_11target_archE908ELNS1_3gpuE7ELNS1_3repE0EEENS1_36merge_oddeven_config_static_selectorELNS0_4arch9wavefront6targetE1EEEvSJ_.num_vgpr, 0
	.set _ZN7rocprim17ROCPRIM_400000_NS6detail17trampoline_kernelINS0_14default_configENS1_38merge_sort_block_merge_config_selectorIiiEEZZNS1_27merge_sort_block_merge_implIS3_N6thrust23THRUST_200600_302600_NS6detail15normal_iteratorINS8_10device_ptrIiEEEESD_jNS1_19radix_merge_compareILb1ELb1EiNS0_19identity_decomposerEEEEE10hipError_tT0_T1_T2_jT3_P12ihipStream_tbPNSt15iterator_traitsISI_E10value_typeEPNSO_ISJ_E10value_typeEPSK_NS1_7vsmem_tEENKUlT_SI_SJ_SK_E_clISD_PiSD_S10_EESH_SX_SI_SJ_SK_EUlSX_E1_NS1_11comp_targetILNS1_3genE3ELNS1_11target_archE908ELNS1_3gpuE7ELNS1_3repE0EEENS1_36merge_oddeven_config_static_selectorELNS0_4arch9wavefront6targetE1EEEvSJ_.num_agpr, 0
	.set _ZN7rocprim17ROCPRIM_400000_NS6detail17trampoline_kernelINS0_14default_configENS1_38merge_sort_block_merge_config_selectorIiiEEZZNS1_27merge_sort_block_merge_implIS3_N6thrust23THRUST_200600_302600_NS6detail15normal_iteratorINS8_10device_ptrIiEEEESD_jNS1_19radix_merge_compareILb1ELb1EiNS0_19identity_decomposerEEEEE10hipError_tT0_T1_T2_jT3_P12ihipStream_tbPNSt15iterator_traitsISI_E10value_typeEPNSO_ISJ_E10value_typeEPSK_NS1_7vsmem_tEENKUlT_SI_SJ_SK_E_clISD_PiSD_S10_EESH_SX_SI_SJ_SK_EUlSX_E1_NS1_11comp_targetILNS1_3genE3ELNS1_11target_archE908ELNS1_3gpuE7ELNS1_3repE0EEENS1_36merge_oddeven_config_static_selectorELNS0_4arch9wavefront6targetE1EEEvSJ_.numbered_sgpr, 0
	.set _ZN7rocprim17ROCPRIM_400000_NS6detail17trampoline_kernelINS0_14default_configENS1_38merge_sort_block_merge_config_selectorIiiEEZZNS1_27merge_sort_block_merge_implIS3_N6thrust23THRUST_200600_302600_NS6detail15normal_iteratorINS8_10device_ptrIiEEEESD_jNS1_19radix_merge_compareILb1ELb1EiNS0_19identity_decomposerEEEEE10hipError_tT0_T1_T2_jT3_P12ihipStream_tbPNSt15iterator_traitsISI_E10value_typeEPNSO_ISJ_E10value_typeEPSK_NS1_7vsmem_tEENKUlT_SI_SJ_SK_E_clISD_PiSD_S10_EESH_SX_SI_SJ_SK_EUlSX_E1_NS1_11comp_targetILNS1_3genE3ELNS1_11target_archE908ELNS1_3gpuE7ELNS1_3repE0EEENS1_36merge_oddeven_config_static_selectorELNS0_4arch9wavefront6targetE1EEEvSJ_.num_named_barrier, 0
	.set _ZN7rocprim17ROCPRIM_400000_NS6detail17trampoline_kernelINS0_14default_configENS1_38merge_sort_block_merge_config_selectorIiiEEZZNS1_27merge_sort_block_merge_implIS3_N6thrust23THRUST_200600_302600_NS6detail15normal_iteratorINS8_10device_ptrIiEEEESD_jNS1_19radix_merge_compareILb1ELb1EiNS0_19identity_decomposerEEEEE10hipError_tT0_T1_T2_jT3_P12ihipStream_tbPNSt15iterator_traitsISI_E10value_typeEPNSO_ISJ_E10value_typeEPSK_NS1_7vsmem_tEENKUlT_SI_SJ_SK_E_clISD_PiSD_S10_EESH_SX_SI_SJ_SK_EUlSX_E1_NS1_11comp_targetILNS1_3genE3ELNS1_11target_archE908ELNS1_3gpuE7ELNS1_3repE0EEENS1_36merge_oddeven_config_static_selectorELNS0_4arch9wavefront6targetE1EEEvSJ_.private_seg_size, 0
	.set _ZN7rocprim17ROCPRIM_400000_NS6detail17trampoline_kernelINS0_14default_configENS1_38merge_sort_block_merge_config_selectorIiiEEZZNS1_27merge_sort_block_merge_implIS3_N6thrust23THRUST_200600_302600_NS6detail15normal_iteratorINS8_10device_ptrIiEEEESD_jNS1_19radix_merge_compareILb1ELb1EiNS0_19identity_decomposerEEEEE10hipError_tT0_T1_T2_jT3_P12ihipStream_tbPNSt15iterator_traitsISI_E10value_typeEPNSO_ISJ_E10value_typeEPSK_NS1_7vsmem_tEENKUlT_SI_SJ_SK_E_clISD_PiSD_S10_EESH_SX_SI_SJ_SK_EUlSX_E1_NS1_11comp_targetILNS1_3genE3ELNS1_11target_archE908ELNS1_3gpuE7ELNS1_3repE0EEENS1_36merge_oddeven_config_static_selectorELNS0_4arch9wavefront6targetE1EEEvSJ_.uses_vcc, 0
	.set _ZN7rocprim17ROCPRIM_400000_NS6detail17trampoline_kernelINS0_14default_configENS1_38merge_sort_block_merge_config_selectorIiiEEZZNS1_27merge_sort_block_merge_implIS3_N6thrust23THRUST_200600_302600_NS6detail15normal_iteratorINS8_10device_ptrIiEEEESD_jNS1_19radix_merge_compareILb1ELb1EiNS0_19identity_decomposerEEEEE10hipError_tT0_T1_T2_jT3_P12ihipStream_tbPNSt15iterator_traitsISI_E10value_typeEPNSO_ISJ_E10value_typeEPSK_NS1_7vsmem_tEENKUlT_SI_SJ_SK_E_clISD_PiSD_S10_EESH_SX_SI_SJ_SK_EUlSX_E1_NS1_11comp_targetILNS1_3genE3ELNS1_11target_archE908ELNS1_3gpuE7ELNS1_3repE0EEENS1_36merge_oddeven_config_static_selectorELNS0_4arch9wavefront6targetE1EEEvSJ_.uses_flat_scratch, 0
	.set _ZN7rocprim17ROCPRIM_400000_NS6detail17trampoline_kernelINS0_14default_configENS1_38merge_sort_block_merge_config_selectorIiiEEZZNS1_27merge_sort_block_merge_implIS3_N6thrust23THRUST_200600_302600_NS6detail15normal_iteratorINS8_10device_ptrIiEEEESD_jNS1_19radix_merge_compareILb1ELb1EiNS0_19identity_decomposerEEEEE10hipError_tT0_T1_T2_jT3_P12ihipStream_tbPNSt15iterator_traitsISI_E10value_typeEPNSO_ISJ_E10value_typeEPSK_NS1_7vsmem_tEENKUlT_SI_SJ_SK_E_clISD_PiSD_S10_EESH_SX_SI_SJ_SK_EUlSX_E1_NS1_11comp_targetILNS1_3genE3ELNS1_11target_archE908ELNS1_3gpuE7ELNS1_3repE0EEENS1_36merge_oddeven_config_static_selectorELNS0_4arch9wavefront6targetE1EEEvSJ_.has_dyn_sized_stack, 0
	.set _ZN7rocprim17ROCPRIM_400000_NS6detail17trampoline_kernelINS0_14default_configENS1_38merge_sort_block_merge_config_selectorIiiEEZZNS1_27merge_sort_block_merge_implIS3_N6thrust23THRUST_200600_302600_NS6detail15normal_iteratorINS8_10device_ptrIiEEEESD_jNS1_19radix_merge_compareILb1ELb1EiNS0_19identity_decomposerEEEEE10hipError_tT0_T1_T2_jT3_P12ihipStream_tbPNSt15iterator_traitsISI_E10value_typeEPNSO_ISJ_E10value_typeEPSK_NS1_7vsmem_tEENKUlT_SI_SJ_SK_E_clISD_PiSD_S10_EESH_SX_SI_SJ_SK_EUlSX_E1_NS1_11comp_targetILNS1_3genE3ELNS1_11target_archE908ELNS1_3gpuE7ELNS1_3repE0EEENS1_36merge_oddeven_config_static_selectorELNS0_4arch9wavefront6targetE1EEEvSJ_.has_recursion, 0
	.set _ZN7rocprim17ROCPRIM_400000_NS6detail17trampoline_kernelINS0_14default_configENS1_38merge_sort_block_merge_config_selectorIiiEEZZNS1_27merge_sort_block_merge_implIS3_N6thrust23THRUST_200600_302600_NS6detail15normal_iteratorINS8_10device_ptrIiEEEESD_jNS1_19radix_merge_compareILb1ELb1EiNS0_19identity_decomposerEEEEE10hipError_tT0_T1_T2_jT3_P12ihipStream_tbPNSt15iterator_traitsISI_E10value_typeEPNSO_ISJ_E10value_typeEPSK_NS1_7vsmem_tEENKUlT_SI_SJ_SK_E_clISD_PiSD_S10_EESH_SX_SI_SJ_SK_EUlSX_E1_NS1_11comp_targetILNS1_3genE3ELNS1_11target_archE908ELNS1_3gpuE7ELNS1_3repE0EEENS1_36merge_oddeven_config_static_selectorELNS0_4arch9wavefront6targetE1EEEvSJ_.has_indirect_call, 0
	.section	.AMDGPU.csdata,"",@progbits
; Kernel info:
; codeLenInByte = 0
; TotalNumSgprs: 6
; NumVgprs: 0
; NumAgprs: 0
; TotalNumVgprs: 0
; ScratchSize: 0
; MemoryBound: 0
; FloatMode: 240
; IeeeMode: 1
; LDSByteSize: 0 bytes/workgroup (compile time only)
; SGPRBlocks: 0
; VGPRBlocks: 0
; NumSGPRsForWavesPerEU: 6
; NumVGPRsForWavesPerEU: 1
; AccumOffset: 4
; Occupancy: 8
; WaveLimiterHint : 0
; COMPUTE_PGM_RSRC2:SCRATCH_EN: 0
; COMPUTE_PGM_RSRC2:USER_SGPR: 2
; COMPUTE_PGM_RSRC2:TRAP_HANDLER: 0
; COMPUTE_PGM_RSRC2:TGID_X_EN: 1
; COMPUTE_PGM_RSRC2:TGID_Y_EN: 0
; COMPUTE_PGM_RSRC2:TGID_Z_EN: 0
; COMPUTE_PGM_RSRC2:TIDIG_COMP_CNT: 0
; COMPUTE_PGM_RSRC3_GFX90A:ACCUM_OFFSET: 0
; COMPUTE_PGM_RSRC3_GFX90A:TG_SPLIT: 0
	.section	.text._ZN7rocprim17ROCPRIM_400000_NS6detail17trampoline_kernelINS0_14default_configENS1_38merge_sort_block_merge_config_selectorIiiEEZZNS1_27merge_sort_block_merge_implIS3_N6thrust23THRUST_200600_302600_NS6detail15normal_iteratorINS8_10device_ptrIiEEEESD_jNS1_19radix_merge_compareILb1ELb1EiNS0_19identity_decomposerEEEEE10hipError_tT0_T1_T2_jT3_P12ihipStream_tbPNSt15iterator_traitsISI_E10value_typeEPNSO_ISJ_E10value_typeEPSK_NS1_7vsmem_tEENKUlT_SI_SJ_SK_E_clISD_PiSD_S10_EESH_SX_SI_SJ_SK_EUlSX_E1_NS1_11comp_targetILNS1_3genE2ELNS1_11target_archE906ELNS1_3gpuE6ELNS1_3repE0EEENS1_36merge_oddeven_config_static_selectorELNS0_4arch9wavefront6targetE1EEEvSJ_,"axG",@progbits,_ZN7rocprim17ROCPRIM_400000_NS6detail17trampoline_kernelINS0_14default_configENS1_38merge_sort_block_merge_config_selectorIiiEEZZNS1_27merge_sort_block_merge_implIS3_N6thrust23THRUST_200600_302600_NS6detail15normal_iteratorINS8_10device_ptrIiEEEESD_jNS1_19radix_merge_compareILb1ELb1EiNS0_19identity_decomposerEEEEE10hipError_tT0_T1_T2_jT3_P12ihipStream_tbPNSt15iterator_traitsISI_E10value_typeEPNSO_ISJ_E10value_typeEPSK_NS1_7vsmem_tEENKUlT_SI_SJ_SK_E_clISD_PiSD_S10_EESH_SX_SI_SJ_SK_EUlSX_E1_NS1_11comp_targetILNS1_3genE2ELNS1_11target_archE906ELNS1_3gpuE6ELNS1_3repE0EEENS1_36merge_oddeven_config_static_selectorELNS0_4arch9wavefront6targetE1EEEvSJ_,comdat
	.protected	_ZN7rocprim17ROCPRIM_400000_NS6detail17trampoline_kernelINS0_14default_configENS1_38merge_sort_block_merge_config_selectorIiiEEZZNS1_27merge_sort_block_merge_implIS3_N6thrust23THRUST_200600_302600_NS6detail15normal_iteratorINS8_10device_ptrIiEEEESD_jNS1_19radix_merge_compareILb1ELb1EiNS0_19identity_decomposerEEEEE10hipError_tT0_T1_T2_jT3_P12ihipStream_tbPNSt15iterator_traitsISI_E10value_typeEPNSO_ISJ_E10value_typeEPSK_NS1_7vsmem_tEENKUlT_SI_SJ_SK_E_clISD_PiSD_S10_EESH_SX_SI_SJ_SK_EUlSX_E1_NS1_11comp_targetILNS1_3genE2ELNS1_11target_archE906ELNS1_3gpuE6ELNS1_3repE0EEENS1_36merge_oddeven_config_static_selectorELNS0_4arch9wavefront6targetE1EEEvSJ_ ; -- Begin function _ZN7rocprim17ROCPRIM_400000_NS6detail17trampoline_kernelINS0_14default_configENS1_38merge_sort_block_merge_config_selectorIiiEEZZNS1_27merge_sort_block_merge_implIS3_N6thrust23THRUST_200600_302600_NS6detail15normal_iteratorINS8_10device_ptrIiEEEESD_jNS1_19radix_merge_compareILb1ELb1EiNS0_19identity_decomposerEEEEE10hipError_tT0_T1_T2_jT3_P12ihipStream_tbPNSt15iterator_traitsISI_E10value_typeEPNSO_ISJ_E10value_typeEPSK_NS1_7vsmem_tEENKUlT_SI_SJ_SK_E_clISD_PiSD_S10_EESH_SX_SI_SJ_SK_EUlSX_E1_NS1_11comp_targetILNS1_3genE2ELNS1_11target_archE906ELNS1_3gpuE6ELNS1_3repE0EEENS1_36merge_oddeven_config_static_selectorELNS0_4arch9wavefront6targetE1EEEvSJ_
	.globl	_ZN7rocprim17ROCPRIM_400000_NS6detail17trampoline_kernelINS0_14default_configENS1_38merge_sort_block_merge_config_selectorIiiEEZZNS1_27merge_sort_block_merge_implIS3_N6thrust23THRUST_200600_302600_NS6detail15normal_iteratorINS8_10device_ptrIiEEEESD_jNS1_19radix_merge_compareILb1ELb1EiNS0_19identity_decomposerEEEEE10hipError_tT0_T1_T2_jT3_P12ihipStream_tbPNSt15iterator_traitsISI_E10value_typeEPNSO_ISJ_E10value_typeEPSK_NS1_7vsmem_tEENKUlT_SI_SJ_SK_E_clISD_PiSD_S10_EESH_SX_SI_SJ_SK_EUlSX_E1_NS1_11comp_targetILNS1_3genE2ELNS1_11target_archE906ELNS1_3gpuE6ELNS1_3repE0EEENS1_36merge_oddeven_config_static_selectorELNS0_4arch9wavefront6targetE1EEEvSJ_
	.p2align	8
	.type	_ZN7rocprim17ROCPRIM_400000_NS6detail17trampoline_kernelINS0_14default_configENS1_38merge_sort_block_merge_config_selectorIiiEEZZNS1_27merge_sort_block_merge_implIS3_N6thrust23THRUST_200600_302600_NS6detail15normal_iteratorINS8_10device_ptrIiEEEESD_jNS1_19radix_merge_compareILb1ELb1EiNS0_19identity_decomposerEEEEE10hipError_tT0_T1_T2_jT3_P12ihipStream_tbPNSt15iterator_traitsISI_E10value_typeEPNSO_ISJ_E10value_typeEPSK_NS1_7vsmem_tEENKUlT_SI_SJ_SK_E_clISD_PiSD_S10_EESH_SX_SI_SJ_SK_EUlSX_E1_NS1_11comp_targetILNS1_3genE2ELNS1_11target_archE906ELNS1_3gpuE6ELNS1_3repE0EEENS1_36merge_oddeven_config_static_selectorELNS0_4arch9wavefront6targetE1EEEvSJ_,@function
_ZN7rocprim17ROCPRIM_400000_NS6detail17trampoline_kernelINS0_14default_configENS1_38merge_sort_block_merge_config_selectorIiiEEZZNS1_27merge_sort_block_merge_implIS3_N6thrust23THRUST_200600_302600_NS6detail15normal_iteratorINS8_10device_ptrIiEEEESD_jNS1_19radix_merge_compareILb1ELb1EiNS0_19identity_decomposerEEEEE10hipError_tT0_T1_T2_jT3_P12ihipStream_tbPNSt15iterator_traitsISI_E10value_typeEPNSO_ISJ_E10value_typeEPSK_NS1_7vsmem_tEENKUlT_SI_SJ_SK_E_clISD_PiSD_S10_EESH_SX_SI_SJ_SK_EUlSX_E1_NS1_11comp_targetILNS1_3genE2ELNS1_11target_archE906ELNS1_3gpuE6ELNS1_3repE0EEENS1_36merge_oddeven_config_static_selectorELNS0_4arch9wavefront6targetE1EEEvSJ_: ; @_ZN7rocprim17ROCPRIM_400000_NS6detail17trampoline_kernelINS0_14default_configENS1_38merge_sort_block_merge_config_selectorIiiEEZZNS1_27merge_sort_block_merge_implIS3_N6thrust23THRUST_200600_302600_NS6detail15normal_iteratorINS8_10device_ptrIiEEEESD_jNS1_19radix_merge_compareILb1ELb1EiNS0_19identity_decomposerEEEEE10hipError_tT0_T1_T2_jT3_P12ihipStream_tbPNSt15iterator_traitsISI_E10value_typeEPNSO_ISJ_E10value_typeEPSK_NS1_7vsmem_tEENKUlT_SI_SJ_SK_E_clISD_PiSD_S10_EESH_SX_SI_SJ_SK_EUlSX_E1_NS1_11comp_targetILNS1_3genE2ELNS1_11target_archE906ELNS1_3gpuE6ELNS1_3repE0EEENS1_36merge_oddeven_config_static_selectorELNS0_4arch9wavefront6targetE1EEEvSJ_
; %bb.0:
	.section	.rodata,"a",@progbits
	.p2align	6, 0x0
	.amdhsa_kernel _ZN7rocprim17ROCPRIM_400000_NS6detail17trampoline_kernelINS0_14default_configENS1_38merge_sort_block_merge_config_selectorIiiEEZZNS1_27merge_sort_block_merge_implIS3_N6thrust23THRUST_200600_302600_NS6detail15normal_iteratorINS8_10device_ptrIiEEEESD_jNS1_19radix_merge_compareILb1ELb1EiNS0_19identity_decomposerEEEEE10hipError_tT0_T1_T2_jT3_P12ihipStream_tbPNSt15iterator_traitsISI_E10value_typeEPNSO_ISJ_E10value_typeEPSK_NS1_7vsmem_tEENKUlT_SI_SJ_SK_E_clISD_PiSD_S10_EESH_SX_SI_SJ_SK_EUlSX_E1_NS1_11comp_targetILNS1_3genE2ELNS1_11target_archE906ELNS1_3gpuE6ELNS1_3repE0EEENS1_36merge_oddeven_config_static_selectorELNS0_4arch9wavefront6targetE1EEEvSJ_
		.amdhsa_group_segment_fixed_size 0
		.amdhsa_private_segment_fixed_size 0
		.amdhsa_kernarg_size 48
		.amdhsa_user_sgpr_count 2
		.amdhsa_user_sgpr_dispatch_ptr 0
		.amdhsa_user_sgpr_queue_ptr 0
		.amdhsa_user_sgpr_kernarg_segment_ptr 1
		.amdhsa_user_sgpr_dispatch_id 0
		.amdhsa_user_sgpr_kernarg_preload_length 0
		.amdhsa_user_sgpr_kernarg_preload_offset 0
		.amdhsa_user_sgpr_private_segment_size 0
		.amdhsa_uses_dynamic_stack 0
		.amdhsa_enable_private_segment 0
		.amdhsa_system_sgpr_workgroup_id_x 1
		.amdhsa_system_sgpr_workgroup_id_y 0
		.amdhsa_system_sgpr_workgroup_id_z 0
		.amdhsa_system_sgpr_workgroup_info 0
		.amdhsa_system_vgpr_workitem_id 0
		.amdhsa_next_free_vgpr 1
		.amdhsa_next_free_sgpr 0
		.amdhsa_accum_offset 4
		.amdhsa_reserve_vcc 0
		.amdhsa_float_round_mode_32 0
		.amdhsa_float_round_mode_16_64 0
		.amdhsa_float_denorm_mode_32 3
		.amdhsa_float_denorm_mode_16_64 3
		.amdhsa_dx10_clamp 1
		.amdhsa_ieee_mode 1
		.amdhsa_fp16_overflow 0
		.amdhsa_tg_split 0
		.amdhsa_exception_fp_ieee_invalid_op 0
		.amdhsa_exception_fp_denorm_src 0
		.amdhsa_exception_fp_ieee_div_zero 0
		.amdhsa_exception_fp_ieee_overflow 0
		.amdhsa_exception_fp_ieee_underflow 0
		.amdhsa_exception_fp_ieee_inexact 0
		.amdhsa_exception_int_div_zero 0
	.end_amdhsa_kernel
	.section	.text._ZN7rocprim17ROCPRIM_400000_NS6detail17trampoline_kernelINS0_14default_configENS1_38merge_sort_block_merge_config_selectorIiiEEZZNS1_27merge_sort_block_merge_implIS3_N6thrust23THRUST_200600_302600_NS6detail15normal_iteratorINS8_10device_ptrIiEEEESD_jNS1_19radix_merge_compareILb1ELb1EiNS0_19identity_decomposerEEEEE10hipError_tT0_T1_T2_jT3_P12ihipStream_tbPNSt15iterator_traitsISI_E10value_typeEPNSO_ISJ_E10value_typeEPSK_NS1_7vsmem_tEENKUlT_SI_SJ_SK_E_clISD_PiSD_S10_EESH_SX_SI_SJ_SK_EUlSX_E1_NS1_11comp_targetILNS1_3genE2ELNS1_11target_archE906ELNS1_3gpuE6ELNS1_3repE0EEENS1_36merge_oddeven_config_static_selectorELNS0_4arch9wavefront6targetE1EEEvSJ_,"axG",@progbits,_ZN7rocprim17ROCPRIM_400000_NS6detail17trampoline_kernelINS0_14default_configENS1_38merge_sort_block_merge_config_selectorIiiEEZZNS1_27merge_sort_block_merge_implIS3_N6thrust23THRUST_200600_302600_NS6detail15normal_iteratorINS8_10device_ptrIiEEEESD_jNS1_19radix_merge_compareILb1ELb1EiNS0_19identity_decomposerEEEEE10hipError_tT0_T1_T2_jT3_P12ihipStream_tbPNSt15iterator_traitsISI_E10value_typeEPNSO_ISJ_E10value_typeEPSK_NS1_7vsmem_tEENKUlT_SI_SJ_SK_E_clISD_PiSD_S10_EESH_SX_SI_SJ_SK_EUlSX_E1_NS1_11comp_targetILNS1_3genE2ELNS1_11target_archE906ELNS1_3gpuE6ELNS1_3repE0EEENS1_36merge_oddeven_config_static_selectorELNS0_4arch9wavefront6targetE1EEEvSJ_,comdat
.Lfunc_end978:
	.size	_ZN7rocprim17ROCPRIM_400000_NS6detail17trampoline_kernelINS0_14default_configENS1_38merge_sort_block_merge_config_selectorIiiEEZZNS1_27merge_sort_block_merge_implIS3_N6thrust23THRUST_200600_302600_NS6detail15normal_iteratorINS8_10device_ptrIiEEEESD_jNS1_19radix_merge_compareILb1ELb1EiNS0_19identity_decomposerEEEEE10hipError_tT0_T1_T2_jT3_P12ihipStream_tbPNSt15iterator_traitsISI_E10value_typeEPNSO_ISJ_E10value_typeEPSK_NS1_7vsmem_tEENKUlT_SI_SJ_SK_E_clISD_PiSD_S10_EESH_SX_SI_SJ_SK_EUlSX_E1_NS1_11comp_targetILNS1_3genE2ELNS1_11target_archE906ELNS1_3gpuE6ELNS1_3repE0EEENS1_36merge_oddeven_config_static_selectorELNS0_4arch9wavefront6targetE1EEEvSJ_, .Lfunc_end978-_ZN7rocprim17ROCPRIM_400000_NS6detail17trampoline_kernelINS0_14default_configENS1_38merge_sort_block_merge_config_selectorIiiEEZZNS1_27merge_sort_block_merge_implIS3_N6thrust23THRUST_200600_302600_NS6detail15normal_iteratorINS8_10device_ptrIiEEEESD_jNS1_19radix_merge_compareILb1ELb1EiNS0_19identity_decomposerEEEEE10hipError_tT0_T1_T2_jT3_P12ihipStream_tbPNSt15iterator_traitsISI_E10value_typeEPNSO_ISJ_E10value_typeEPSK_NS1_7vsmem_tEENKUlT_SI_SJ_SK_E_clISD_PiSD_S10_EESH_SX_SI_SJ_SK_EUlSX_E1_NS1_11comp_targetILNS1_3genE2ELNS1_11target_archE906ELNS1_3gpuE6ELNS1_3repE0EEENS1_36merge_oddeven_config_static_selectorELNS0_4arch9wavefront6targetE1EEEvSJ_
                                        ; -- End function
	.set _ZN7rocprim17ROCPRIM_400000_NS6detail17trampoline_kernelINS0_14default_configENS1_38merge_sort_block_merge_config_selectorIiiEEZZNS1_27merge_sort_block_merge_implIS3_N6thrust23THRUST_200600_302600_NS6detail15normal_iteratorINS8_10device_ptrIiEEEESD_jNS1_19radix_merge_compareILb1ELb1EiNS0_19identity_decomposerEEEEE10hipError_tT0_T1_T2_jT3_P12ihipStream_tbPNSt15iterator_traitsISI_E10value_typeEPNSO_ISJ_E10value_typeEPSK_NS1_7vsmem_tEENKUlT_SI_SJ_SK_E_clISD_PiSD_S10_EESH_SX_SI_SJ_SK_EUlSX_E1_NS1_11comp_targetILNS1_3genE2ELNS1_11target_archE906ELNS1_3gpuE6ELNS1_3repE0EEENS1_36merge_oddeven_config_static_selectorELNS0_4arch9wavefront6targetE1EEEvSJ_.num_vgpr, 0
	.set _ZN7rocprim17ROCPRIM_400000_NS6detail17trampoline_kernelINS0_14default_configENS1_38merge_sort_block_merge_config_selectorIiiEEZZNS1_27merge_sort_block_merge_implIS3_N6thrust23THRUST_200600_302600_NS6detail15normal_iteratorINS8_10device_ptrIiEEEESD_jNS1_19radix_merge_compareILb1ELb1EiNS0_19identity_decomposerEEEEE10hipError_tT0_T1_T2_jT3_P12ihipStream_tbPNSt15iterator_traitsISI_E10value_typeEPNSO_ISJ_E10value_typeEPSK_NS1_7vsmem_tEENKUlT_SI_SJ_SK_E_clISD_PiSD_S10_EESH_SX_SI_SJ_SK_EUlSX_E1_NS1_11comp_targetILNS1_3genE2ELNS1_11target_archE906ELNS1_3gpuE6ELNS1_3repE0EEENS1_36merge_oddeven_config_static_selectorELNS0_4arch9wavefront6targetE1EEEvSJ_.num_agpr, 0
	.set _ZN7rocprim17ROCPRIM_400000_NS6detail17trampoline_kernelINS0_14default_configENS1_38merge_sort_block_merge_config_selectorIiiEEZZNS1_27merge_sort_block_merge_implIS3_N6thrust23THRUST_200600_302600_NS6detail15normal_iteratorINS8_10device_ptrIiEEEESD_jNS1_19radix_merge_compareILb1ELb1EiNS0_19identity_decomposerEEEEE10hipError_tT0_T1_T2_jT3_P12ihipStream_tbPNSt15iterator_traitsISI_E10value_typeEPNSO_ISJ_E10value_typeEPSK_NS1_7vsmem_tEENKUlT_SI_SJ_SK_E_clISD_PiSD_S10_EESH_SX_SI_SJ_SK_EUlSX_E1_NS1_11comp_targetILNS1_3genE2ELNS1_11target_archE906ELNS1_3gpuE6ELNS1_3repE0EEENS1_36merge_oddeven_config_static_selectorELNS0_4arch9wavefront6targetE1EEEvSJ_.numbered_sgpr, 0
	.set _ZN7rocprim17ROCPRIM_400000_NS6detail17trampoline_kernelINS0_14default_configENS1_38merge_sort_block_merge_config_selectorIiiEEZZNS1_27merge_sort_block_merge_implIS3_N6thrust23THRUST_200600_302600_NS6detail15normal_iteratorINS8_10device_ptrIiEEEESD_jNS1_19radix_merge_compareILb1ELb1EiNS0_19identity_decomposerEEEEE10hipError_tT0_T1_T2_jT3_P12ihipStream_tbPNSt15iterator_traitsISI_E10value_typeEPNSO_ISJ_E10value_typeEPSK_NS1_7vsmem_tEENKUlT_SI_SJ_SK_E_clISD_PiSD_S10_EESH_SX_SI_SJ_SK_EUlSX_E1_NS1_11comp_targetILNS1_3genE2ELNS1_11target_archE906ELNS1_3gpuE6ELNS1_3repE0EEENS1_36merge_oddeven_config_static_selectorELNS0_4arch9wavefront6targetE1EEEvSJ_.num_named_barrier, 0
	.set _ZN7rocprim17ROCPRIM_400000_NS6detail17trampoline_kernelINS0_14default_configENS1_38merge_sort_block_merge_config_selectorIiiEEZZNS1_27merge_sort_block_merge_implIS3_N6thrust23THRUST_200600_302600_NS6detail15normal_iteratorINS8_10device_ptrIiEEEESD_jNS1_19radix_merge_compareILb1ELb1EiNS0_19identity_decomposerEEEEE10hipError_tT0_T1_T2_jT3_P12ihipStream_tbPNSt15iterator_traitsISI_E10value_typeEPNSO_ISJ_E10value_typeEPSK_NS1_7vsmem_tEENKUlT_SI_SJ_SK_E_clISD_PiSD_S10_EESH_SX_SI_SJ_SK_EUlSX_E1_NS1_11comp_targetILNS1_3genE2ELNS1_11target_archE906ELNS1_3gpuE6ELNS1_3repE0EEENS1_36merge_oddeven_config_static_selectorELNS0_4arch9wavefront6targetE1EEEvSJ_.private_seg_size, 0
	.set _ZN7rocprim17ROCPRIM_400000_NS6detail17trampoline_kernelINS0_14default_configENS1_38merge_sort_block_merge_config_selectorIiiEEZZNS1_27merge_sort_block_merge_implIS3_N6thrust23THRUST_200600_302600_NS6detail15normal_iteratorINS8_10device_ptrIiEEEESD_jNS1_19radix_merge_compareILb1ELb1EiNS0_19identity_decomposerEEEEE10hipError_tT0_T1_T2_jT3_P12ihipStream_tbPNSt15iterator_traitsISI_E10value_typeEPNSO_ISJ_E10value_typeEPSK_NS1_7vsmem_tEENKUlT_SI_SJ_SK_E_clISD_PiSD_S10_EESH_SX_SI_SJ_SK_EUlSX_E1_NS1_11comp_targetILNS1_3genE2ELNS1_11target_archE906ELNS1_3gpuE6ELNS1_3repE0EEENS1_36merge_oddeven_config_static_selectorELNS0_4arch9wavefront6targetE1EEEvSJ_.uses_vcc, 0
	.set _ZN7rocprim17ROCPRIM_400000_NS6detail17trampoline_kernelINS0_14default_configENS1_38merge_sort_block_merge_config_selectorIiiEEZZNS1_27merge_sort_block_merge_implIS3_N6thrust23THRUST_200600_302600_NS6detail15normal_iteratorINS8_10device_ptrIiEEEESD_jNS1_19radix_merge_compareILb1ELb1EiNS0_19identity_decomposerEEEEE10hipError_tT0_T1_T2_jT3_P12ihipStream_tbPNSt15iterator_traitsISI_E10value_typeEPNSO_ISJ_E10value_typeEPSK_NS1_7vsmem_tEENKUlT_SI_SJ_SK_E_clISD_PiSD_S10_EESH_SX_SI_SJ_SK_EUlSX_E1_NS1_11comp_targetILNS1_3genE2ELNS1_11target_archE906ELNS1_3gpuE6ELNS1_3repE0EEENS1_36merge_oddeven_config_static_selectorELNS0_4arch9wavefront6targetE1EEEvSJ_.uses_flat_scratch, 0
	.set _ZN7rocprim17ROCPRIM_400000_NS6detail17trampoline_kernelINS0_14default_configENS1_38merge_sort_block_merge_config_selectorIiiEEZZNS1_27merge_sort_block_merge_implIS3_N6thrust23THRUST_200600_302600_NS6detail15normal_iteratorINS8_10device_ptrIiEEEESD_jNS1_19radix_merge_compareILb1ELb1EiNS0_19identity_decomposerEEEEE10hipError_tT0_T1_T2_jT3_P12ihipStream_tbPNSt15iterator_traitsISI_E10value_typeEPNSO_ISJ_E10value_typeEPSK_NS1_7vsmem_tEENKUlT_SI_SJ_SK_E_clISD_PiSD_S10_EESH_SX_SI_SJ_SK_EUlSX_E1_NS1_11comp_targetILNS1_3genE2ELNS1_11target_archE906ELNS1_3gpuE6ELNS1_3repE0EEENS1_36merge_oddeven_config_static_selectorELNS0_4arch9wavefront6targetE1EEEvSJ_.has_dyn_sized_stack, 0
	.set _ZN7rocprim17ROCPRIM_400000_NS6detail17trampoline_kernelINS0_14default_configENS1_38merge_sort_block_merge_config_selectorIiiEEZZNS1_27merge_sort_block_merge_implIS3_N6thrust23THRUST_200600_302600_NS6detail15normal_iteratorINS8_10device_ptrIiEEEESD_jNS1_19radix_merge_compareILb1ELb1EiNS0_19identity_decomposerEEEEE10hipError_tT0_T1_T2_jT3_P12ihipStream_tbPNSt15iterator_traitsISI_E10value_typeEPNSO_ISJ_E10value_typeEPSK_NS1_7vsmem_tEENKUlT_SI_SJ_SK_E_clISD_PiSD_S10_EESH_SX_SI_SJ_SK_EUlSX_E1_NS1_11comp_targetILNS1_3genE2ELNS1_11target_archE906ELNS1_3gpuE6ELNS1_3repE0EEENS1_36merge_oddeven_config_static_selectorELNS0_4arch9wavefront6targetE1EEEvSJ_.has_recursion, 0
	.set _ZN7rocprim17ROCPRIM_400000_NS6detail17trampoline_kernelINS0_14default_configENS1_38merge_sort_block_merge_config_selectorIiiEEZZNS1_27merge_sort_block_merge_implIS3_N6thrust23THRUST_200600_302600_NS6detail15normal_iteratorINS8_10device_ptrIiEEEESD_jNS1_19radix_merge_compareILb1ELb1EiNS0_19identity_decomposerEEEEE10hipError_tT0_T1_T2_jT3_P12ihipStream_tbPNSt15iterator_traitsISI_E10value_typeEPNSO_ISJ_E10value_typeEPSK_NS1_7vsmem_tEENKUlT_SI_SJ_SK_E_clISD_PiSD_S10_EESH_SX_SI_SJ_SK_EUlSX_E1_NS1_11comp_targetILNS1_3genE2ELNS1_11target_archE906ELNS1_3gpuE6ELNS1_3repE0EEENS1_36merge_oddeven_config_static_selectorELNS0_4arch9wavefront6targetE1EEEvSJ_.has_indirect_call, 0
	.section	.AMDGPU.csdata,"",@progbits
; Kernel info:
; codeLenInByte = 0
; TotalNumSgprs: 6
; NumVgprs: 0
; NumAgprs: 0
; TotalNumVgprs: 0
; ScratchSize: 0
; MemoryBound: 0
; FloatMode: 240
; IeeeMode: 1
; LDSByteSize: 0 bytes/workgroup (compile time only)
; SGPRBlocks: 0
; VGPRBlocks: 0
; NumSGPRsForWavesPerEU: 6
; NumVGPRsForWavesPerEU: 1
; AccumOffset: 4
; Occupancy: 8
; WaveLimiterHint : 0
; COMPUTE_PGM_RSRC2:SCRATCH_EN: 0
; COMPUTE_PGM_RSRC2:USER_SGPR: 2
; COMPUTE_PGM_RSRC2:TRAP_HANDLER: 0
; COMPUTE_PGM_RSRC2:TGID_X_EN: 1
; COMPUTE_PGM_RSRC2:TGID_Y_EN: 0
; COMPUTE_PGM_RSRC2:TGID_Z_EN: 0
; COMPUTE_PGM_RSRC2:TIDIG_COMP_CNT: 0
; COMPUTE_PGM_RSRC3_GFX90A:ACCUM_OFFSET: 0
; COMPUTE_PGM_RSRC3_GFX90A:TG_SPLIT: 0
	.section	.text._ZN7rocprim17ROCPRIM_400000_NS6detail17trampoline_kernelINS0_14default_configENS1_38merge_sort_block_merge_config_selectorIiiEEZZNS1_27merge_sort_block_merge_implIS3_N6thrust23THRUST_200600_302600_NS6detail15normal_iteratorINS8_10device_ptrIiEEEESD_jNS1_19radix_merge_compareILb1ELb1EiNS0_19identity_decomposerEEEEE10hipError_tT0_T1_T2_jT3_P12ihipStream_tbPNSt15iterator_traitsISI_E10value_typeEPNSO_ISJ_E10value_typeEPSK_NS1_7vsmem_tEENKUlT_SI_SJ_SK_E_clISD_PiSD_S10_EESH_SX_SI_SJ_SK_EUlSX_E1_NS1_11comp_targetILNS1_3genE9ELNS1_11target_archE1100ELNS1_3gpuE3ELNS1_3repE0EEENS1_36merge_oddeven_config_static_selectorELNS0_4arch9wavefront6targetE1EEEvSJ_,"axG",@progbits,_ZN7rocprim17ROCPRIM_400000_NS6detail17trampoline_kernelINS0_14default_configENS1_38merge_sort_block_merge_config_selectorIiiEEZZNS1_27merge_sort_block_merge_implIS3_N6thrust23THRUST_200600_302600_NS6detail15normal_iteratorINS8_10device_ptrIiEEEESD_jNS1_19radix_merge_compareILb1ELb1EiNS0_19identity_decomposerEEEEE10hipError_tT0_T1_T2_jT3_P12ihipStream_tbPNSt15iterator_traitsISI_E10value_typeEPNSO_ISJ_E10value_typeEPSK_NS1_7vsmem_tEENKUlT_SI_SJ_SK_E_clISD_PiSD_S10_EESH_SX_SI_SJ_SK_EUlSX_E1_NS1_11comp_targetILNS1_3genE9ELNS1_11target_archE1100ELNS1_3gpuE3ELNS1_3repE0EEENS1_36merge_oddeven_config_static_selectorELNS0_4arch9wavefront6targetE1EEEvSJ_,comdat
	.protected	_ZN7rocprim17ROCPRIM_400000_NS6detail17trampoline_kernelINS0_14default_configENS1_38merge_sort_block_merge_config_selectorIiiEEZZNS1_27merge_sort_block_merge_implIS3_N6thrust23THRUST_200600_302600_NS6detail15normal_iteratorINS8_10device_ptrIiEEEESD_jNS1_19radix_merge_compareILb1ELb1EiNS0_19identity_decomposerEEEEE10hipError_tT0_T1_T2_jT3_P12ihipStream_tbPNSt15iterator_traitsISI_E10value_typeEPNSO_ISJ_E10value_typeEPSK_NS1_7vsmem_tEENKUlT_SI_SJ_SK_E_clISD_PiSD_S10_EESH_SX_SI_SJ_SK_EUlSX_E1_NS1_11comp_targetILNS1_3genE9ELNS1_11target_archE1100ELNS1_3gpuE3ELNS1_3repE0EEENS1_36merge_oddeven_config_static_selectorELNS0_4arch9wavefront6targetE1EEEvSJ_ ; -- Begin function _ZN7rocprim17ROCPRIM_400000_NS6detail17trampoline_kernelINS0_14default_configENS1_38merge_sort_block_merge_config_selectorIiiEEZZNS1_27merge_sort_block_merge_implIS3_N6thrust23THRUST_200600_302600_NS6detail15normal_iteratorINS8_10device_ptrIiEEEESD_jNS1_19radix_merge_compareILb1ELb1EiNS0_19identity_decomposerEEEEE10hipError_tT0_T1_T2_jT3_P12ihipStream_tbPNSt15iterator_traitsISI_E10value_typeEPNSO_ISJ_E10value_typeEPSK_NS1_7vsmem_tEENKUlT_SI_SJ_SK_E_clISD_PiSD_S10_EESH_SX_SI_SJ_SK_EUlSX_E1_NS1_11comp_targetILNS1_3genE9ELNS1_11target_archE1100ELNS1_3gpuE3ELNS1_3repE0EEENS1_36merge_oddeven_config_static_selectorELNS0_4arch9wavefront6targetE1EEEvSJ_
	.globl	_ZN7rocprim17ROCPRIM_400000_NS6detail17trampoline_kernelINS0_14default_configENS1_38merge_sort_block_merge_config_selectorIiiEEZZNS1_27merge_sort_block_merge_implIS3_N6thrust23THRUST_200600_302600_NS6detail15normal_iteratorINS8_10device_ptrIiEEEESD_jNS1_19radix_merge_compareILb1ELb1EiNS0_19identity_decomposerEEEEE10hipError_tT0_T1_T2_jT3_P12ihipStream_tbPNSt15iterator_traitsISI_E10value_typeEPNSO_ISJ_E10value_typeEPSK_NS1_7vsmem_tEENKUlT_SI_SJ_SK_E_clISD_PiSD_S10_EESH_SX_SI_SJ_SK_EUlSX_E1_NS1_11comp_targetILNS1_3genE9ELNS1_11target_archE1100ELNS1_3gpuE3ELNS1_3repE0EEENS1_36merge_oddeven_config_static_selectorELNS0_4arch9wavefront6targetE1EEEvSJ_
	.p2align	8
	.type	_ZN7rocprim17ROCPRIM_400000_NS6detail17trampoline_kernelINS0_14default_configENS1_38merge_sort_block_merge_config_selectorIiiEEZZNS1_27merge_sort_block_merge_implIS3_N6thrust23THRUST_200600_302600_NS6detail15normal_iteratorINS8_10device_ptrIiEEEESD_jNS1_19radix_merge_compareILb1ELb1EiNS0_19identity_decomposerEEEEE10hipError_tT0_T1_T2_jT3_P12ihipStream_tbPNSt15iterator_traitsISI_E10value_typeEPNSO_ISJ_E10value_typeEPSK_NS1_7vsmem_tEENKUlT_SI_SJ_SK_E_clISD_PiSD_S10_EESH_SX_SI_SJ_SK_EUlSX_E1_NS1_11comp_targetILNS1_3genE9ELNS1_11target_archE1100ELNS1_3gpuE3ELNS1_3repE0EEENS1_36merge_oddeven_config_static_selectorELNS0_4arch9wavefront6targetE1EEEvSJ_,@function
_ZN7rocprim17ROCPRIM_400000_NS6detail17trampoline_kernelINS0_14default_configENS1_38merge_sort_block_merge_config_selectorIiiEEZZNS1_27merge_sort_block_merge_implIS3_N6thrust23THRUST_200600_302600_NS6detail15normal_iteratorINS8_10device_ptrIiEEEESD_jNS1_19radix_merge_compareILb1ELb1EiNS0_19identity_decomposerEEEEE10hipError_tT0_T1_T2_jT3_P12ihipStream_tbPNSt15iterator_traitsISI_E10value_typeEPNSO_ISJ_E10value_typeEPSK_NS1_7vsmem_tEENKUlT_SI_SJ_SK_E_clISD_PiSD_S10_EESH_SX_SI_SJ_SK_EUlSX_E1_NS1_11comp_targetILNS1_3genE9ELNS1_11target_archE1100ELNS1_3gpuE3ELNS1_3repE0EEENS1_36merge_oddeven_config_static_selectorELNS0_4arch9wavefront6targetE1EEEvSJ_: ; @_ZN7rocprim17ROCPRIM_400000_NS6detail17trampoline_kernelINS0_14default_configENS1_38merge_sort_block_merge_config_selectorIiiEEZZNS1_27merge_sort_block_merge_implIS3_N6thrust23THRUST_200600_302600_NS6detail15normal_iteratorINS8_10device_ptrIiEEEESD_jNS1_19radix_merge_compareILb1ELb1EiNS0_19identity_decomposerEEEEE10hipError_tT0_T1_T2_jT3_P12ihipStream_tbPNSt15iterator_traitsISI_E10value_typeEPNSO_ISJ_E10value_typeEPSK_NS1_7vsmem_tEENKUlT_SI_SJ_SK_E_clISD_PiSD_S10_EESH_SX_SI_SJ_SK_EUlSX_E1_NS1_11comp_targetILNS1_3genE9ELNS1_11target_archE1100ELNS1_3gpuE3ELNS1_3repE0EEENS1_36merge_oddeven_config_static_selectorELNS0_4arch9wavefront6targetE1EEEvSJ_
; %bb.0:
	.section	.rodata,"a",@progbits
	.p2align	6, 0x0
	.amdhsa_kernel _ZN7rocprim17ROCPRIM_400000_NS6detail17trampoline_kernelINS0_14default_configENS1_38merge_sort_block_merge_config_selectorIiiEEZZNS1_27merge_sort_block_merge_implIS3_N6thrust23THRUST_200600_302600_NS6detail15normal_iteratorINS8_10device_ptrIiEEEESD_jNS1_19radix_merge_compareILb1ELb1EiNS0_19identity_decomposerEEEEE10hipError_tT0_T1_T2_jT3_P12ihipStream_tbPNSt15iterator_traitsISI_E10value_typeEPNSO_ISJ_E10value_typeEPSK_NS1_7vsmem_tEENKUlT_SI_SJ_SK_E_clISD_PiSD_S10_EESH_SX_SI_SJ_SK_EUlSX_E1_NS1_11comp_targetILNS1_3genE9ELNS1_11target_archE1100ELNS1_3gpuE3ELNS1_3repE0EEENS1_36merge_oddeven_config_static_selectorELNS0_4arch9wavefront6targetE1EEEvSJ_
		.amdhsa_group_segment_fixed_size 0
		.amdhsa_private_segment_fixed_size 0
		.amdhsa_kernarg_size 48
		.amdhsa_user_sgpr_count 2
		.amdhsa_user_sgpr_dispatch_ptr 0
		.amdhsa_user_sgpr_queue_ptr 0
		.amdhsa_user_sgpr_kernarg_segment_ptr 1
		.amdhsa_user_sgpr_dispatch_id 0
		.amdhsa_user_sgpr_kernarg_preload_length 0
		.amdhsa_user_sgpr_kernarg_preload_offset 0
		.amdhsa_user_sgpr_private_segment_size 0
		.amdhsa_uses_dynamic_stack 0
		.amdhsa_enable_private_segment 0
		.amdhsa_system_sgpr_workgroup_id_x 1
		.amdhsa_system_sgpr_workgroup_id_y 0
		.amdhsa_system_sgpr_workgroup_id_z 0
		.amdhsa_system_sgpr_workgroup_info 0
		.amdhsa_system_vgpr_workitem_id 0
		.amdhsa_next_free_vgpr 1
		.amdhsa_next_free_sgpr 0
		.amdhsa_accum_offset 4
		.amdhsa_reserve_vcc 0
		.amdhsa_float_round_mode_32 0
		.amdhsa_float_round_mode_16_64 0
		.amdhsa_float_denorm_mode_32 3
		.amdhsa_float_denorm_mode_16_64 3
		.amdhsa_dx10_clamp 1
		.amdhsa_ieee_mode 1
		.amdhsa_fp16_overflow 0
		.amdhsa_tg_split 0
		.amdhsa_exception_fp_ieee_invalid_op 0
		.amdhsa_exception_fp_denorm_src 0
		.amdhsa_exception_fp_ieee_div_zero 0
		.amdhsa_exception_fp_ieee_overflow 0
		.amdhsa_exception_fp_ieee_underflow 0
		.amdhsa_exception_fp_ieee_inexact 0
		.amdhsa_exception_int_div_zero 0
	.end_amdhsa_kernel
	.section	.text._ZN7rocprim17ROCPRIM_400000_NS6detail17trampoline_kernelINS0_14default_configENS1_38merge_sort_block_merge_config_selectorIiiEEZZNS1_27merge_sort_block_merge_implIS3_N6thrust23THRUST_200600_302600_NS6detail15normal_iteratorINS8_10device_ptrIiEEEESD_jNS1_19radix_merge_compareILb1ELb1EiNS0_19identity_decomposerEEEEE10hipError_tT0_T1_T2_jT3_P12ihipStream_tbPNSt15iterator_traitsISI_E10value_typeEPNSO_ISJ_E10value_typeEPSK_NS1_7vsmem_tEENKUlT_SI_SJ_SK_E_clISD_PiSD_S10_EESH_SX_SI_SJ_SK_EUlSX_E1_NS1_11comp_targetILNS1_3genE9ELNS1_11target_archE1100ELNS1_3gpuE3ELNS1_3repE0EEENS1_36merge_oddeven_config_static_selectorELNS0_4arch9wavefront6targetE1EEEvSJ_,"axG",@progbits,_ZN7rocprim17ROCPRIM_400000_NS6detail17trampoline_kernelINS0_14default_configENS1_38merge_sort_block_merge_config_selectorIiiEEZZNS1_27merge_sort_block_merge_implIS3_N6thrust23THRUST_200600_302600_NS6detail15normal_iteratorINS8_10device_ptrIiEEEESD_jNS1_19radix_merge_compareILb1ELb1EiNS0_19identity_decomposerEEEEE10hipError_tT0_T1_T2_jT3_P12ihipStream_tbPNSt15iterator_traitsISI_E10value_typeEPNSO_ISJ_E10value_typeEPSK_NS1_7vsmem_tEENKUlT_SI_SJ_SK_E_clISD_PiSD_S10_EESH_SX_SI_SJ_SK_EUlSX_E1_NS1_11comp_targetILNS1_3genE9ELNS1_11target_archE1100ELNS1_3gpuE3ELNS1_3repE0EEENS1_36merge_oddeven_config_static_selectorELNS0_4arch9wavefront6targetE1EEEvSJ_,comdat
.Lfunc_end979:
	.size	_ZN7rocprim17ROCPRIM_400000_NS6detail17trampoline_kernelINS0_14default_configENS1_38merge_sort_block_merge_config_selectorIiiEEZZNS1_27merge_sort_block_merge_implIS3_N6thrust23THRUST_200600_302600_NS6detail15normal_iteratorINS8_10device_ptrIiEEEESD_jNS1_19radix_merge_compareILb1ELb1EiNS0_19identity_decomposerEEEEE10hipError_tT0_T1_T2_jT3_P12ihipStream_tbPNSt15iterator_traitsISI_E10value_typeEPNSO_ISJ_E10value_typeEPSK_NS1_7vsmem_tEENKUlT_SI_SJ_SK_E_clISD_PiSD_S10_EESH_SX_SI_SJ_SK_EUlSX_E1_NS1_11comp_targetILNS1_3genE9ELNS1_11target_archE1100ELNS1_3gpuE3ELNS1_3repE0EEENS1_36merge_oddeven_config_static_selectorELNS0_4arch9wavefront6targetE1EEEvSJ_, .Lfunc_end979-_ZN7rocprim17ROCPRIM_400000_NS6detail17trampoline_kernelINS0_14default_configENS1_38merge_sort_block_merge_config_selectorIiiEEZZNS1_27merge_sort_block_merge_implIS3_N6thrust23THRUST_200600_302600_NS6detail15normal_iteratorINS8_10device_ptrIiEEEESD_jNS1_19radix_merge_compareILb1ELb1EiNS0_19identity_decomposerEEEEE10hipError_tT0_T1_T2_jT3_P12ihipStream_tbPNSt15iterator_traitsISI_E10value_typeEPNSO_ISJ_E10value_typeEPSK_NS1_7vsmem_tEENKUlT_SI_SJ_SK_E_clISD_PiSD_S10_EESH_SX_SI_SJ_SK_EUlSX_E1_NS1_11comp_targetILNS1_3genE9ELNS1_11target_archE1100ELNS1_3gpuE3ELNS1_3repE0EEENS1_36merge_oddeven_config_static_selectorELNS0_4arch9wavefront6targetE1EEEvSJ_
                                        ; -- End function
	.set _ZN7rocprim17ROCPRIM_400000_NS6detail17trampoline_kernelINS0_14default_configENS1_38merge_sort_block_merge_config_selectorIiiEEZZNS1_27merge_sort_block_merge_implIS3_N6thrust23THRUST_200600_302600_NS6detail15normal_iteratorINS8_10device_ptrIiEEEESD_jNS1_19radix_merge_compareILb1ELb1EiNS0_19identity_decomposerEEEEE10hipError_tT0_T1_T2_jT3_P12ihipStream_tbPNSt15iterator_traitsISI_E10value_typeEPNSO_ISJ_E10value_typeEPSK_NS1_7vsmem_tEENKUlT_SI_SJ_SK_E_clISD_PiSD_S10_EESH_SX_SI_SJ_SK_EUlSX_E1_NS1_11comp_targetILNS1_3genE9ELNS1_11target_archE1100ELNS1_3gpuE3ELNS1_3repE0EEENS1_36merge_oddeven_config_static_selectorELNS0_4arch9wavefront6targetE1EEEvSJ_.num_vgpr, 0
	.set _ZN7rocprim17ROCPRIM_400000_NS6detail17trampoline_kernelINS0_14default_configENS1_38merge_sort_block_merge_config_selectorIiiEEZZNS1_27merge_sort_block_merge_implIS3_N6thrust23THRUST_200600_302600_NS6detail15normal_iteratorINS8_10device_ptrIiEEEESD_jNS1_19radix_merge_compareILb1ELb1EiNS0_19identity_decomposerEEEEE10hipError_tT0_T1_T2_jT3_P12ihipStream_tbPNSt15iterator_traitsISI_E10value_typeEPNSO_ISJ_E10value_typeEPSK_NS1_7vsmem_tEENKUlT_SI_SJ_SK_E_clISD_PiSD_S10_EESH_SX_SI_SJ_SK_EUlSX_E1_NS1_11comp_targetILNS1_3genE9ELNS1_11target_archE1100ELNS1_3gpuE3ELNS1_3repE0EEENS1_36merge_oddeven_config_static_selectorELNS0_4arch9wavefront6targetE1EEEvSJ_.num_agpr, 0
	.set _ZN7rocprim17ROCPRIM_400000_NS6detail17trampoline_kernelINS0_14default_configENS1_38merge_sort_block_merge_config_selectorIiiEEZZNS1_27merge_sort_block_merge_implIS3_N6thrust23THRUST_200600_302600_NS6detail15normal_iteratorINS8_10device_ptrIiEEEESD_jNS1_19radix_merge_compareILb1ELb1EiNS0_19identity_decomposerEEEEE10hipError_tT0_T1_T2_jT3_P12ihipStream_tbPNSt15iterator_traitsISI_E10value_typeEPNSO_ISJ_E10value_typeEPSK_NS1_7vsmem_tEENKUlT_SI_SJ_SK_E_clISD_PiSD_S10_EESH_SX_SI_SJ_SK_EUlSX_E1_NS1_11comp_targetILNS1_3genE9ELNS1_11target_archE1100ELNS1_3gpuE3ELNS1_3repE0EEENS1_36merge_oddeven_config_static_selectorELNS0_4arch9wavefront6targetE1EEEvSJ_.numbered_sgpr, 0
	.set _ZN7rocprim17ROCPRIM_400000_NS6detail17trampoline_kernelINS0_14default_configENS1_38merge_sort_block_merge_config_selectorIiiEEZZNS1_27merge_sort_block_merge_implIS3_N6thrust23THRUST_200600_302600_NS6detail15normal_iteratorINS8_10device_ptrIiEEEESD_jNS1_19radix_merge_compareILb1ELb1EiNS0_19identity_decomposerEEEEE10hipError_tT0_T1_T2_jT3_P12ihipStream_tbPNSt15iterator_traitsISI_E10value_typeEPNSO_ISJ_E10value_typeEPSK_NS1_7vsmem_tEENKUlT_SI_SJ_SK_E_clISD_PiSD_S10_EESH_SX_SI_SJ_SK_EUlSX_E1_NS1_11comp_targetILNS1_3genE9ELNS1_11target_archE1100ELNS1_3gpuE3ELNS1_3repE0EEENS1_36merge_oddeven_config_static_selectorELNS0_4arch9wavefront6targetE1EEEvSJ_.num_named_barrier, 0
	.set _ZN7rocprim17ROCPRIM_400000_NS6detail17trampoline_kernelINS0_14default_configENS1_38merge_sort_block_merge_config_selectorIiiEEZZNS1_27merge_sort_block_merge_implIS3_N6thrust23THRUST_200600_302600_NS6detail15normal_iteratorINS8_10device_ptrIiEEEESD_jNS1_19radix_merge_compareILb1ELb1EiNS0_19identity_decomposerEEEEE10hipError_tT0_T1_T2_jT3_P12ihipStream_tbPNSt15iterator_traitsISI_E10value_typeEPNSO_ISJ_E10value_typeEPSK_NS1_7vsmem_tEENKUlT_SI_SJ_SK_E_clISD_PiSD_S10_EESH_SX_SI_SJ_SK_EUlSX_E1_NS1_11comp_targetILNS1_3genE9ELNS1_11target_archE1100ELNS1_3gpuE3ELNS1_3repE0EEENS1_36merge_oddeven_config_static_selectorELNS0_4arch9wavefront6targetE1EEEvSJ_.private_seg_size, 0
	.set _ZN7rocprim17ROCPRIM_400000_NS6detail17trampoline_kernelINS0_14default_configENS1_38merge_sort_block_merge_config_selectorIiiEEZZNS1_27merge_sort_block_merge_implIS3_N6thrust23THRUST_200600_302600_NS6detail15normal_iteratorINS8_10device_ptrIiEEEESD_jNS1_19radix_merge_compareILb1ELb1EiNS0_19identity_decomposerEEEEE10hipError_tT0_T1_T2_jT3_P12ihipStream_tbPNSt15iterator_traitsISI_E10value_typeEPNSO_ISJ_E10value_typeEPSK_NS1_7vsmem_tEENKUlT_SI_SJ_SK_E_clISD_PiSD_S10_EESH_SX_SI_SJ_SK_EUlSX_E1_NS1_11comp_targetILNS1_3genE9ELNS1_11target_archE1100ELNS1_3gpuE3ELNS1_3repE0EEENS1_36merge_oddeven_config_static_selectorELNS0_4arch9wavefront6targetE1EEEvSJ_.uses_vcc, 0
	.set _ZN7rocprim17ROCPRIM_400000_NS6detail17trampoline_kernelINS0_14default_configENS1_38merge_sort_block_merge_config_selectorIiiEEZZNS1_27merge_sort_block_merge_implIS3_N6thrust23THRUST_200600_302600_NS6detail15normal_iteratorINS8_10device_ptrIiEEEESD_jNS1_19radix_merge_compareILb1ELb1EiNS0_19identity_decomposerEEEEE10hipError_tT0_T1_T2_jT3_P12ihipStream_tbPNSt15iterator_traitsISI_E10value_typeEPNSO_ISJ_E10value_typeEPSK_NS1_7vsmem_tEENKUlT_SI_SJ_SK_E_clISD_PiSD_S10_EESH_SX_SI_SJ_SK_EUlSX_E1_NS1_11comp_targetILNS1_3genE9ELNS1_11target_archE1100ELNS1_3gpuE3ELNS1_3repE0EEENS1_36merge_oddeven_config_static_selectorELNS0_4arch9wavefront6targetE1EEEvSJ_.uses_flat_scratch, 0
	.set _ZN7rocprim17ROCPRIM_400000_NS6detail17trampoline_kernelINS0_14default_configENS1_38merge_sort_block_merge_config_selectorIiiEEZZNS1_27merge_sort_block_merge_implIS3_N6thrust23THRUST_200600_302600_NS6detail15normal_iteratorINS8_10device_ptrIiEEEESD_jNS1_19radix_merge_compareILb1ELb1EiNS0_19identity_decomposerEEEEE10hipError_tT0_T1_T2_jT3_P12ihipStream_tbPNSt15iterator_traitsISI_E10value_typeEPNSO_ISJ_E10value_typeEPSK_NS1_7vsmem_tEENKUlT_SI_SJ_SK_E_clISD_PiSD_S10_EESH_SX_SI_SJ_SK_EUlSX_E1_NS1_11comp_targetILNS1_3genE9ELNS1_11target_archE1100ELNS1_3gpuE3ELNS1_3repE0EEENS1_36merge_oddeven_config_static_selectorELNS0_4arch9wavefront6targetE1EEEvSJ_.has_dyn_sized_stack, 0
	.set _ZN7rocprim17ROCPRIM_400000_NS6detail17trampoline_kernelINS0_14default_configENS1_38merge_sort_block_merge_config_selectorIiiEEZZNS1_27merge_sort_block_merge_implIS3_N6thrust23THRUST_200600_302600_NS6detail15normal_iteratorINS8_10device_ptrIiEEEESD_jNS1_19radix_merge_compareILb1ELb1EiNS0_19identity_decomposerEEEEE10hipError_tT0_T1_T2_jT3_P12ihipStream_tbPNSt15iterator_traitsISI_E10value_typeEPNSO_ISJ_E10value_typeEPSK_NS1_7vsmem_tEENKUlT_SI_SJ_SK_E_clISD_PiSD_S10_EESH_SX_SI_SJ_SK_EUlSX_E1_NS1_11comp_targetILNS1_3genE9ELNS1_11target_archE1100ELNS1_3gpuE3ELNS1_3repE0EEENS1_36merge_oddeven_config_static_selectorELNS0_4arch9wavefront6targetE1EEEvSJ_.has_recursion, 0
	.set _ZN7rocprim17ROCPRIM_400000_NS6detail17trampoline_kernelINS0_14default_configENS1_38merge_sort_block_merge_config_selectorIiiEEZZNS1_27merge_sort_block_merge_implIS3_N6thrust23THRUST_200600_302600_NS6detail15normal_iteratorINS8_10device_ptrIiEEEESD_jNS1_19radix_merge_compareILb1ELb1EiNS0_19identity_decomposerEEEEE10hipError_tT0_T1_T2_jT3_P12ihipStream_tbPNSt15iterator_traitsISI_E10value_typeEPNSO_ISJ_E10value_typeEPSK_NS1_7vsmem_tEENKUlT_SI_SJ_SK_E_clISD_PiSD_S10_EESH_SX_SI_SJ_SK_EUlSX_E1_NS1_11comp_targetILNS1_3genE9ELNS1_11target_archE1100ELNS1_3gpuE3ELNS1_3repE0EEENS1_36merge_oddeven_config_static_selectorELNS0_4arch9wavefront6targetE1EEEvSJ_.has_indirect_call, 0
	.section	.AMDGPU.csdata,"",@progbits
; Kernel info:
; codeLenInByte = 0
; TotalNumSgprs: 6
; NumVgprs: 0
; NumAgprs: 0
; TotalNumVgprs: 0
; ScratchSize: 0
; MemoryBound: 0
; FloatMode: 240
; IeeeMode: 1
; LDSByteSize: 0 bytes/workgroup (compile time only)
; SGPRBlocks: 0
; VGPRBlocks: 0
; NumSGPRsForWavesPerEU: 6
; NumVGPRsForWavesPerEU: 1
; AccumOffset: 4
; Occupancy: 8
; WaveLimiterHint : 0
; COMPUTE_PGM_RSRC2:SCRATCH_EN: 0
; COMPUTE_PGM_RSRC2:USER_SGPR: 2
; COMPUTE_PGM_RSRC2:TRAP_HANDLER: 0
; COMPUTE_PGM_RSRC2:TGID_X_EN: 1
; COMPUTE_PGM_RSRC2:TGID_Y_EN: 0
; COMPUTE_PGM_RSRC2:TGID_Z_EN: 0
; COMPUTE_PGM_RSRC2:TIDIG_COMP_CNT: 0
; COMPUTE_PGM_RSRC3_GFX90A:ACCUM_OFFSET: 0
; COMPUTE_PGM_RSRC3_GFX90A:TG_SPLIT: 0
	.section	.text._ZN7rocprim17ROCPRIM_400000_NS6detail17trampoline_kernelINS0_14default_configENS1_38merge_sort_block_merge_config_selectorIiiEEZZNS1_27merge_sort_block_merge_implIS3_N6thrust23THRUST_200600_302600_NS6detail15normal_iteratorINS8_10device_ptrIiEEEESD_jNS1_19radix_merge_compareILb1ELb1EiNS0_19identity_decomposerEEEEE10hipError_tT0_T1_T2_jT3_P12ihipStream_tbPNSt15iterator_traitsISI_E10value_typeEPNSO_ISJ_E10value_typeEPSK_NS1_7vsmem_tEENKUlT_SI_SJ_SK_E_clISD_PiSD_S10_EESH_SX_SI_SJ_SK_EUlSX_E1_NS1_11comp_targetILNS1_3genE8ELNS1_11target_archE1030ELNS1_3gpuE2ELNS1_3repE0EEENS1_36merge_oddeven_config_static_selectorELNS0_4arch9wavefront6targetE1EEEvSJ_,"axG",@progbits,_ZN7rocprim17ROCPRIM_400000_NS6detail17trampoline_kernelINS0_14default_configENS1_38merge_sort_block_merge_config_selectorIiiEEZZNS1_27merge_sort_block_merge_implIS3_N6thrust23THRUST_200600_302600_NS6detail15normal_iteratorINS8_10device_ptrIiEEEESD_jNS1_19radix_merge_compareILb1ELb1EiNS0_19identity_decomposerEEEEE10hipError_tT0_T1_T2_jT3_P12ihipStream_tbPNSt15iterator_traitsISI_E10value_typeEPNSO_ISJ_E10value_typeEPSK_NS1_7vsmem_tEENKUlT_SI_SJ_SK_E_clISD_PiSD_S10_EESH_SX_SI_SJ_SK_EUlSX_E1_NS1_11comp_targetILNS1_3genE8ELNS1_11target_archE1030ELNS1_3gpuE2ELNS1_3repE0EEENS1_36merge_oddeven_config_static_selectorELNS0_4arch9wavefront6targetE1EEEvSJ_,comdat
	.protected	_ZN7rocprim17ROCPRIM_400000_NS6detail17trampoline_kernelINS0_14default_configENS1_38merge_sort_block_merge_config_selectorIiiEEZZNS1_27merge_sort_block_merge_implIS3_N6thrust23THRUST_200600_302600_NS6detail15normal_iteratorINS8_10device_ptrIiEEEESD_jNS1_19radix_merge_compareILb1ELb1EiNS0_19identity_decomposerEEEEE10hipError_tT0_T1_T2_jT3_P12ihipStream_tbPNSt15iterator_traitsISI_E10value_typeEPNSO_ISJ_E10value_typeEPSK_NS1_7vsmem_tEENKUlT_SI_SJ_SK_E_clISD_PiSD_S10_EESH_SX_SI_SJ_SK_EUlSX_E1_NS1_11comp_targetILNS1_3genE8ELNS1_11target_archE1030ELNS1_3gpuE2ELNS1_3repE0EEENS1_36merge_oddeven_config_static_selectorELNS0_4arch9wavefront6targetE1EEEvSJ_ ; -- Begin function _ZN7rocprim17ROCPRIM_400000_NS6detail17trampoline_kernelINS0_14default_configENS1_38merge_sort_block_merge_config_selectorIiiEEZZNS1_27merge_sort_block_merge_implIS3_N6thrust23THRUST_200600_302600_NS6detail15normal_iteratorINS8_10device_ptrIiEEEESD_jNS1_19radix_merge_compareILb1ELb1EiNS0_19identity_decomposerEEEEE10hipError_tT0_T1_T2_jT3_P12ihipStream_tbPNSt15iterator_traitsISI_E10value_typeEPNSO_ISJ_E10value_typeEPSK_NS1_7vsmem_tEENKUlT_SI_SJ_SK_E_clISD_PiSD_S10_EESH_SX_SI_SJ_SK_EUlSX_E1_NS1_11comp_targetILNS1_3genE8ELNS1_11target_archE1030ELNS1_3gpuE2ELNS1_3repE0EEENS1_36merge_oddeven_config_static_selectorELNS0_4arch9wavefront6targetE1EEEvSJ_
	.globl	_ZN7rocprim17ROCPRIM_400000_NS6detail17trampoline_kernelINS0_14default_configENS1_38merge_sort_block_merge_config_selectorIiiEEZZNS1_27merge_sort_block_merge_implIS3_N6thrust23THRUST_200600_302600_NS6detail15normal_iteratorINS8_10device_ptrIiEEEESD_jNS1_19radix_merge_compareILb1ELb1EiNS0_19identity_decomposerEEEEE10hipError_tT0_T1_T2_jT3_P12ihipStream_tbPNSt15iterator_traitsISI_E10value_typeEPNSO_ISJ_E10value_typeEPSK_NS1_7vsmem_tEENKUlT_SI_SJ_SK_E_clISD_PiSD_S10_EESH_SX_SI_SJ_SK_EUlSX_E1_NS1_11comp_targetILNS1_3genE8ELNS1_11target_archE1030ELNS1_3gpuE2ELNS1_3repE0EEENS1_36merge_oddeven_config_static_selectorELNS0_4arch9wavefront6targetE1EEEvSJ_
	.p2align	8
	.type	_ZN7rocprim17ROCPRIM_400000_NS6detail17trampoline_kernelINS0_14default_configENS1_38merge_sort_block_merge_config_selectorIiiEEZZNS1_27merge_sort_block_merge_implIS3_N6thrust23THRUST_200600_302600_NS6detail15normal_iteratorINS8_10device_ptrIiEEEESD_jNS1_19radix_merge_compareILb1ELb1EiNS0_19identity_decomposerEEEEE10hipError_tT0_T1_T2_jT3_P12ihipStream_tbPNSt15iterator_traitsISI_E10value_typeEPNSO_ISJ_E10value_typeEPSK_NS1_7vsmem_tEENKUlT_SI_SJ_SK_E_clISD_PiSD_S10_EESH_SX_SI_SJ_SK_EUlSX_E1_NS1_11comp_targetILNS1_3genE8ELNS1_11target_archE1030ELNS1_3gpuE2ELNS1_3repE0EEENS1_36merge_oddeven_config_static_selectorELNS0_4arch9wavefront6targetE1EEEvSJ_,@function
_ZN7rocprim17ROCPRIM_400000_NS6detail17trampoline_kernelINS0_14default_configENS1_38merge_sort_block_merge_config_selectorIiiEEZZNS1_27merge_sort_block_merge_implIS3_N6thrust23THRUST_200600_302600_NS6detail15normal_iteratorINS8_10device_ptrIiEEEESD_jNS1_19radix_merge_compareILb1ELb1EiNS0_19identity_decomposerEEEEE10hipError_tT0_T1_T2_jT3_P12ihipStream_tbPNSt15iterator_traitsISI_E10value_typeEPNSO_ISJ_E10value_typeEPSK_NS1_7vsmem_tEENKUlT_SI_SJ_SK_E_clISD_PiSD_S10_EESH_SX_SI_SJ_SK_EUlSX_E1_NS1_11comp_targetILNS1_3genE8ELNS1_11target_archE1030ELNS1_3gpuE2ELNS1_3repE0EEENS1_36merge_oddeven_config_static_selectorELNS0_4arch9wavefront6targetE1EEEvSJ_: ; @_ZN7rocprim17ROCPRIM_400000_NS6detail17trampoline_kernelINS0_14default_configENS1_38merge_sort_block_merge_config_selectorIiiEEZZNS1_27merge_sort_block_merge_implIS3_N6thrust23THRUST_200600_302600_NS6detail15normal_iteratorINS8_10device_ptrIiEEEESD_jNS1_19radix_merge_compareILb1ELb1EiNS0_19identity_decomposerEEEEE10hipError_tT0_T1_T2_jT3_P12ihipStream_tbPNSt15iterator_traitsISI_E10value_typeEPNSO_ISJ_E10value_typeEPSK_NS1_7vsmem_tEENKUlT_SI_SJ_SK_E_clISD_PiSD_S10_EESH_SX_SI_SJ_SK_EUlSX_E1_NS1_11comp_targetILNS1_3genE8ELNS1_11target_archE1030ELNS1_3gpuE2ELNS1_3repE0EEENS1_36merge_oddeven_config_static_selectorELNS0_4arch9wavefront6targetE1EEEvSJ_
; %bb.0:
	.section	.rodata,"a",@progbits
	.p2align	6, 0x0
	.amdhsa_kernel _ZN7rocprim17ROCPRIM_400000_NS6detail17trampoline_kernelINS0_14default_configENS1_38merge_sort_block_merge_config_selectorIiiEEZZNS1_27merge_sort_block_merge_implIS3_N6thrust23THRUST_200600_302600_NS6detail15normal_iteratorINS8_10device_ptrIiEEEESD_jNS1_19radix_merge_compareILb1ELb1EiNS0_19identity_decomposerEEEEE10hipError_tT0_T1_T2_jT3_P12ihipStream_tbPNSt15iterator_traitsISI_E10value_typeEPNSO_ISJ_E10value_typeEPSK_NS1_7vsmem_tEENKUlT_SI_SJ_SK_E_clISD_PiSD_S10_EESH_SX_SI_SJ_SK_EUlSX_E1_NS1_11comp_targetILNS1_3genE8ELNS1_11target_archE1030ELNS1_3gpuE2ELNS1_3repE0EEENS1_36merge_oddeven_config_static_selectorELNS0_4arch9wavefront6targetE1EEEvSJ_
		.amdhsa_group_segment_fixed_size 0
		.amdhsa_private_segment_fixed_size 0
		.amdhsa_kernarg_size 48
		.amdhsa_user_sgpr_count 2
		.amdhsa_user_sgpr_dispatch_ptr 0
		.amdhsa_user_sgpr_queue_ptr 0
		.amdhsa_user_sgpr_kernarg_segment_ptr 1
		.amdhsa_user_sgpr_dispatch_id 0
		.amdhsa_user_sgpr_kernarg_preload_length 0
		.amdhsa_user_sgpr_kernarg_preload_offset 0
		.amdhsa_user_sgpr_private_segment_size 0
		.amdhsa_uses_dynamic_stack 0
		.amdhsa_enable_private_segment 0
		.amdhsa_system_sgpr_workgroup_id_x 1
		.amdhsa_system_sgpr_workgroup_id_y 0
		.amdhsa_system_sgpr_workgroup_id_z 0
		.amdhsa_system_sgpr_workgroup_info 0
		.amdhsa_system_vgpr_workitem_id 0
		.amdhsa_next_free_vgpr 1
		.amdhsa_next_free_sgpr 0
		.amdhsa_accum_offset 4
		.amdhsa_reserve_vcc 0
		.amdhsa_float_round_mode_32 0
		.amdhsa_float_round_mode_16_64 0
		.amdhsa_float_denorm_mode_32 3
		.amdhsa_float_denorm_mode_16_64 3
		.amdhsa_dx10_clamp 1
		.amdhsa_ieee_mode 1
		.amdhsa_fp16_overflow 0
		.amdhsa_tg_split 0
		.amdhsa_exception_fp_ieee_invalid_op 0
		.amdhsa_exception_fp_denorm_src 0
		.amdhsa_exception_fp_ieee_div_zero 0
		.amdhsa_exception_fp_ieee_overflow 0
		.amdhsa_exception_fp_ieee_underflow 0
		.amdhsa_exception_fp_ieee_inexact 0
		.amdhsa_exception_int_div_zero 0
	.end_amdhsa_kernel
	.section	.text._ZN7rocprim17ROCPRIM_400000_NS6detail17trampoline_kernelINS0_14default_configENS1_38merge_sort_block_merge_config_selectorIiiEEZZNS1_27merge_sort_block_merge_implIS3_N6thrust23THRUST_200600_302600_NS6detail15normal_iteratorINS8_10device_ptrIiEEEESD_jNS1_19radix_merge_compareILb1ELb1EiNS0_19identity_decomposerEEEEE10hipError_tT0_T1_T2_jT3_P12ihipStream_tbPNSt15iterator_traitsISI_E10value_typeEPNSO_ISJ_E10value_typeEPSK_NS1_7vsmem_tEENKUlT_SI_SJ_SK_E_clISD_PiSD_S10_EESH_SX_SI_SJ_SK_EUlSX_E1_NS1_11comp_targetILNS1_3genE8ELNS1_11target_archE1030ELNS1_3gpuE2ELNS1_3repE0EEENS1_36merge_oddeven_config_static_selectorELNS0_4arch9wavefront6targetE1EEEvSJ_,"axG",@progbits,_ZN7rocprim17ROCPRIM_400000_NS6detail17trampoline_kernelINS0_14default_configENS1_38merge_sort_block_merge_config_selectorIiiEEZZNS1_27merge_sort_block_merge_implIS3_N6thrust23THRUST_200600_302600_NS6detail15normal_iteratorINS8_10device_ptrIiEEEESD_jNS1_19radix_merge_compareILb1ELb1EiNS0_19identity_decomposerEEEEE10hipError_tT0_T1_T2_jT3_P12ihipStream_tbPNSt15iterator_traitsISI_E10value_typeEPNSO_ISJ_E10value_typeEPSK_NS1_7vsmem_tEENKUlT_SI_SJ_SK_E_clISD_PiSD_S10_EESH_SX_SI_SJ_SK_EUlSX_E1_NS1_11comp_targetILNS1_3genE8ELNS1_11target_archE1030ELNS1_3gpuE2ELNS1_3repE0EEENS1_36merge_oddeven_config_static_selectorELNS0_4arch9wavefront6targetE1EEEvSJ_,comdat
.Lfunc_end980:
	.size	_ZN7rocprim17ROCPRIM_400000_NS6detail17trampoline_kernelINS0_14default_configENS1_38merge_sort_block_merge_config_selectorIiiEEZZNS1_27merge_sort_block_merge_implIS3_N6thrust23THRUST_200600_302600_NS6detail15normal_iteratorINS8_10device_ptrIiEEEESD_jNS1_19radix_merge_compareILb1ELb1EiNS0_19identity_decomposerEEEEE10hipError_tT0_T1_T2_jT3_P12ihipStream_tbPNSt15iterator_traitsISI_E10value_typeEPNSO_ISJ_E10value_typeEPSK_NS1_7vsmem_tEENKUlT_SI_SJ_SK_E_clISD_PiSD_S10_EESH_SX_SI_SJ_SK_EUlSX_E1_NS1_11comp_targetILNS1_3genE8ELNS1_11target_archE1030ELNS1_3gpuE2ELNS1_3repE0EEENS1_36merge_oddeven_config_static_selectorELNS0_4arch9wavefront6targetE1EEEvSJ_, .Lfunc_end980-_ZN7rocprim17ROCPRIM_400000_NS6detail17trampoline_kernelINS0_14default_configENS1_38merge_sort_block_merge_config_selectorIiiEEZZNS1_27merge_sort_block_merge_implIS3_N6thrust23THRUST_200600_302600_NS6detail15normal_iteratorINS8_10device_ptrIiEEEESD_jNS1_19radix_merge_compareILb1ELb1EiNS0_19identity_decomposerEEEEE10hipError_tT0_T1_T2_jT3_P12ihipStream_tbPNSt15iterator_traitsISI_E10value_typeEPNSO_ISJ_E10value_typeEPSK_NS1_7vsmem_tEENKUlT_SI_SJ_SK_E_clISD_PiSD_S10_EESH_SX_SI_SJ_SK_EUlSX_E1_NS1_11comp_targetILNS1_3genE8ELNS1_11target_archE1030ELNS1_3gpuE2ELNS1_3repE0EEENS1_36merge_oddeven_config_static_selectorELNS0_4arch9wavefront6targetE1EEEvSJ_
                                        ; -- End function
	.set _ZN7rocprim17ROCPRIM_400000_NS6detail17trampoline_kernelINS0_14default_configENS1_38merge_sort_block_merge_config_selectorIiiEEZZNS1_27merge_sort_block_merge_implIS3_N6thrust23THRUST_200600_302600_NS6detail15normal_iteratorINS8_10device_ptrIiEEEESD_jNS1_19radix_merge_compareILb1ELb1EiNS0_19identity_decomposerEEEEE10hipError_tT0_T1_T2_jT3_P12ihipStream_tbPNSt15iterator_traitsISI_E10value_typeEPNSO_ISJ_E10value_typeEPSK_NS1_7vsmem_tEENKUlT_SI_SJ_SK_E_clISD_PiSD_S10_EESH_SX_SI_SJ_SK_EUlSX_E1_NS1_11comp_targetILNS1_3genE8ELNS1_11target_archE1030ELNS1_3gpuE2ELNS1_3repE0EEENS1_36merge_oddeven_config_static_selectorELNS0_4arch9wavefront6targetE1EEEvSJ_.num_vgpr, 0
	.set _ZN7rocprim17ROCPRIM_400000_NS6detail17trampoline_kernelINS0_14default_configENS1_38merge_sort_block_merge_config_selectorIiiEEZZNS1_27merge_sort_block_merge_implIS3_N6thrust23THRUST_200600_302600_NS6detail15normal_iteratorINS8_10device_ptrIiEEEESD_jNS1_19radix_merge_compareILb1ELb1EiNS0_19identity_decomposerEEEEE10hipError_tT0_T1_T2_jT3_P12ihipStream_tbPNSt15iterator_traitsISI_E10value_typeEPNSO_ISJ_E10value_typeEPSK_NS1_7vsmem_tEENKUlT_SI_SJ_SK_E_clISD_PiSD_S10_EESH_SX_SI_SJ_SK_EUlSX_E1_NS1_11comp_targetILNS1_3genE8ELNS1_11target_archE1030ELNS1_3gpuE2ELNS1_3repE0EEENS1_36merge_oddeven_config_static_selectorELNS0_4arch9wavefront6targetE1EEEvSJ_.num_agpr, 0
	.set _ZN7rocprim17ROCPRIM_400000_NS6detail17trampoline_kernelINS0_14default_configENS1_38merge_sort_block_merge_config_selectorIiiEEZZNS1_27merge_sort_block_merge_implIS3_N6thrust23THRUST_200600_302600_NS6detail15normal_iteratorINS8_10device_ptrIiEEEESD_jNS1_19radix_merge_compareILb1ELb1EiNS0_19identity_decomposerEEEEE10hipError_tT0_T1_T2_jT3_P12ihipStream_tbPNSt15iterator_traitsISI_E10value_typeEPNSO_ISJ_E10value_typeEPSK_NS1_7vsmem_tEENKUlT_SI_SJ_SK_E_clISD_PiSD_S10_EESH_SX_SI_SJ_SK_EUlSX_E1_NS1_11comp_targetILNS1_3genE8ELNS1_11target_archE1030ELNS1_3gpuE2ELNS1_3repE0EEENS1_36merge_oddeven_config_static_selectorELNS0_4arch9wavefront6targetE1EEEvSJ_.numbered_sgpr, 0
	.set _ZN7rocprim17ROCPRIM_400000_NS6detail17trampoline_kernelINS0_14default_configENS1_38merge_sort_block_merge_config_selectorIiiEEZZNS1_27merge_sort_block_merge_implIS3_N6thrust23THRUST_200600_302600_NS6detail15normal_iteratorINS8_10device_ptrIiEEEESD_jNS1_19radix_merge_compareILb1ELb1EiNS0_19identity_decomposerEEEEE10hipError_tT0_T1_T2_jT3_P12ihipStream_tbPNSt15iterator_traitsISI_E10value_typeEPNSO_ISJ_E10value_typeEPSK_NS1_7vsmem_tEENKUlT_SI_SJ_SK_E_clISD_PiSD_S10_EESH_SX_SI_SJ_SK_EUlSX_E1_NS1_11comp_targetILNS1_3genE8ELNS1_11target_archE1030ELNS1_3gpuE2ELNS1_3repE0EEENS1_36merge_oddeven_config_static_selectorELNS0_4arch9wavefront6targetE1EEEvSJ_.num_named_barrier, 0
	.set _ZN7rocprim17ROCPRIM_400000_NS6detail17trampoline_kernelINS0_14default_configENS1_38merge_sort_block_merge_config_selectorIiiEEZZNS1_27merge_sort_block_merge_implIS3_N6thrust23THRUST_200600_302600_NS6detail15normal_iteratorINS8_10device_ptrIiEEEESD_jNS1_19radix_merge_compareILb1ELb1EiNS0_19identity_decomposerEEEEE10hipError_tT0_T1_T2_jT3_P12ihipStream_tbPNSt15iterator_traitsISI_E10value_typeEPNSO_ISJ_E10value_typeEPSK_NS1_7vsmem_tEENKUlT_SI_SJ_SK_E_clISD_PiSD_S10_EESH_SX_SI_SJ_SK_EUlSX_E1_NS1_11comp_targetILNS1_3genE8ELNS1_11target_archE1030ELNS1_3gpuE2ELNS1_3repE0EEENS1_36merge_oddeven_config_static_selectorELNS0_4arch9wavefront6targetE1EEEvSJ_.private_seg_size, 0
	.set _ZN7rocprim17ROCPRIM_400000_NS6detail17trampoline_kernelINS0_14default_configENS1_38merge_sort_block_merge_config_selectorIiiEEZZNS1_27merge_sort_block_merge_implIS3_N6thrust23THRUST_200600_302600_NS6detail15normal_iteratorINS8_10device_ptrIiEEEESD_jNS1_19radix_merge_compareILb1ELb1EiNS0_19identity_decomposerEEEEE10hipError_tT0_T1_T2_jT3_P12ihipStream_tbPNSt15iterator_traitsISI_E10value_typeEPNSO_ISJ_E10value_typeEPSK_NS1_7vsmem_tEENKUlT_SI_SJ_SK_E_clISD_PiSD_S10_EESH_SX_SI_SJ_SK_EUlSX_E1_NS1_11comp_targetILNS1_3genE8ELNS1_11target_archE1030ELNS1_3gpuE2ELNS1_3repE0EEENS1_36merge_oddeven_config_static_selectorELNS0_4arch9wavefront6targetE1EEEvSJ_.uses_vcc, 0
	.set _ZN7rocprim17ROCPRIM_400000_NS6detail17trampoline_kernelINS0_14default_configENS1_38merge_sort_block_merge_config_selectorIiiEEZZNS1_27merge_sort_block_merge_implIS3_N6thrust23THRUST_200600_302600_NS6detail15normal_iteratorINS8_10device_ptrIiEEEESD_jNS1_19radix_merge_compareILb1ELb1EiNS0_19identity_decomposerEEEEE10hipError_tT0_T1_T2_jT3_P12ihipStream_tbPNSt15iterator_traitsISI_E10value_typeEPNSO_ISJ_E10value_typeEPSK_NS1_7vsmem_tEENKUlT_SI_SJ_SK_E_clISD_PiSD_S10_EESH_SX_SI_SJ_SK_EUlSX_E1_NS1_11comp_targetILNS1_3genE8ELNS1_11target_archE1030ELNS1_3gpuE2ELNS1_3repE0EEENS1_36merge_oddeven_config_static_selectorELNS0_4arch9wavefront6targetE1EEEvSJ_.uses_flat_scratch, 0
	.set _ZN7rocprim17ROCPRIM_400000_NS6detail17trampoline_kernelINS0_14default_configENS1_38merge_sort_block_merge_config_selectorIiiEEZZNS1_27merge_sort_block_merge_implIS3_N6thrust23THRUST_200600_302600_NS6detail15normal_iteratorINS8_10device_ptrIiEEEESD_jNS1_19radix_merge_compareILb1ELb1EiNS0_19identity_decomposerEEEEE10hipError_tT0_T1_T2_jT3_P12ihipStream_tbPNSt15iterator_traitsISI_E10value_typeEPNSO_ISJ_E10value_typeEPSK_NS1_7vsmem_tEENKUlT_SI_SJ_SK_E_clISD_PiSD_S10_EESH_SX_SI_SJ_SK_EUlSX_E1_NS1_11comp_targetILNS1_3genE8ELNS1_11target_archE1030ELNS1_3gpuE2ELNS1_3repE0EEENS1_36merge_oddeven_config_static_selectorELNS0_4arch9wavefront6targetE1EEEvSJ_.has_dyn_sized_stack, 0
	.set _ZN7rocprim17ROCPRIM_400000_NS6detail17trampoline_kernelINS0_14default_configENS1_38merge_sort_block_merge_config_selectorIiiEEZZNS1_27merge_sort_block_merge_implIS3_N6thrust23THRUST_200600_302600_NS6detail15normal_iteratorINS8_10device_ptrIiEEEESD_jNS1_19radix_merge_compareILb1ELb1EiNS0_19identity_decomposerEEEEE10hipError_tT0_T1_T2_jT3_P12ihipStream_tbPNSt15iterator_traitsISI_E10value_typeEPNSO_ISJ_E10value_typeEPSK_NS1_7vsmem_tEENKUlT_SI_SJ_SK_E_clISD_PiSD_S10_EESH_SX_SI_SJ_SK_EUlSX_E1_NS1_11comp_targetILNS1_3genE8ELNS1_11target_archE1030ELNS1_3gpuE2ELNS1_3repE0EEENS1_36merge_oddeven_config_static_selectorELNS0_4arch9wavefront6targetE1EEEvSJ_.has_recursion, 0
	.set _ZN7rocprim17ROCPRIM_400000_NS6detail17trampoline_kernelINS0_14default_configENS1_38merge_sort_block_merge_config_selectorIiiEEZZNS1_27merge_sort_block_merge_implIS3_N6thrust23THRUST_200600_302600_NS6detail15normal_iteratorINS8_10device_ptrIiEEEESD_jNS1_19radix_merge_compareILb1ELb1EiNS0_19identity_decomposerEEEEE10hipError_tT0_T1_T2_jT3_P12ihipStream_tbPNSt15iterator_traitsISI_E10value_typeEPNSO_ISJ_E10value_typeEPSK_NS1_7vsmem_tEENKUlT_SI_SJ_SK_E_clISD_PiSD_S10_EESH_SX_SI_SJ_SK_EUlSX_E1_NS1_11comp_targetILNS1_3genE8ELNS1_11target_archE1030ELNS1_3gpuE2ELNS1_3repE0EEENS1_36merge_oddeven_config_static_selectorELNS0_4arch9wavefront6targetE1EEEvSJ_.has_indirect_call, 0
	.section	.AMDGPU.csdata,"",@progbits
; Kernel info:
; codeLenInByte = 0
; TotalNumSgprs: 6
; NumVgprs: 0
; NumAgprs: 0
; TotalNumVgprs: 0
; ScratchSize: 0
; MemoryBound: 0
; FloatMode: 240
; IeeeMode: 1
; LDSByteSize: 0 bytes/workgroup (compile time only)
; SGPRBlocks: 0
; VGPRBlocks: 0
; NumSGPRsForWavesPerEU: 6
; NumVGPRsForWavesPerEU: 1
; AccumOffset: 4
; Occupancy: 8
; WaveLimiterHint : 0
; COMPUTE_PGM_RSRC2:SCRATCH_EN: 0
; COMPUTE_PGM_RSRC2:USER_SGPR: 2
; COMPUTE_PGM_RSRC2:TRAP_HANDLER: 0
; COMPUTE_PGM_RSRC2:TGID_X_EN: 1
; COMPUTE_PGM_RSRC2:TGID_Y_EN: 0
; COMPUTE_PGM_RSRC2:TGID_Z_EN: 0
; COMPUTE_PGM_RSRC2:TIDIG_COMP_CNT: 0
; COMPUTE_PGM_RSRC3_GFX90A:ACCUM_OFFSET: 0
; COMPUTE_PGM_RSRC3_GFX90A:TG_SPLIT: 0
	.section	.text._ZN7rocprim17ROCPRIM_400000_NS6detail17trampoline_kernelINS0_14default_configENS1_35radix_sort_onesweep_config_selectorIiiEEZNS1_34radix_sort_onesweep_global_offsetsIS3_Lb1EN6thrust23THRUST_200600_302600_NS6detail15normal_iteratorINS8_10device_ptrIiEEEESD_jNS0_19identity_decomposerEEE10hipError_tT1_T2_PT3_SI_jT4_jjP12ihipStream_tbEUlT_E_NS1_11comp_targetILNS1_3genE0ELNS1_11target_archE4294967295ELNS1_3gpuE0ELNS1_3repE0EEENS1_52radix_sort_onesweep_histogram_config_static_selectorELNS0_4arch9wavefront6targetE1EEEvSG_,"axG",@progbits,_ZN7rocprim17ROCPRIM_400000_NS6detail17trampoline_kernelINS0_14default_configENS1_35radix_sort_onesweep_config_selectorIiiEEZNS1_34radix_sort_onesweep_global_offsetsIS3_Lb1EN6thrust23THRUST_200600_302600_NS6detail15normal_iteratorINS8_10device_ptrIiEEEESD_jNS0_19identity_decomposerEEE10hipError_tT1_T2_PT3_SI_jT4_jjP12ihipStream_tbEUlT_E_NS1_11comp_targetILNS1_3genE0ELNS1_11target_archE4294967295ELNS1_3gpuE0ELNS1_3repE0EEENS1_52radix_sort_onesweep_histogram_config_static_selectorELNS0_4arch9wavefront6targetE1EEEvSG_,comdat
	.protected	_ZN7rocprim17ROCPRIM_400000_NS6detail17trampoline_kernelINS0_14default_configENS1_35radix_sort_onesweep_config_selectorIiiEEZNS1_34radix_sort_onesweep_global_offsetsIS3_Lb1EN6thrust23THRUST_200600_302600_NS6detail15normal_iteratorINS8_10device_ptrIiEEEESD_jNS0_19identity_decomposerEEE10hipError_tT1_T2_PT3_SI_jT4_jjP12ihipStream_tbEUlT_E_NS1_11comp_targetILNS1_3genE0ELNS1_11target_archE4294967295ELNS1_3gpuE0ELNS1_3repE0EEENS1_52radix_sort_onesweep_histogram_config_static_selectorELNS0_4arch9wavefront6targetE1EEEvSG_ ; -- Begin function _ZN7rocprim17ROCPRIM_400000_NS6detail17trampoline_kernelINS0_14default_configENS1_35radix_sort_onesweep_config_selectorIiiEEZNS1_34radix_sort_onesweep_global_offsetsIS3_Lb1EN6thrust23THRUST_200600_302600_NS6detail15normal_iteratorINS8_10device_ptrIiEEEESD_jNS0_19identity_decomposerEEE10hipError_tT1_T2_PT3_SI_jT4_jjP12ihipStream_tbEUlT_E_NS1_11comp_targetILNS1_3genE0ELNS1_11target_archE4294967295ELNS1_3gpuE0ELNS1_3repE0EEENS1_52radix_sort_onesweep_histogram_config_static_selectorELNS0_4arch9wavefront6targetE1EEEvSG_
	.globl	_ZN7rocprim17ROCPRIM_400000_NS6detail17trampoline_kernelINS0_14default_configENS1_35radix_sort_onesweep_config_selectorIiiEEZNS1_34radix_sort_onesweep_global_offsetsIS3_Lb1EN6thrust23THRUST_200600_302600_NS6detail15normal_iteratorINS8_10device_ptrIiEEEESD_jNS0_19identity_decomposerEEE10hipError_tT1_T2_PT3_SI_jT4_jjP12ihipStream_tbEUlT_E_NS1_11comp_targetILNS1_3genE0ELNS1_11target_archE4294967295ELNS1_3gpuE0ELNS1_3repE0EEENS1_52radix_sort_onesweep_histogram_config_static_selectorELNS0_4arch9wavefront6targetE1EEEvSG_
	.p2align	8
	.type	_ZN7rocprim17ROCPRIM_400000_NS6detail17trampoline_kernelINS0_14default_configENS1_35radix_sort_onesweep_config_selectorIiiEEZNS1_34radix_sort_onesweep_global_offsetsIS3_Lb1EN6thrust23THRUST_200600_302600_NS6detail15normal_iteratorINS8_10device_ptrIiEEEESD_jNS0_19identity_decomposerEEE10hipError_tT1_T2_PT3_SI_jT4_jjP12ihipStream_tbEUlT_E_NS1_11comp_targetILNS1_3genE0ELNS1_11target_archE4294967295ELNS1_3gpuE0ELNS1_3repE0EEENS1_52radix_sort_onesweep_histogram_config_static_selectorELNS0_4arch9wavefront6targetE1EEEvSG_,@function
_ZN7rocprim17ROCPRIM_400000_NS6detail17trampoline_kernelINS0_14default_configENS1_35radix_sort_onesweep_config_selectorIiiEEZNS1_34radix_sort_onesweep_global_offsetsIS3_Lb1EN6thrust23THRUST_200600_302600_NS6detail15normal_iteratorINS8_10device_ptrIiEEEESD_jNS0_19identity_decomposerEEE10hipError_tT1_T2_PT3_SI_jT4_jjP12ihipStream_tbEUlT_E_NS1_11comp_targetILNS1_3genE0ELNS1_11target_archE4294967295ELNS1_3gpuE0ELNS1_3repE0EEENS1_52radix_sort_onesweep_histogram_config_static_selectorELNS0_4arch9wavefront6targetE1EEEvSG_: ; @_ZN7rocprim17ROCPRIM_400000_NS6detail17trampoline_kernelINS0_14default_configENS1_35radix_sort_onesweep_config_selectorIiiEEZNS1_34radix_sort_onesweep_global_offsetsIS3_Lb1EN6thrust23THRUST_200600_302600_NS6detail15normal_iteratorINS8_10device_ptrIiEEEESD_jNS0_19identity_decomposerEEE10hipError_tT1_T2_PT3_SI_jT4_jjP12ihipStream_tbEUlT_E_NS1_11comp_targetILNS1_3genE0ELNS1_11target_archE4294967295ELNS1_3gpuE0ELNS1_3repE0EEENS1_52radix_sort_onesweep_histogram_config_static_selectorELNS0_4arch9wavefront6targetE1EEEvSG_
; %bb.0:
	.section	.rodata,"a",@progbits
	.p2align	6, 0x0
	.amdhsa_kernel _ZN7rocprim17ROCPRIM_400000_NS6detail17trampoline_kernelINS0_14default_configENS1_35radix_sort_onesweep_config_selectorIiiEEZNS1_34radix_sort_onesweep_global_offsetsIS3_Lb1EN6thrust23THRUST_200600_302600_NS6detail15normal_iteratorINS8_10device_ptrIiEEEESD_jNS0_19identity_decomposerEEE10hipError_tT1_T2_PT3_SI_jT4_jjP12ihipStream_tbEUlT_E_NS1_11comp_targetILNS1_3genE0ELNS1_11target_archE4294967295ELNS1_3gpuE0ELNS1_3repE0EEENS1_52radix_sort_onesweep_histogram_config_static_selectorELNS0_4arch9wavefront6targetE1EEEvSG_
		.amdhsa_group_segment_fixed_size 0
		.amdhsa_private_segment_fixed_size 0
		.amdhsa_kernarg_size 40
		.amdhsa_user_sgpr_count 2
		.amdhsa_user_sgpr_dispatch_ptr 0
		.amdhsa_user_sgpr_queue_ptr 0
		.amdhsa_user_sgpr_kernarg_segment_ptr 1
		.amdhsa_user_sgpr_dispatch_id 0
		.amdhsa_user_sgpr_kernarg_preload_length 0
		.amdhsa_user_sgpr_kernarg_preload_offset 0
		.amdhsa_user_sgpr_private_segment_size 0
		.amdhsa_uses_dynamic_stack 0
		.amdhsa_enable_private_segment 0
		.amdhsa_system_sgpr_workgroup_id_x 1
		.amdhsa_system_sgpr_workgroup_id_y 0
		.amdhsa_system_sgpr_workgroup_id_z 0
		.amdhsa_system_sgpr_workgroup_info 0
		.amdhsa_system_vgpr_workitem_id 0
		.amdhsa_next_free_vgpr 1
		.amdhsa_next_free_sgpr 0
		.amdhsa_accum_offset 4
		.amdhsa_reserve_vcc 0
		.amdhsa_float_round_mode_32 0
		.amdhsa_float_round_mode_16_64 0
		.amdhsa_float_denorm_mode_32 3
		.amdhsa_float_denorm_mode_16_64 3
		.amdhsa_dx10_clamp 1
		.amdhsa_ieee_mode 1
		.amdhsa_fp16_overflow 0
		.amdhsa_tg_split 0
		.amdhsa_exception_fp_ieee_invalid_op 0
		.amdhsa_exception_fp_denorm_src 0
		.amdhsa_exception_fp_ieee_div_zero 0
		.amdhsa_exception_fp_ieee_overflow 0
		.amdhsa_exception_fp_ieee_underflow 0
		.amdhsa_exception_fp_ieee_inexact 0
		.amdhsa_exception_int_div_zero 0
	.end_amdhsa_kernel
	.section	.text._ZN7rocprim17ROCPRIM_400000_NS6detail17trampoline_kernelINS0_14default_configENS1_35radix_sort_onesweep_config_selectorIiiEEZNS1_34radix_sort_onesweep_global_offsetsIS3_Lb1EN6thrust23THRUST_200600_302600_NS6detail15normal_iteratorINS8_10device_ptrIiEEEESD_jNS0_19identity_decomposerEEE10hipError_tT1_T2_PT3_SI_jT4_jjP12ihipStream_tbEUlT_E_NS1_11comp_targetILNS1_3genE0ELNS1_11target_archE4294967295ELNS1_3gpuE0ELNS1_3repE0EEENS1_52radix_sort_onesweep_histogram_config_static_selectorELNS0_4arch9wavefront6targetE1EEEvSG_,"axG",@progbits,_ZN7rocprim17ROCPRIM_400000_NS6detail17trampoline_kernelINS0_14default_configENS1_35radix_sort_onesweep_config_selectorIiiEEZNS1_34radix_sort_onesweep_global_offsetsIS3_Lb1EN6thrust23THRUST_200600_302600_NS6detail15normal_iteratorINS8_10device_ptrIiEEEESD_jNS0_19identity_decomposerEEE10hipError_tT1_T2_PT3_SI_jT4_jjP12ihipStream_tbEUlT_E_NS1_11comp_targetILNS1_3genE0ELNS1_11target_archE4294967295ELNS1_3gpuE0ELNS1_3repE0EEENS1_52radix_sort_onesweep_histogram_config_static_selectorELNS0_4arch9wavefront6targetE1EEEvSG_,comdat
.Lfunc_end981:
	.size	_ZN7rocprim17ROCPRIM_400000_NS6detail17trampoline_kernelINS0_14default_configENS1_35radix_sort_onesweep_config_selectorIiiEEZNS1_34radix_sort_onesweep_global_offsetsIS3_Lb1EN6thrust23THRUST_200600_302600_NS6detail15normal_iteratorINS8_10device_ptrIiEEEESD_jNS0_19identity_decomposerEEE10hipError_tT1_T2_PT3_SI_jT4_jjP12ihipStream_tbEUlT_E_NS1_11comp_targetILNS1_3genE0ELNS1_11target_archE4294967295ELNS1_3gpuE0ELNS1_3repE0EEENS1_52radix_sort_onesweep_histogram_config_static_selectorELNS0_4arch9wavefront6targetE1EEEvSG_, .Lfunc_end981-_ZN7rocprim17ROCPRIM_400000_NS6detail17trampoline_kernelINS0_14default_configENS1_35radix_sort_onesweep_config_selectorIiiEEZNS1_34radix_sort_onesweep_global_offsetsIS3_Lb1EN6thrust23THRUST_200600_302600_NS6detail15normal_iteratorINS8_10device_ptrIiEEEESD_jNS0_19identity_decomposerEEE10hipError_tT1_T2_PT3_SI_jT4_jjP12ihipStream_tbEUlT_E_NS1_11comp_targetILNS1_3genE0ELNS1_11target_archE4294967295ELNS1_3gpuE0ELNS1_3repE0EEENS1_52radix_sort_onesweep_histogram_config_static_selectorELNS0_4arch9wavefront6targetE1EEEvSG_
                                        ; -- End function
	.set _ZN7rocprim17ROCPRIM_400000_NS6detail17trampoline_kernelINS0_14default_configENS1_35radix_sort_onesweep_config_selectorIiiEEZNS1_34radix_sort_onesweep_global_offsetsIS3_Lb1EN6thrust23THRUST_200600_302600_NS6detail15normal_iteratorINS8_10device_ptrIiEEEESD_jNS0_19identity_decomposerEEE10hipError_tT1_T2_PT3_SI_jT4_jjP12ihipStream_tbEUlT_E_NS1_11comp_targetILNS1_3genE0ELNS1_11target_archE4294967295ELNS1_3gpuE0ELNS1_3repE0EEENS1_52radix_sort_onesweep_histogram_config_static_selectorELNS0_4arch9wavefront6targetE1EEEvSG_.num_vgpr, 0
	.set _ZN7rocprim17ROCPRIM_400000_NS6detail17trampoline_kernelINS0_14default_configENS1_35radix_sort_onesweep_config_selectorIiiEEZNS1_34radix_sort_onesweep_global_offsetsIS3_Lb1EN6thrust23THRUST_200600_302600_NS6detail15normal_iteratorINS8_10device_ptrIiEEEESD_jNS0_19identity_decomposerEEE10hipError_tT1_T2_PT3_SI_jT4_jjP12ihipStream_tbEUlT_E_NS1_11comp_targetILNS1_3genE0ELNS1_11target_archE4294967295ELNS1_3gpuE0ELNS1_3repE0EEENS1_52radix_sort_onesweep_histogram_config_static_selectorELNS0_4arch9wavefront6targetE1EEEvSG_.num_agpr, 0
	.set _ZN7rocprim17ROCPRIM_400000_NS6detail17trampoline_kernelINS0_14default_configENS1_35radix_sort_onesweep_config_selectorIiiEEZNS1_34radix_sort_onesweep_global_offsetsIS3_Lb1EN6thrust23THRUST_200600_302600_NS6detail15normal_iteratorINS8_10device_ptrIiEEEESD_jNS0_19identity_decomposerEEE10hipError_tT1_T2_PT3_SI_jT4_jjP12ihipStream_tbEUlT_E_NS1_11comp_targetILNS1_3genE0ELNS1_11target_archE4294967295ELNS1_3gpuE0ELNS1_3repE0EEENS1_52radix_sort_onesweep_histogram_config_static_selectorELNS0_4arch9wavefront6targetE1EEEvSG_.numbered_sgpr, 0
	.set _ZN7rocprim17ROCPRIM_400000_NS6detail17trampoline_kernelINS0_14default_configENS1_35radix_sort_onesweep_config_selectorIiiEEZNS1_34radix_sort_onesweep_global_offsetsIS3_Lb1EN6thrust23THRUST_200600_302600_NS6detail15normal_iteratorINS8_10device_ptrIiEEEESD_jNS0_19identity_decomposerEEE10hipError_tT1_T2_PT3_SI_jT4_jjP12ihipStream_tbEUlT_E_NS1_11comp_targetILNS1_3genE0ELNS1_11target_archE4294967295ELNS1_3gpuE0ELNS1_3repE0EEENS1_52radix_sort_onesweep_histogram_config_static_selectorELNS0_4arch9wavefront6targetE1EEEvSG_.num_named_barrier, 0
	.set _ZN7rocprim17ROCPRIM_400000_NS6detail17trampoline_kernelINS0_14default_configENS1_35radix_sort_onesweep_config_selectorIiiEEZNS1_34radix_sort_onesweep_global_offsetsIS3_Lb1EN6thrust23THRUST_200600_302600_NS6detail15normal_iteratorINS8_10device_ptrIiEEEESD_jNS0_19identity_decomposerEEE10hipError_tT1_T2_PT3_SI_jT4_jjP12ihipStream_tbEUlT_E_NS1_11comp_targetILNS1_3genE0ELNS1_11target_archE4294967295ELNS1_3gpuE0ELNS1_3repE0EEENS1_52radix_sort_onesweep_histogram_config_static_selectorELNS0_4arch9wavefront6targetE1EEEvSG_.private_seg_size, 0
	.set _ZN7rocprim17ROCPRIM_400000_NS6detail17trampoline_kernelINS0_14default_configENS1_35radix_sort_onesweep_config_selectorIiiEEZNS1_34radix_sort_onesweep_global_offsetsIS3_Lb1EN6thrust23THRUST_200600_302600_NS6detail15normal_iteratorINS8_10device_ptrIiEEEESD_jNS0_19identity_decomposerEEE10hipError_tT1_T2_PT3_SI_jT4_jjP12ihipStream_tbEUlT_E_NS1_11comp_targetILNS1_3genE0ELNS1_11target_archE4294967295ELNS1_3gpuE0ELNS1_3repE0EEENS1_52radix_sort_onesweep_histogram_config_static_selectorELNS0_4arch9wavefront6targetE1EEEvSG_.uses_vcc, 0
	.set _ZN7rocprim17ROCPRIM_400000_NS6detail17trampoline_kernelINS0_14default_configENS1_35radix_sort_onesweep_config_selectorIiiEEZNS1_34radix_sort_onesweep_global_offsetsIS3_Lb1EN6thrust23THRUST_200600_302600_NS6detail15normal_iteratorINS8_10device_ptrIiEEEESD_jNS0_19identity_decomposerEEE10hipError_tT1_T2_PT3_SI_jT4_jjP12ihipStream_tbEUlT_E_NS1_11comp_targetILNS1_3genE0ELNS1_11target_archE4294967295ELNS1_3gpuE0ELNS1_3repE0EEENS1_52radix_sort_onesweep_histogram_config_static_selectorELNS0_4arch9wavefront6targetE1EEEvSG_.uses_flat_scratch, 0
	.set _ZN7rocprim17ROCPRIM_400000_NS6detail17trampoline_kernelINS0_14default_configENS1_35radix_sort_onesweep_config_selectorIiiEEZNS1_34radix_sort_onesweep_global_offsetsIS3_Lb1EN6thrust23THRUST_200600_302600_NS6detail15normal_iteratorINS8_10device_ptrIiEEEESD_jNS0_19identity_decomposerEEE10hipError_tT1_T2_PT3_SI_jT4_jjP12ihipStream_tbEUlT_E_NS1_11comp_targetILNS1_3genE0ELNS1_11target_archE4294967295ELNS1_3gpuE0ELNS1_3repE0EEENS1_52radix_sort_onesweep_histogram_config_static_selectorELNS0_4arch9wavefront6targetE1EEEvSG_.has_dyn_sized_stack, 0
	.set _ZN7rocprim17ROCPRIM_400000_NS6detail17trampoline_kernelINS0_14default_configENS1_35radix_sort_onesweep_config_selectorIiiEEZNS1_34radix_sort_onesweep_global_offsetsIS3_Lb1EN6thrust23THRUST_200600_302600_NS6detail15normal_iteratorINS8_10device_ptrIiEEEESD_jNS0_19identity_decomposerEEE10hipError_tT1_T2_PT3_SI_jT4_jjP12ihipStream_tbEUlT_E_NS1_11comp_targetILNS1_3genE0ELNS1_11target_archE4294967295ELNS1_3gpuE0ELNS1_3repE0EEENS1_52radix_sort_onesweep_histogram_config_static_selectorELNS0_4arch9wavefront6targetE1EEEvSG_.has_recursion, 0
	.set _ZN7rocprim17ROCPRIM_400000_NS6detail17trampoline_kernelINS0_14default_configENS1_35radix_sort_onesweep_config_selectorIiiEEZNS1_34radix_sort_onesweep_global_offsetsIS3_Lb1EN6thrust23THRUST_200600_302600_NS6detail15normal_iteratorINS8_10device_ptrIiEEEESD_jNS0_19identity_decomposerEEE10hipError_tT1_T2_PT3_SI_jT4_jjP12ihipStream_tbEUlT_E_NS1_11comp_targetILNS1_3genE0ELNS1_11target_archE4294967295ELNS1_3gpuE0ELNS1_3repE0EEENS1_52radix_sort_onesweep_histogram_config_static_selectorELNS0_4arch9wavefront6targetE1EEEvSG_.has_indirect_call, 0
	.section	.AMDGPU.csdata,"",@progbits
; Kernel info:
; codeLenInByte = 0
; TotalNumSgprs: 6
; NumVgprs: 0
; NumAgprs: 0
; TotalNumVgprs: 0
; ScratchSize: 0
; MemoryBound: 0
; FloatMode: 240
; IeeeMode: 1
; LDSByteSize: 0 bytes/workgroup (compile time only)
; SGPRBlocks: 0
; VGPRBlocks: 0
; NumSGPRsForWavesPerEU: 6
; NumVGPRsForWavesPerEU: 1
; AccumOffset: 4
; Occupancy: 8
; WaveLimiterHint : 0
; COMPUTE_PGM_RSRC2:SCRATCH_EN: 0
; COMPUTE_PGM_RSRC2:USER_SGPR: 2
; COMPUTE_PGM_RSRC2:TRAP_HANDLER: 0
; COMPUTE_PGM_RSRC2:TGID_X_EN: 1
; COMPUTE_PGM_RSRC2:TGID_Y_EN: 0
; COMPUTE_PGM_RSRC2:TGID_Z_EN: 0
; COMPUTE_PGM_RSRC2:TIDIG_COMP_CNT: 0
; COMPUTE_PGM_RSRC3_GFX90A:ACCUM_OFFSET: 0
; COMPUTE_PGM_RSRC3_GFX90A:TG_SPLIT: 0
	.section	.text._ZN7rocprim17ROCPRIM_400000_NS6detail17trampoline_kernelINS0_14default_configENS1_35radix_sort_onesweep_config_selectorIiiEEZNS1_34radix_sort_onesweep_global_offsetsIS3_Lb1EN6thrust23THRUST_200600_302600_NS6detail15normal_iteratorINS8_10device_ptrIiEEEESD_jNS0_19identity_decomposerEEE10hipError_tT1_T2_PT3_SI_jT4_jjP12ihipStream_tbEUlT_E_NS1_11comp_targetILNS1_3genE6ELNS1_11target_archE950ELNS1_3gpuE13ELNS1_3repE0EEENS1_52radix_sort_onesweep_histogram_config_static_selectorELNS0_4arch9wavefront6targetE1EEEvSG_,"axG",@progbits,_ZN7rocprim17ROCPRIM_400000_NS6detail17trampoline_kernelINS0_14default_configENS1_35radix_sort_onesweep_config_selectorIiiEEZNS1_34radix_sort_onesweep_global_offsetsIS3_Lb1EN6thrust23THRUST_200600_302600_NS6detail15normal_iteratorINS8_10device_ptrIiEEEESD_jNS0_19identity_decomposerEEE10hipError_tT1_T2_PT3_SI_jT4_jjP12ihipStream_tbEUlT_E_NS1_11comp_targetILNS1_3genE6ELNS1_11target_archE950ELNS1_3gpuE13ELNS1_3repE0EEENS1_52radix_sort_onesweep_histogram_config_static_selectorELNS0_4arch9wavefront6targetE1EEEvSG_,comdat
	.protected	_ZN7rocprim17ROCPRIM_400000_NS6detail17trampoline_kernelINS0_14default_configENS1_35radix_sort_onesweep_config_selectorIiiEEZNS1_34radix_sort_onesweep_global_offsetsIS3_Lb1EN6thrust23THRUST_200600_302600_NS6detail15normal_iteratorINS8_10device_ptrIiEEEESD_jNS0_19identity_decomposerEEE10hipError_tT1_T2_PT3_SI_jT4_jjP12ihipStream_tbEUlT_E_NS1_11comp_targetILNS1_3genE6ELNS1_11target_archE950ELNS1_3gpuE13ELNS1_3repE0EEENS1_52radix_sort_onesweep_histogram_config_static_selectorELNS0_4arch9wavefront6targetE1EEEvSG_ ; -- Begin function _ZN7rocprim17ROCPRIM_400000_NS6detail17trampoline_kernelINS0_14default_configENS1_35radix_sort_onesweep_config_selectorIiiEEZNS1_34radix_sort_onesweep_global_offsetsIS3_Lb1EN6thrust23THRUST_200600_302600_NS6detail15normal_iteratorINS8_10device_ptrIiEEEESD_jNS0_19identity_decomposerEEE10hipError_tT1_T2_PT3_SI_jT4_jjP12ihipStream_tbEUlT_E_NS1_11comp_targetILNS1_3genE6ELNS1_11target_archE950ELNS1_3gpuE13ELNS1_3repE0EEENS1_52radix_sort_onesweep_histogram_config_static_selectorELNS0_4arch9wavefront6targetE1EEEvSG_
	.globl	_ZN7rocprim17ROCPRIM_400000_NS6detail17trampoline_kernelINS0_14default_configENS1_35radix_sort_onesweep_config_selectorIiiEEZNS1_34radix_sort_onesweep_global_offsetsIS3_Lb1EN6thrust23THRUST_200600_302600_NS6detail15normal_iteratorINS8_10device_ptrIiEEEESD_jNS0_19identity_decomposerEEE10hipError_tT1_T2_PT3_SI_jT4_jjP12ihipStream_tbEUlT_E_NS1_11comp_targetILNS1_3genE6ELNS1_11target_archE950ELNS1_3gpuE13ELNS1_3repE0EEENS1_52radix_sort_onesweep_histogram_config_static_selectorELNS0_4arch9wavefront6targetE1EEEvSG_
	.p2align	8
	.type	_ZN7rocprim17ROCPRIM_400000_NS6detail17trampoline_kernelINS0_14default_configENS1_35radix_sort_onesweep_config_selectorIiiEEZNS1_34radix_sort_onesweep_global_offsetsIS3_Lb1EN6thrust23THRUST_200600_302600_NS6detail15normal_iteratorINS8_10device_ptrIiEEEESD_jNS0_19identity_decomposerEEE10hipError_tT1_T2_PT3_SI_jT4_jjP12ihipStream_tbEUlT_E_NS1_11comp_targetILNS1_3genE6ELNS1_11target_archE950ELNS1_3gpuE13ELNS1_3repE0EEENS1_52radix_sort_onesweep_histogram_config_static_selectorELNS0_4arch9wavefront6targetE1EEEvSG_,@function
_ZN7rocprim17ROCPRIM_400000_NS6detail17trampoline_kernelINS0_14default_configENS1_35radix_sort_onesweep_config_selectorIiiEEZNS1_34radix_sort_onesweep_global_offsetsIS3_Lb1EN6thrust23THRUST_200600_302600_NS6detail15normal_iteratorINS8_10device_ptrIiEEEESD_jNS0_19identity_decomposerEEE10hipError_tT1_T2_PT3_SI_jT4_jjP12ihipStream_tbEUlT_E_NS1_11comp_targetILNS1_3genE6ELNS1_11target_archE950ELNS1_3gpuE13ELNS1_3repE0EEENS1_52radix_sort_onesweep_histogram_config_static_selectorELNS0_4arch9wavefront6targetE1EEEvSG_: ; @_ZN7rocprim17ROCPRIM_400000_NS6detail17trampoline_kernelINS0_14default_configENS1_35radix_sort_onesweep_config_selectorIiiEEZNS1_34radix_sort_onesweep_global_offsetsIS3_Lb1EN6thrust23THRUST_200600_302600_NS6detail15normal_iteratorINS8_10device_ptrIiEEEESD_jNS0_19identity_decomposerEEE10hipError_tT1_T2_PT3_SI_jT4_jjP12ihipStream_tbEUlT_E_NS1_11comp_targetILNS1_3genE6ELNS1_11target_archE950ELNS1_3gpuE13ELNS1_3repE0EEENS1_52radix_sort_onesweep_histogram_config_static_selectorELNS0_4arch9wavefront6targetE1EEEvSG_
; %bb.0:
	s_load_dword s11, s[0:1], 0x14
	s_load_dwordx4 s[4:7], s[0:1], 0x0
	s_load_dwordx2 s[8:9], s[0:1], 0x1c
	s_lshl_b32 s10, s2, 14
	s_waitcnt lgkmcnt(0)
	s_cmp_ge_u32 s2, s11
	s_mov_b64 s[2:3], -1
	s_cbranch_scc0 .LBB982_311
; %bb.1:
	s_load_dword s2, s[0:1], 0x10
	s_lshl_b32 s3, s11, 14
	s_mov_b32 s11, 0
	s_lshl_b64 s[0:1], s[10:11], 2
                                        ; implicit-def: $vgpr32
	s_waitcnt lgkmcnt(0)
	s_sub_i32 s11, s2, s3
	s_add_u32 s0, s4, s0
	s_addc_u32 s1, s5, s1
	v_cmp_gt_u32_e32 vcc, s11, v0
	s_and_saveexec_b64 s[2:3], vcc
	s_cbranch_execz .LBB982_3
; %bb.2:
	v_lshlrev_b32_e32 v1, 2, v0
	global_load_dword v1, v1, s[0:1]
	s_waitcnt vmcnt(0)
	v_xor_b32_e32 v32, 0x7fffffff, v1
.LBB982_3:
	s_or_b64 exec, exec, s[2:3]
	v_or_b32_e32 v33, 0x400, v0
	v_cmp_gt_u32_e32 vcc, s11, v33
                                        ; implicit-def: $vgpr31
	s_and_saveexec_b64 s[2:3], vcc
	s_cbranch_execz .LBB982_5
; %bb.4:
	v_lshlrev_b32_e32 v1, 2, v33
	global_load_dword v1, v1, s[0:1]
	s_waitcnt vmcnt(0)
	v_xor_b32_e32 v31, 0x7fffffff, v1
.LBB982_5:
	s_or_b64 exec, exec, s[2:3]
	v_or_b32_e32 v30, 0x800, v0
	v_cmp_gt_u32_e32 vcc, s11, v30
                                        ; implicit-def: $vgpr29
	s_and_saveexec_b64 s[2:3], vcc
	s_cbranch_execz .LBB982_7
; %bb.6:
	v_lshlrev_b32_e32 v1, 2, v30
	global_load_dword v1, v1, s[0:1]
	s_waitcnt vmcnt(0)
	v_xor_b32_e32 v29, 0x7fffffff, v1
.LBB982_7:
	s_or_b64 exec, exec, s[2:3]
	v_or_b32_e32 v28, 0xc00, v0
	v_cmp_gt_u32_e32 vcc, s11, v28
                                        ; implicit-def: $vgpr27
	s_and_saveexec_b64 s[2:3], vcc
	s_cbranch_execz .LBB982_9
; %bb.8:
	v_lshlrev_b32_e32 v1, 2, v28
	global_load_dword v1, v1, s[0:1]
	s_waitcnt vmcnt(0)
	v_xor_b32_e32 v27, 0x7fffffff, v1
.LBB982_9:
	s_or_b64 exec, exec, s[2:3]
	v_or_b32_e32 v26, 0x1000, v0
	v_cmp_gt_u32_e32 vcc, s11, v26
                                        ; implicit-def: $vgpr25
	s_and_saveexec_b64 s[2:3], vcc
	s_cbranch_execz .LBB982_11
; %bb.10:
	v_lshlrev_b32_e32 v1, 2, v26
	global_load_dword v1, v1, s[0:1]
	s_waitcnt vmcnt(0)
	v_xor_b32_e32 v25, 0x7fffffff, v1
.LBB982_11:
	s_or_b64 exec, exec, s[2:3]
	v_or_b32_e32 v24, 0x1400, v0
	v_cmp_gt_u32_e32 vcc, s11, v24
                                        ; implicit-def: $vgpr23
	s_and_saveexec_b64 s[2:3], vcc
	s_cbranch_execz .LBB982_13
; %bb.12:
	v_lshlrev_b32_e32 v1, 2, v24
	global_load_dword v1, v1, s[0:1]
	s_waitcnt vmcnt(0)
	v_xor_b32_e32 v23, 0x7fffffff, v1
.LBB982_13:
	s_or_b64 exec, exec, s[2:3]
	v_or_b32_e32 v22, 0x1800, v0
	v_cmp_gt_u32_e32 vcc, s11, v22
                                        ; implicit-def: $vgpr21
	s_and_saveexec_b64 s[2:3], vcc
	s_cbranch_execz .LBB982_15
; %bb.14:
	v_lshlrev_b32_e32 v1, 2, v22
	global_load_dword v1, v1, s[0:1]
	s_waitcnt vmcnt(0)
	v_xor_b32_e32 v21, 0x7fffffff, v1
.LBB982_15:
	s_or_b64 exec, exec, s[2:3]
	v_or_b32_e32 v20, 0x1c00, v0
	v_cmp_gt_u32_e32 vcc, s11, v20
                                        ; implicit-def: $vgpr19
	s_and_saveexec_b64 s[2:3], vcc
	s_cbranch_execz .LBB982_17
; %bb.16:
	v_lshlrev_b32_e32 v1, 2, v20
	global_load_dword v1, v1, s[0:1]
	s_waitcnt vmcnt(0)
	v_xor_b32_e32 v19, 0x7fffffff, v1
.LBB982_17:
	s_or_b64 exec, exec, s[2:3]
	v_or_b32_e32 v18, 0x2000, v0
	v_cmp_gt_u32_e32 vcc, s11, v18
                                        ; implicit-def: $vgpr17
	s_and_saveexec_b64 s[2:3], vcc
	s_cbranch_execz .LBB982_19
; %bb.18:
	v_lshlrev_b32_e32 v1, 2, v18
	global_load_dword v1, v1, s[0:1]
	s_waitcnt vmcnt(0)
	v_xor_b32_e32 v17, 0x7fffffff, v1
.LBB982_19:
	s_or_b64 exec, exec, s[2:3]
	v_or_b32_e32 v16, 0x2400, v0
	v_cmp_gt_u32_e32 vcc, s11, v16
                                        ; implicit-def: $vgpr15
	s_and_saveexec_b64 s[2:3], vcc
	s_cbranch_execz .LBB982_21
; %bb.20:
	v_lshlrev_b32_e32 v1, 2, v16
	global_load_dword v1, v1, s[0:1]
	s_waitcnt vmcnt(0)
	v_xor_b32_e32 v15, 0x7fffffff, v1
.LBB982_21:
	s_or_b64 exec, exec, s[2:3]
	v_or_b32_e32 v14, 0x2800, v0
	v_cmp_gt_u32_e32 vcc, s11, v14
                                        ; implicit-def: $vgpr13
	s_and_saveexec_b64 s[2:3], vcc
	s_cbranch_execz .LBB982_23
; %bb.22:
	v_lshlrev_b32_e32 v1, 2, v14
	global_load_dword v1, v1, s[0:1]
	s_waitcnt vmcnt(0)
	v_xor_b32_e32 v13, 0x7fffffff, v1
.LBB982_23:
	s_or_b64 exec, exec, s[2:3]
	v_or_b32_e32 v12, 0x2c00, v0
	v_cmp_gt_u32_e32 vcc, s11, v12
                                        ; implicit-def: $vgpr11
	s_and_saveexec_b64 s[2:3], vcc
	s_cbranch_execz .LBB982_25
; %bb.24:
	v_lshlrev_b32_e32 v1, 2, v12
	global_load_dword v1, v1, s[0:1]
	s_waitcnt vmcnt(0)
	v_xor_b32_e32 v11, 0x7fffffff, v1
.LBB982_25:
	s_or_b64 exec, exec, s[2:3]
	v_or_b32_e32 v10, 0x3000, v0
	v_cmp_gt_u32_e32 vcc, s11, v10
                                        ; implicit-def: $vgpr9
	s_and_saveexec_b64 s[2:3], vcc
	s_cbranch_execz .LBB982_27
; %bb.26:
	v_lshlrev_b32_e32 v1, 2, v10
	global_load_dword v1, v1, s[0:1]
	s_waitcnt vmcnt(0)
	v_xor_b32_e32 v9, 0x7fffffff, v1
.LBB982_27:
	s_or_b64 exec, exec, s[2:3]
	v_or_b32_e32 v8, 0x3400, v0
	v_cmp_gt_u32_e32 vcc, s11, v8
                                        ; implicit-def: $vgpr7
	s_and_saveexec_b64 s[2:3], vcc
	s_cbranch_execz .LBB982_29
; %bb.28:
	v_lshlrev_b32_e32 v1, 2, v8
	global_load_dword v1, v1, s[0:1]
	s_waitcnt vmcnt(0)
	v_xor_b32_e32 v7, 0x7fffffff, v1
.LBB982_29:
	s_or_b64 exec, exec, s[2:3]
	v_or_b32_e32 v6, 0x3800, v0
	v_cmp_gt_u32_e32 vcc, s11, v6
                                        ; implicit-def: $vgpr5
	s_and_saveexec_b64 s[2:3], vcc
	s_cbranch_execz .LBB982_31
; %bb.30:
	v_lshlrev_b32_e32 v1, 2, v6
	global_load_dword v1, v1, s[0:1]
	s_waitcnt vmcnt(0)
	v_xor_b32_e32 v5, 0x7fffffff, v1
.LBB982_31:
	s_or_b64 exec, exec, s[2:3]
	v_or_b32_e32 v4, 0x3c00, v0
	v_cmp_gt_u32_e32 vcc, s11, v4
                                        ; implicit-def: $vgpr2
	s_and_saveexec_b64 s[2:3], vcc
	s_cbranch_execz .LBB982_33
; %bb.32:
	v_lshlrev_b32_e32 v1, 2, v4
	global_load_dword v1, v1, s[0:1]
	s_waitcnt vmcnt(0)
	v_xor_b32_e32 v2, 0x7fffffff, v1
.LBB982_33:
	s_or_b64 exec, exec, s[2:3]
	s_cmp_ge_u32 s8, s9
	s_cselect_b64 s[2:3], -1, 0
	s_and_b64 s[0:1], s[2:3], exec
	v_lshlrev_b32_e32 v1, 2, v0
	v_mov_b32_e32 v34, 0
	v_cmp_le_u32_e32 vcc, s11, v0
	s_cselect_b32 s18, 8, 10
	v_and_b32_e32 v3, 3, v0
	ds_write2st64_b32 v1, v34, v34 offset1:16
	ds_write2st64_b32 v1, v34, v34 offset0:32 offset1:48
	s_nor_b64 s[12:13], s[2:3], vcc
	v_mov_b32_e32 v34, s18
	s_waitcnt lgkmcnt(0)
	s_barrier
	s_and_saveexec_b64 s[0:1], s[12:13]
	s_cbranch_execz .LBB982_35
; %bb.34:
	s_sub_i32 s12, s9, s8
	s_min_u32 s12, s12, 8
	v_lshrrev_b32_e32 v34, s8, v32
	v_bfe_u32 v34, v34, 0, s12
	v_lshlrev_b32_e32 v35, 2, v3
	v_lshl_or_b32 v34, v34, 4, v35
	v_mov_b32_e32 v35, 1
	ds_add_u32 v34, v35
	v_mov_b32_e32 v34, 0
.LBB982_35:
	s_or_b64 exec, exec, s[0:1]
	v_cmp_gt_i32_e64 s[0:1], 10, v34
	s_mov_b64 s[14:15], -1
	s_and_saveexec_b64 s[12:13], s[0:1]
; %bb.36:
	v_cmp_eq_u32_e64 s[0:1], 0, v34
	s_orn2_b64 s[14:15], s[0:1], exec
; %bb.37:
	s_or_b64 exec, exec, s[12:13]
	s_and_saveexec_b64 s[12:13], s[14:15]
	s_cbranch_execz .LBB982_50
; %bb.38:
	s_add_i32 s14, s8, 8
	s_cmp_le_u32 s9, s14
	s_cselect_b64 s[0:1], -1, 0
	s_and_b64 s[16:17], s[0:1], exec
	s_cselect_b32 s15, 8, 10
	s_nor_b64 s[16:17], s[0:1], vcc
	v_mov_b32_e32 v34, s15
	s_and_saveexec_b64 s[0:1], s[16:17]
	s_cbranch_execz .LBB982_40
; %bb.39:
	s_sub_i32 s15, s9, s14
	s_min_u32 s15, s15, 8
	v_lshrrev_b32_e32 v34, s14, v32
	v_bfe_u32 v34, v34, 0, s15
	v_lshlrev_b32_e32 v35, 2, v3
	v_lshl_or_b32 v34, v34, 4, v35
	v_mov_b32_e32 v35, 1
	ds_add_u32 v34, v35 offset:4096
	v_mov_b32_e32 v34, 0
.LBB982_40:
	s_or_b64 exec, exec, s[0:1]
	v_cmp_gt_i32_e64 s[0:1], 10, v34
	s_mov_b64 s[14:15], -1
	s_and_saveexec_b64 s[16:17], s[0:1]
; %bb.41:
	v_cmp_eq_u32_e64 s[0:1], 0, v34
	s_orn2_b64 s[14:15], s[0:1], exec
; %bb.42:
	s_or_b64 exec, exec, s[16:17]
	s_and_b64 exec, exec, s[14:15]
	s_cbranch_execz .LBB982_50
; %bb.43:
	s_add_i32 s14, s8, 16
	s_cmp_le_u32 s9, s14
	s_cselect_b64 s[0:1], -1, 0
	s_and_b64 s[16:17], s[0:1], exec
	s_cselect_b32 s15, 8, 10
	s_nor_b64 s[16:17], s[0:1], vcc
	v_mov_b32_e32 v34, s15
	s_and_saveexec_b64 s[0:1], s[16:17]
	s_cbranch_execz .LBB982_45
; %bb.44:
	s_sub_i32 s15, s9, s14
	s_min_u32 s15, s15, 8
	v_lshrrev_b32_e32 v34, s14, v32
	v_bfe_u32 v34, v34, 0, s15
	v_lshlrev_b32_e32 v35, 2, v3
	v_lshl_or_b32 v34, v34, 4, v35
	v_mov_b32_e32 v35, 1
	ds_add_u32 v34, v35 offset:8192
	v_mov_b32_e32 v34, 0
.LBB982_45:
	s_or_b64 exec, exec, s[0:1]
	v_cmp_gt_i32_e64 s[0:1], 10, v34
	s_mov_b64 s[14:15], -1
	s_and_saveexec_b64 s[16:17], s[0:1]
; %bb.46:
	v_cmp_eq_u32_e64 s[0:1], 0, v34
	s_orn2_b64 s[14:15], s[0:1], exec
; %bb.47:
	s_or_b64 exec, exec, s[16:17]
	s_and_b64 exec, exec, s[14:15]
	s_cbranch_execz .LBB982_50
; %bb.48:
	s_add_i32 s0, s8, 24
	s_cmp_gt_u32 s9, s0
	s_cselect_b64 s[14:15], -1, 0
	s_xor_b64 s[16:17], vcc, -1
	s_and_b64 s[14:15], s[14:15], s[16:17]
	s_and_b64 exec, exec, s[14:15]
	s_cbranch_execz .LBB982_50
; %bb.49:
	s_sub_i32 s1, s9, s0
	s_min_u32 s1, s1, 8
	v_lshrrev_b32_e32 v32, s0, v32
	v_bfe_u32 v32, v32, 0, s1
	v_lshlrev_b32_e32 v34, 2, v3
	v_lshl_or_b32 v32, v32, 4, v34
	v_mov_b32_e32 v34, 1
	ds_add_u32 v32, v34 offset:12288
.LBB982_50:
	s_or_b64 exec, exec, s[12:13]
	v_cmp_le_u32_e32 vcc, s11, v33
	s_nor_b64 s[12:13], s[2:3], vcc
	v_mov_b32_e32 v32, s18
	s_and_saveexec_b64 s[0:1], s[12:13]
	s_cbranch_execz .LBB982_52
; %bb.51:
	s_sub_i32 s12, s9, s8
	s_min_u32 s12, s12, 8
	v_lshrrev_b32_e32 v32, s8, v31
	v_bfe_u32 v32, v32, 0, s12
	v_lshlrev_b32_e32 v33, 2, v3
	v_lshl_or_b32 v32, v32, 4, v33
	v_mov_b32_e32 v33, 1
	ds_add_u32 v32, v33
	v_mov_b32_e32 v32, 0
.LBB982_52:
	s_or_b64 exec, exec, s[0:1]
	v_cmp_gt_i32_e64 s[0:1], 10, v32
	s_mov_b64 s[14:15], -1
	s_and_saveexec_b64 s[12:13], s[0:1]
; %bb.53:
	v_cmp_eq_u32_e64 s[0:1], 0, v32
	s_orn2_b64 s[14:15], s[0:1], exec
; %bb.54:
	s_or_b64 exec, exec, s[12:13]
	s_and_saveexec_b64 s[12:13], s[14:15]
	s_cbranch_execz .LBB982_67
; %bb.55:
	s_add_i32 s14, s8, 8
	s_cmp_le_u32 s9, s14
	s_cselect_b64 s[0:1], -1, 0
	s_and_b64 s[16:17], s[0:1], exec
	s_cselect_b32 s15, 8, 10
	s_nor_b64 s[16:17], s[0:1], vcc
	v_mov_b32_e32 v32, s15
	s_and_saveexec_b64 s[0:1], s[16:17]
	s_cbranch_execz .LBB982_57
; %bb.56:
	s_sub_i32 s15, s9, s14
	s_min_u32 s15, s15, 8
	v_lshrrev_b32_e32 v32, s14, v31
	v_bfe_u32 v32, v32, 0, s15
	v_lshlrev_b32_e32 v33, 2, v3
	v_lshl_or_b32 v32, v32, 4, v33
	v_mov_b32_e32 v33, 1
	ds_add_u32 v32, v33 offset:4096
	v_mov_b32_e32 v32, 0
.LBB982_57:
	s_or_b64 exec, exec, s[0:1]
	v_cmp_gt_i32_e64 s[0:1], 10, v32
	s_mov_b64 s[14:15], -1
	s_and_saveexec_b64 s[16:17], s[0:1]
; %bb.58:
	v_cmp_eq_u32_e64 s[0:1], 0, v32
	s_orn2_b64 s[14:15], s[0:1], exec
; %bb.59:
	s_or_b64 exec, exec, s[16:17]
	s_and_b64 exec, exec, s[14:15]
	s_cbranch_execz .LBB982_67
; %bb.60:
	s_add_i32 s14, s8, 16
	s_cmp_le_u32 s9, s14
	s_cselect_b64 s[0:1], -1, 0
	s_and_b64 s[16:17], s[0:1], exec
	s_cselect_b32 s15, 8, 10
	s_nor_b64 s[16:17], s[0:1], vcc
	v_mov_b32_e32 v32, s15
	s_and_saveexec_b64 s[0:1], s[16:17]
	s_cbranch_execz .LBB982_62
; %bb.61:
	s_sub_i32 s15, s9, s14
	s_min_u32 s15, s15, 8
	v_lshrrev_b32_e32 v32, s14, v31
	v_bfe_u32 v32, v32, 0, s15
	v_lshlrev_b32_e32 v33, 2, v3
	v_lshl_or_b32 v32, v32, 4, v33
	v_mov_b32_e32 v33, 1
	ds_add_u32 v32, v33 offset:8192
	v_mov_b32_e32 v32, 0
.LBB982_62:
	s_or_b64 exec, exec, s[0:1]
	v_cmp_gt_i32_e64 s[0:1], 10, v32
	s_mov_b64 s[14:15], -1
	s_and_saveexec_b64 s[16:17], s[0:1]
; %bb.63:
	v_cmp_eq_u32_e64 s[0:1], 0, v32
	s_orn2_b64 s[14:15], s[0:1], exec
; %bb.64:
	s_or_b64 exec, exec, s[16:17]
	s_and_b64 exec, exec, s[14:15]
	s_cbranch_execz .LBB982_67
; %bb.65:
	s_add_i32 s0, s8, 24
	s_cmp_gt_u32 s9, s0
	s_cselect_b64 s[14:15], -1, 0
	s_xor_b64 s[16:17], vcc, -1
	s_and_b64 s[14:15], s[14:15], s[16:17]
	s_and_b64 exec, exec, s[14:15]
	s_cbranch_execz .LBB982_67
; %bb.66:
	s_sub_i32 s1, s9, s0
	s_min_u32 s1, s1, 8
	v_lshrrev_b32_e32 v31, s0, v31
	v_bfe_u32 v31, v31, 0, s1
	v_lshlrev_b32_e32 v32, 2, v3
	v_lshl_or_b32 v31, v31, 4, v32
	v_mov_b32_e32 v32, 1
	ds_add_u32 v31, v32 offset:12288
.LBB982_67:
	s_or_b64 exec, exec, s[12:13]
	v_cmp_le_u32_e32 vcc, s11, v30
	s_nor_b64 s[12:13], s[2:3], vcc
	v_mov_b32_e32 v30, s18
	s_and_saveexec_b64 s[0:1], s[12:13]
	s_cbranch_execz .LBB982_69
; %bb.68:
	s_sub_i32 s12, s9, s8
	s_min_u32 s12, s12, 8
	v_lshrrev_b32_e32 v30, s8, v29
	v_bfe_u32 v30, v30, 0, s12
	v_lshlrev_b32_e32 v31, 2, v3
	v_lshl_or_b32 v30, v30, 4, v31
	v_mov_b32_e32 v31, 1
	ds_add_u32 v30, v31
	v_mov_b32_e32 v30, 0
.LBB982_69:
	s_or_b64 exec, exec, s[0:1]
	v_cmp_gt_i32_e64 s[0:1], 10, v30
	s_mov_b64 s[14:15], -1
	s_and_saveexec_b64 s[12:13], s[0:1]
; %bb.70:
	v_cmp_eq_u32_e64 s[0:1], 0, v30
	s_orn2_b64 s[14:15], s[0:1], exec
; %bb.71:
	s_or_b64 exec, exec, s[12:13]
	s_and_saveexec_b64 s[12:13], s[14:15]
	s_cbranch_execz .LBB982_84
; %bb.72:
	s_add_i32 s14, s8, 8
	s_cmp_le_u32 s9, s14
	s_cselect_b64 s[0:1], -1, 0
	s_and_b64 s[16:17], s[0:1], exec
	s_cselect_b32 s15, 8, 10
	s_nor_b64 s[16:17], s[0:1], vcc
	v_mov_b32_e32 v30, s15
	s_and_saveexec_b64 s[0:1], s[16:17]
	s_cbranch_execz .LBB982_74
; %bb.73:
	s_sub_i32 s15, s9, s14
	s_min_u32 s15, s15, 8
	v_lshrrev_b32_e32 v30, s14, v29
	v_bfe_u32 v30, v30, 0, s15
	v_lshlrev_b32_e32 v31, 2, v3
	v_lshl_or_b32 v30, v30, 4, v31
	v_mov_b32_e32 v31, 1
	ds_add_u32 v30, v31 offset:4096
	v_mov_b32_e32 v30, 0
.LBB982_74:
	s_or_b64 exec, exec, s[0:1]
	v_cmp_gt_i32_e64 s[0:1], 10, v30
	s_mov_b64 s[14:15], -1
	s_and_saveexec_b64 s[16:17], s[0:1]
; %bb.75:
	v_cmp_eq_u32_e64 s[0:1], 0, v30
	s_orn2_b64 s[14:15], s[0:1], exec
; %bb.76:
	s_or_b64 exec, exec, s[16:17]
	s_and_b64 exec, exec, s[14:15]
	s_cbranch_execz .LBB982_84
; %bb.77:
	s_add_i32 s14, s8, 16
	s_cmp_le_u32 s9, s14
	s_cselect_b64 s[0:1], -1, 0
	s_and_b64 s[16:17], s[0:1], exec
	s_cselect_b32 s15, 8, 10
	s_nor_b64 s[16:17], s[0:1], vcc
	v_mov_b32_e32 v30, s15
	s_and_saveexec_b64 s[0:1], s[16:17]
	s_cbranch_execz .LBB982_79
; %bb.78:
	s_sub_i32 s15, s9, s14
	s_min_u32 s15, s15, 8
	v_lshrrev_b32_e32 v30, s14, v29
	v_bfe_u32 v30, v30, 0, s15
	v_lshlrev_b32_e32 v31, 2, v3
	v_lshl_or_b32 v30, v30, 4, v31
	v_mov_b32_e32 v31, 1
	ds_add_u32 v30, v31 offset:8192
	v_mov_b32_e32 v30, 0
.LBB982_79:
	s_or_b64 exec, exec, s[0:1]
	v_cmp_gt_i32_e64 s[0:1], 10, v30
	s_mov_b64 s[14:15], -1
	s_and_saveexec_b64 s[16:17], s[0:1]
; %bb.80:
	v_cmp_eq_u32_e64 s[0:1], 0, v30
	s_orn2_b64 s[14:15], s[0:1], exec
; %bb.81:
	s_or_b64 exec, exec, s[16:17]
	s_and_b64 exec, exec, s[14:15]
	s_cbranch_execz .LBB982_84
; %bb.82:
	s_add_i32 s0, s8, 24
	s_cmp_gt_u32 s9, s0
	s_cselect_b64 s[14:15], -1, 0
	s_xor_b64 s[16:17], vcc, -1
	s_and_b64 s[14:15], s[14:15], s[16:17]
	s_and_b64 exec, exec, s[14:15]
	s_cbranch_execz .LBB982_84
; %bb.83:
	s_sub_i32 s1, s9, s0
	s_min_u32 s1, s1, 8
	v_lshrrev_b32_e32 v29, s0, v29
	v_bfe_u32 v29, v29, 0, s1
	v_lshlrev_b32_e32 v30, 2, v3
	v_lshl_or_b32 v29, v29, 4, v30
	v_mov_b32_e32 v30, 1
	ds_add_u32 v29, v30 offset:12288
.LBB982_84:
	s_or_b64 exec, exec, s[12:13]
	v_cmp_le_u32_e32 vcc, s11, v28
	s_nor_b64 s[12:13], s[2:3], vcc
	v_mov_b32_e32 v28, s18
	s_and_saveexec_b64 s[0:1], s[12:13]
	s_cbranch_execz .LBB982_86
; %bb.85:
	s_sub_i32 s12, s9, s8
	s_min_u32 s12, s12, 8
	v_lshrrev_b32_e32 v28, s8, v27
	v_bfe_u32 v28, v28, 0, s12
	v_lshlrev_b32_e32 v29, 2, v3
	v_lshl_or_b32 v28, v28, 4, v29
	v_mov_b32_e32 v29, 1
	ds_add_u32 v28, v29
	v_mov_b32_e32 v28, 0
.LBB982_86:
	s_or_b64 exec, exec, s[0:1]
	v_cmp_gt_i32_e64 s[0:1], 10, v28
	s_mov_b64 s[14:15], -1
	s_and_saveexec_b64 s[12:13], s[0:1]
; %bb.87:
	v_cmp_eq_u32_e64 s[0:1], 0, v28
	s_orn2_b64 s[14:15], s[0:1], exec
; %bb.88:
	s_or_b64 exec, exec, s[12:13]
	s_and_saveexec_b64 s[12:13], s[14:15]
	s_cbranch_execz .LBB982_101
; %bb.89:
	s_add_i32 s14, s8, 8
	s_cmp_le_u32 s9, s14
	s_cselect_b64 s[0:1], -1, 0
	s_and_b64 s[16:17], s[0:1], exec
	s_cselect_b32 s15, 8, 10
	s_nor_b64 s[16:17], s[0:1], vcc
	v_mov_b32_e32 v28, s15
	s_and_saveexec_b64 s[0:1], s[16:17]
	s_cbranch_execz .LBB982_91
; %bb.90:
	s_sub_i32 s15, s9, s14
	s_min_u32 s15, s15, 8
	v_lshrrev_b32_e32 v28, s14, v27
	v_bfe_u32 v28, v28, 0, s15
	v_lshlrev_b32_e32 v29, 2, v3
	v_lshl_or_b32 v28, v28, 4, v29
	v_mov_b32_e32 v29, 1
	ds_add_u32 v28, v29 offset:4096
	v_mov_b32_e32 v28, 0
.LBB982_91:
	s_or_b64 exec, exec, s[0:1]
	v_cmp_gt_i32_e64 s[0:1], 10, v28
	s_mov_b64 s[14:15], -1
	s_and_saveexec_b64 s[16:17], s[0:1]
; %bb.92:
	v_cmp_eq_u32_e64 s[0:1], 0, v28
	s_orn2_b64 s[14:15], s[0:1], exec
; %bb.93:
	s_or_b64 exec, exec, s[16:17]
	s_and_b64 exec, exec, s[14:15]
	s_cbranch_execz .LBB982_101
; %bb.94:
	s_add_i32 s14, s8, 16
	s_cmp_le_u32 s9, s14
	s_cselect_b64 s[0:1], -1, 0
	s_and_b64 s[16:17], s[0:1], exec
	s_cselect_b32 s15, 8, 10
	s_nor_b64 s[16:17], s[0:1], vcc
	v_mov_b32_e32 v28, s15
	s_and_saveexec_b64 s[0:1], s[16:17]
	s_cbranch_execz .LBB982_96
; %bb.95:
	s_sub_i32 s15, s9, s14
	s_min_u32 s15, s15, 8
	v_lshrrev_b32_e32 v28, s14, v27
	v_bfe_u32 v28, v28, 0, s15
	v_lshlrev_b32_e32 v29, 2, v3
	v_lshl_or_b32 v28, v28, 4, v29
	v_mov_b32_e32 v29, 1
	ds_add_u32 v28, v29 offset:8192
	v_mov_b32_e32 v28, 0
.LBB982_96:
	s_or_b64 exec, exec, s[0:1]
	v_cmp_gt_i32_e64 s[0:1], 10, v28
	s_mov_b64 s[14:15], -1
	s_and_saveexec_b64 s[16:17], s[0:1]
; %bb.97:
	v_cmp_eq_u32_e64 s[0:1], 0, v28
	s_orn2_b64 s[14:15], s[0:1], exec
; %bb.98:
	s_or_b64 exec, exec, s[16:17]
	s_and_b64 exec, exec, s[14:15]
	s_cbranch_execz .LBB982_101
; %bb.99:
	s_add_i32 s0, s8, 24
	s_cmp_gt_u32 s9, s0
	s_cselect_b64 s[14:15], -1, 0
	s_xor_b64 s[16:17], vcc, -1
	s_and_b64 s[14:15], s[14:15], s[16:17]
	s_and_b64 exec, exec, s[14:15]
	s_cbranch_execz .LBB982_101
; %bb.100:
	s_sub_i32 s1, s9, s0
	s_min_u32 s1, s1, 8
	v_lshrrev_b32_e32 v27, s0, v27
	v_bfe_u32 v27, v27, 0, s1
	v_lshlrev_b32_e32 v28, 2, v3
	v_lshl_or_b32 v27, v27, 4, v28
	v_mov_b32_e32 v28, 1
	ds_add_u32 v27, v28 offset:12288
.LBB982_101:
	s_or_b64 exec, exec, s[12:13]
	v_cmp_le_u32_e32 vcc, s11, v26
	s_nor_b64 s[12:13], s[2:3], vcc
	v_mov_b32_e32 v26, s18
	s_and_saveexec_b64 s[0:1], s[12:13]
	s_cbranch_execz .LBB982_103
; %bb.102:
	s_sub_i32 s12, s9, s8
	s_min_u32 s12, s12, 8
	v_lshrrev_b32_e32 v26, s8, v25
	v_bfe_u32 v26, v26, 0, s12
	v_lshlrev_b32_e32 v27, 2, v3
	v_lshl_or_b32 v26, v26, 4, v27
	v_mov_b32_e32 v27, 1
	ds_add_u32 v26, v27
	v_mov_b32_e32 v26, 0
.LBB982_103:
	s_or_b64 exec, exec, s[0:1]
	v_cmp_gt_i32_e64 s[0:1], 10, v26
	s_mov_b64 s[14:15], -1
	s_and_saveexec_b64 s[12:13], s[0:1]
; %bb.104:
	v_cmp_eq_u32_e64 s[0:1], 0, v26
	s_orn2_b64 s[14:15], s[0:1], exec
; %bb.105:
	s_or_b64 exec, exec, s[12:13]
	s_and_saveexec_b64 s[12:13], s[14:15]
	s_cbranch_execz .LBB982_118
; %bb.106:
	s_add_i32 s14, s8, 8
	s_cmp_le_u32 s9, s14
	s_cselect_b64 s[0:1], -1, 0
	s_and_b64 s[16:17], s[0:1], exec
	s_cselect_b32 s15, 8, 10
	s_nor_b64 s[16:17], s[0:1], vcc
	v_mov_b32_e32 v26, s15
	s_and_saveexec_b64 s[0:1], s[16:17]
	s_cbranch_execz .LBB982_108
; %bb.107:
	s_sub_i32 s15, s9, s14
	s_min_u32 s15, s15, 8
	v_lshrrev_b32_e32 v26, s14, v25
	v_bfe_u32 v26, v26, 0, s15
	v_lshlrev_b32_e32 v27, 2, v3
	v_lshl_or_b32 v26, v26, 4, v27
	v_mov_b32_e32 v27, 1
	ds_add_u32 v26, v27 offset:4096
	v_mov_b32_e32 v26, 0
.LBB982_108:
	s_or_b64 exec, exec, s[0:1]
	v_cmp_gt_i32_e64 s[0:1], 10, v26
	s_mov_b64 s[14:15], -1
	s_and_saveexec_b64 s[16:17], s[0:1]
; %bb.109:
	v_cmp_eq_u32_e64 s[0:1], 0, v26
	s_orn2_b64 s[14:15], s[0:1], exec
; %bb.110:
	s_or_b64 exec, exec, s[16:17]
	s_and_b64 exec, exec, s[14:15]
	s_cbranch_execz .LBB982_118
; %bb.111:
	s_add_i32 s14, s8, 16
	s_cmp_le_u32 s9, s14
	s_cselect_b64 s[0:1], -1, 0
	s_and_b64 s[16:17], s[0:1], exec
	s_cselect_b32 s15, 8, 10
	s_nor_b64 s[16:17], s[0:1], vcc
	v_mov_b32_e32 v26, s15
	s_and_saveexec_b64 s[0:1], s[16:17]
	s_cbranch_execz .LBB982_113
; %bb.112:
	s_sub_i32 s15, s9, s14
	s_min_u32 s15, s15, 8
	v_lshrrev_b32_e32 v26, s14, v25
	v_bfe_u32 v26, v26, 0, s15
	v_lshlrev_b32_e32 v27, 2, v3
	v_lshl_or_b32 v26, v26, 4, v27
	v_mov_b32_e32 v27, 1
	ds_add_u32 v26, v27 offset:8192
	v_mov_b32_e32 v26, 0
.LBB982_113:
	s_or_b64 exec, exec, s[0:1]
	v_cmp_gt_i32_e64 s[0:1], 10, v26
	s_mov_b64 s[14:15], -1
	s_and_saveexec_b64 s[16:17], s[0:1]
; %bb.114:
	v_cmp_eq_u32_e64 s[0:1], 0, v26
	s_orn2_b64 s[14:15], s[0:1], exec
; %bb.115:
	s_or_b64 exec, exec, s[16:17]
	s_and_b64 exec, exec, s[14:15]
	s_cbranch_execz .LBB982_118
; %bb.116:
	s_add_i32 s0, s8, 24
	s_cmp_gt_u32 s9, s0
	s_cselect_b64 s[14:15], -1, 0
	s_xor_b64 s[16:17], vcc, -1
	s_and_b64 s[14:15], s[14:15], s[16:17]
	s_and_b64 exec, exec, s[14:15]
	s_cbranch_execz .LBB982_118
; %bb.117:
	s_sub_i32 s1, s9, s0
	s_min_u32 s1, s1, 8
	v_lshrrev_b32_e32 v25, s0, v25
	v_bfe_u32 v25, v25, 0, s1
	v_lshlrev_b32_e32 v26, 2, v3
	v_lshl_or_b32 v25, v25, 4, v26
	v_mov_b32_e32 v26, 1
	ds_add_u32 v25, v26 offset:12288
.LBB982_118:
	s_or_b64 exec, exec, s[12:13]
	v_cmp_le_u32_e32 vcc, s11, v24
	s_nor_b64 s[12:13], s[2:3], vcc
	v_mov_b32_e32 v24, s18
	s_and_saveexec_b64 s[0:1], s[12:13]
	s_cbranch_execz .LBB982_120
; %bb.119:
	s_sub_i32 s12, s9, s8
	s_min_u32 s12, s12, 8
	v_lshrrev_b32_e32 v24, s8, v23
	v_bfe_u32 v24, v24, 0, s12
	v_lshlrev_b32_e32 v25, 2, v3
	v_lshl_or_b32 v24, v24, 4, v25
	v_mov_b32_e32 v25, 1
	ds_add_u32 v24, v25
	v_mov_b32_e32 v24, 0
.LBB982_120:
	s_or_b64 exec, exec, s[0:1]
	v_cmp_gt_i32_e64 s[0:1], 10, v24
	s_mov_b64 s[14:15], -1
	s_and_saveexec_b64 s[12:13], s[0:1]
; %bb.121:
	v_cmp_eq_u32_e64 s[0:1], 0, v24
	s_orn2_b64 s[14:15], s[0:1], exec
; %bb.122:
	s_or_b64 exec, exec, s[12:13]
	s_and_saveexec_b64 s[12:13], s[14:15]
	s_cbranch_execz .LBB982_135
; %bb.123:
	s_add_i32 s14, s8, 8
	s_cmp_le_u32 s9, s14
	s_cselect_b64 s[0:1], -1, 0
	s_and_b64 s[16:17], s[0:1], exec
	s_cselect_b32 s15, 8, 10
	s_nor_b64 s[16:17], s[0:1], vcc
	v_mov_b32_e32 v24, s15
	s_and_saveexec_b64 s[0:1], s[16:17]
	s_cbranch_execz .LBB982_125
; %bb.124:
	s_sub_i32 s15, s9, s14
	s_min_u32 s15, s15, 8
	v_lshrrev_b32_e32 v24, s14, v23
	v_bfe_u32 v24, v24, 0, s15
	v_lshlrev_b32_e32 v25, 2, v3
	v_lshl_or_b32 v24, v24, 4, v25
	v_mov_b32_e32 v25, 1
	ds_add_u32 v24, v25 offset:4096
	v_mov_b32_e32 v24, 0
.LBB982_125:
	s_or_b64 exec, exec, s[0:1]
	v_cmp_gt_i32_e64 s[0:1], 10, v24
	s_mov_b64 s[14:15], -1
	s_and_saveexec_b64 s[16:17], s[0:1]
; %bb.126:
	v_cmp_eq_u32_e64 s[0:1], 0, v24
	s_orn2_b64 s[14:15], s[0:1], exec
; %bb.127:
	s_or_b64 exec, exec, s[16:17]
	s_and_b64 exec, exec, s[14:15]
	s_cbranch_execz .LBB982_135
; %bb.128:
	s_add_i32 s14, s8, 16
	s_cmp_le_u32 s9, s14
	s_cselect_b64 s[0:1], -1, 0
	s_and_b64 s[16:17], s[0:1], exec
	s_cselect_b32 s15, 8, 10
	s_nor_b64 s[16:17], s[0:1], vcc
	v_mov_b32_e32 v24, s15
	s_and_saveexec_b64 s[0:1], s[16:17]
	s_cbranch_execz .LBB982_130
; %bb.129:
	s_sub_i32 s15, s9, s14
	s_min_u32 s15, s15, 8
	v_lshrrev_b32_e32 v24, s14, v23
	v_bfe_u32 v24, v24, 0, s15
	v_lshlrev_b32_e32 v25, 2, v3
	v_lshl_or_b32 v24, v24, 4, v25
	v_mov_b32_e32 v25, 1
	ds_add_u32 v24, v25 offset:8192
	v_mov_b32_e32 v24, 0
.LBB982_130:
	s_or_b64 exec, exec, s[0:1]
	v_cmp_gt_i32_e64 s[0:1], 10, v24
	s_mov_b64 s[14:15], -1
	s_and_saveexec_b64 s[16:17], s[0:1]
; %bb.131:
	v_cmp_eq_u32_e64 s[0:1], 0, v24
	s_orn2_b64 s[14:15], s[0:1], exec
; %bb.132:
	s_or_b64 exec, exec, s[16:17]
	s_and_b64 exec, exec, s[14:15]
	s_cbranch_execz .LBB982_135
; %bb.133:
	s_add_i32 s0, s8, 24
	s_cmp_gt_u32 s9, s0
	s_cselect_b64 s[14:15], -1, 0
	s_xor_b64 s[16:17], vcc, -1
	s_and_b64 s[14:15], s[14:15], s[16:17]
	s_and_b64 exec, exec, s[14:15]
	s_cbranch_execz .LBB982_135
; %bb.134:
	s_sub_i32 s1, s9, s0
	s_min_u32 s1, s1, 8
	v_lshrrev_b32_e32 v23, s0, v23
	v_bfe_u32 v23, v23, 0, s1
	v_lshlrev_b32_e32 v24, 2, v3
	v_lshl_or_b32 v23, v23, 4, v24
	v_mov_b32_e32 v24, 1
	ds_add_u32 v23, v24 offset:12288
.LBB982_135:
	s_or_b64 exec, exec, s[12:13]
	v_cmp_le_u32_e32 vcc, s11, v22
	s_nor_b64 s[12:13], s[2:3], vcc
	v_mov_b32_e32 v22, s18
	s_and_saveexec_b64 s[0:1], s[12:13]
	s_cbranch_execz .LBB982_137
; %bb.136:
	s_sub_i32 s12, s9, s8
	s_min_u32 s12, s12, 8
	v_lshrrev_b32_e32 v22, s8, v21
	v_bfe_u32 v22, v22, 0, s12
	v_lshlrev_b32_e32 v23, 2, v3
	v_lshl_or_b32 v22, v22, 4, v23
	v_mov_b32_e32 v23, 1
	ds_add_u32 v22, v23
	v_mov_b32_e32 v22, 0
.LBB982_137:
	s_or_b64 exec, exec, s[0:1]
	v_cmp_gt_i32_e64 s[0:1], 10, v22
	s_mov_b64 s[14:15], -1
	s_and_saveexec_b64 s[12:13], s[0:1]
; %bb.138:
	v_cmp_eq_u32_e64 s[0:1], 0, v22
	s_orn2_b64 s[14:15], s[0:1], exec
; %bb.139:
	s_or_b64 exec, exec, s[12:13]
	s_and_saveexec_b64 s[12:13], s[14:15]
	s_cbranch_execz .LBB982_152
; %bb.140:
	s_add_i32 s14, s8, 8
	s_cmp_le_u32 s9, s14
	s_cselect_b64 s[0:1], -1, 0
	s_and_b64 s[16:17], s[0:1], exec
	s_cselect_b32 s15, 8, 10
	s_nor_b64 s[16:17], s[0:1], vcc
	v_mov_b32_e32 v22, s15
	s_and_saveexec_b64 s[0:1], s[16:17]
	s_cbranch_execz .LBB982_142
; %bb.141:
	s_sub_i32 s15, s9, s14
	s_min_u32 s15, s15, 8
	v_lshrrev_b32_e32 v22, s14, v21
	v_bfe_u32 v22, v22, 0, s15
	v_lshlrev_b32_e32 v23, 2, v3
	v_lshl_or_b32 v22, v22, 4, v23
	v_mov_b32_e32 v23, 1
	ds_add_u32 v22, v23 offset:4096
	v_mov_b32_e32 v22, 0
.LBB982_142:
	s_or_b64 exec, exec, s[0:1]
	v_cmp_gt_i32_e64 s[0:1], 10, v22
	s_mov_b64 s[14:15], -1
	s_and_saveexec_b64 s[16:17], s[0:1]
; %bb.143:
	v_cmp_eq_u32_e64 s[0:1], 0, v22
	s_orn2_b64 s[14:15], s[0:1], exec
; %bb.144:
	s_or_b64 exec, exec, s[16:17]
	s_and_b64 exec, exec, s[14:15]
	s_cbranch_execz .LBB982_152
; %bb.145:
	s_add_i32 s14, s8, 16
	s_cmp_le_u32 s9, s14
	s_cselect_b64 s[0:1], -1, 0
	s_and_b64 s[16:17], s[0:1], exec
	s_cselect_b32 s15, 8, 10
	s_nor_b64 s[16:17], s[0:1], vcc
	v_mov_b32_e32 v22, s15
	s_and_saveexec_b64 s[0:1], s[16:17]
	s_cbranch_execz .LBB982_147
; %bb.146:
	s_sub_i32 s15, s9, s14
	s_min_u32 s15, s15, 8
	v_lshrrev_b32_e32 v22, s14, v21
	v_bfe_u32 v22, v22, 0, s15
	v_lshlrev_b32_e32 v23, 2, v3
	v_lshl_or_b32 v22, v22, 4, v23
	v_mov_b32_e32 v23, 1
	ds_add_u32 v22, v23 offset:8192
	v_mov_b32_e32 v22, 0
.LBB982_147:
	s_or_b64 exec, exec, s[0:1]
	v_cmp_gt_i32_e64 s[0:1], 10, v22
	s_mov_b64 s[14:15], -1
	s_and_saveexec_b64 s[16:17], s[0:1]
; %bb.148:
	v_cmp_eq_u32_e64 s[0:1], 0, v22
	s_orn2_b64 s[14:15], s[0:1], exec
; %bb.149:
	s_or_b64 exec, exec, s[16:17]
	s_and_b64 exec, exec, s[14:15]
	s_cbranch_execz .LBB982_152
; %bb.150:
	s_add_i32 s0, s8, 24
	s_cmp_gt_u32 s9, s0
	s_cselect_b64 s[14:15], -1, 0
	s_xor_b64 s[16:17], vcc, -1
	s_and_b64 s[14:15], s[14:15], s[16:17]
	s_and_b64 exec, exec, s[14:15]
	s_cbranch_execz .LBB982_152
; %bb.151:
	s_sub_i32 s1, s9, s0
	s_min_u32 s1, s1, 8
	v_lshrrev_b32_e32 v21, s0, v21
	v_bfe_u32 v21, v21, 0, s1
	v_lshlrev_b32_e32 v22, 2, v3
	v_lshl_or_b32 v21, v21, 4, v22
	v_mov_b32_e32 v22, 1
	ds_add_u32 v21, v22 offset:12288
.LBB982_152:
	s_or_b64 exec, exec, s[12:13]
	v_cmp_le_u32_e32 vcc, s11, v20
	s_nor_b64 s[12:13], s[2:3], vcc
	v_mov_b32_e32 v20, s18
	s_and_saveexec_b64 s[0:1], s[12:13]
	s_cbranch_execz .LBB982_154
; %bb.153:
	s_sub_i32 s12, s9, s8
	s_min_u32 s12, s12, 8
	v_lshrrev_b32_e32 v20, s8, v19
	v_bfe_u32 v20, v20, 0, s12
	v_lshlrev_b32_e32 v21, 2, v3
	v_lshl_or_b32 v20, v20, 4, v21
	v_mov_b32_e32 v21, 1
	ds_add_u32 v20, v21
	v_mov_b32_e32 v20, 0
.LBB982_154:
	s_or_b64 exec, exec, s[0:1]
	v_cmp_gt_i32_e64 s[0:1], 10, v20
	s_mov_b64 s[14:15], -1
	s_and_saveexec_b64 s[12:13], s[0:1]
; %bb.155:
	v_cmp_eq_u32_e64 s[0:1], 0, v20
	s_orn2_b64 s[14:15], s[0:1], exec
; %bb.156:
	s_or_b64 exec, exec, s[12:13]
	s_and_saveexec_b64 s[12:13], s[14:15]
	s_cbranch_execz .LBB982_169
; %bb.157:
	s_add_i32 s14, s8, 8
	s_cmp_le_u32 s9, s14
	s_cselect_b64 s[0:1], -1, 0
	s_and_b64 s[16:17], s[0:1], exec
	s_cselect_b32 s15, 8, 10
	s_nor_b64 s[16:17], s[0:1], vcc
	v_mov_b32_e32 v20, s15
	s_and_saveexec_b64 s[0:1], s[16:17]
	s_cbranch_execz .LBB982_159
; %bb.158:
	s_sub_i32 s15, s9, s14
	s_min_u32 s15, s15, 8
	v_lshrrev_b32_e32 v20, s14, v19
	v_bfe_u32 v20, v20, 0, s15
	v_lshlrev_b32_e32 v21, 2, v3
	v_lshl_or_b32 v20, v20, 4, v21
	v_mov_b32_e32 v21, 1
	ds_add_u32 v20, v21 offset:4096
	v_mov_b32_e32 v20, 0
.LBB982_159:
	s_or_b64 exec, exec, s[0:1]
	v_cmp_gt_i32_e64 s[0:1], 10, v20
	s_mov_b64 s[14:15], -1
	s_and_saveexec_b64 s[16:17], s[0:1]
; %bb.160:
	v_cmp_eq_u32_e64 s[0:1], 0, v20
	s_orn2_b64 s[14:15], s[0:1], exec
; %bb.161:
	s_or_b64 exec, exec, s[16:17]
	s_and_b64 exec, exec, s[14:15]
	s_cbranch_execz .LBB982_169
; %bb.162:
	s_add_i32 s14, s8, 16
	s_cmp_le_u32 s9, s14
	s_cselect_b64 s[0:1], -1, 0
	s_and_b64 s[16:17], s[0:1], exec
	s_cselect_b32 s15, 8, 10
	s_nor_b64 s[16:17], s[0:1], vcc
	v_mov_b32_e32 v20, s15
	s_and_saveexec_b64 s[0:1], s[16:17]
	s_cbranch_execz .LBB982_164
; %bb.163:
	s_sub_i32 s15, s9, s14
	s_min_u32 s15, s15, 8
	v_lshrrev_b32_e32 v20, s14, v19
	v_bfe_u32 v20, v20, 0, s15
	v_lshlrev_b32_e32 v21, 2, v3
	v_lshl_or_b32 v20, v20, 4, v21
	v_mov_b32_e32 v21, 1
	ds_add_u32 v20, v21 offset:8192
	v_mov_b32_e32 v20, 0
.LBB982_164:
	s_or_b64 exec, exec, s[0:1]
	v_cmp_gt_i32_e64 s[0:1], 10, v20
	s_mov_b64 s[14:15], -1
	s_and_saveexec_b64 s[16:17], s[0:1]
; %bb.165:
	v_cmp_eq_u32_e64 s[0:1], 0, v20
	s_orn2_b64 s[14:15], s[0:1], exec
; %bb.166:
	s_or_b64 exec, exec, s[16:17]
	s_and_b64 exec, exec, s[14:15]
	s_cbranch_execz .LBB982_169
; %bb.167:
	s_add_i32 s0, s8, 24
	s_cmp_gt_u32 s9, s0
	s_cselect_b64 s[14:15], -1, 0
	s_xor_b64 s[16:17], vcc, -1
	s_and_b64 s[14:15], s[14:15], s[16:17]
	s_and_b64 exec, exec, s[14:15]
	s_cbranch_execz .LBB982_169
; %bb.168:
	s_sub_i32 s1, s9, s0
	s_min_u32 s1, s1, 8
	v_lshrrev_b32_e32 v19, s0, v19
	v_bfe_u32 v19, v19, 0, s1
	v_lshlrev_b32_e32 v20, 2, v3
	v_lshl_or_b32 v19, v19, 4, v20
	v_mov_b32_e32 v20, 1
	ds_add_u32 v19, v20 offset:12288
.LBB982_169:
	s_or_b64 exec, exec, s[12:13]
	v_cmp_le_u32_e32 vcc, s11, v18
	s_nor_b64 s[12:13], s[2:3], vcc
	v_mov_b32_e32 v18, s18
	s_and_saveexec_b64 s[0:1], s[12:13]
	s_cbranch_execz .LBB982_171
; %bb.170:
	s_sub_i32 s12, s9, s8
	s_min_u32 s12, s12, 8
	v_lshrrev_b32_e32 v18, s8, v17
	v_bfe_u32 v18, v18, 0, s12
	v_lshlrev_b32_e32 v19, 2, v3
	v_lshl_or_b32 v18, v18, 4, v19
	v_mov_b32_e32 v19, 1
	ds_add_u32 v18, v19
	v_mov_b32_e32 v18, 0
.LBB982_171:
	s_or_b64 exec, exec, s[0:1]
	v_cmp_gt_i32_e64 s[0:1], 10, v18
	s_mov_b64 s[14:15], -1
	s_and_saveexec_b64 s[12:13], s[0:1]
; %bb.172:
	v_cmp_eq_u32_e64 s[0:1], 0, v18
	s_orn2_b64 s[14:15], s[0:1], exec
; %bb.173:
	s_or_b64 exec, exec, s[12:13]
	s_and_saveexec_b64 s[12:13], s[14:15]
	s_cbranch_execz .LBB982_186
; %bb.174:
	s_add_i32 s14, s8, 8
	s_cmp_le_u32 s9, s14
	s_cselect_b64 s[0:1], -1, 0
	s_and_b64 s[16:17], s[0:1], exec
	s_cselect_b32 s15, 8, 10
	s_nor_b64 s[16:17], s[0:1], vcc
	v_mov_b32_e32 v18, s15
	s_and_saveexec_b64 s[0:1], s[16:17]
	s_cbranch_execz .LBB982_176
; %bb.175:
	s_sub_i32 s15, s9, s14
	s_min_u32 s15, s15, 8
	v_lshrrev_b32_e32 v18, s14, v17
	v_bfe_u32 v18, v18, 0, s15
	v_lshlrev_b32_e32 v19, 2, v3
	v_lshl_or_b32 v18, v18, 4, v19
	v_mov_b32_e32 v19, 1
	ds_add_u32 v18, v19 offset:4096
	v_mov_b32_e32 v18, 0
.LBB982_176:
	s_or_b64 exec, exec, s[0:1]
	v_cmp_gt_i32_e64 s[0:1], 10, v18
	s_mov_b64 s[14:15], -1
	s_and_saveexec_b64 s[16:17], s[0:1]
; %bb.177:
	v_cmp_eq_u32_e64 s[0:1], 0, v18
	s_orn2_b64 s[14:15], s[0:1], exec
; %bb.178:
	s_or_b64 exec, exec, s[16:17]
	s_and_b64 exec, exec, s[14:15]
	s_cbranch_execz .LBB982_186
; %bb.179:
	s_add_i32 s14, s8, 16
	s_cmp_le_u32 s9, s14
	s_cselect_b64 s[0:1], -1, 0
	s_and_b64 s[16:17], s[0:1], exec
	s_cselect_b32 s15, 8, 10
	s_nor_b64 s[16:17], s[0:1], vcc
	v_mov_b32_e32 v18, s15
	s_and_saveexec_b64 s[0:1], s[16:17]
	s_cbranch_execz .LBB982_181
; %bb.180:
	s_sub_i32 s15, s9, s14
	s_min_u32 s15, s15, 8
	v_lshrrev_b32_e32 v18, s14, v17
	v_bfe_u32 v18, v18, 0, s15
	v_lshlrev_b32_e32 v19, 2, v3
	v_lshl_or_b32 v18, v18, 4, v19
	v_mov_b32_e32 v19, 1
	ds_add_u32 v18, v19 offset:8192
	v_mov_b32_e32 v18, 0
.LBB982_181:
	s_or_b64 exec, exec, s[0:1]
	v_cmp_gt_i32_e64 s[0:1], 10, v18
	s_mov_b64 s[14:15], -1
	s_and_saveexec_b64 s[16:17], s[0:1]
; %bb.182:
	v_cmp_eq_u32_e64 s[0:1], 0, v18
	s_orn2_b64 s[14:15], s[0:1], exec
; %bb.183:
	s_or_b64 exec, exec, s[16:17]
	s_and_b64 exec, exec, s[14:15]
	s_cbranch_execz .LBB982_186
; %bb.184:
	s_add_i32 s0, s8, 24
	s_cmp_gt_u32 s9, s0
	s_cselect_b64 s[14:15], -1, 0
	s_xor_b64 s[16:17], vcc, -1
	s_and_b64 s[14:15], s[14:15], s[16:17]
	s_and_b64 exec, exec, s[14:15]
	s_cbranch_execz .LBB982_186
; %bb.185:
	s_sub_i32 s1, s9, s0
	s_min_u32 s1, s1, 8
	v_lshrrev_b32_e32 v17, s0, v17
	v_bfe_u32 v17, v17, 0, s1
	v_lshlrev_b32_e32 v18, 2, v3
	v_lshl_or_b32 v17, v17, 4, v18
	v_mov_b32_e32 v18, 1
	ds_add_u32 v17, v18 offset:12288
.LBB982_186:
	s_or_b64 exec, exec, s[12:13]
	v_cmp_le_u32_e32 vcc, s11, v16
	s_nor_b64 s[12:13], s[2:3], vcc
	v_mov_b32_e32 v16, s18
	s_and_saveexec_b64 s[0:1], s[12:13]
	s_cbranch_execz .LBB982_188
; %bb.187:
	s_sub_i32 s12, s9, s8
	s_min_u32 s12, s12, 8
	v_lshrrev_b32_e32 v16, s8, v15
	v_bfe_u32 v16, v16, 0, s12
	v_lshlrev_b32_e32 v17, 2, v3
	v_lshl_or_b32 v16, v16, 4, v17
	v_mov_b32_e32 v17, 1
	ds_add_u32 v16, v17
	v_mov_b32_e32 v16, 0
.LBB982_188:
	s_or_b64 exec, exec, s[0:1]
	v_cmp_gt_i32_e64 s[0:1], 10, v16
	s_mov_b64 s[14:15], -1
	s_and_saveexec_b64 s[12:13], s[0:1]
; %bb.189:
	v_cmp_eq_u32_e64 s[0:1], 0, v16
	s_orn2_b64 s[14:15], s[0:1], exec
; %bb.190:
	s_or_b64 exec, exec, s[12:13]
	s_and_saveexec_b64 s[12:13], s[14:15]
	s_cbranch_execz .LBB982_203
; %bb.191:
	s_add_i32 s14, s8, 8
	s_cmp_le_u32 s9, s14
	s_cselect_b64 s[0:1], -1, 0
	s_and_b64 s[16:17], s[0:1], exec
	s_cselect_b32 s15, 8, 10
	s_nor_b64 s[16:17], s[0:1], vcc
	v_mov_b32_e32 v16, s15
	s_and_saveexec_b64 s[0:1], s[16:17]
	s_cbranch_execz .LBB982_193
; %bb.192:
	s_sub_i32 s15, s9, s14
	s_min_u32 s15, s15, 8
	v_lshrrev_b32_e32 v16, s14, v15
	v_bfe_u32 v16, v16, 0, s15
	v_lshlrev_b32_e32 v17, 2, v3
	v_lshl_or_b32 v16, v16, 4, v17
	v_mov_b32_e32 v17, 1
	ds_add_u32 v16, v17 offset:4096
	v_mov_b32_e32 v16, 0
.LBB982_193:
	s_or_b64 exec, exec, s[0:1]
	v_cmp_gt_i32_e64 s[0:1], 10, v16
	s_mov_b64 s[14:15], -1
	s_and_saveexec_b64 s[16:17], s[0:1]
; %bb.194:
	v_cmp_eq_u32_e64 s[0:1], 0, v16
	s_orn2_b64 s[14:15], s[0:1], exec
; %bb.195:
	s_or_b64 exec, exec, s[16:17]
	s_and_b64 exec, exec, s[14:15]
	s_cbranch_execz .LBB982_203
; %bb.196:
	s_add_i32 s14, s8, 16
	s_cmp_le_u32 s9, s14
	s_cselect_b64 s[0:1], -1, 0
	s_and_b64 s[16:17], s[0:1], exec
	s_cselect_b32 s15, 8, 10
	s_nor_b64 s[16:17], s[0:1], vcc
	v_mov_b32_e32 v16, s15
	s_and_saveexec_b64 s[0:1], s[16:17]
	s_cbranch_execz .LBB982_198
; %bb.197:
	s_sub_i32 s15, s9, s14
	s_min_u32 s15, s15, 8
	v_lshrrev_b32_e32 v16, s14, v15
	v_bfe_u32 v16, v16, 0, s15
	v_lshlrev_b32_e32 v17, 2, v3
	v_lshl_or_b32 v16, v16, 4, v17
	v_mov_b32_e32 v17, 1
	ds_add_u32 v16, v17 offset:8192
	v_mov_b32_e32 v16, 0
.LBB982_198:
	s_or_b64 exec, exec, s[0:1]
	v_cmp_gt_i32_e64 s[0:1], 10, v16
	s_mov_b64 s[14:15], -1
	s_and_saveexec_b64 s[16:17], s[0:1]
; %bb.199:
	v_cmp_eq_u32_e64 s[0:1], 0, v16
	s_orn2_b64 s[14:15], s[0:1], exec
; %bb.200:
	s_or_b64 exec, exec, s[16:17]
	s_and_b64 exec, exec, s[14:15]
	s_cbranch_execz .LBB982_203
; %bb.201:
	s_add_i32 s0, s8, 24
	s_cmp_gt_u32 s9, s0
	s_cselect_b64 s[14:15], -1, 0
	s_xor_b64 s[16:17], vcc, -1
	s_and_b64 s[14:15], s[14:15], s[16:17]
	s_and_b64 exec, exec, s[14:15]
	s_cbranch_execz .LBB982_203
; %bb.202:
	s_sub_i32 s1, s9, s0
	s_min_u32 s1, s1, 8
	v_lshrrev_b32_e32 v15, s0, v15
	v_bfe_u32 v15, v15, 0, s1
	v_lshlrev_b32_e32 v16, 2, v3
	v_lshl_or_b32 v15, v15, 4, v16
	v_mov_b32_e32 v16, 1
	ds_add_u32 v15, v16 offset:12288
.LBB982_203:
	s_or_b64 exec, exec, s[12:13]
	v_cmp_le_u32_e32 vcc, s11, v14
	s_nor_b64 s[12:13], s[2:3], vcc
	v_mov_b32_e32 v14, s18
	s_and_saveexec_b64 s[0:1], s[12:13]
	s_cbranch_execz .LBB982_205
; %bb.204:
	s_sub_i32 s12, s9, s8
	s_min_u32 s12, s12, 8
	v_lshrrev_b32_e32 v14, s8, v13
	v_bfe_u32 v14, v14, 0, s12
	v_lshlrev_b32_e32 v15, 2, v3
	v_lshl_or_b32 v14, v14, 4, v15
	v_mov_b32_e32 v15, 1
	ds_add_u32 v14, v15
	v_mov_b32_e32 v14, 0
.LBB982_205:
	s_or_b64 exec, exec, s[0:1]
	v_cmp_gt_i32_e64 s[0:1], 10, v14
	s_mov_b64 s[14:15], -1
	s_and_saveexec_b64 s[12:13], s[0:1]
; %bb.206:
	v_cmp_eq_u32_e64 s[0:1], 0, v14
	s_orn2_b64 s[14:15], s[0:1], exec
; %bb.207:
	s_or_b64 exec, exec, s[12:13]
	s_and_saveexec_b64 s[12:13], s[14:15]
	s_cbranch_execz .LBB982_220
; %bb.208:
	s_add_i32 s14, s8, 8
	s_cmp_le_u32 s9, s14
	s_cselect_b64 s[0:1], -1, 0
	s_and_b64 s[16:17], s[0:1], exec
	s_cselect_b32 s15, 8, 10
	s_nor_b64 s[16:17], s[0:1], vcc
	v_mov_b32_e32 v14, s15
	s_and_saveexec_b64 s[0:1], s[16:17]
	s_cbranch_execz .LBB982_210
; %bb.209:
	s_sub_i32 s15, s9, s14
	s_min_u32 s15, s15, 8
	v_lshrrev_b32_e32 v14, s14, v13
	v_bfe_u32 v14, v14, 0, s15
	v_lshlrev_b32_e32 v15, 2, v3
	v_lshl_or_b32 v14, v14, 4, v15
	v_mov_b32_e32 v15, 1
	ds_add_u32 v14, v15 offset:4096
	v_mov_b32_e32 v14, 0
.LBB982_210:
	s_or_b64 exec, exec, s[0:1]
	v_cmp_gt_i32_e64 s[0:1], 10, v14
	s_mov_b64 s[14:15], -1
	s_and_saveexec_b64 s[16:17], s[0:1]
; %bb.211:
	v_cmp_eq_u32_e64 s[0:1], 0, v14
	s_orn2_b64 s[14:15], s[0:1], exec
; %bb.212:
	s_or_b64 exec, exec, s[16:17]
	s_and_b64 exec, exec, s[14:15]
	s_cbranch_execz .LBB982_220
; %bb.213:
	s_add_i32 s14, s8, 16
	s_cmp_le_u32 s9, s14
	s_cselect_b64 s[0:1], -1, 0
	s_and_b64 s[16:17], s[0:1], exec
	s_cselect_b32 s15, 8, 10
	s_nor_b64 s[16:17], s[0:1], vcc
	v_mov_b32_e32 v14, s15
	s_and_saveexec_b64 s[0:1], s[16:17]
	s_cbranch_execz .LBB982_215
; %bb.214:
	s_sub_i32 s15, s9, s14
	s_min_u32 s15, s15, 8
	v_lshrrev_b32_e32 v14, s14, v13
	v_bfe_u32 v14, v14, 0, s15
	v_lshlrev_b32_e32 v15, 2, v3
	v_lshl_or_b32 v14, v14, 4, v15
	v_mov_b32_e32 v15, 1
	ds_add_u32 v14, v15 offset:8192
	v_mov_b32_e32 v14, 0
.LBB982_215:
	s_or_b64 exec, exec, s[0:1]
	v_cmp_gt_i32_e64 s[0:1], 10, v14
	s_mov_b64 s[14:15], -1
	s_and_saveexec_b64 s[16:17], s[0:1]
; %bb.216:
	v_cmp_eq_u32_e64 s[0:1], 0, v14
	s_orn2_b64 s[14:15], s[0:1], exec
; %bb.217:
	s_or_b64 exec, exec, s[16:17]
	s_and_b64 exec, exec, s[14:15]
	s_cbranch_execz .LBB982_220
; %bb.218:
	s_add_i32 s0, s8, 24
	s_cmp_gt_u32 s9, s0
	s_cselect_b64 s[14:15], -1, 0
	s_xor_b64 s[16:17], vcc, -1
	s_and_b64 s[14:15], s[14:15], s[16:17]
	s_and_b64 exec, exec, s[14:15]
	s_cbranch_execz .LBB982_220
; %bb.219:
	s_sub_i32 s1, s9, s0
	s_min_u32 s1, s1, 8
	v_lshrrev_b32_e32 v13, s0, v13
	v_bfe_u32 v13, v13, 0, s1
	v_lshlrev_b32_e32 v14, 2, v3
	v_lshl_or_b32 v13, v13, 4, v14
	v_mov_b32_e32 v14, 1
	ds_add_u32 v13, v14 offset:12288
.LBB982_220:
	s_or_b64 exec, exec, s[12:13]
	v_cmp_le_u32_e32 vcc, s11, v12
	s_nor_b64 s[12:13], s[2:3], vcc
	v_mov_b32_e32 v12, s18
	s_and_saveexec_b64 s[0:1], s[12:13]
	s_cbranch_execz .LBB982_222
; %bb.221:
	s_sub_i32 s12, s9, s8
	s_min_u32 s12, s12, 8
	v_lshrrev_b32_e32 v12, s8, v11
	v_bfe_u32 v12, v12, 0, s12
	v_lshlrev_b32_e32 v13, 2, v3
	v_lshl_or_b32 v12, v12, 4, v13
	v_mov_b32_e32 v13, 1
	ds_add_u32 v12, v13
	v_mov_b32_e32 v12, 0
.LBB982_222:
	s_or_b64 exec, exec, s[0:1]
	v_cmp_gt_i32_e64 s[0:1], 10, v12
	s_mov_b64 s[14:15], -1
	s_and_saveexec_b64 s[12:13], s[0:1]
; %bb.223:
	v_cmp_eq_u32_e64 s[0:1], 0, v12
	s_orn2_b64 s[14:15], s[0:1], exec
; %bb.224:
	s_or_b64 exec, exec, s[12:13]
	s_and_saveexec_b64 s[12:13], s[14:15]
	s_cbranch_execz .LBB982_237
; %bb.225:
	s_add_i32 s14, s8, 8
	s_cmp_le_u32 s9, s14
	s_cselect_b64 s[0:1], -1, 0
	s_and_b64 s[16:17], s[0:1], exec
	s_cselect_b32 s15, 8, 10
	s_nor_b64 s[16:17], s[0:1], vcc
	v_mov_b32_e32 v12, s15
	s_and_saveexec_b64 s[0:1], s[16:17]
	s_cbranch_execz .LBB982_227
; %bb.226:
	s_sub_i32 s15, s9, s14
	s_min_u32 s15, s15, 8
	v_lshrrev_b32_e32 v12, s14, v11
	v_bfe_u32 v12, v12, 0, s15
	v_lshlrev_b32_e32 v13, 2, v3
	v_lshl_or_b32 v12, v12, 4, v13
	v_mov_b32_e32 v13, 1
	ds_add_u32 v12, v13 offset:4096
	v_mov_b32_e32 v12, 0
.LBB982_227:
	s_or_b64 exec, exec, s[0:1]
	v_cmp_gt_i32_e64 s[0:1], 10, v12
	s_mov_b64 s[14:15], -1
	s_and_saveexec_b64 s[16:17], s[0:1]
; %bb.228:
	v_cmp_eq_u32_e64 s[0:1], 0, v12
	s_orn2_b64 s[14:15], s[0:1], exec
; %bb.229:
	s_or_b64 exec, exec, s[16:17]
	s_and_b64 exec, exec, s[14:15]
	s_cbranch_execz .LBB982_237
; %bb.230:
	s_add_i32 s14, s8, 16
	s_cmp_le_u32 s9, s14
	s_cselect_b64 s[0:1], -1, 0
	s_and_b64 s[16:17], s[0:1], exec
	s_cselect_b32 s15, 8, 10
	s_nor_b64 s[16:17], s[0:1], vcc
	v_mov_b32_e32 v12, s15
	s_and_saveexec_b64 s[0:1], s[16:17]
	s_cbranch_execz .LBB982_232
; %bb.231:
	s_sub_i32 s15, s9, s14
	s_min_u32 s15, s15, 8
	v_lshrrev_b32_e32 v12, s14, v11
	v_bfe_u32 v12, v12, 0, s15
	v_lshlrev_b32_e32 v13, 2, v3
	v_lshl_or_b32 v12, v12, 4, v13
	v_mov_b32_e32 v13, 1
	ds_add_u32 v12, v13 offset:8192
	v_mov_b32_e32 v12, 0
.LBB982_232:
	s_or_b64 exec, exec, s[0:1]
	v_cmp_gt_i32_e64 s[0:1], 10, v12
	s_mov_b64 s[14:15], -1
	s_and_saveexec_b64 s[16:17], s[0:1]
; %bb.233:
	v_cmp_eq_u32_e64 s[0:1], 0, v12
	s_orn2_b64 s[14:15], s[0:1], exec
; %bb.234:
	s_or_b64 exec, exec, s[16:17]
	s_and_b64 exec, exec, s[14:15]
	s_cbranch_execz .LBB982_237
; %bb.235:
	s_add_i32 s0, s8, 24
	s_cmp_gt_u32 s9, s0
	s_cselect_b64 s[14:15], -1, 0
	s_xor_b64 s[16:17], vcc, -1
	s_and_b64 s[14:15], s[14:15], s[16:17]
	s_and_b64 exec, exec, s[14:15]
	s_cbranch_execz .LBB982_237
; %bb.236:
	s_sub_i32 s1, s9, s0
	s_min_u32 s1, s1, 8
	v_lshrrev_b32_e32 v11, s0, v11
	v_bfe_u32 v11, v11, 0, s1
	v_lshlrev_b32_e32 v12, 2, v3
	v_lshl_or_b32 v11, v11, 4, v12
	v_mov_b32_e32 v12, 1
	ds_add_u32 v11, v12 offset:12288
.LBB982_237:
	s_or_b64 exec, exec, s[12:13]
	v_cmp_le_u32_e32 vcc, s11, v10
	s_nor_b64 s[12:13], s[2:3], vcc
	v_mov_b32_e32 v10, s18
	s_and_saveexec_b64 s[0:1], s[12:13]
	s_cbranch_execz .LBB982_239
; %bb.238:
	s_sub_i32 s12, s9, s8
	s_min_u32 s12, s12, 8
	v_lshrrev_b32_e32 v10, s8, v9
	v_bfe_u32 v10, v10, 0, s12
	v_lshlrev_b32_e32 v11, 2, v3
	v_lshl_or_b32 v10, v10, 4, v11
	v_mov_b32_e32 v11, 1
	ds_add_u32 v10, v11
	v_mov_b32_e32 v10, 0
.LBB982_239:
	s_or_b64 exec, exec, s[0:1]
	v_cmp_gt_i32_e64 s[0:1], 10, v10
	s_mov_b64 s[14:15], -1
	s_and_saveexec_b64 s[12:13], s[0:1]
; %bb.240:
	v_cmp_eq_u32_e64 s[0:1], 0, v10
	s_orn2_b64 s[14:15], s[0:1], exec
; %bb.241:
	s_or_b64 exec, exec, s[12:13]
	s_and_saveexec_b64 s[12:13], s[14:15]
	s_cbranch_execz .LBB982_254
; %bb.242:
	s_add_i32 s14, s8, 8
	s_cmp_le_u32 s9, s14
	s_cselect_b64 s[0:1], -1, 0
	s_and_b64 s[16:17], s[0:1], exec
	s_cselect_b32 s15, 8, 10
	s_nor_b64 s[16:17], s[0:1], vcc
	v_mov_b32_e32 v10, s15
	s_and_saveexec_b64 s[0:1], s[16:17]
	s_cbranch_execz .LBB982_244
; %bb.243:
	s_sub_i32 s15, s9, s14
	s_min_u32 s15, s15, 8
	v_lshrrev_b32_e32 v10, s14, v9
	v_bfe_u32 v10, v10, 0, s15
	v_lshlrev_b32_e32 v11, 2, v3
	v_lshl_or_b32 v10, v10, 4, v11
	v_mov_b32_e32 v11, 1
	ds_add_u32 v10, v11 offset:4096
	v_mov_b32_e32 v10, 0
.LBB982_244:
	s_or_b64 exec, exec, s[0:1]
	v_cmp_gt_i32_e64 s[0:1], 10, v10
	s_mov_b64 s[14:15], -1
	s_and_saveexec_b64 s[16:17], s[0:1]
; %bb.245:
	v_cmp_eq_u32_e64 s[0:1], 0, v10
	s_orn2_b64 s[14:15], s[0:1], exec
; %bb.246:
	s_or_b64 exec, exec, s[16:17]
	s_and_b64 exec, exec, s[14:15]
	s_cbranch_execz .LBB982_254
; %bb.247:
	s_add_i32 s14, s8, 16
	s_cmp_le_u32 s9, s14
	s_cselect_b64 s[0:1], -1, 0
	s_and_b64 s[16:17], s[0:1], exec
	s_cselect_b32 s15, 8, 10
	s_nor_b64 s[16:17], s[0:1], vcc
	v_mov_b32_e32 v10, s15
	s_and_saveexec_b64 s[0:1], s[16:17]
	s_cbranch_execz .LBB982_249
; %bb.248:
	s_sub_i32 s15, s9, s14
	s_min_u32 s15, s15, 8
	v_lshrrev_b32_e32 v10, s14, v9
	v_bfe_u32 v10, v10, 0, s15
	v_lshlrev_b32_e32 v11, 2, v3
	v_lshl_or_b32 v10, v10, 4, v11
	v_mov_b32_e32 v11, 1
	ds_add_u32 v10, v11 offset:8192
	v_mov_b32_e32 v10, 0
.LBB982_249:
	s_or_b64 exec, exec, s[0:1]
	v_cmp_gt_i32_e64 s[0:1], 10, v10
	s_mov_b64 s[14:15], -1
	s_and_saveexec_b64 s[16:17], s[0:1]
; %bb.250:
	v_cmp_eq_u32_e64 s[0:1], 0, v10
	s_orn2_b64 s[14:15], s[0:1], exec
; %bb.251:
	s_or_b64 exec, exec, s[16:17]
	s_and_b64 exec, exec, s[14:15]
	s_cbranch_execz .LBB982_254
; %bb.252:
	s_add_i32 s0, s8, 24
	s_cmp_gt_u32 s9, s0
	s_cselect_b64 s[14:15], -1, 0
	s_xor_b64 s[16:17], vcc, -1
	s_and_b64 s[14:15], s[14:15], s[16:17]
	s_and_b64 exec, exec, s[14:15]
	s_cbranch_execz .LBB982_254
; %bb.253:
	s_sub_i32 s1, s9, s0
	s_min_u32 s1, s1, 8
	v_lshrrev_b32_e32 v9, s0, v9
	v_bfe_u32 v9, v9, 0, s1
	v_lshlrev_b32_e32 v10, 2, v3
	v_lshl_or_b32 v9, v9, 4, v10
	v_mov_b32_e32 v10, 1
	ds_add_u32 v9, v10 offset:12288
.LBB982_254:
	s_or_b64 exec, exec, s[12:13]
	v_cmp_le_u32_e32 vcc, s11, v8
	s_nor_b64 s[12:13], s[2:3], vcc
	v_mov_b32_e32 v8, s18
	s_and_saveexec_b64 s[0:1], s[12:13]
	s_cbranch_execz .LBB982_256
; %bb.255:
	s_sub_i32 s12, s9, s8
	s_min_u32 s12, s12, 8
	v_lshrrev_b32_e32 v8, s8, v7
	v_bfe_u32 v8, v8, 0, s12
	v_lshlrev_b32_e32 v9, 2, v3
	v_lshl_or_b32 v8, v8, 4, v9
	v_mov_b32_e32 v9, 1
	ds_add_u32 v8, v9
	v_mov_b32_e32 v8, 0
.LBB982_256:
	s_or_b64 exec, exec, s[0:1]
	v_cmp_gt_i32_e64 s[0:1], 10, v8
	s_mov_b64 s[14:15], -1
	s_and_saveexec_b64 s[12:13], s[0:1]
; %bb.257:
	v_cmp_eq_u32_e64 s[0:1], 0, v8
	s_orn2_b64 s[14:15], s[0:1], exec
; %bb.258:
	s_or_b64 exec, exec, s[12:13]
	s_and_saveexec_b64 s[12:13], s[14:15]
	s_cbranch_execz .LBB982_271
; %bb.259:
	s_add_i32 s14, s8, 8
	s_cmp_le_u32 s9, s14
	s_cselect_b64 s[0:1], -1, 0
	s_and_b64 s[16:17], s[0:1], exec
	s_cselect_b32 s15, 8, 10
	s_nor_b64 s[16:17], s[0:1], vcc
	v_mov_b32_e32 v8, s15
	s_and_saveexec_b64 s[0:1], s[16:17]
	s_cbranch_execz .LBB982_261
; %bb.260:
	s_sub_i32 s15, s9, s14
	s_min_u32 s15, s15, 8
	v_lshrrev_b32_e32 v8, s14, v7
	v_bfe_u32 v8, v8, 0, s15
	v_lshlrev_b32_e32 v9, 2, v3
	v_lshl_or_b32 v8, v8, 4, v9
	v_mov_b32_e32 v9, 1
	ds_add_u32 v8, v9 offset:4096
	v_mov_b32_e32 v8, 0
.LBB982_261:
	s_or_b64 exec, exec, s[0:1]
	v_cmp_gt_i32_e64 s[0:1], 10, v8
	s_mov_b64 s[14:15], -1
	s_and_saveexec_b64 s[16:17], s[0:1]
; %bb.262:
	v_cmp_eq_u32_e64 s[0:1], 0, v8
	s_orn2_b64 s[14:15], s[0:1], exec
; %bb.263:
	s_or_b64 exec, exec, s[16:17]
	s_and_b64 exec, exec, s[14:15]
	s_cbranch_execz .LBB982_271
; %bb.264:
	s_add_i32 s14, s8, 16
	s_cmp_le_u32 s9, s14
	s_cselect_b64 s[0:1], -1, 0
	s_and_b64 s[16:17], s[0:1], exec
	s_cselect_b32 s15, 8, 10
	s_nor_b64 s[16:17], s[0:1], vcc
	v_mov_b32_e32 v8, s15
	s_and_saveexec_b64 s[0:1], s[16:17]
	s_cbranch_execz .LBB982_266
; %bb.265:
	s_sub_i32 s15, s9, s14
	s_min_u32 s15, s15, 8
	v_lshrrev_b32_e32 v8, s14, v7
	v_bfe_u32 v8, v8, 0, s15
	v_lshlrev_b32_e32 v9, 2, v3
	v_lshl_or_b32 v8, v8, 4, v9
	v_mov_b32_e32 v9, 1
	ds_add_u32 v8, v9 offset:8192
	v_mov_b32_e32 v8, 0
.LBB982_266:
	s_or_b64 exec, exec, s[0:1]
	v_cmp_gt_i32_e64 s[0:1], 10, v8
	s_mov_b64 s[14:15], -1
	s_and_saveexec_b64 s[16:17], s[0:1]
; %bb.267:
	v_cmp_eq_u32_e64 s[0:1], 0, v8
	s_orn2_b64 s[14:15], s[0:1], exec
; %bb.268:
	s_or_b64 exec, exec, s[16:17]
	s_and_b64 exec, exec, s[14:15]
	s_cbranch_execz .LBB982_271
; %bb.269:
	s_add_i32 s0, s8, 24
	s_cmp_gt_u32 s9, s0
	s_cselect_b64 s[14:15], -1, 0
	s_xor_b64 s[16:17], vcc, -1
	s_and_b64 s[14:15], s[14:15], s[16:17]
	s_and_b64 exec, exec, s[14:15]
	s_cbranch_execz .LBB982_271
; %bb.270:
	s_sub_i32 s1, s9, s0
	s_min_u32 s1, s1, 8
	v_lshrrev_b32_e32 v7, s0, v7
	v_bfe_u32 v7, v7, 0, s1
	v_lshlrev_b32_e32 v8, 2, v3
	v_lshl_or_b32 v7, v7, 4, v8
	v_mov_b32_e32 v8, 1
	ds_add_u32 v7, v8 offset:12288
.LBB982_271:
	s_or_b64 exec, exec, s[12:13]
	v_cmp_le_u32_e32 vcc, s11, v6
	s_nor_b64 s[12:13], s[2:3], vcc
	v_mov_b32_e32 v6, s18
	s_and_saveexec_b64 s[0:1], s[12:13]
	s_cbranch_execz .LBB982_273
; %bb.272:
	s_sub_i32 s12, s9, s8
	s_min_u32 s12, s12, 8
	v_lshrrev_b32_e32 v6, s8, v5
	v_bfe_u32 v6, v6, 0, s12
	v_lshlrev_b32_e32 v7, 2, v3
	v_lshl_or_b32 v6, v6, 4, v7
	v_mov_b32_e32 v7, 1
	ds_add_u32 v6, v7
	v_mov_b32_e32 v6, 0
.LBB982_273:
	s_or_b64 exec, exec, s[0:1]
	v_cmp_gt_i32_e64 s[0:1], 10, v6
	s_mov_b64 s[14:15], -1
	s_and_saveexec_b64 s[12:13], s[0:1]
; %bb.274:
	v_cmp_eq_u32_e64 s[0:1], 0, v6
	s_orn2_b64 s[14:15], s[0:1], exec
; %bb.275:
	s_or_b64 exec, exec, s[12:13]
	s_and_saveexec_b64 s[12:13], s[14:15]
	s_cbranch_execz .LBB982_288
; %bb.276:
	s_add_i32 s14, s8, 8
	s_cmp_le_u32 s9, s14
	s_cselect_b64 s[0:1], -1, 0
	s_and_b64 s[16:17], s[0:1], exec
	s_cselect_b32 s15, 8, 10
	s_nor_b64 s[16:17], s[0:1], vcc
	v_mov_b32_e32 v6, s15
	s_and_saveexec_b64 s[0:1], s[16:17]
	s_cbranch_execz .LBB982_278
; %bb.277:
	s_sub_i32 s15, s9, s14
	s_min_u32 s15, s15, 8
	v_lshrrev_b32_e32 v6, s14, v5
	v_bfe_u32 v6, v6, 0, s15
	v_lshlrev_b32_e32 v7, 2, v3
	v_lshl_or_b32 v6, v6, 4, v7
	v_mov_b32_e32 v7, 1
	ds_add_u32 v6, v7 offset:4096
	v_mov_b32_e32 v6, 0
.LBB982_278:
	s_or_b64 exec, exec, s[0:1]
	v_cmp_gt_i32_e64 s[0:1], 10, v6
	s_mov_b64 s[14:15], -1
	s_and_saveexec_b64 s[16:17], s[0:1]
; %bb.279:
	v_cmp_eq_u32_e64 s[0:1], 0, v6
	s_orn2_b64 s[14:15], s[0:1], exec
; %bb.280:
	s_or_b64 exec, exec, s[16:17]
	s_and_b64 exec, exec, s[14:15]
	s_cbranch_execz .LBB982_288
; %bb.281:
	s_add_i32 s14, s8, 16
	s_cmp_le_u32 s9, s14
	s_cselect_b64 s[0:1], -1, 0
	s_and_b64 s[16:17], s[0:1], exec
	s_cselect_b32 s15, 8, 10
	s_nor_b64 s[16:17], s[0:1], vcc
	v_mov_b32_e32 v6, s15
	s_and_saveexec_b64 s[0:1], s[16:17]
	s_cbranch_execz .LBB982_283
; %bb.282:
	s_sub_i32 s15, s9, s14
	s_min_u32 s15, s15, 8
	v_lshrrev_b32_e32 v6, s14, v5
	v_bfe_u32 v6, v6, 0, s15
	v_lshlrev_b32_e32 v7, 2, v3
	v_lshl_or_b32 v6, v6, 4, v7
	v_mov_b32_e32 v7, 1
	ds_add_u32 v6, v7 offset:8192
	v_mov_b32_e32 v6, 0
.LBB982_283:
	s_or_b64 exec, exec, s[0:1]
	v_cmp_gt_i32_e64 s[0:1], 10, v6
	s_mov_b64 s[14:15], -1
	s_and_saveexec_b64 s[16:17], s[0:1]
; %bb.284:
	v_cmp_eq_u32_e64 s[0:1], 0, v6
	s_orn2_b64 s[14:15], s[0:1], exec
; %bb.285:
	s_or_b64 exec, exec, s[16:17]
	s_and_b64 exec, exec, s[14:15]
	s_cbranch_execz .LBB982_288
; %bb.286:
	s_add_i32 s0, s8, 24
	s_cmp_gt_u32 s9, s0
	s_cselect_b64 s[14:15], -1, 0
	s_xor_b64 s[16:17], vcc, -1
	s_and_b64 s[14:15], s[14:15], s[16:17]
	s_and_b64 exec, exec, s[14:15]
	s_cbranch_execz .LBB982_288
; %bb.287:
	s_sub_i32 s1, s9, s0
	s_min_u32 s1, s1, 8
	v_lshrrev_b32_e32 v5, s0, v5
	v_bfe_u32 v5, v5, 0, s1
	v_lshlrev_b32_e32 v6, 2, v3
	v_lshl_or_b32 v5, v5, 4, v6
	v_mov_b32_e32 v6, 1
	ds_add_u32 v5, v6 offset:12288
.LBB982_288:
	s_or_b64 exec, exec, s[12:13]
	v_cmp_le_u32_e32 vcc, s11, v4
	s_nor_b64 s[2:3], s[2:3], vcc
	v_mov_b32_e32 v4, s18
	s_and_saveexec_b64 s[0:1], s[2:3]
	s_cbranch_execz .LBB982_290
; %bb.289:
	s_sub_i32 s2, s9, s8
	s_min_u32 s2, s2, 8
	v_lshrrev_b32_e32 v4, s8, v2
	v_bfe_u32 v4, v4, 0, s2
	v_lshlrev_b32_e32 v5, 2, v3
	v_lshl_or_b32 v4, v4, 4, v5
	v_mov_b32_e32 v5, 1
	ds_add_u32 v4, v5
	v_mov_b32_e32 v4, 0
.LBB982_290:
	s_or_b64 exec, exec, s[0:1]
	v_cmp_gt_i32_e64 s[0:1], 10, v4
	s_mov_b64 s[12:13], -1
	s_and_saveexec_b64 s[2:3], s[0:1]
; %bb.291:
	v_cmp_eq_u32_e64 s[0:1], 0, v4
	s_orn2_b64 s[12:13], s[0:1], exec
; %bb.292:
	s_or_b64 exec, exec, s[2:3]
	s_and_saveexec_b64 s[2:3], s[12:13]
	s_cbranch_execz .LBB982_305
; %bb.293:
	s_add_i32 s11, s8, 8
	s_cmp_le_u32 s9, s11
	s_cselect_b64 s[0:1], -1, 0
	s_and_b64 s[12:13], s[0:1], exec
	s_cselect_b32 s14, 8, 10
	s_nor_b64 s[12:13], s[0:1], vcc
	v_mov_b32_e32 v4, s14
	s_and_saveexec_b64 s[0:1], s[12:13]
	s_cbranch_execz .LBB982_295
; %bb.294:
	s_sub_i32 s12, s9, s11
	s_min_u32 s12, s12, 8
	v_lshrrev_b32_e32 v4, s11, v2
	v_bfe_u32 v4, v4, 0, s12
	v_lshlrev_b32_e32 v5, 2, v3
	v_lshl_or_b32 v4, v4, 4, v5
	v_mov_b32_e32 v5, 1
	ds_add_u32 v4, v5 offset:4096
	v_mov_b32_e32 v4, 0
.LBB982_295:
	s_or_b64 exec, exec, s[0:1]
	v_cmp_gt_i32_e64 s[0:1], 10, v4
	s_mov_b64 s[12:13], -1
	s_and_saveexec_b64 s[14:15], s[0:1]
; %bb.296:
	v_cmp_eq_u32_e64 s[0:1], 0, v4
	s_orn2_b64 s[12:13], s[0:1], exec
; %bb.297:
	s_or_b64 exec, exec, s[14:15]
	s_and_b64 exec, exec, s[12:13]
	s_cbranch_execz .LBB982_305
; %bb.298:
	s_add_i32 s11, s8, 16
	s_cmp_le_u32 s9, s11
	s_cselect_b64 s[0:1], -1, 0
	s_and_b64 s[12:13], s[0:1], exec
	s_cselect_b32 s14, 8, 10
	s_nor_b64 s[12:13], s[0:1], vcc
	v_mov_b32_e32 v4, s14
	s_and_saveexec_b64 s[0:1], s[12:13]
	s_cbranch_execz .LBB982_300
; %bb.299:
	s_sub_i32 s12, s9, s11
	s_min_u32 s12, s12, 8
	v_lshrrev_b32_e32 v4, s11, v2
	v_bfe_u32 v4, v4, 0, s12
	v_lshlrev_b32_e32 v5, 2, v3
	v_lshl_or_b32 v4, v4, 4, v5
	v_mov_b32_e32 v5, 1
	ds_add_u32 v4, v5 offset:8192
	v_mov_b32_e32 v4, 0
.LBB982_300:
	s_or_b64 exec, exec, s[0:1]
	v_cmp_gt_i32_e64 s[0:1], 10, v4
	s_mov_b64 s[12:13], -1
	s_and_saveexec_b64 s[14:15], s[0:1]
; %bb.301:
	v_cmp_eq_u32_e64 s[0:1], 0, v4
	s_orn2_b64 s[12:13], s[0:1], exec
; %bb.302:
	s_or_b64 exec, exec, s[14:15]
	s_and_b64 exec, exec, s[12:13]
	s_cbranch_execz .LBB982_305
; %bb.303:
	s_add_i32 s0, s8, 24
	s_cmp_gt_u32 s9, s0
	s_cselect_b64 s[12:13], -1, 0
	s_xor_b64 s[14:15], vcc, -1
	s_and_b64 s[12:13], s[12:13], s[14:15]
	s_and_b64 exec, exec, s[12:13]
	s_cbranch_execz .LBB982_305
; %bb.304:
	s_sub_i32 s1, s9, s0
	s_min_u32 s1, s1, 8
	v_lshrrev_b32_e32 v2, s0, v2
	v_bfe_u32 v2, v2, 0, s1
	v_lshlrev_b32_e32 v3, 2, v3
	v_lshl_or_b32 v2, v2, 4, v3
	v_mov_b32_e32 v3, 1
	ds_add_u32 v2, v3 offset:12288
.LBB982_305:
	s_or_b64 exec, exec, s[2:3]
	s_cmp_lt_u32 s8, s9
	s_waitcnt lgkmcnt(0)
	s_barrier
	s_cbranch_scc0 .LBB982_310
; %bb.306:
	s_movk_i32 s0, 0x100
	v_cmp_gt_u32_e32 vcc, s0, v0
	v_mad_u32_u24 v1, v0, 12, v1
	v_mov_b32_e32 v3, 0
	v_mov_b32_e32 v2, v0
	s_mov_b32 s2, s8
	s_branch .LBB982_308
.LBB982_307:                            ;   in Loop: Header=BB982_308 Depth=1
	s_or_b64 exec, exec, s[0:1]
	s_add_i32 s2, s2, 8
	v_add_u32_e32 v2, 0x100, v2
	s_cmp_lt_u32 s2, s9
	v_add_u32_e32 v1, 0x1000, v1
	s_cbranch_scc0 .LBB982_310
.LBB982_308:                            ; =>This Inner Loop Header: Depth=1
	s_and_saveexec_b64 s[0:1], vcc
	s_cbranch_execz .LBB982_307
; %bb.309:                              ;   in Loop: Header=BB982_308 Depth=1
	ds_read2_b32 v[4:5], v1 offset1:1
	ds_read2_b32 v[6:7], v1 offset0:2 offset1:3
	s_waitcnt lgkmcnt(1)
	v_add_u32_e32 v4, v5, v4
	s_waitcnt lgkmcnt(0)
	v_add3_u32 v6, v4, v6, v7
	v_lshl_add_u64 v[4:5], v[2:3], 2, s[6:7]
	global_atomic_add v[4:5], v6, off
	s_branch .LBB982_307
.LBB982_310:
	s_mov_b64 s[2:3], 0
.LBB982_311:
	s_and_b64 vcc, exec, s[2:3]
	s_cbranch_vccz .LBB982_419
; %bb.312:
	s_cmp_eq_u32 s8, 0
	s_cselect_b64 s[0:1], -1, 0
	s_cmp_eq_u32 s9, 32
	s_mov_b32 s11, 0
	s_cselect_b64 s[2:3], -1, 0
	s_and_b64 s[2:3], s[0:1], s[2:3]
	s_lshl_b64 s[0:1], s[10:11], 2
	s_add_u32 s0, s4, s0
	s_addc_u32 s1, s5, s1
	v_mov_b32_e32 v3, 0
	v_lshlrev_b32_e32 v2, 2, v0
	v_lshl_add_u64 v[4:5], s[0:1], 0, v[2:3]
	s_movk_i32 s4, 0x2000
	v_add_co_u32_e32 v22, vcc, s4, v4
	s_movk_i32 s4, 0x4000
	s_nop 0
	v_addc_co_u32_e32 v23, vcc, 0, v5, vcc
	v_add_co_u32_e32 v24, vcc, s4, v4
	s_movk_i32 s4, 0x6000
	s_nop 0
	v_addc_co_u32_e32 v25, vcc, 0, v5, vcc
	v_add_co_u32_e32 v14, vcc, s4, v4
	s_mov_b32 s4, 0x8000
	s_nop 0
	v_addc_co_u32_e32 v15, vcc, 0, v5, vcc
	v_add_co_u32_e32 v16, vcc, s4, v4
	s_mov_b32 s4, 0xa000
	;; [unrolled: 4-line block ×4, first 2 shown]
	s_nop 0
	v_addc_co_u32_e32 v21, vcc, 0, v5, vcc
	v_add_co_u32_e32 v26, vcc, s4, v4
	global_load_dword v1, v[14:15], off offset:-4096
	global_load_dword v6, v[14:15], off
	global_load_dword v7, v[16:17], off offset:-4096
	global_load_dword v8, v[16:17], off
	;; [unrolled: 2-line block ×4, first 2 shown]
	v_addc_co_u32_e32 v27, vcc, 0, v5, vcc
	v_add_co_u32_e32 v28, vcc, 0xe000, v4
	s_nop 1
	v_addc_co_u32_e32 v29, vcc, 0, v5, vcc
	v_add_co_u32_e32 v4, vcc, 0xf000, v4
	s_nop 1
	v_addc_co_u32_e32 v5, vcc, 0, v5, vcc
	global_load_dword v16, v2, s[0:1]
	global_load_dword v17, v[22:23], off offset:-4096
	global_load_dword v18, v[22:23], off
	global_load_dword v19, v[24:25], off offset:-4096
	global_load_dword v20, v[24:25], off
	global_load_dword v13, v[26:27], off
	global_load_dword v14, v[28:29], off
	global_load_dword v15, v[4:5], off
	s_mov_b64 s[0:1], -1
	s_and_b64 vcc, exec, s[2:3]
	s_cbranch_vccnz .LBB982_416
; %bb.313:
	s_cmp_lt_u32 s8, s9
	s_cselect_b64 s[0:1], -1, 0
	s_and_b64 vcc, exec, s[0:1]
	ds_write2st64_b32 v2, v3, v3 offset1:16
	ds_write2st64_b32 v2, v3, v3 offset0:32 offset1:48
	s_waitcnt lgkmcnt(0)
	s_barrier
	s_cbranch_vccz .LBB982_410
; %bb.314:
	s_sub_i32 s2, s9, s8
	s_waitcnt vmcnt(7)
	v_xor_b32_e32 v21, 0x7fffffff, v16
	s_min_u32 s2, s2, 8
	v_and_b32_e32 v3, 3, v0
	s_lshl_b32 s2, -1, s2
	v_lshrrev_b32_e32 v4, s8, v21
	v_bitop3_b32 v22, v4, s2, v4 bitop3:0x30
	v_lshlrev_b32_e32 v4, 2, v3
	v_lshl_or_b32 v22, v22, 4, v4
	v_mov_b32_e32 v23, 1
	s_not_b32 s13, s2
	ds_add_u32 v22, v23
	s_add_i32 s12, s8, 8
	s_waitcnt vmcnt(6)
	v_xor_b32_e32 v5, 0x7fffffff, v17
	s_cmp_le_u32 s9, s12
	s_cselect_b64 s[2:3], -1, 0
	v_lshrrev_b32_e32 v22, s8, v5
	s_and_b64 vcc, exec, s[2:3]
	v_and_b32_e32 v22, s13, v22
	s_cbranch_vccz .LBB982_316
; %bb.315:
	v_lshlrev_b32_e32 v23, 4, v22
	s_mov_b64 s[4:5], -1
	s_cbranch_execz .LBB982_317
	s_branch .LBB982_324
.LBB982_316:
	s_mov_b64 s[4:5], 0
                                        ; implicit-def: $vgpr23
.LBB982_317:
	s_sub_i32 s10, s9, s12
	s_min_u32 s10, s10, 8
	s_lshl_b32 s10, -1, s10
	v_lshrrev_b32_e32 v23, s12, v21
	v_bitop3_b32 v23, v23, s10, v23 bitop3:0x30
	v_lshl_or_b32 v24, v23, 4, v4
	v_mov_b32_e32 v23, 1
	ds_add_u32 v24, v23 offset:4096
	s_not_b32 s15, s10
	s_add_i32 s14, s8, 16
	s_cmp_gt_u32 s9, s14
	s_cselect_b64 s[10:11], -1, 0
	s_cmp_le_u32 s9, s14
	s_cbranch_scc1 .LBB982_320
; %bb.318:
	s_sub_i32 s16, s9, s14
	s_min_u32 s16, s16, 8
	v_lshrrev_b32_e32 v24, s14, v21
	v_bfe_u32 v24, v24, 0, s16
	v_lshl_or_b32 v24, v24, 4, v4
	ds_add_u32 v24, v23 offset:8192
	s_add_i32 s16, s8, 24
	s_cmp_le_u32 s9, s16
	s_cbranch_scc1 .LBB982_320
; %bb.319:
	s_sub_i32 s17, s9, s16
	s_min_u32 s17, s17, 8
	v_lshrrev_b32_e32 v21, s16, v21
	v_bfe_u32 v21, v21, 0, s17
	v_lshl_or_b32 v21, v21, 4, v4
	v_mov_b32_e32 v24, 1
	ds_add_u32 v21, v24 offset:12288
.LBB982_320:
	v_lshl_or_b32 v21, v22, 4, v4
	ds_add_u32 v21, v23
	v_lshrrev_b32_e32 v21, s12, v5
	v_and_b32_e32 v21, s15, v21
	v_lshl_or_b32 v21, v21, 4, v4
	ds_add_u32 v21, v23 offset:4096
	s_andn2_b64 vcc, exec, s[10:11]
	s_cbranch_vccnz .LBB982_323
; %bb.321:
	s_sub_i32 s10, s9, s14
	s_min_u32 s10, s10, 8
	v_lshrrev_b32_e32 v21, s14, v5
	v_bfe_u32 v21, v21, 0, s10
	v_lshl_or_b32 v21, v21, 4, v4
	v_mov_b32_e32 v22, 1
	ds_add_u32 v21, v22 offset:8192
	s_add_i32 s10, s8, 24
	s_cmp_gt_u32 s9, s10
                                        ; implicit-def: $vgpr23
	s_cbranch_scc0 .LBB982_324
; %bb.322:
	s_sub_i32 s4, s9, s10
	s_min_u32 s4, s4, 8
	v_lshrrev_b32_e32 v5, s10, v5
	v_bfe_u32 v5, v5, 0, s4
	v_mov_b32_e32 v21, 0x3000
	v_lshl_add_u32 v23, v5, 4, v21
	s_mov_b64 s[4:5], -1
	s_branch .LBB982_324
.LBB982_323:
                                        ; implicit-def: $vgpr23
.LBB982_324:
	s_and_b64 vcc, exec, s[4:5]
	s_cbranch_vccz .LBB982_326
; %bb.325:
	v_lshl_add_u32 v5, v3, 2, v23
	v_mov_b32_e32 v21, 1
	ds_add_u32 v5, v21
.LBB982_326:
	s_waitcnt vmcnt(5)
	v_xor_b32_e32 v21, 0x7fffffff, v18
	v_lshrrev_b32_e32 v22, s8, v21
	v_and_b32_e32 v22, s13, v22
	v_lshl_or_b32 v22, v22, 4, v4
	v_mov_b32_e32 v23, 1
	ds_add_u32 v22, v23
	s_waitcnt vmcnt(4)
	v_xor_b32_e32 v5, 0x7fffffff, v19
	v_lshrrev_b32_e32 v22, s8, v5
	s_and_b64 vcc, exec, s[2:3]
	v_and_b32_e32 v22, s13, v22
	s_cbranch_vccz .LBB982_328
; %bb.327:
	v_lshlrev_b32_e32 v23, 4, v22
	s_mov_b64 s[4:5], -1
	s_cbranch_execz .LBB982_329
	s_branch .LBB982_336
.LBB982_328:
	s_mov_b64 s[4:5], 0
                                        ; implicit-def: $vgpr23
.LBB982_329:
	s_sub_i32 s10, s9, s12
	s_min_u32 s10, s10, 8
	s_lshl_b32 s10, -1, s10
	v_lshrrev_b32_e32 v23, s12, v21
	v_bitop3_b32 v23, v23, s10, v23 bitop3:0x30
	v_lshl_or_b32 v24, v23, 4, v4
	v_mov_b32_e32 v23, 1
	ds_add_u32 v24, v23 offset:4096
	s_not_b32 s15, s10
	s_add_i32 s14, s8, 16
	s_cmp_gt_u32 s9, s14
	s_cselect_b64 s[10:11], -1, 0
	s_cmp_le_u32 s9, s14
	s_cbranch_scc1 .LBB982_332
; %bb.330:
	s_sub_i32 s16, s9, s14
	s_min_u32 s16, s16, 8
	v_lshrrev_b32_e32 v24, s14, v21
	v_bfe_u32 v24, v24, 0, s16
	v_lshl_or_b32 v24, v24, 4, v4
	ds_add_u32 v24, v23 offset:8192
	s_add_i32 s16, s8, 24
	s_cmp_le_u32 s9, s16
	s_cbranch_scc1 .LBB982_332
; %bb.331:
	s_sub_i32 s17, s9, s16
	s_min_u32 s17, s17, 8
	v_lshrrev_b32_e32 v21, s16, v21
	v_bfe_u32 v21, v21, 0, s17
	v_lshl_or_b32 v21, v21, 4, v4
	v_mov_b32_e32 v24, 1
	ds_add_u32 v21, v24 offset:12288
.LBB982_332:
	v_lshl_or_b32 v21, v22, 4, v4
	ds_add_u32 v21, v23
	v_lshrrev_b32_e32 v21, s12, v5
	v_and_b32_e32 v21, s15, v21
	v_lshl_or_b32 v21, v21, 4, v4
	ds_add_u32 v21, v23 offset:4096
	s_andn2_b64 vcc, exec, s[10:11]
	s_cbranch_vccnz .LBB982_335
; %bb.333:
	s_sub_i32 s10, s9, s14
	s_min_u32 s10, s10, 8
	v_lshrrev_b32_e32 v21, s14, v5
	v_bfe_u32 v21, v21, 0, s10
	v_lshl_or_b32 v21, v21, 4, v4
	v_mov_b32_e32 v22, 1
	ds_add_u32 v21, v22 offset:8192
	s_add_i32 s10, s8, 24
	s_cmp_gt_u32 s9, s10
                                        ; implicit-def: $vgpr23
	s_cbranch_scc0 .LBB982_336
; %bb.334:
	s_sub_i32 s4, s9, s10
	s_min_u32 s4, s4, 8
	v_lshrrev_b32_e32 v5, s10, v5
	v_bfe_u32 v5, v5, 0, s4
	v_mov_b32_e32 v21, 0x3000
	v_lshl_add_u32 v23, v5, 4, v21
	s_mov_b64 s[4:5], -1
	s_branch .LBB982_336
.LBB982_335:
                                        ; implicit-def: $vgpr23
.LBB982_336:
	s_and_b64 vcc, exec, s[4:5]
	s_cbranch_vccz .LBB982_338
; %bb.337:
	v_lshl_add_u32 v5, v3, 2, v23
	v_mov_b32_e32 v21, 1
	ds_add_u32 v5, v21
.LBB982_338:
	s_waitcnt vmcnt(3)
	v_xor_b32_e32 v21, 0x7fffffff, v20
	v_lshrrev_b32_e32 v22, s8, v21
	v_and_b32_e32 v22, s13, v22
	v_lshl_or_b32 v22, v22, 4, v4
	v_mov_b32_e32 v23, 1
	ds_add_u32 v22, v23
	v_xor_b32_e32 v5, 0x7fffffff, v1
	v_lshrrev_b32_e32 v22, s8, v5
	s_and_b64 vcc, exec, s[2:3]
	v_and_b32_e32 v22, s13, v22
	s_cbranch_vccz .LBB982_340
; %bb.339:
	v_lshlrev_b32_e32 v23, 4, v22
	s_mov_b64 s[4:5], -1
	s_cbranch_execz .LBB982_341
	s_branch .LBB982_348
.LBB982_340:
	s_mov_b64 s[4:5], 0
                                        ; implicit-def: $vgpr23
.LBB982_341:
	s_sub_i32 s10, s9, s12
	s_min_u32 s10, s10, 8
	s_lshl_b32 s10, -1, s10
	v_lshrrev_b32_e32 v23, s12, v21
	v_bitop3_b32 v23, v23, s10, v23 bitop3:0x30
	v_lshl_or_b32 v24, v23, 4, v4
	v_mov_b32_e32 v23, 1
	ds_add_u32 v24, v23 offset:4096
	s_not_b32 s15, s10
	s_add_i32 s14, s8, 16
	s_cmp_gt_u32 s9, s14
	s_cselect_b64 s[10:11], -1, 0
	s_cmp_le_u32 s9, s14
	s_cbranch_scc1 .LBB982_344
; %bb.342:
	s_sub_i32 s16, s9, s14
	s_min_u32 s16, s16, 8
	v_lshrrev_b32_e32 v24, s14, v21
	v_bfe_u32 v24, v24, 0, s16
	v_lshl_or_b32 v24, v24, 4, v4
	ds_add_u32 v24, v23 offset:8192
	s_add_i32 s16, s8, 24
	s_cmp_le_u32 s9, s16
	s_cbranch_scc1 .LBB982_344
; %bb.343:
	s_sub_i32 s17, s9, s16
	s_min_u32 s17, s17, 8
	v_lshrrev_b32_e32 v21, s16, v21
	v_bfe_u32 v21, v21, 0, s17
	v_lshl_or_b32 v21, v21, 4, v4
	v_mov_b32_e32 v24, 1
	ds_add_u32 v21, v24 offset:12288
.LBB982_344:
	v_lshl_or_b32 v21, v22, 4, v4
	ds_add_u32 v21, v23
	v_lshrrev_b32_e32 v21, s12, v5
	v_and_b32_e32 v21, s15, v21
	v_lshl_or_b32 v21, v21, 4, v4
	ds_add_u32 v21, v23 offset:4096
	s_andn2_b64 vcc, exec, s[10:11]
	s_cbranch_vccnz .LBB982_347
; %bb.345:
	s_sub_i32 s10, s9, s14
	s_min_u32 s10, s10, 8
	v_lshrrev_b32_e32 v21, s14, v5
	v_bfe_u32 v21, v21, 0, s10
	v_lshl_or_b32 v21, v21, 4, v4
	v_mov_b32_e32 v22, 1
	ds_add_u32 v21, v22 offset:8192
	s_add_i32 s10, s8, 24
	s_cmp_gt_u32 s9, s10
                                        ; implicit-def: $vgpr23
	s_cbranch_scc0 .LBB982_348
; %bb.346:
	s_sub_i32 s4, s9, s10
	s_min_u32 s4, s4, 8
	v_lshrrev_b32_e32 v5, s10, v5
	v_bfe_u32 v5, v5, 0, s4
	v_mov_b32_e32 v21, 0x3000
	v_lshl_add_u32 v23, v5, 4, v21
	s_mov_b64 s[4:5], -1
	s_branch .LBB982_348
.LBB982_347:
                                        ; implicit-def: $vgpr23
.LBB982_348:
	s_and_b64 vcc, exec, s[4:5]
	s_cbranch_vccz .LBB982_350
; %bb.349:
	v_lshl_add_u32 v5, v3, 2, v23
	v_mov_b32_e32 v21, 1
	ds_add_u32 v5, v21
.LBB982_350:
	v_xor_b32_e32 v21, 0x7fffffff, v6
	v_lshrrev_b32_e32 v22, s8, v21
	v_and_b32_e32 v22, s13, v22
	v_lshl_or_b32 v22, v22, 4, v4
	v_mov_b32_e32 v23, 1
	ds_add_u32 v22, v23
	v_xor_b32_e32 v5, 0x7fffffff, v7
	v_lshrrev_b32_e32 v22, s8, v5
	s_and_b64 vcc, exec, s[2:3]
	v_and_b32_e32 v22, s13, v22
	s_cbranch_vccz .LBB982_352
; %bb.351:
	v_lshlrev_b32_e32 v23, 4, v22
	s_mov_b64 s[4:5], -1
	s_cbranch_execz .LBB982_353
	s_branch .LBB982_360
.LBB982_352:
	s_mov_b64 s[4:5], 0
                                        ; implicit-def: $vgpr23
.LBB982_353:
	s_sub_i32 s10, s9, s12
	s_min_u32 s10, s10, 8
	s_lshl_b32 s10, -1, s10
	v_lshrrev_b32_e32 v23, s12, v21
	v_bitop3_b32 v23, v23, s10, v23 bitop3:0x30
	v_lshl_or_b32 v24, v23, 4, v4
	v_mov_b32_e32 v23, 1
	ds_add_u32 v24, v23 offset:4096
	s_not_b32 s15, s10
	s_add_i32 s14, s8, 16
	s_cmp_gt_u32 s9, s14
	s_cselect_b64 s[10:11], -1, 0
	s_cmp_le_u32 s9, s14
	s_cbranch_scc1 .LBB982_356
; %bb.354:
	s_sub_i32 s16, s9, s14
	s_min_u32 s16, s16, 8
	v_lshrrev_b32_e32 v24, s14, v21
	v_bfe_u32 v24, v24, 0, s16
	v_lshl_or_b32 v24, v24, 4, v4
	ds_add_u32 v24, v23 offset:8192
	s_add_i32 s16, s8, 24
	s_cmp_le_u32 s9, s16
	s_cbranch_scc1 .LBB982_356
; %bb.355:
	s_sub_i32 s17, s9, s16
	s_min_u32 s17, s17, 8
	v_lshrrev_b32_e32 v21, s16, v21
	v_bfe_u32 v21, v21, 0, s17
	v_lshl_or_b32 v21, v21, 4, v4
	v_mov_b32_e32 v24, 1
	ds_add_u32 v21, v24 offset:12288
.LBB982_356:
	v_lshl_or_b32 v21, v22, 4, v4
	ds_add_u32 v21, v23
	v_lshrrev_b32_e32 v21, s12, v5
	v_and_b32_e32 v21, s15, v21
	v_lshl_or_b32 v21, v21, 4, v4
	ds_add_u32 v21, v23 offset:4096
	s_andn2_b64 vcc, exec, s[10:11]
	s_cbranch_vccnz .LBB982_359
; %bb.357:
	s_sub_i32 s10, s9, s14
	s_min_u32 s10, s10, 8
	v_lshrrev_b32_e32 v21, s14, v5
	v_bfe_u32 v21, v21, 0, s10
	v_lshl_or_b32 v21, v21, 4, v4
	v_mov_b32_e32 v22, 1
	ds_add_u32 v21, v22 offset:8192
	s_add_i32 s10, s8, 24
	s_cmp_gt_u32 s9, s10
                                        ; implicit-def: $vgpr23
	s_cbranch_scc0 .LBB982_360
; %bb.358:
	s_sub_i32 s4, s9, s10
	s_min_u32 s4, s4, 8
	v_lshrrev_b32_e32 v5, s10, v5
	v_bfe_u32 v5, v5, 0, s4
	v_mov_b32_e32 v21, 0x3000
	v_lshl_add_u32 v23, v5, 4, v21
	s_mov_b64 s[4:5], -1
	s_branch .LBB982_360
.LBB982_359:
                                        ; implicit-def: $vgpr23
.LBB982_360:
	s_and_b64 vcc, exec, s[4:5]
	s_cbranch_vccz .LBB982_362
; %bb.361:
	v_lshl_add_u32 v5, v3, 2, v23
	v_mov_b32_e32 v21, 1
	ds_add_u32 v5, v21
.LBB982_362:
	v_xor_b32_e32 v21, 0x7fffffff, v8
	v_lshrrev_b32_e32 v22, s8, v21
	v_and_b32_e32 v22, s13, v22
	v_lshl_or_b32 v22, v22, 4, v4
	v_mov_b32_e32 v23, 1
	ds_add_u32 v22, v23
	v_xor_b32_e32 v5, 0x7fffffff, v9
	v_lshrrev_b32_e32 v22, s8, v5
	s_and_b64 vcc, exec, s[2:3]
	v_and_b32_e32 v22, s13, v22
	s_cbranch_vccz .LBB982_364
; %bb.363:
	v_lshlrev_b32_e32 v23, 4, v22
	s_mov_b64 s[4:5], -1
	s_cbranch_execz .LBB982_365
	s_branch .LBB982_372
.LBB982_364:
	s_mov_b64 s[4:5], 0
                                        ; implicit-def: $vgpr23
.LBB982_365:
	s_sub_i32 s10, s9, s12
	s_min_u32 s10, s10, 8
	s_lshl_b32 s10, -1, s10
	v_lshrrev_b32_e32 v23, s12, v21
	v_bitop3_b32 v23, v23, s10, v23 bitop3:0x30
	v_lshl_or_b32 v24, v23, 4, v4
	v_mov_b32_e32 v23, 1
	ds_add_u32 v24, v23 offset:4096
	s_not_b32 s15, s10
	s_add_i32 s14, s8, 16
	s_cmp_gt_u32 s9, s14
	s_cselect_b64 s[10:11], -1, 0
	s_cmp_le_u32 s9, s14
	s_cbranch_scc1 .LBB982_368
; %bb.366:
	s_sub_i32 s16, s9, s14
	s_min_u32 s16, s16, 8
	v_lshrrev_b32_e32 v24, s14, v21
	v_bfe_u32 v24, v24, 0, s16
	v_lshl_or_b32 v24, v24, 4, v4
	ds_add_u32 v24, v23 offset:8192
	s_add_i32 s16, s8, 24
	s_cmp_le_u32 s9, s16
	s_cbranch_scc1 .LBB982_368
; %bb.367:
	s_sub_i32 s17, s9, s16
	s_min_u32 s17, s17, 8
	v_lshrrev_b32_e32 v21, s16, v21
	v_bfe_u32 v21, v21, 0, s17
	v_lshl_or_b32 v21, v21, 4, v4
	v_mov_b32_e32 v24, 1
	ds_add_u32 v21, v24 offset:12288
.LBB982_368:
	v_lshl_or_b32 v21, v22, 4, v4
	ds_add_u32 v21, v23
	v_lshrrev_b32_e32 v21, s12, v5
	v_and_b32_e32 v21, s15, v21
	v_lshl_or_b32 v21, v21, 4, v4
	ds_add_u32 v21, v23 offset:4096
	s_andn2_b64 vcc, exec, s[10:11]
	s_cbranch_vccnz .LBB982_371
; %bb.369:
	s_sub_i32 s10, s9, s14
	s_min_u32 s10, s10, 8
	v_lshrrev_b32_e32 v21, s14, v5
	v_bfe_u32 v21, v21, 0, s10
	v_lshl_or_b32 v21, v21, 4, v4
	v_mov_b32_e32 v22, 1
	ds_add_u32 v21, v22 offset:8192
	s_add_i32 s10, s8, 24
	s_cmp_gt_u32 s9, s10
                                        ; implicit-def: $vgpr23
	s_cbranch_scc0 .LBB982_372
; %bb.370:
	s_sub_i32 s4, s9, s10
	s_min_u32 s4, s4, 8
	v_lshrrev_b32_e32 v5, s10, v5
	v_bfe_u32 v5, v5, 0, s4
	v_mov_b32_e32 v21, 0x3000
	v_lshl_add_u32 v23, v5, 4, v21
	s_mov_b64 s[4:5], -1
	s_branch .LBB982_372
.LBB982_371:
                                        ; implicit-def: $vgpr23
.LBB982_372:
	s_and_b64 vcc, exec, s[4:5]
	s_cbranch_vccz .LBB982_374
; %bb.373:
	v_lshl_add_u32 v5, v3, 2, v23
	v_mov_b32_e32 v21, 1
	ds_add_u32 v5, v21
.LBB982_374:
	v_xor_b32_e32 v21, 0x7fffffff, v10
	v_lshrrev_b32_e32 v22, s8, v21
	v_and_b32_e32 v22, s13, v22
	v_lshl_or_b32 v22, v22, 4, v4
	v_mov_b32_e32 v23, 1
	ds_add_u32 v22, v23
	v_xor_b32_e32 v5, 0x7fffffff, v11
	v_lshrrev_b32_e32 v22, s8, v5
	s_and_b64 vcc, exec, s[2:3]
	v_and_b32_e32 v22, s13, v22
	s_cbranch_vccz .LBB982_376
; %bb.375:
	v_lshlrev_b32_e32 v23, 4, v22
	s_mov_b64 s[4:5], -1
	s_cbranch_execz .LBB982_377
	s_branch .LBB982_384
.LBB982_376:
	s_mov_b64 s[4:5], 0
                                        ; implicit-def: $vgpr23
.LBB982_377:
	s_sub_i32 s10, s9, s12
	s_min_u32 s10, s10, 8
	s_lshl_b32 s10, -1, s10
	v_lshrrev_b32_e32 v23, s12, v21
	v_bitop3_b32 v23, v23, s10, v23 bitop3:0x30
	v_lshl_or_b32 v24, v23, 4, v4
	v_mov_b32_e32 v23, 1
	ds_add_u32 v24, v23 offset:4096
	s_not_b32 s15, s10
	s_add_i32 s14, s8, 16
	s_cmp_gt_u32 s9, s14
	s_cselect_b64 s[10:11], -1, 0
	s_cmp_le_u32 s9, s14
	s_cbranch_scc1 .LBB982_380
; %bb.378:
	s_sub_i32 s16, s9, s14
	s_min_u32 s16, s16, 8
	v_lshrrev_b32_e32 v24, s14, v21
	v_bfe_u32 v24, v24, 0, s16
	v_lshl_or_b32 v24, v24, 4, v4
	ds_add_u32 v24, v23 offset:8192
	s_add_i32 s16, s8, 24
	s_cmp_le_u32 s9, s16
	s_cbranch_scc1 .LBB982_380
; %bb.379:
	s_sub_i32 s17, s9, s16
	s_min_u32 s17, s17, 8
	v_lshrrev_b32_e32 v21, s16, v21
	v_bfe_u32 v21, v21, 0, s17
	v_lshl_or_b32 v21, v21, 4, v4
	v_mov_b32_e32 v24, 1
	ds_add_u32 v21, v24 offset:12288
.LBB982_380:
	v_lshl_or_b32 v21, v22, 4, v4
	ds_add_u32 v21, v23
	v_lshrrev_b32_e32 v21, s12, v5
	v_and_b32_e32 v21, s15, v21
	v_lshl_or_b32 v21, v21, 4, v4
	ds_add_u32 v21, v23 offset:4096
	s_andn2_b64 vcc, exec, s[10:11]
	s_cbranch_vccnz .LBB982_383
; %bb.381:
	s_sub_i32 s10, s9, s14
	s_min_u32 s10, s10, 8
	v_lshrrev_b32_e32 v21, s14, v5
	v_bfe_u32 v21, v21, 0, s10
	v_lshl_or_b32 v21, v21, 4, v4
	v_mov_b32_e32 v22, 1
	ds_add_u32 v21, v22 offset:8192
	s_add_i32 s10, s8, 24
	s_cmp_gt_u32 s9, s10
                                        ; implicit-def: $vgpr23
	s_cbranch_scc0 .LBB982_384
; %bb.382:
	s_sub_i32 s4, s9, s10
	s_min_u32 s4, s4, 8
	v_lshrrev_b32_e32 v5, s10, v5
	v_bfe_u32 v5, v5, 0, s4
	v_mov_b32_e32 v21, 0x3000
	v_lshl_add_u32 v23, v5, 4, v21
	s_mov_b64 s[4:5], -1
	s_branch .LBB982_384
.LBB982_383:
                                        ; implicit-def: $vgpr23
.LBB982_384:
	s_and_b64 vcc, exec, s[4:5]
	s_cbranch_vccz .LBB982_386
; %bb.385:
	v_lshl_add_u32 v5, v3, 2, v23
	v_mov_b32_e32 v21, 1
	ds_add_u32 v5, v21
.LBB982_386:
	v_xor_b32_e32 v21, 0x7fffffff, v12
	v_lshrrev_b32_e32 v22, s8, v21
	v_and_b32_e32 v22, s13, v22
	v_lshl_or_b32 v22, v22, 4, v4
	v_mov_b32_e32 v23, 1
	ds_add_u32 v22, v23
	s_waitcnt vmcnt(2)
	v_xor_b32_e32 v5, 0x7fffffff, v13
	v_lshrrev_b32_e32 v22, s8, v5
	s_and_b64 vcc, exec, s[2:3]
	v_and_b32_e32 v22, s13, v22
	s_cbranch_vccz .LBB982_388
; %bb.387:
	v_lshlrev_b32_e32 v23, 4, v22
	s_mov_b64 s[4:5], -1
	s_cbranch_execz .LBB982_389
	s_branch .LBB982_396
.LBB982_388:
	s_mov_b64 s[4:5], 0
                                        ; implicit-def: $vgpr23
.LBB982_389:
	s_sub_i32 s10, s9, s12
	s_min_u32 s10, s10, 8
	s_lshl_b32 s10, -1, s10
	v_lshrrev_b32_e32 v23, s12, v21
	v_bitop3_b32 v23, v23, s10, v23 bitop3:0x30
	v_lshl_or_b32 v24, v23, 4, v4
	v_mov_b32_e32 v23, 1
	ds_add_u32 v24, v23 offset:4096
	s_not_b32 s15, s10
	s_add_i32 s14, s8, 16
	s_cmp_gt_u32 s9, s14
	s_cselect_b64 s[10:11], -1, 0
	s_cmp_le_u32 s9, s14
	s_cbranch_scc1 .LBB982_392
; %bb.390:
	s_sub_i32 s16, s9, s14
	s_min_u32 s16, s16, 8
	v_lshrrev_b32_e32 v24, s14, v21
	v_bfe_u32 v24, v24, 0, s16
	v_lshl_or_b32 v24, v24, 4, v4
	ds_add_u32 v24, v23 offset:8192
	s_add_i32 s16, s8, 24
	s_cmp_le_u32 s9, s16
	s_cbranch_scc1 .LBB982_392
; %bb.391:
	s_sub_i32 s17, s9, s16
	s_min_u32 s17, s17, 8
	v_lshrrev_b32_e32 v21, s16, v21
	v_bfe_u32 v21, v21, 0, s17
	v_lshl_or_b32 v21, v21, 4, v4
	v_mov_b32_e32 v24, 1
	ds_add_u32 v21, v24 offset:12288
.LBB982_392:
	v_lshl_or_b32 v21, v22, 4, v4
	ds_add_u32 v21, v23
	v_lshrrev_b32_e32 v21, s12, v5
	v_and_b32_e32 v21, s15, v21
	v_lshl_or_b32 v21, v21, 4, v4
	ds_add_u32 v21, v23 offset:4096
	s_andn2_b64 vcc, exec, s[10:11]
	s_cbranch_vccnz .LBB982_395
; %bb.393:
	s_sub_i32 s10, s9, s14
	s_min_u32 s10, s10, 8
	v_lshrrev_b32_e32 v21, s14, v5
	v_bfe_u32 v21, v21, 0, s10
	v_lshl_or_b32 v21, v21, 4, v4
	v_mov_b32_e32 v22, 1
	ds_add_u32 v21, v22 offset:8192
	s_add_i32 s10, s8, 24
	s_cmp_gt_u32 s9, s10
                                        ; implicit-def: $vgpr23
	s_cbranch_scc0 .LBB982_396
; %bb.394:
	s_sub_i32 s4, s9, s10
	s_min_u32 s4, s4, 8
	v_lshrrev_b32_e32 v5, s10, v5
	v_bfe_u32 v5, v5, 0, s4
	v_mov_b32_e32 v21, 0x3000
	v_lshl_add_u32 v23, v5, 4, v21
	s_mov_b64 s[4:5], -1
	s_branch .LBB982_396
.LBB982_395:
                                        ; implicit-def: $vgpr23
.LBB982_396:
	s_and_b64 vcc, exec, s[4:5]
	s_cbranch_vccz .LBB982_398
; %bb.397:
	v_lshl_add_u32 v5, v3, 2, v23
	v_mov_b32_e32 v21, 1
	ds_add_u32 v5, v21
.LBB982_398:
	s_waitcnt vmcnt(1)
	v_xor_b32_e32 v21, 0x7fffffff, v14
	v_lshrrev_b32_e32 v22, s8, v21
	v_and_b32_e32 v22, s13, v22
	v_lshl_or_b32 v22, v22, 4, v4
	v_mov_b32_e32 v23, 1
	ds_add_u32 v22, v23
	s_waitcnt vmcnt(0)
	v_xor_b32_e32 v5, 0x7fffffff, v15
	v_lshrrev_b32_e32 v22, s8, v5
	s_and_b64 vcc, exec, s[2:3]
	v_and_b32_e32 v22, s13, v22
	s_cbranch_vccz .LBB982_400
; %bb.399:
	v_lshlrev_b32_e32 v23, 4, v22
	s_mov_b64 s[2:3], -1
	s_cbranch_execz .LBB982_401
	s_branch .LBB982_408
.LBB982_400:
	s_mov_b64 s[2:3], 0
                                        ; implicit-def: $vgpr23
.LBB982_401:
	s_sub_i32 s4, s9, s12
	s_min_u32 s4, s4, 8
	s_lshl_b32 s4, -1, s4
	v_lshrrev_b32_e32 v23, s12, v21
	v_bitop3_b32 v23, v23, s4, v23 bitop3:0x30
	v_lshl_or_b32 v24, v23, 4, v4
	v_mov_b32_e32 v23, 1
	ds_add_u32 v24, v23 offset:4096
	s_not_b32 s11, s4
	s_add_i32 s10, s8, 16
	s_cmp_gt_u32 s9, s10
	s_cselect_b64 s[4:5], -1, 0
	s_cmp_le_u32 s9, s10
	s_cbranch_scc1 .LBB982_404
; %bb.402:
	s_sub_i32 s13, s9, s10
	s_min_u32 s13, s13, 8
	v_lshrrev_b32_e32 v24, s10, v21
	v_bfe_u32 v24, v24, 0, s13
	v_lshl_or_b32 v24, v24, 4, v4
	ds_add_u32 v24, v23 offset:8192
	s_add_i32 s13, s8, 24
	s_cmp_le_u32 s9, s13
	s_cbranch_scc1 .LBB982_404
; %bb.403:
	s_sub_i32 s14, s9, s13
	s_min_u32 s14, s14, 8
	v_lshrrev_b32_e32 v21, s13, v21
	v_bfe_u32 v21, v21, 0, s14
	v_lshl_or_b32 v21, v21, 4, v4
	v_mov_b32_e32 v24, 1
	ds_add_u32 v21, v24 offset:12288
.LBB982_404:
	v_lshl_or_b32 v21, v22, 4, v4
	ds_add_u32 v21, v23
	v_lshrrev_b32_e32 v21, s12, v5
	v_and_b32_e32 v21, s11, v21
	v_lshl_or_b32 v21, v21, 4, v4
	ds_add_u32 v21, v23 offset:4096
	s_andn2_b64 vcc, exec, s[4:5]
	s_cbranch_vccnz .LBB982_407
; %bb.405:
	s_sub_i32 s4, s9, s10
	s_min_u32 s4, s4, 8
	v_lshrrev_b32_e32 v21, s10, v5
	v_bfe_u32 v21, v21, 0, s4
	v_lshl_or_b32 v4, v21, 4, v4
	v_mov_b32_e32 v21, 1
	ds_add_u32 v4, v21 offset:8192
	s_add_i32 s4, s8, 24
	s_cmp_gt_u32 s9, s4
                                        ; implicit-def: $vgpr23
	s_cbranch_scc0 .LBB982_408
; %bb.406:
	s_sub_i32 s2, s9, s4
	s_min_u32 s2, s2, 8
	v_lshrrev_b32_e32 v4, s4, v5
	v_bfe_u32 v4, v4, 0, s2
	v_mov_b32_e32 v5, 0x3000
	v_lshl_add_u32 v23, v4, 4, v5
	s_mov_b64 s[2:3], -1
	s_branch .LBB982_408
.LBB982_407:
                                        ; implicit-def: $vgpr23
.LBB982_408:
	s_and_b64 vcc, exec, s[2:3]
	s_cbranch_vccz .LBB982_410
; %bb.409:
	v_lshl_add_u32 v3, v3, 2, v23
	v_mov_b32_e32 v4, 1
	ds_add_u32 v3, v4
.LBB982_410:
	s_and_b64 vcc, exec, s[0:1]
	s_waitcnt lgkmcnt(0)
	s_barrier
	s_cbranch_vccz .LBB982_415
; %bb.411:
	s_movk_i32 s0, 0x100
	v_cmp_gt_u32_e32 vcc, s0, v0
	v_lshlrev_b32_e32 v3, 4, v0
	v_mov_b32_e32 v5, 0
	v_mov_b32_e32 v4, v0
	s_branch .LBB982_413
.LBB982_412:                            ;   in Loop: Header=BB982_413 Depth=1
	s_or_b64 exec, exec, s[0:1]
	s_add_i32 s8, s8, 8
	v_add_u32_e32 v4, 0x100, v4
	s_cmp_ge_u32 s8, s9
	v_add_u32_e32 v3, 0x1000, v3
	s_cbranch_scc1 .LBB982_415
.LBB982_413:                            ; =>This Inner Loop Header: Depth=1
	s_and_saveexec_b64 s[0:1], vcc
	s_cbranch_execz .LBB982_412
; %bb.414:                              ;   in Loop: Header=BB982_413 Depth=1
	ds_read2_b32 v[22:23], v3 offset1:1
	ds_read2_b32 v[24:25], v3 offset0:2 offset1:3
	s_waitcnt lgkmcnt(1)
	v_add_u32_e32 v21, v23, v22
	s_waitcnt lgkmcnt(0)
	v_add3_u32 v21, v21, v24, v25
	v_lshl_add_u64 v[22:23], v[4:5], 2, s[6:7]
	global_atomic_add v[22:23], v21, off
	s_branch .LBB982_412
.LBB982_415:
	s_mov_b64 s[0:1], 0
.LBB982_416:
	s_and_b64 vcc, exec, s[0:1]
	s_cbranch_vccz .LBB982_419
; %bb.417:
	v_mov_b32_e32 v3, 0
	ds_write2st64_b32 v2, v3, v3 offset1:16
	ds_write2st64_b32 v2, v3, v3 offset0:32 offset1:48
	s_waitcnt vmcnt(7)
	v_xor_b32_e32 v3, 0x7fffffff, v16
	s_waitcnt vmcnt(5)
	v_xor_b32_e32 v5, 0x7fffffff, v18
	v_and_b32_e32 v18, 3, v0
	s_waitcnt vmcnt(4)
	v_xor_b32_e32 v16, 0x7fffffff, v19
	v_lshlrev_b32_e32 v19, 4, v3
	v_lshlrev_b32_e32 v18, 2, v18
	s_movk_i32 s0, 0xff0
	v_xor_b32_e32 v4, 0x7fffffff, v17
	s_waitcnt vmcnt(3)
	v_xor_b32_e32 v17, 0x7fffffff, v20
	v_and_or_b32 v19, v19, s0, v18
	v_mov_b32_e32 v20, 1
	s_waitcnt lgkmcnt(0)
	s_barrier
	ds_add_u32 v19, v20
	v_bfe_u32 v19, v3, 8, 8
	v_lshl_or_b32 v19, v19, 4, v18
	ds_add_u32 v19, v20 offset:4096
	v_bfe_u32 v19, v3, 16, 8
	v_lshl_or_b32 v19, v19, 4, v18
	v_lshrrev_b32_e32 v3, 24, v3
	ds_add_u32 v19, v20 offset:8192
	v_lshl_or_b32 v3, v3, 4, v18
	ds_add_u32 v3, v20 offset:12288
	v_lshlrev_b32_e32 v3, 4, v4
	v_and_or_b32 v3, v3, s0, v18
	ds_add_u32 v3, v20
	v_bfe_u32 v3, v4, 8, 8
	v_lshl_or_b32 v3, v3, 4, v18
	ds_add_u32 v3, v20 offset:4096
	v_bfe_u32 v3, v4, 16, 8
	v_lshl_or_b32 v3, v3, 4, v18
	ds_add_u32 v3, v20 offset:8192
	v_lshrrev_b32_e32 v3, 24, v4
	v_lshl_or_b32 v3, v3, 4, v18
	ds_add_u32 v3, v20 offset:12288
	v_lshlrev_b32_e32 v3, 4, v5
	v_and_or_b32 v3, v3, s0, v18
	ds_add_u32 v3, v20
	v_bfe_u32 v3, v5, 8, 8
	v_lshl_or_b32 v3, v3, 4, v18
	ds_add_u32 v3, v20 offset:4096
	v_bfe_u32 v3, v5, 16, 8
	v_lshl_or_b32 v3, v3, 4, v18
	ds_add_u32 v3, v20 offset:8192
	v_lshrrev_b32_e32 v3, 24, v5
	;; [unrolled: 12-line block ×4, first 2 shown]
	v_xor_b32_e32 v1, 0x7fffffff, v1
	v_lshl_or_b32 v3, v3, 4, v18
	ds_add_u32 v3, v20 offset:12288
	v_lshlrev_b32_e32 v3, 4, v1
	v_and_or_b32 v3, v3, s0, v18
	ds_add_u32 v3, v20
	v_bfe_u32 v3, v1, 8, 8
	v_lshl_or_b32 v3, v3, 4, v18
	ds_add_u32 v3, v20 offset:4096
	v_bfe_u32 v3, v1, 16, 8
	v_lshl_or_b32 v3, v3, 4, v18
	v_lshrrev_b32_e32 v1, 24, v1
	v_xor_b32_e32 v6, 0x7fffffff, v6
	ds_add_u32 v3, v20 offset:8192
	v_lshl_or_b32 v1, v1, 4, v18
	ds_add_u32 v1, v20 offset:12288
	v_lshlrev_b32_e32 v1, 4, v6
	v_and_or_b32 v1, v1, s0, v18
	ds_add_u32 v1, v20
	v_bfe_u32 v1, v6, 8, 8
	v_lshl_or_b32 v1, v1, 4, v18
	ds_add_u32 v1, v20 offset:4096
	v_bfe_u32 v1, v6, 16, 8
	v_lshl_or_b32 v1, v1, 4, v18
	ds_add_u32 v1, v20 offset:8192
	v_lshrrev_b32_e32 v1, 24, v6
	v_xor_b32_e32 v7, 0x7fffffff, v7
	v_lshl_or_b32 v1, v1, 4, v18
	ds_add_u32 v1, v20 offset:12288
	v_lshlrev_b32_e32 v1, 4, v7
	v_and_or_b32 v1, v1, s0, v18
	ds_add_u32 v1, v20
	v_bfe_u32 v1, v7, 8, 8
	v_lshl_or_b32 v1, v1, 4, v18
	ds_add_u32 v1, v20 offset:4096
	v_bfe_u32 v1, v7, 16, 8
	v_lshl_or_b32 v1, v1, 4, v18
	ds_add_u32 v1, v20 offset:8192
	v_lshrrev_b32_e32 v1, 24, v7
	v_xor_b32_e32 v8, 0x7fffffff, v8
	;; [unrolled: 13-line block ×6, first 2 shown]
	v_lshl_or_b32 v1, v1, 4, v18
	ds_add_u32 v1, v20 offset:12288
	v_lshlrev_b32_e32 v1, 4, v12
	v_and_or_b32 v1, v1, s0, v18
	ds_add_u32 v1, v20
	v_bfe_u32 v1, v12, 8, 8
	v_lshl_or_b32 v1, v1, 4, v18
	ds_add_u32 v1, v20 offset:4096
	v_bfe_u32 v1, v12, 16, 8
	v_lshl_or_b32 v1, v1, 4, v18
	ds_add_u32 v1, v20 offset:8192
	v_lshrrev_b32_e32 v1, 24, v12
	s_waitcnt vmcnt(2)
	v_xor_b32_e32 v13, 0x7fffffff, v13
	v_lshl_or_b32 v1, v1, 4, v18
	ds_add_u32 v1, v20 offset:12288
	v_lshlrev_b32_e32 v1, 4, v13
	v_and_or_b32 v1, v1, s0, v18
	ds_add_u32 v1, v20
	v_bfe_u32 v1, v13, 8, 8
	v_lshl_or_b32 v1, v1, 4, v18
	ds_add_u32 v1, v20 offset:4096
	v_bfe_u32 v1, v13, 16, 8
	v_lshl_or_b32 v1, v1, 4, v18
	ds_add_u32 v1, v20 offset:8192
	v_lshrrev_b32_e32 v1, 24, v13
	s_waitcnt vmcnt(1)
	v_xor_b32_e32 v14, 0x7fffffff, v14
	v_lshl_or_b32 v1, v1, 4, v18
	ds_add_u32 v1, v20 offset:12288
	v_lshlrev_b32_e32 v1, 4, v14
	v_and_or_b32 v1, v1, s0, v18
	ds_add_u32 v1, v20
	v_bfe_u32 v1, v14, 8, 8
	v_lshl_or_b32 v1, v1, 4, v18
	ds_add_u32 v1, v20 offset:4096
	v_bfe_u32 v1, v14, 16, 8
	v_lshl_or_b32 v1, v1, 4, v18
	ds_add_u32 v1, v20 offset:8192
	v_lshrrev_b32_e32 v1, 24, v14
	s_waitcnt vmcnt(0)
	v_xor_b32_e32 v15, 0x7fffffff, v15
	v_lshl_or_b32 v1, v1, 4, v18
	ds_add_u32 v1, v20 offset:12288
	v_lshlrev_b32_e32 v1, 4, v15
	v_and_or_b32 v1, v1, s0, v18
	ds_add_u32 v1, v20
	v_bfe_u32 v1, v15, 8, 8
	v_lshl_or_b32 v1, v1, 4, v18
	ds_add_u32 v1, v20 offset:4096
	v_bfe_u32 v1, v15, 16, 8
	v_lshl_or_b32 v1, v1, 4, v18
	ds_add_u32 v1, v20 offset:8192
	v_lshrrev_b32_e32 v1, 24, v15
	v_lshl_or_b32 v1, v1, 4, v18
	ds_add_u32 v1, v20 offset:12288
	s_movk_i32 s0, 0x100
	v_cmp_gt_u32_e32 vcc, s0, v0
	s_waitcnt lgkmcnt(0)
	s_barrier
	s_and_saveexec_b64 s[0:1], vcc
	s_cbranch_execz .LBB982_419
; %bb.418:
	v_lshlrev_b32_e32 v3, 4, v0
	ds_read2_b32 v[0:1], v3 offset1:1
	ds_read2_b32 v[4:5], v3 offset0:2 offset1:3
	v_add_u32_e32 v6, 0x1000, v3
	v_add_u32_e32 v7, 0x1008, v3
	s_waitcnt lgkmcnt(1)
	v_add_u32_e32 v0, v1, v0
	s_waitcnt lgkmcnt(0)
	v_add3_u32 v0, v0, v4, v5
	global_atomic_add v2, v0, s[6:7]
	ds_read2_b32 v[0:1], v6 offset1:1
	ds_read2_b32 v[4:5], v7 offset1:1
	v_add_u32_e32 v6, 0x2000, v3
	v_add_u32_e32 v7, 0x2008, v3
	s_waitcnt lgkmcnt(1)
	v_add_u32_e32 v0, v1, v0
	s_waitcnt lgkmcnt(0)
	v_add3_u32 v0, v0, v4, v5
	global_atomic_add v2, v0, s[6:7] offset:1024
	ds_read2_b32 v[0:1], v6 offset1:1
	ds_read2_b32 v[4:5], v7 offset1:1
	v_add_u32_e32 v6, 0x3000, v3
	v_add_u32_e32 v3, 0x3008, v3
	s_waitcnt lgkmcnt(1)
	v_add_u32_e32 v0, v1, v0
	s_waitcnt lgkmcnt(0)
	v_add3_u32 v0, v0, v4, v5
	global_atomic_add v2, v0, s[6:7] offset:2048
	ds_read2_b32 v[0:1], v6 offset1:1
	ds_read2_b32 v[4:5], v3 offset1:1
	s_waitcnt lgkmcnt(1)
	v_add_u32_e32 v0, v1, v0
	s_waitcnt lgkmcnt(0)
	v_add3_u32 v0, v0, v4, v5
	global_atomic_add v2, v0, s[6:7] offset:3072
.LBB982_419:
	s_endpgm
	.section	.rodata,"a",@progbits
	.p2align	6, 0x0
	.amdhsa_kernel _ZN7rocprim17ROCPRIM_400000_NS6detail17trampoline_kernelINS0_14default_configENS1_35radix_sort_onesweep_config_selectorIiiEEZNS1_34radix_sort_onesweep_global_offsetsIS3_Lb1EN6thrust23THRUST_200600_302600_NS6detail15normal_iteratorINS8_10device_ptrIiEEEESD_jNS0_19identity_decomposerEEE10hipError_tT1_T2_PT3_SI_jT4_jjP12ihipStream_tbEUlT_E_NS1_11comp_targetILNS1_3genE6ELNS1_11target_archE950ELNS1_3gpuE13ELNS1_3repE0EEENS1_52radix_sort_onesweep_histogram_config_static_selectorELNS0_4arch9wavefront6targetE1EEEvSG_
		.amdhsa_group_segment_fixed_size 16384
		.amdhsa_private_segment_fixed_size 0
		.amdhsa_kernarg_size 40
		.amdhsa_user_sgpr_count 2
		.amdhsa_user_sgpr_dispatch_ptr 0
		.amdhsa_user_sgpr_queue_ptr 0
		.amdhsa_user_sgpr_kernarg_segment_ptr 1
		.amdhsa_user_sgpr_dispatch_id 0
		.amdhsa_user_sgpr_kernarg_preload_length 0
		.amdhsa_user_sgpr_kernarg_preload_offset 0
		.amdhsa_user_sgpr_private_segment_size 0
		.amdhsa_uses_dynamic_stack 0
		.amdhsa_enable_private_segment 0
		.amdhsa_system_sgpr_workgroup_id_x 1
		.amdhsa_system_sgpr_workgroup_id_y 0
		.amdhsa_system_sgpr_workgroup_id_z 0
		.amdhsa_system_sgpr_workgroup_info 0
		.amdhsa_system_vgpr_workitem_id 0
		.amdhsa_next_free_vgpr 36
		.amdhsa_next_free_sgpr 19
		.amdhsa_accum_offset 36
		.amdhsa_reserve_vcc 1
		.amdhsa_float_round_mode_32 0
		.amdhsa_float_round_mode_16_64 0
		.amdhsa_float_denorm_mode_32 3
		.amdhsa_float_denorm_mode_16_64 3
		.amdhsa_dx10_clamp 1
		.amdhsa_ieee_mode 1
		.amdhsa_fp16_overflow 0
		.amdhsa_tg_split 0
		.amdhsa_exception_fp_ieee_invalid_op 0
		.amdhsa_exception_fp_denorm_src 0
		.amdhsa_exception_fp_ieee_div_zero 0
		.amdhsa_exception_fp_ieee_overflow 0
		.amdhsa_exception_fp_ieee_underflow 0
		.amdhsa_exception_fp_ieee_inexact 0
		.amdhsa_exception_int_div_zero 0
	.end_amdhsa_kernel
	.section	.text._ZN7rocprim17ROCPRIM_400000_NS6detail17trampoline_kernelINS0_14default_configENS1_35radix_sort_onesweep_config_selectorIiiEEZNS1_34radix_sort_onesweep_global_offsetsIS3_Lb1EN6thrust23THRUST_200600_302600_NS6detail15normal_iteratorINS8_10device_ptrIiEEEESD_jNS0_19identity_decomposerEEE10hipError_tT1_T2_PT3_SI_jT4_jjP12ihipStream_tbEUlT_E_NS1_11comp_targetILNS1_3genE6ELNS1_11target_archE950ELNS1_3gpuE13ELNS1_3repE0EEENS1_52radix_sort_onesweep_histogram_config_static_selectorELNS0_4arch9wavefront6targetE1EEEvSG_,"axG",@progbits,_ZN7rocprim17ROCPRIM_400000_NS6detail17trampoline_kernelINS0_14default_configENS1_35radix_sort_onesweep_config_selectorIiiEEZNS1_34radix_sort_onesweep_global_offsetsIS3_Lb1EN6thrust23THRUST_200600_302600_NS6detail15normal_iteratorINS8_10device_ptrIiEEEESD_jNS0_19identity_decomposerEEE10hipError_tT1_T2_PT3_SI_jT4_jjP12ihipStream_tbEUlT_E_NS1_11comp_targetILNS1_3genE6ELNS1_11target_archE950ELNS1_3gpuE13ELNS1_3repE0EEENS1_52radix_sort_onesweep_histogram_config_static_selectorELNS0_4arch9wavefront6targetE1EEEvSG_,comdat
.Lfunc_end982:
	.size	_ZN7rocprim17ROCPRIM_400000_NS6detail17trampoline_kernelINS0_14default_configENS1_35radix_sort_onesweep_config_selectorIiiEEZNS1_34radix_sort_onesweep_global_offsetsIS3_Lb1EN6thrust23THRUST_200600_302600_NS6detail15normal_iteratorINS8_10device_ptrIiEEEESD_jNS0_19identity_decomposerEEE10hipError_tT1_T2_PT3_SI_jT4_jjP12ihipStream_tbEUlT_E_NS1_11comp_targetILNS1_3genE6ELNS1_11target_archE950ELNS1_3gpuE13ELNS1_3repE0EEENS1_52radix_sort_onesweep_histogram_config_static_selectorELNS0_4arch9wavefront6targetE1EEEvSG_, .Lfunc_end982-_ZN7rocprim17ROCPRIM_400000_NS6detail17trampoline_kernelINS0_14default_configENS1_35radix_sort_onesweep_config_selectorIiiEEZNS1_34radix_sort_onesweep_global_offsetsIS3_Lb1EN6thrust23THRUST_200600_302600_NS6detail15normal_iteratorINS8_10device_ptrIiEEEESD_jNS0_19identity_decomposerEEE10hipError_tT1_T2_PT3_SI_jT4_jjP12ihipStream_tbEUlT_E_NS1_11comp_targetILNS1_3genE6ELNS1_11target_archE950ELNS1_3gpuE13ELNS1_3repE0EEENS1_52radix_sort_onesweep_histogram_config_static_selectorELNS0_4arch9wavefront6targetE1EEEvSG_
                                        ; -- End function
	.set _ZN7rocprim17ROCPRIM_400000_NS6detail17trampoline_kernelINS0_14default_configENS1_35radix_sort_onesweep_config_selectorIiiEEZNS1_34radix_sort_onesweep_global_offsetsIS3_Lb1EN6thrust23THRUST_200600_302600_NS6detail15normal_iteratorINS8_10device_ptrIiEEEESD_jNS0_19identity_decomposerEEE10hipError_tT1_T2_PT3_SI_jT4_jjP12ihipStream_tbEUlT_E_NS1_11comp_targetILNS1_3genE6ELNS1_11target_archE950ELNS1_3gpuE13ELNS1_3repE0EEENS1_52radix_sort_onesweep_histogram_config_static_selectorELNS0_4arch9wavefront6targetE1EEEvSG_.num_vgpr, 36
	.set _ZN7rocprim17ROCPRIM_400000_NS6detail17trampoline_kernelINS0_14default_configENS1_35radix_sort_onesweep_config_selectorIiiEEZNS1_34radix_sort_onesweep_global_offsetsIS3_Lb1EN6thrust23THRUST_200600_302600_NS6detail15normal_iteratorINS8_10device_ptrIiEEEESD_jNS0_19identity_decomposerEEE10hipError_tT1_T2_PT3_SI_jT4_jjP12ihipStream_tbEUlT_E_NS1_11comp_targetILNS1_3genE6ELNS1_11target_archE950ELNS1_3gpuE13ELNS1_3repE0EEENS1_52radix_sort_onesweep_histogram_config_static_selectorELNS0_4arch9wavefront6targetE1EEEvSG_.num_agpr, 0
	.set _ZN7rocprim17ROCPRIM_400000_NS6detail17trampoline_kernelINS0_14default_configENS1_35radix_sort_onesweep_config_selectorIiiEEZNS1_34radix_sort_onesweep_global_offsetsIS3_Lb1EN6thrust23THRUST_200600_302600_NS6detail15normal_iteratorINS8_10device_ptrIiEEEESD_jNS0_19identity_decomposerEEE10hipError_tT1_T2_PT3_SI_jT4_jjP12ihipStream_tbEUlT_E_NS1_11comp_targetILNS1_3genE6ELNS1_11target_archE950ELNS1_3gpuE13ELNS1_3repE0EEENS1_52radix_sort_onesweep_histogram_config_static_selectorELNS0_4arch9wavefront6targetE1EEEvSG_.numbered_sgpr, 19
	.set _ZN7rocprim17ROCPRIM_400000_NS6detail17trampoline_kernelINS0_14default_configENS1_35radix_sort_onesweep_config_selectorIiiEEZNS1_34radix_sort_onesweep_global_offsetsIS3_Lb1EN6thrust23THRUST_200600_302600_NS6detail15normal_iteratorINS8_10device_ptrIiEEEESD_jNS0_19identity_decomposerEEE10hipError_tT1_T2_PT3_SI_jT4_jjP12ihipStream_tbEUlT_E_NS1_11comp_targetILNS1_3genE6ELNS1_11target_archE950ELNS1_3gpuE13ELNS1_3repE0EEENS1_52radix_sort_onesweep_histogram_config_static_selectorELNS0_4arch9wavefront6targetE1EEEvSG_.num_named_barrier, 0
	.set _ZN7rocprim17ROCPRIM_400000_NS6detail17trampoline_kernelINS0_14default_configENS1_35radix_sort_onesweep_config_selectorIiiEEZNS1_34radix_sort_onesweep_global_offsetsIS3_Lb1EN6thrust23THRUST_200600_302600_NS6detail15normal_iteratorINS8_10device_ptrIiEEEESD_jNS0_19identity_decomposerEEE10hipError_tT1_T2_PT3_SI_jT4_jjP12ihipStream_tbEUlT_E_NS1_11comp_targetILNS1_3genE6ELNS1_11target_archE950ELNS1_3gpuE13ELNS1_3repE0EEENS1_52radix_sort_onesweep_histogram_config_static_selectorELNS0_4arch9wavefront6targetE1EEEvSG_.private_seg_size, 0
	.set _ZN7rocprim17ROCPRIM_400000_NS6detail17trampoline_kernelINS0_14default_configENS1_35radix_sort_onesweep_config_selectorIiiEEZNS1_34radix_sort_onesweep_global_offsetsIS3_Lb1EN6thrust23THRUST_200600_302600_NS6detail15normal_iteratorINS8_10device_ptrIiEEEESD_jNS0_19identity_decomposerEEE10hipError_tT1_T2_PT3_SI_jT4_jjP12ihipStream_tbEUlT_E_NS1_11comp_targetILNS1_3genE6ELNS1_11target_archE950ELNS1_3gpuE13ELNS1_3repE0EEENS1_52radix_sort_onesweep_histogram_config_static_selectorELNS0_4arch9wavefront6targetE1EEEvSG_.uses_vcc, 1
	.set _ZN7rocprim17ROCPRIM_400000_NS6detail17trampoline_kernelINS0_14default_configENS1_35radix_sort_onesweep_config_selectorIiiEEZNS1_34radix_sort_onesweep_global_offsetsIS3_Lb1EN6thrust23THRUST_200600_302600_NS6detail15normal_iteratorINS8_10device_ptrIiEEEESD_jNS0_19identity_decomposerEEE10hipError_tT1_T2_PT3_SI_jT4_jjP12ihipStream_tbEUlT_E_NS1_11comp_targetILNS1_3genE6ELNS1_11target_archE950ELNS1_3gpuE13ELNS1_3repE0EEENS1_52radix_sort_onesweep_histogram_config_static_selectorELNS0_4arch9wavefront6targetE1EEEvSG_.uses_flat_scratch, 0
	.set _ZN7rocprim17ROCPRIM_400000_NS6detail17trampoline_kernelINS0_14default_configENS1_35radix_sort_onesweep_config_selectorIiiEEZNS1_34radix_sort_onesweep_global_offsetsIS3_Lb1EN6thrust23THRUST_200600_302600_NS6detail15normal_iteratorINS8_10device_ptrIiEEEESD_jNS0_19identity_decomposerEEE10hipError_tT1_T2_PT3_SI_jT4_jjP12ihipStream_tbEUlT_E_NS1_11comp_targetILNS1_3genE6ELNS1_11target_archE950ELNS1_3gpuE13ELNS1_3repE0EEENS1_52radix_sort_onesweep_histogram_config_static_selectorELNS0_4arch9wavefront6targetE1EEEvSG_.has_dyn_sized_stack, 0
	.set _ZN7rocprim17ROCPRIM_400000_NS6detail17trampoline_kernelINS0_14default_configENS1_35radix_sort_onesweep_config_selectorIiiEEZNS1_34radix_sort_onesweep_global_offsetsIS3_Lb1EN6thrust23THRUST_200600_302600_NS6detail15normal_iteratorINS8_10device_ptrIiEEEESD_jNS0_19identity_decomposerEEE10hipError_tT1_T2_PT3_SI_jT4_jjP12ihipStream_tbEUlT_E_NS1_11comp_targetILNS1_3genE6ELNS1_11target_archE950ELNS1_3gpuE13ELNS1_3repE0EEENS1_52radix_sort_onesweep_histogram_config_static_selectorELNS0_4arch9wavefront6targetE1EEEvSG_.has_recursion, 0
	.set _ZN7rocprim17ROCPRIM_400000_NS6detail17trampoline_kernelINS0_14default_configENS1_35radix_sort_onesweep_config_selectorIiiEEZNS1_34radix_sort_onesweep_global_offsetsIS3_Lb1EN6thrust23THRUST_200600_302600_NS6detail15normal_iteratorINS8_10device_ptrIiEEEESD_jNS0_19identity_decomposerEEE10hipError_tT1_T2_PT3_SI_jT4_jjP12ihipStream_tbEUlT_E_NS1_11comp_targetILNS1_3genE6ELNS1_11target_archE950ELNS1_3gpuE13ELNS1_3repE0EEENS1_52radix_sort_onesweep_histogram_config_static_selectorELNS0_4arch9wavefront6targetE1EEEvSG_.has_indirect_call, 0
	.section	.AMDGPU.csdata,"",@progbits
; Kernel info:
; codeLenInByte = 13888
; TotalNumSgprs: 25
; NumVgprs: 36
; NumAgprs: 0
; TotalNumVgprs: 36
; ScratchSize: 0
; MemoryBound: 0
; FloatMode: 240
; IeeeMode: 1
; LDSByteSize: 16384 bytes/workgroup (compile time only)
; SGPRBlocks: 3
; VGPRBlocks: 4
; NumSGPRsForWavesPerEU: 25
; NumVGPRsForWavesPerEU: 36
; AccumOffset: 36
; Occupancy: 8
; WaveLimiterHint : 1
; COMPUTE_PGM_RSRC2:SCRATCH_EN: 0
; COMPUTE_PGM_RSRC2:USER_SGPR: 2
; COMPUTE_PGM_RSRC2:TRAP_HANDLER: 0
; COMPUTE_PGM_RSRC2:TGID_X_EN: 1
; COMPUTE_PGM_RSRC2:TGID_Y_EN: 0
; COMPUTE_PGM_RSRC2:TGID_Z_EN: 0
; COMPUTE_PGM_RSRC2:TIDIG_COMP_CNT: 0
; COMPUTE_PGM_RSRC3_GFX90A:ACCUM_OFFSET: 8
; COMPUTE_PGM_RSRC3_GFX90A:TG_SPLIT: 0
	.section	.text._ZN7rocprim17ROCPRIM_400000_NS6detail17trampoline_kernelINS0_14default_configENS1_35radix_sort_onesweep_config_selectorIiiEEZNS1_34radix_sort_onesweep_global_offsetsIS3_Lb1EN6thrust23THRUST_200600_302600_NS6detail15normal_iteratorINS8_10device_ptrIiEEEESD_jNS0_19identity_decomposerEEE10hipError_tT1_T2_PT3_SI_jT4_jjP12ihipStream_tbEUlT_E_NS1_11comp_targetILNS1_3genE5ELNS1_11target_archE942ELNS1_3gpuE9ELNS1_3repE0EEENS1_52radix_sort_onesweep_histogram_config_static_selectorELNS0_4arch9wavefront6targetE1EEEvSG_,"axG",@progbits,_ZN7rocprim17ROCPRIM_400000_NS6detail17trampoline_kernelINS0_14default_configENS1_35radix_sort_onesweep_config_selectorIiiEEZNS1_34radix_sort_onesweep_global_offsetsIS3_Lb1EN6thrust23THRUST_200600_302600_NS6detail15normal_iteratorINS8_10device_ptrIiEEEESD_jNS0_19identity_decomposerEEE10hipError_tT1_T2_PT3_SI_jT4_jjP12ihipStream_tbEUlT_E_NS1_11comp_targetILNS1_3genE5ELNS1_11target_archE942ELNS1_3gpuE9ELNS1_3repE0EEENS1_52radix_sort_onesweep_histogram_config_static_selectorELNS0_4arch9wavefront6targetE1EEEvSG_,comdat
	.protected	_ZN7rocprim17ROCPRIM_400000_NS6detail17trampoline_kernelINS0_14default_configENS1_35radix_sort_onesweep_config_selectorIiiEEZNS1_34radix_sort_onesweep_global_offsetsIS3_Lb1EN6thrust23THRUST_200600_302600_NS6detail15normal_iteratorINS8_10device_ptrIiEEEESD_jNS0_19identity_decomposerEEE10hipError_tT1_T2_PT3_SI_jT4_jjP12ihipStream_tbEUlT_E_NS1_11comp_targetILNS1_3genE5ELNS1_11target_archE942ELNS1_3gpuE9ELNS1_3repE0EEENS1_52radix_sort_onesweep_histogram_config_static_selectorELNS0_4arch9wavefront6targetE1EEEvSG_ ; -- Begin function _ZN7rocprim17ROCPRIM_400000_NS6detail17trampoline_kernelINS0_14default_configENS1_35radix_sort_onesweep_config_selectorIiiEEZNS1_34radix_sort_onesweep_global_offsetsIS3_Lb1EN6thrust23THRUST_200600_302600_NS6detail15normal_iteratorINS8_10device_ptrIiEEEESD_jNS0_19identity_decomposerEEE10hipError_tT1_T2_PT3_SI_jT4_jjP12ihipStream_tbEUlT_E_NS1_11comp_targetILNS1_3genE5ELNS1_11target_archE942ELNS1_3gpuE9ELNS1_3repE0EEENS1_52radix_sort_onesweep_histogram_config_static_selectorELNS0_4arch9wavefront6targetE1EEEvSG_
	.globl	_ZN7rocprim17ROCPRIM_400000_NS6detail17trampoline_kernelINS0_14default_configENS1_35radix_sort_onesweep_config_selectorIiiEEZNS1_34radix_sort_onesweep_global_offsetsIS3_Lb1EN6thrust23THRUST_200600_302600_NS6detail15normal_iteratorINS8_10device_ptrIiEEEESD_jNS0_19identity_decomposerEEE10hipError_tT1_T2_PT3_SI_jT4_jjP12ihipStream_tbEUlT_E_NS1_11comp_targetILNS1_3genE5ELNS1_11target_archE942ELNS1_3gpuE9ELNS1_3repE0EEENS1_52radix_sort_onesweep_histogram_config_static_selectorELNS0_4arch9wavefront6targetE1EEEvSG_
	.p2align	8
	.type	_ZN7rocprim17ROCPRIM_400000_NS6detail17trampoline_kernelINS0_14default_configENS1_35radix_sort_onesweep_config_selectorIiiEEZNS1_34radix_sort_onesweep_global_offsetsIS3_Lb1EN6thrust23THRUST_200600_302600_NS6detail15normal_iteratorINS8_10device_ptrIiEEEESD_jNS0_19identity_decomposerEEE10hipError_tT1_T2_PT3_SI_jT4_jjP12ihipStream_tbEUlT_E_NS1_11comp_targetILNS1_3genE5ELNS1_11target_archE942ELNS1_3gpuE9ELNS1_3repE0EEENS1_52radix_sort_onesweep_histogram_config_static_selectorELNS0_4arch9wavefront6targetE1EEEvSG_,@function
_ZN7rocprim17ROCPRIM_400000_NS6detail17trampoline_kernelINS0_14default_configENS1_35radix_sort_onesweep_config_selectorIiiEEZNS1_34radix_sort_onesweep_global_offsetsIS3_Lb1EN6thrust23THRUST_200600_302600_NS6detail15normal_iteratorINS8_10device_ptrIiEEEESD_jNS0_19identity_decomposerEEE10hipError_tT1_T2_PT3_SI_jT4_jjP12ihipStream_tbEUlT_E_NS1_11comp_targetILNS1_3genE5ELNS1_11target_archE942ELNS1_3gpuE9ELNS1_3repE0EEENS1_52radix_sort_onesweep_histogram_config_static_selectorELNS0_4arch9wavefront6targetE1EEEvSG_: ; @_ZN7rocprim17ROCPRIM_400000_NS6detail17trampoline_kernelINS0_14default_configENS1_35radix_sort_onesweep_config_selectorIiiEEZNS1_34radix_sort_onesweep_global_offsetsIS3_Lb1EN6thrust23THRUST_200600_302600_NS6detail15normal_iteratorINS8_10device_ptrIiEEEESD_jNS0_19identity_decomposerEEE10hipError_tT1_T2_PT3_SI_jT4_jjP12ihipStream_tbEUlT_E_NS1_11comp_targetILNS1_3genE5ELNS1_11target_archE942ELNS1_3gpuE9ELNS1_3repE0EEENS1_52radix_sort_onesweep_histogram_config_static_selectorELNS0_4arch9wavefront6targetE1EEEvSG_
; %bb.0:
	.section	.rodata,"a",@progbits
	.p2align	6, 0x0
	.amdhsa_kernel _ZN7rocprim17ROCPRIM_400000_NS6detail17trampoline_kernelINS0_14default_configENS1_35radix_sort_onesweep_config_selectorIiiEEZNS1_34radix_sort_onesweep_global_offsetsIS3_Lb1EN6thrust23THRUST_200600_302600_NS6detail15normal_iteratorINS8_10device_ptrIiEEEESD_jNS0_19identity_decomposerEEE10hipError_tT1_T2_PT3_SI_jT4_jjP12ihipStream_tbEUlT_E_NS1_11comp_targetILNS1_3genE5ELNS1_11target_archE942ELNS1_3gpuE9ELNS1_3repE0EEENS1_52radix_sort_onesweep_histogram_config_static_selectorELNS0_4arch9wavefront6targetE1EEEvSG_
		.amdhsa_group_segment_fixed_size 0
		.amdhsa_private_segment_fixed_size 0
		.amdhsa_kernarg_size 40
		.amdhsa_user_sgpr_count 2
		.amdhsa_user_sgpr_dispatch_ptr 0
		.amdhsa_user_sgpr_queue_ptr 0
		.amdhsa_user_sgpr_kernarg_segment_ptr 1
		.amdhsa_user_sgpr_dispatch_id 0
		.amdhsa_user_sgpr_kernarg_preload_length 0
		.amdhsa_user_sgpr_kernarg_preload_offset 0
		.amdhsa_user_sgpr_private_segment_size 0
		.amdhsa_uses_dynamic_stack 0
		.amdhsa_enable_private_segment 0
		.amdhsa_system_sgpr_workgroup_id_x 1
		.amdhsa_system_sgpr_workgroup_id_y 0
		.amdhsa_system_sgpr_workgroup_id_z 0
		.amdhsa_system_sgpr_workgroup_info 0
		.amdhsa_system_vgpr_workitem_id 0
		.amdhsa_next_free_vgpr 1
		.amdhsa_next_free_sgpr 0
		.amdhsa_accum_offset 4
		.amdhsa_reserve_vcc 0
		.amdhsa_float_round_mode_32 0
		.amdhsa_float_round_mode_16_64 0
		.amdhsa_float_denorm_mode_32 3
		.amdhsa_float_denorm_mode_16_64 3
		.amdhsa_dx10_clamp 1
		.amdhsa_ieee_mode 1
		.amdhsa_fp16_overflow 0
		.amdhsa_tg_split 0
		.amdhsa_exception_fp_ieee_invalid_op 0
		.amdhsa_exception_fp_denorm_src 0
		.amdhsa_exception_fp_ieee_div_zero 0
		.amdhsa_exception_fp_ieee_overflow 0
		.amdhsa_exception_fp_ieee_underflow 0
		.amdhsa_exception_fp_ieee_inexact 0
		.amdhsa_exception_int_div_zero 0
	.end_amdhsa_kernel
	.section	.text._ZN7rocprim17ROCPRIM_400000_NS6detail17trampoline_kernelINS0_14default_configENS1_35radix_sort_onesweep_config_selectorIiiEEZNS1_34radix_sort_onesweep_global_offsetsIS3_Lb1EN6thrust23THRUST_200600_302600_NS6detail15normal_iteratorINS8_10device_ptrIiEEEESD_jNS0_19identity_decomposerEEE10hipError_tT1_T2_PT3_SI_jT4_jjP12ihipStream_tbEUlT_E_NS1_11comp_targetILNS1_3genE5ELNS1_11target_archE942ELNS1_3gpuE9ELNS1_3repE0EEENS1_52radix_sort_onesweep_histogram_config_static_selectorELNS0_4arch9wavefront6targetE1EEEvSG_,"axG",@progbits,_ZN7rocprim17ROCPRIM_400000_NS6detail17trampoline_kernelINS0_14default_configENS1_35radix_sort_onesweep_config_selectorIiiEEZNS1_34radix_sort_onesweep_global_offsetsIS3_Lb1EN6thrust23THRUST_200600_302600_NS6detail15normal_iteratorINS8_10device_ptrIiEEEESD_jNS0_19identity_decomposerEEE10hipError_tT1_T2_PT3_SI_jT4_jjP12ihipStream_tbEUlT_E_NS1_11comp_targetILNS1_3genE5ELNS1_11target_archE942ELNS1_3gpuE9ELNS1_3repE0EEENS1_52radix_sort_onesweep_histogram_config_static_selectorELNS0_4arch9wavefront6targetE1EEEvSG_,comdat
.Lfunc_end983:
	.size	_ZN7rocprim17ROCPRIM_400000_NS6detail17trampoline_kernelINS0_14default_configENS1_35radix_sort_onesweep_config_selectorIiiEEZNS1_34radix_sort_onesweep_global_offsetsIS3_Lb1EN6thrust23THRUST_200600_302600_NS6detail15normal_iteratorINS8_10device_ptrIiEEEESD_jNS0_19identity_decomposerEEE10hipError_tT1_T2_PT3_SI_jT4_jjP12ihipStream_tbEUlT_E_NS1_11comp_targetILNS1_3genE5ELNS1_11target_archE942ELNS1_3gpuE9ELNS1_3repE0EEENS1_52radix_sort_onesweep_histogram_config_static_selectorELNS0_4arch9wavefront6targetE1EEEvSG_, .Lfunc_end983-_ZN7rocprim17ROCPRIM_400000_NS6detail17trampoline_kernelINS0_14default_configENS1_35radix_sort_onesweep_config_selectorIiiEEZNS1_34radix_sort_onesweep_global_offsetsIS3_Lb1EN6thrust23THRUST_200600_302600_NS6detail15normal_iteratorINS8_10device_ptrIiEEEESD_jNS0_19identity_decomposerEEE10hipError_tT1_T2_PT3_SI_jT4_jjP12ihipStream_tbEUlT_E_NS1_11comp_targetILNS1_3genE5ELNS1_11target_archE942ELNS1_3gpuE9ELNS1_3repE0EEENS1_52radix_sort_onesweep_histogram_config_static_selectorELNS0_4arch9wavefront6targetE1EEEvSG_
                                        ; -- End function
	.set _ZN7rocprim17ROCPRIM_400000_NS6detail17trampoline_kernelINS0_14default_configENS1_35radix_sort_onesweep_config_selectorIiiEEZNS1_34radix_sort_onesweep_global_offsetsIS3_Lb1EN6thrust23THRUST_200600_302600_NS6detail15normal_iteratorINS8_10device_ptrIiEEEESD_jNS0_19identity_decomposerEEE10hipError_tT1_T2_PT3_SI_jT4_jjP12ihipStream_tbEUlT_E_NS1_11comp_targetILNS1_3genE5ELNS1_11target_archE942ELNS1_3gpuE9ELNS1_3repE0EEENS1_52radix_sort_onesweep_histogram_config_static_selectorELNS0_4arch9wavefront6targetE1EEEvSG_.num_vgpr, 0
	.set _ZN7rocprim17ROCPRIM_400000_NS6detail17trampoline_kernelINS0_14default_configENS1_35radix_sort_onesweep_config_selectorIiiEEZNS1_34radix_sort_onesweep_global_offsetsIS3_Lb1EN6thrust23THRUST_200600_302600_NS6detail15normal_iteratorINS8_10device_ptrIiEEEESD_jNS0_19identity_decomposerEEE10hipError_tT1_T2_PT3_SI_jT4_jjP12ihipStream_tbEUlT_E_NS1_11comp_targetILNS1_3genE5ELNS1_11target_archE942ELNS1_3gpuE9ELNS1_3repE0EEENS1_52radix_sort_onesweep_histogram_config_static_selectorELNS0_4arch9wavefront6targetE1EEEvSG_.num_agpr, 0
	.set _ZN7rocprim17ROCPRIM_400000_NS6detail17trampoline_kernelINS0_14default_configENS1_35radix_sort_onesweep_config_selectorIiiEEZNS1_34radix_sort_onesweep_global_offsetsIS3_Lb1EN6thrust23THRUST_200600_302600_NS6detail15normal_iteratorINS8_10device_ptrIiEEEESD_jNS0_19identity_decomposerEEE10hipError_tT1_T2_PT3_SI_jT4_jjP12ihipStream_tbEUlT_E_NS1_11comp_targetILNS1_3genE5ELNS1_11target_archE942ELNS1_3gpuE9ELNS1_3repE0EEENS1_52radix_sort_onesweep_histogram_config_static_selectorELNS0_4arch9wavefront6targetE1EEEvSG_.numbered_sgpr, 0
	.set _ZN7rocprim17ROCPRIM_400000_NS6detail17trampoline_kernelINS0_14default_configENS1_35radix_sort_onesweep_config_selectorIiiEEZNS1_34radix_sort_onesweep_global_offsetsIS3_Lb1EN6thrust23THRUST_200600_302600_NS6detail15normal_iteratorINS8_10device_ptrIiEEEESD_jNS0_19identity_decomposerEEE10hipError_tT1_T2_PT3_SI_jT4_jjP12ihipStream_tbEUlT_E_NS1_11comp_targetILNS1_3genE5ELNS1_11target_archE942ELNS1_3gpuE9ELNS1_3repE0EEENS1_52radix_sort_onesweep_histogram_config_static_selectorELNS0_4arch9wavefront6targetE1EEEvSG_.num_named_barrier, 0
	.set _ZN7rocprim17ROCPRIM_400000_NS6detail17trampoline_kernelINS0_14default_configENS1_35radix_sort_onesweep_config_selectorIiiEEZNS1_34radix_sort_onesweep_global_offsetsIS3_Lb1EN6thrust23THRUST_200600_302600_NS6detail15normal_iteratorINS8_10device_ptrIiEEEESD_jNS0_19identity_decomposerEEE10hipError_tT1_T2_PT3_SI_jT4_jjP12ihipStream_tbEUlT_E_NS1_11comp_targetILNS1_3genE5ELNS1_11target_archE942ELNS1_3gpuE9ELNS1_3repE0EEENS1_52radix_sort_onesweep_histogram_config_static_selectorELNS0_4arch9wavefront6targetE1EEEvSG_.private_seg_size, 0
	.set _ZN7rocprim17ROCPRIM_400000_NS6detail17trampoline_kernelINS0_14default_configENS1_35radix_sort_onesweep_config_selectorIiiEEZNS1_34radix_sort_onesweep_global_offsetsIS3_Lb1EN6thrust23THRUST_200600_302600_NS6detail15normal_iteratorINS8_10device_ptrIiEEEESD_jNS0_19identity_decomposerEEE10hipError_tT1_T2_PT3_SI_jT4_jjP12ihipStream_tbEUlT_E_NS1_11comp_targetILNS1_3genE5ELNS1_11target_archE942ELNS1_3gpuE9ELNS1_3repE0EEENS1_52radix_sort_onesweep_histogram_config_static_selectorELNS0_4arch9wavefront6targetE1EEEvSG_.uses_vcc, 0
	.set _ZN7rocprim17ROCPRIM_400000_NS6detail17trampoline_kernelINS0_14default_configENS1_35radix_sort_onesweep_config_selectorIiiEEZNS1_34radix_sort_onesweep_global_offsetsIS3_Lb1EN6thrust23THRUST_200600_302600_NS6detail15normal_iteratorINS8_10device_ptrIiEEEESD_jNS0_19identity_decomposerEEE10hipError_tT1_T2_PT3_SI_jT4_jjP12ihipStream_tbEUlT_E_NS1_11comp_targetILNS1_3genE5ELNS1_11target_archE942ELNS1_3gpuE9ELNS1_3repE0EEENS1_52radix_sort_onesweep_histogram_config_static_selectorELNS0_4arch9wavefront6targetE1EEEvSG_.uses_flat_scratch, 0
	.set _ZN7rocprim17ROCPRIM_400000_NS6detail17trampoline_kernelINS0_14default_configENS1_35radix_sort_onesweep_config_selectorIiiEEZNS1_34radix_sort_onesweep_global_offsetsIS3_Lb1EN6thrust23THRUST_200600_302600_NS6detail15normal_iteratorINS8_10device_ptrIiEEEESD_jNS0_19identity_decomposerEEE10hipError_tT1_T2_PT3_SI_jT4_jjP12ihipStream_tbEUlT_E_NS1_11comp_targetILNS1_3genE5ELNS1_11target_archE942ELNS1_3gpuE9ELNS1_3repE0EEENS1_52radix_sort_onesweep_histogram_config_static_selectorELNS0_4arch9wavefront6targetE1EEEvSG_.has_dyn_sized_stack, 0
	.set _ZN7rocprim17ROCPRIM_400000_NS6detail17trampoline_kernelINS0_14default_configENS1_35radix_sort_onesweep_config_selectorIiiEEZNS1_34radix_sort_onesweep_global_offsetsIS3_Lb1EN6thrust23THRUST_200600_302600_NS6detail15normal_iteratorINS8_10device_ptrIiEEEESD_jNS0_19identity_decomposerEEE10hipError_tT1_T2_PT3_SI_jT4_jjP12ihipStream_tbEUlT_E_NS1_11comp_targetILNS1_3genE5ELNS1_11target_archE942ELNS1_3gpuE9ELNS1_3repE0EEENS1_52radix_sort_onesweep_histogram_config_static_selectorELNS0_4arch9wavefront6targetE1EEEvSG_.has_recursion, 0
	.set _ZN7rocprim17ROCPRIM_400000_NS6detail17trampoline_kernelINS0_14default_configENS1_35radix_sort_onesweep_config_selectorIiiEEZNS1_34radix_sort_onesweep_global_offsetsIS3_Lb1EN6thrust23THRUST_200600_302600_NS6detail15normal_iteratorINS8_10device_ptrIiEEEESD_jNS0_19identity_decomposerEEE10hipError_tT1_T2_PT3_SI_jT4_jjP12ihipStream_tbEUlT_E_NS1_11comp_targetILNS1_3genE5ELNS1_11target_archE942ELNS1_3gpuE9ELNS1_3repE0EEENS1_52radix_sort_onesweep_histogram_config_static_selectorELNS0_4arch9wavefront6targetE1EEEvSG_.has_indirect_call, 0
	.section	.AMDGPU.csdata,"",@progbits
; Kernel info:
; codeLenInByte = 0
; TotalNumSgprs: 6
; NumVgprs: 0
; NumAgprs: 0
; TotalNumVgprs: 0
; ScratchSize: 0
; MemoryBound: 0
; FloatMode: 240
; IeeeMode: 1
; LDSByteSize: 0 bytes/workgroup (compile time only)
; SGPRBlocks: 0
; VGPRBlocks: 0
; NumSGPRsForWavesPerEU: 6
; NumVGPRsForWavesPerEU: 1
; AccumOffset: 4
; Occupancy: 8
; WaveLimiterHint : 0
; COMPUTE_PGM_RSRC2:SCRATCH_EN: 0
; COMPUTE_PGM_RSRC2:USER_SGPR: 2
; COMPUTE_PGM_RSRC2:TRAP_HANDLER: 0
; COMPUTE_PGM_RSRC2:TGID_X_EN: 1
; COMPUTE_PGM_RSRC2:TGID_Y_EN: 0
; COMPUTE_PGM_RSRC2:TGID_Z_EN: 0
; COMPUTE_PGM_RSRC2:TIDIG_COMP_CNT: 0
; COMPUTE_PGM_RSRC3_GFX90A:ACCUM_OFFSET: 0
; COMPUTE_PGM_RSRC3_GFX90A:TG_SPLIT: 0
	.section	.text._ZN7rocprim17ROCPRIM_400000_NS6detail17trampoline_kernelINS0_14default_configENS1_35radix_sort_onesweep_config_selectorIiiEEZNS1_34radix_sort_onesweep_global_offsetsIS3_Lb1EN6thrust23THRUST_200600_302600_NS6detail15normal_iteratorINS8_10device_ptrIiEEEESD_jNS0_19identity_decomposerEEE10hipError_tT1_T2_PT3_SI_jT4_jjP12ihipStream_tbEUlT_E_NS1_11comp_targetILNS1_3genE2ELNS1_11target_archE906ELNS1_3gpuE6ELNS1_3repE0EEENS1_52radix_sort_onesweep_histogram_config_static_selectorELNS0_4arch9wavefront6targetE1EEEvSG_,"axG",@progbits,_ZN7rocprim17ROCPRIM_400000_NS6detail17trampoline_kernelINS0_14default_configENS1_35radix_sort_onesweep_config_selectorIiiEEZNS1_34radix_sort_onesweep_global_offsetsIS3_Lb1EN6thrust23THRUST_200600_302600_NS6detail15normal_iteratorINS8_10device_ptrIiEEEESD_jNS0_19identity_decomposerEEE10hipError_tT1_T2_PT3_SI_jT4_jjP12ihipStream_tbEUlT_E_NS1_11comp_targetILNS1_3genE2ELNS1_11target_archE906ELNS1_3gpuE6ELNS1_3repE0EEENS1_52radix_sort_onesweep_histogram_config_static_selectorELNS0_4arch9wavefront6targetE1EEEvSG_,comdat
	.protected	_ZN7rocprim17ROCPRIM_400000_NS6detail17trampoline_kernelINS0_14default_configENS1_35radix_sort_onesweep_config_selectorIiiEEZNS1_34radix_sort_onesweep_global_offsetsIS3_Lb1EN6thrust23THRUST_200600_302600_NS6detail15normal_iteratorINS8_10device_ptrIiEEEESD_jNS0_19identity_decomposerEEE10hipError_tT1_T2_PT3_SI_jT4_jjP12ihipStream_tbEUlT_E_NS1_11comp_targetILNS1_3genE2ELNS1_11target_archE906ELNS1_3gpuE6ELNS1_3repE0EEENS1_52radix_sort_onesweep_histogram_config_static_selectorELNS0_4arch9wavefront6targetE1EEEvSG_ ; -- Begin function _ZN7rocprim17ROCPRIM_400000_NS6detail17trampoline_kernelINS0_14default_configENS1_35radix_sort_onesweep_config_selectorIiiEEZNS1_34radix_sort_onesweep_global_offsetsIS3_Lb1EN6thrust23THRUST_200600_302600_NS6detail15normal_iteratorINS8_10device_ptrIiEEEESD_jNS0_19identity_decomposerEEE10hipError_tT1_T2_PT3_SI_jT4_jjP12ihipStream_tbEUlT_E_NS1_11comp_targetILNS1_3genE2ELNS1_11target_archE906ELNS1_3gpuE6ELNS1_3repE0EEENS1_52radix_sort_onesweep_histogram_config_static_selectorELNS0_4arch9wavefront6targetE1EEEvSG_
	.globl	_ZN7rocprim17ROCPRIM_400000_NS6detail17trampoline_kernelINS0_14default_configENS1_35radix_sort_onesweep_config_selectorIiiEEZNS1_34radix_sort_onesweep_global_offsetsIS3_Lb1EN6thrust23THRUST_200600_302600_NS6detail15normal_iteratorINS8_10device_ptrIiEEEESD_jNS0_19identity_decomposerEEE10hipError_tT1_T2_PT3_SI_jT4_jjP12ihipStream_tbEUlT_E_NS1_11comp_targetILNS1_3genE2ELNS1_11target_archE906ELNS1_3gpuE6ELNS1_3repE0EEENS1_52radix_sort_onesweep_histogram_config_static_selectorELNS0_4arch9wavefront6targetE1EEEvSG_
	.p2align	8
	.type	_ZN7rocprim17ROCPRIM_400000_NS6detail17trampoline_kernelINS0_14default_configENS1_35radix_sort_onesweep_config_selectorIiiEEZNS1_34radix_sort_onesweep_global_offsetsIS3_Lb1EN6thrust23THRUST_200600_302600_NS6detail15normal_iteratorINS8_10device_ptrIiEEEESD_jNS0_19identity_decomposerEEE10hipError_tT1_T2_PT3_SI_jT4_jjP12ihipStream_tbEUlT_E_NS1_11comp_targetILNS1_3genE2ELNS1_11target_archE906ELNS1_3gpuE6ELNS1_3repE0EEENS1_52radix_sort_onesweep_histogram_config_static_selectorELNS0_4arch9wavefront6targetE1EEEvSG_,@function
_ZN7rocprim17ROCPRIM_400000_NS6detail17trampoline_kernelINS0_14default_configENS1_35radix_sort_onesweep_config_selectorIiiEEZNS1_34radix_sort_onesweep_global_offsetsIS3_Lb1EN6thrust23THRUST_200600_302600_NS6detail15normal_iteratorINS8_10device_ptrIiEEEESD_jNS0_19identity_decomposerEEE10hipError_tT1_T2_PT3_SI_jT4_jjP12ihipStream_tbEUlT_E_NS1_11comp_targetILNS1_3genE2ELNS1_11target_archE906ELNS1_3gpuE6ELNS1_3repE0EEENS1_52radix_sort_onesweep_histogram_config_static_selectorELNS0_4arch9wavefront6targetE1EEEvSG_: ; @_ZN7rocprim17ROCPRIM_400000_NS6detail17trampoline_kernelINS0_14default_configENS1_35radix_sort_onesweep_config_selectorIiiEEZNS1_34radix_sort_onesweep_global_offsetsIS3_Lb1EN6thrust23THRUST_200600_302600_NS6detail15normal_iteratorINS8_10device_ptrIiEEEESD_jNS0_19identity_decomposerEEE10hipError_tT1_T2_PT3_SI_jT4_jjP12ihipStream_tbEUlT_E_NS1_11comp_targetILNS1_3genE2ELNS1_11target_archE906ELNS1_3gpuE6ELNS1_3repE0EEENS1_52radix_sort_onesweep_histogram_config_static_selectorELNS0_4arch9wavefront6targetE1EEEvSG_
; %bb.0:
	.section	.rodata,"a",@progbits
	.p2align	6, 0x0
	.amdhsa_kernel _ZN7rocprim17ROCPRIM_400000_NS6detail17trampoline_kernelINS0_14default_configENS1_35radix_sort_onesweep_config_selectorIiiEEZNS1_34radix_sort_onesweep_global_offsetsIS3_Lb1EN6thrust23THRUST_200600_302600_NS6detail15normal_iteratorINS8_10device_ptrIiEEEESD_jNS0_19identity_decomposerEEE10hipError_tT1_T2_PT3_SI_jT4_jjP12ihipStream_tbEUlT_E_NS1_11comp_targetILNS1_3genE2ELNS1_11target_archE906ELNS1_3gpuE6ELNS1_3repE0EEENS1_52radix_sort_onesweep_histogram_config_static_selectorELNS0_4arch9wavefront6targetE1EEEvSG_
		.amdhsa_group_segment_fixed_size 0
		.amdhsa_private_segment_fixed_size 0
		.amdhsa_kernarg_size 40
		.amdhsa_user_sgpr_count 2
		.amdhsa_user_sgpr_dispatch_ptr 0
		.amdhsa_user_sgpr_queue_ptr 0
		.amdhsa_user_sgpr_kernarg_segment_ptr 1
		.amdhsa_user_sgpr_dispatch_id 0
		.amdhsa_user_sgpr_kernarg_preload_length 0
		.amdhsa_user_sgpr_kernarg_preload_offset 0
		.amdhsa_user_sgpr_private_segment_size 0
		.amdhsa_uses_dynamic_stack 0
		.amdhsa_enable_private_segment 0
		.amdhsa_system_sgpr_workgroup_id_x 1
		.amdhsa_system_sgpr_workgroup_id_y 0
		.amdhsa_system_sgpr_workgroup_id_z 0
		.amdhsa_system_sgpr_workgroup_info 0
		.amdhsa_system_vgpr_workitem_id 0
		.amdhsa_next_free_vgpr 1
		.amdhsa_next_free_sgpr 0
		.amdhsa_accum_offset 4
		.amdhsa_reserve_vcc 0
		.amdhsa_float_round_mode_32 0
		.amdhsa_float_round_mode_16_64 0
		.amdhsa_float_denorm_mode_32 3
		.amdhsa_float_denorm_mode_16_64 3
		.amdhsa_dx10_clamp 1
		.amdhsa_ieee_mode 1
		.amdhsa_fp16_overflow 0
		.amdhsa_tg_split 0
		.amdhsa_exception_fp_ieee_invalid_op 0
		.amdhsa_exception_fp_denorm_src 0
		.amdhsa_exception_fp_ieee_div_zero 0
		.amdhsa_exception_fp_ieee_overflow 0
		.amdhsa_exception_fp_ieee_underflow 0
		.amdhsa_exception_fp_ieee_inexact 0
		.amdhsa_exception_int_div_zero 0
	.end_amdhsa_kernel
	.section	.text._ZN7rocprim17ROCPRIM_400000_NS6detail17trampoline_kernelINS0_14default_configENS1_35radix_sort_onesweep_config_selectorIiiEEZNS1_34radix_sort_onesweep_global_offsetsIS3_Lb1EN6thrust23THRUST_200600_302600_NS6detail15normal_iteratorINS8_10device_ptrIiEEEESD_jNS0_19identity_decomposerEEE10hipError_tT1_T2_PT3_SI_jT4_jjP12ihipStream_tbEUlT_E_NS1_11comp_targetILNS1_3genE2ELNS1_11target_archE906ELNS1_3gpuE6ELNS1_3repE0EEENS1_52radix_sort_onesweep_histogram_config_static_selectorELNS0_4arch9wavefront6targetE1EEEvSG_,"axG",@progbits,_ZN7rocprim17ROCPRIM_400000_NS6detail17trampoline_kernelINS0_14default_configENS1_35radix_sort_onesweep_config_selectorIiiEEZNS1_34radix_sort_onesweep_global_offsetsIS3_Lb1EN6thrust23THRUST_200600_302600_NS6detail15normal_iteratorINS8_10device_ptrIiEEEESD_jNS0_19identity_decomposerEEE10hipError_tT1_T2_PT3_SI_jT4_jjP12ihipStream_tbEUlT_E_NS1_11comp_targetILNS1_3genE2ELNS1_11target_archE906ELNS1_3gpuE6ELNS1_3repE0EEENS1_52radix_sort_onesweep_histogram_config_static_selectorELNS0_4arch9wavefront6targetE1EEEvSG_,comdat
.Lfunc_end984:
	.size	_ZN7rocprim17ROCPRIM_400000_NS6detail17trampoline_kernelINS0_14default_configENS1_35radix_sort_onesweep_config_selectorIiiEEZNS1_34radix_sort_onesweep_global_offsetsIS3_Lb1EN6thrust23THRUST_200600_302600_NS6detail15normal_iteratorINS8_10device_ptrIiEEEESD_jNS0_19identity_decomposerEEE10hipError_tT1_T2_PT3_SI_jT4_jjP12ihipStream_tbEUlT_E_NS1_11comp_targetILNS1_3genE2ELNS1_11target_archE906ELNS1_3gpuE6ELNS1_3repE0EEENS1_52radix_sort_onesweep_histogram_config_static_selectorELNS0_4arch9wavefront6targetE1EEEvSG_, .Lfunc_end984-_ZN7rocprim17ROCPRIM_400000_NS6detail17trampoline_kernelINS0_14default_configENS1_35radix_sort_onesweep_config_selectorIiiEEZNS1_34radix_sort_onesweep_global_offsetsIS3_Lb1EN6thrust23THRUST_200600_302600_NS6detail15normal_iteratorINS8_10device_ptrIiEEEESD_jNS0_19identity_decomposerEEE10hipError_tT1_T2_PT3_SI_jT4_jjP12ihipStream_tbEUlT_E_NS1_11comp_targetILNS1_3genE2ELNS1_11target_archE906ELNS1_3gpuE6ELNS1_3repE0EEENS1_52radix_sort_onesweep_histogram_config_static_selectorELNS0_4arch9wavefront6targetE1EEEvSG_
                                        ; -- End function
	.set _ZN7rocprim17ROCPRIM_400000_NS6detail17trampoline_kernelINS0_14default_configENS1_35radix_sort_onesweep_config_selectorIiiEEZNS1_34radix_sort_onesweep_global_offsetsIS3_Lb1EN6thrust23THRUST_200600_302600_NS6detail15normal_iteratorINS8_10device_ptrIiEEEESD_jNS0_19identity_decomposerEEE10hipError_tT1_T2_PT3_SI_jT4_jjP12ihipStream_tbEUlT_E_NS1_11comp_targetILNS1_3genE2ELNS1_11target_archE906ELNS1_3gpuE6ELNS1_3repE0EEENS1_52radix_sort_onesweep_histogram_config_static_selectorELNS0_4arch9wavefront6targetE1EEEvSG_.num_vgpr, 0
	.set _ZN7rocprim17ROCPRIM_400000_NS6detail17trampoline_kernelINS0_14default_configENS1_35radix_sort_onesweep_config_selectorIiiEEZNS1_34radix_sort_onesweep_global_offsetsIS3_Lb1EN6thrust23THRUST_200600_302600_NS6detail15normal_iteratorINS8_10device_ptrIiEEEESD_jNS0_19identity_decomposerEEE10hipError_tT1_T2_PT3_SI_jT4_jjP12ihipStream_tbEUlT_E_NS1_11comp_targetILNS1_3genE2ELNS1_11target_archE906ELNS1_3gpuE6ELNS1_3repE0EEENS1_52radix_sort_onesweep_histogram_config_static_selectorELNS0_4arch9wavefront6targetE1EEEvSG_.num_agpr, 0
	.set _ZN7rocprim17ROCPRIM_400000_NS6detail17trampoline_kernelINS0_14default_configENS1_35radix_sort_onesweep_config_selectorIiiEEZNS1_34radix_sort_onesweep_global_offsetsIS3_Lb1EN6thrust23THRUST_200600_302600_NS6detail15normal_iteratorINS8_10device_ptrIiEEEESD_jNS0_19identity_decomposerEEE10hipError_tT1_T2_PT3_SI_jT4_jjP12ihipStream_tbEUlT_E_NS1_11comp_targetILNS1_3genE2ELNS1_11target_archE906ELNS1_3gpuE6ELNS1_3repE0EEENS1_52radix_sort_onesweep_histogram_config_static_selectorELNS0_4arch9wavefront6targetE1EEEvSG_.numbered_sgpr, 0
	.set _ZN7rocprim17ROCPRIM_400000_NS6detail17trampoline_kernelINS0_14default_configENS1_35radix_sort_onesweep_config_selectorIiiEEZNS1_34radix_sort_onesweep_global_offsetsIS3_Lb1EN6thrust23THRUST_200600_302600_NS6detail15normal_iteratorINS8_10device_ptrIiEEEESD_jNS0_19identity_decomposerEEE10hipError_tT1_T2_PT3_SI_jT4_jjP12ihipStream_tbEUlT_E_NS1_11comp_targetILNS1_3genE2ELNS1_11target_archE906ELNS1_3gpuE6ELNS1_3repE0EEENS1_52radix_sort_onesweep_histogram_config_static_selectorELNS0_4arch9wavefront6targetE1EEEvSG_.num_named_barrier, 0
	.set _ZN7rocprim17ROCPRIM_400000_NS6detail17trampoline_kernelINS0_14default_configENS1_35radix_sort_onesweep_config_selectorIiiEEZNS1_34radix_sort_onesweep_global_offsetsIS3_Lb1EN6thrust23THRUST_200600_302600_NS6detail15normal_iteratorINS8_10device_ptrIiEEEESD_jNS0_19identity_decomposerEEE10hipError_tT1_T2_PT3_SI_jT4_jjP12ihipStream_tbEUlT_E_NS1_11comp_targetILNS1_3genE2ELNS1_11target_archE906ELNS1_3gpuE6ELNS1_3repE0EEENS1_52radix_sort_onesweep_histogram_config_static_selectorELNS0_4arch9wavefront6targetE1EEEvSG_.private_seg_size, 0
	.set _ZN7rocprim17ROCPRIM_400000_NS6detail17trampoline_kernelINS0_14default_configENS1_35radix_sort_onesweep_config_selectorIiiEEZNS1_34radix_sort_onesweep_global_offsetsIS3_Lb1EN6thrust23THRUST_200600_302600_NS6detail15normal_iteratorINS8_10device_ptrIiEEEESD_jNS0_19identity_decomposerEEE10hipError_tT1_T2_PT3_SI_jT4_jjP12ihipStream_tbEUlT_E_NS1_11comp_targetILNS1_3genE2ELNS1_11target_archE906ELNS1_3gpuE6ELNS1_3repE0EEENS1_52radix_sort_onesweep_histogram_config_static_selectorELNS0_4arch9wavefront6targetE1EEEvSG_.uses_vcc, 0
	.set _ZN7rocprim17ROCPRIM_400000_NS6detail17trampoline_kernelINS0_14default_configENS1_35radix_sort_onesweep_config_selectorIiiEEZNS1_34radix_sort_onesweep_global_offsetsIS3_Lb1EN6thrust23THRUST_200600_302600_NS6detail15normal_iteratorINS8_10device_ptrIiEEEESD_jNS0_19identity_decomposerEEE10hipError_tT1_T2_PT3_SI_jT4_jjP12ihipStream_tbEUlT_E_NS1_11comp_targetILNS1_3genE2ELNS1_11target_archE906ELNS1_3gpuE6ELNS1_3repE0EEENS1_52radix_sort_onesweep_histogram_config_static_selectorELNS0_4arch9wavefront6targetE1EEEvSG_.uses_flat_scratch, 0
	.set _ZN7rocprim17ROCPRIM_400000_NS6detail17trampoline_kernelINS0_14default_configENS1_35radix_sort_onesweep_config_selectorIiiEEZNS1_34radix_sort_onesweep_global_offsetsIS3_Lb1EN6thrust23THRUST_200600_302600_NS6detail15normal_iteratorINS8_10device_ptrIiEEEESD_jNS0_19identity_decomposerEEE10hipError_tT1_T2_PT3_SI_jT4_jjP12ihipStream_tbEUlT_E_NS1_11comp_targetILNS1_3genE2ELNS1_11target_archE906ELNS1_3gpuE6ELNS1_3repE0EEENS1_52radix_sort_onesweep_histogram_config_static_selectorELNS0_4arch9wavefront6targetE1EEEvSG_.has_dyn_sized_stack, 0
	.set _ZN7rocprim17ROCPRIM_400000_NS6detail17trampoline_kernelINS0_14default_configENS1_35radix_sort_onesweep_config_selectorIiiEEZNS1_34radix_sort_onesweep_global_offsetsIS3_Lb1EN6thrust23THRUST_200600_302600_NS6detail15normal_iteratorINS8_10device_ptrIiEEEESD_jNS0_19identity_decomposerEEE10hipError_tT1_T2_PT3_SI_jT4_jjP12ihipStream_tbEUlT_E_NS1_11comp_targetILNS1_3genE2ELNS1_11target_archE906ELNS1_3gpuE6ELNS1_3repE0EEENS1_52radix_sort_onesweep_histogram_config_static_selectorELNS0_4arch9wavefront6targetE1EEEvSG_.has_recursion, 0
	.set _ZN7rocprim17ROCPRIM_400000_NS6detail17trampoline_kernelINS0_14default_configENS1_35radix_sort_onesweep_config_selectorIiiEEZNS1_34radix_sort_onesweep_global_offsetsIS3_Lb1EN6thrust23THRUST_200600_302600_NS6detail15normal_iteratorINS8_10device_ptrIiEEEESD_jNS0_19identity_decomposerEEE10hipError_tT1_T2_PT3_SI_jT4_jjP12ihipStream_tbEUlT_E_NS1_11comp_targetILNS1_3genE2ELNS1_11target_archE906ELNS1_3gpuE6ELNS1_3repE0EEENS1_52radix_sort_onesweep_histogram_config_static_selectorELNS0_4arch9wavefront6targetE1EEEvSG_.has_indirect_call, 0
	.section	.AMDGPU.csdata,"",@progbits
; Kernel info:
; codeLenInByte = 0
; TotalNumSgprs: 6
; NumVgprs: 0
; NumAgprs: 0
; TotalNumVgprs: 0
; ScratchSize: 0
; MemoryBound: 0
; FloatMode: 240
; IeeeMode: 1
; LDSByteSize: 0 bytes/workgroup (compile time only)
; SGPRBlocks: 0
; VGPRBlocks: 0
; NumSGPRsForWavesPerEU: 6
; NumVGPRsForWavesPerEU: 1
; AccumOffset: 4
; Occupancy: 8
; WaveLimiterHint : 0
; COMPUTE_PGM_RSRC2:SCRATCH_EN: 0
; COMPUTE_PGM_RSRC2:USER_SGPR: 2
; COMPUTE_PGM_RSRC2:TRAP_HANDLER: 0
; COMPUTE_PGM_RSRC2:TGID_X_EN: 1
; COMPUTE_PGM_RSRC2:TGID_Y_EN: 0
; COMPUTE_PGM_RSRC2:TGID_Z_EN: 0
; COMPUTE_PGM_RSRC2:TIDIG_COMP_CNT: 0
; COMPUTE_PGM_RSRC3_GFX90A:ACCUM_OFFSET: 0
; COMPUTE_PGM_RSRC3_GFX90A:TG_SPLIT: 0
	.section	.text._ZN7rocprim17ROCPRIM_400000_NS6detail17trampoline_kernelINS0_14default_configENS1_35radix_sort_onesweep_config_selectorIiiEEZNS1_34radix_sort_onesweep_global_offsetsIS3_Lb1EN6thrust23THRUST_200600_302600_NS6detail15normal_iteratorINS8_10device_ptrIiEEEESD_jNS0_19identity_decomposerEEE10hipError_tT1_T2_PT3_SI_jT4_jjP12ihipStream_tbEUlT_E_NS1_11comp_targetILNS1_3genE4ELNS1_11target_archE910ELNS1_3gpuE8ELNS1_3repE0EEENS1_52radix_sort_onesweep_histogram_config_static_selectorELNS0_4arch9wavefront6targetE1EEEvSG_,"axG",@progbits,_ZN7rocprim17ROCPRIM_400000_NS6detail17trampoline_kernelINS0_14default_configENS1_35radix_sort_onesweep_config_selectorIiiEEZNS1_34radix_sort_onesweep_global_offsetsIS3_Lb1EN6thrust23THRUST_200600_302600_NS6detail15normal_iteratorINS8_10device_ptrIiEEEESD_jNS0_19identity_decomposerEEE10hipError_tT1_T2_PT3_SI_jT4_jjP12ihipStream_tbEUlT_E_NS1_11comp_targetILNS1_3genE4ELNS1_11target_archE910ELNS1_3gpuE8ELNS1_3repE0EEENS1_52radix_sort_onesweep_histogram_config_static_selectorELNS0_4arch9wavefront6targetE1EEEvSG_,comdat
	.protected	_ZN7rocprim17ROCPRIM_400000_NS6detail17trampoline_kernelINS0_14default_configENS1_35radix_sort_onesweep_config_selectorIiiEEZNS1_34radix_sort_onesweep_global_offsetsIS3_Lb1EN6thrust23THRUST_200600_302600_NS6detail15normal_iteratorINS8_10device_ptrIiEEEESD_jNS0_19identity_decomposerEEE10hipError_tT1_T2_PT3_SI_jT4_jjP12ihipStream_tbEUlT_E_NS1_11comp_targetILNS1_3genE4ELNS1_11target_archE910ELNS1_3gpuE8ELNS1_3repE0EEENS1_52radix_sort_onesweep_histogram_config_static_selectorELNS0_4arch9wavefront6targetE1EEEvSG_ ; -- Begin function _ZN7rocprim17ROCPRIM_400000_NS6detail17trampoline_kernelINS0_14default_configENS1_35radix_sort_onesweep_config_selectorIiiEEZNS1_34radix_sort_onesweep_global_offsetsIS3_Lb1EN6thrust23THRUST_200600_302600_NS6detail15normal_iteratorINS8_10device_ptrIiEEEESD_jNS0_19identity_decomposerEEE10hipError_tT1_T2_PT3_SI_jT4_jjP12ihipStream_tbEUlT_E_NS1_11comp_targetILNS1_3genE4ELNS1_11target_archE910ELNS1_3gpuE8ELNS1_3repE0EEENS1_52radix_sort_onesweep_histogram_config_static_selectorELNS0_4arch9wavefront6targetE1EEEvSG_
	.globl	_ZN7rocprim17ROCPRIM_400000_NS6detail17trampoline_kernelINS0_14default_configENS1_35radix_sort_onesweep_config_selectorIiiEEZNS1_34radix_sort_onesweep_global_offsetsIS3_Lb1EN6thrust23THRUST_200600_302600_NS6detail15normal_iteratorINS8_10device_ptrIiEEEESD_jNS0_19identity_decomposerEEE10hipError_tT1_T2_PT3_SI_jT4_jjP12ihipStream_tbEUlT_E_NS1_11comp_targetILNS1_3genE4ELNS1_11target_archE910ELNS1_3gpuE8ELNS1_3repE0EEENS1_52radix_sort_onesweep_histogram_config_static_selectorELNS0_4arch9wavefront6targetE1EEEvSG_
	.p2align	8
	.type	_ZN7rocprim17ROCPRIM_400000_NS6detail17trampoline_kernelINS0_14default_configENS1_35radix_sort_onesweep_config_selectorIiiEEZNS1_34radix_sort_onesweep_global_offsetsIS3_Lb1EN6thrust23THRUST_200600_302600_NS6detail15normal_iteratorINS8_10device_ptrIiEEEESD_jNS0_19identity_decomposerEEE10hipError_tT1_T2_PT3_SI_jT4_jjP12ihipStream_tbEUlT_E_NS1_11comp_targetILNS1_3genE4ELNS1_11target_archE910ELNS1_3gpuE8ELNS1_3repE0EEENS1_52radix_sort_onesweep_histogram_config_static_selectorELNS0_4arch9wavefront6targetE1EEEvSG_,@function
_ZN7rocprim17ROCPRIM_400000_NS6detail17trampoline_kernelINS0_14default_configENS1_35radix_sort_onesweep_config_selectorIiiEEZNS1_34radix_sort_onesweep_global_offsetsIS3_Lb1EN6thrust23THRUST_200600_302600_NS6detail15normal_iteratorINS8_10device_ptrIiEEEESD_jNS0_19identity_decomposerEEE10hipError_tT1_T2_PT3_SI_jT4_jjP12ihipStream_tbEUlT_E_NS1_11comp_targetILNS1_3genE4ELNS1_11target_archE910ELNS1_3gpuE8ELNS1_3repE0EEENS1_52radix_sort_onesweep_histogram_config_static_selectorELNS0_4arch9wavefront6targetE1EEEvSG_: ; @_ZN7rocprim17ROCPRIM_400000_NS6detail17trampoline_kernelINS0_14default_configENS1_35radix_sort_onesweep_config_selectorIiiEEZNS1_34radix_sort_onesweep_global_offsetsIS3_Lb1EN6thrust23THRUST_200600_302600_NS6detail15normal_iteratorINS8_10device_ptrIiEEEESD_jNS0_19identity_decomposerEEE10hipError_tT1_T2_PT3_SI_jT4_jjP12ihipStream_tbEUlT_E_NS1_11comp_targetILNS1_3genE4ELNS1_11target_archE910ELNS1_3gpuE8ELNS1_3repE0EEENS1_52radix_sort_onesweep_histogram_config_static_selectorELNS0_4arch9wavefront6targetE1EEEvSG_
; %bb.0:
	.section	.rodata,"a",@progbits
	.p2align	6, 0x0
	.amdhsa_kernel _ZN7rocprim17ROCPRIM_400000_NS6detail17trampoline_kernelINS0_14default_configENS1_35radix_sort_onesweep_config_selectorIiiEEZNS1_34radix_sort_onesweep_global_offsetsIS3_Lb1EN6thrust23THRUST_200600_302600_NS6detail15normal_iteratorINS8_10device_ptrIiEEEESD_jNS0_19identity_decomposerEEE10hipError_tT1_T2_PT3_SI_jT4_jjP12ihipStream_tbEUlT_E_NS1_11comp_targetILNS1_3genE4ELNS1_11target_archE910ELNS1_3gpuE8ELNS1_3repE0EEENS1_52radix_sort_onesweep_histogram_config_static_selectorELNS0_4arch9wavefront6targetE1EEEvSG_
		.amdhsa_group_segment_fixed_size 0
		.amdhsa_private_segment_fixed_size 0
		.amdhsa_kernarg_size 40
		.amdhsa_user_sgpr_count 2
		.amdhsa_user_sgpr_dispatch_ptr 0
		.amdhsa_user_sgpr_queue_ptr 0
		.amdhsa_user_sgpr_kernarg_segment_ptr 1
		.amdhsa_user_sgpr_dispatch_id 0
		.amdhsa_user_sgpr_kernarg_preload_length 0
		.amdhsa_user_sgpr_kernarg_preload_offset 0
		.amdhsa_user_sgpr_private_segment_size 0
		.amdhsa_uses_dynamic_stack 0
		.amdhsa_enable_private_segment 0
		.amdhsa_system_sgpr_workgroup_id_x 1
		.amdhsa_system_sgpr_workgroup_id_y 0
		.amdhsa_system_sgpr_workgroup_id_z 0
		.amdhsa_system_sgpr_workgroup_info 0
		.amdhsa_system_vgpr_workitem_id 0
		.amdhsa_next_free_vgpr 1
		.amdhsa_next_free_sgpr 0
		.amdhsa_accum_offset 4
		.amdhsa_reserve_vcc 0
		.amdhsa_float_round_mode_32 0
		.amdhsa_float_round_mode_16_64 0
		.amdhsa_float_denorm_mode_32 3
		.amdhsa_float_denorm_mode_16_64 3
		.amdhsa_dx10_clamp 1
		.amdhsa_ieee_mode 1
		.amdhsa_fp16_overflow 0
		.amdhsa_tg_split 0
		.amdhsa_exception_fp_ieee_invalid_op 0
		.amdhsa_exception_fp_denorm_src 0
		.amdhsa_exception_fp_ieee_div_zero 0
		.amdhsa_exception_fp_ieee_overflow 0
		.amdhsa_exception_fp_ieee_underflow 0
		.amdhsa_exception_fp_ieee_inexact 0
		.amdhsa_exception_int_div_zero 0
	.end_amdhsa_kernel
	.section	.text._ZN7rocprim17ROCPRIM_400000_NS6detail17trampoline_kernelINS0_14default_configENS1_35radix_sort_onesweep_config_selectorIiiEEZNS1_34radix_sort_onesweep_global_offsetsIS3_Lb1EN6thrust23THRUST_200600_302600_NS6detail15normal_iteratorINS8_10device_ptrIiEEEESD_jNS0_19identity_decomposerEEE10hipError_tT1_T2_PT3_SI_jT4_jjP12ihipStream_tbEUlT_E_NS1_11comp_targetILNS1_3genE4ELNS1_11target_archE910ELNS1_3gpuE8ELNS1_3repE0EEENS1_52radix_sort_onesweep_histogram_config_static_selectorELNS0_4arch9wavefront6targetE1EEEvSG_,"axG",@progbits,_ZN7rocprim17ROCPRIM_400000_NS6detail17trampoline_kernelINS0_14default_configENS1_35radix_sort_onesweep_config_selectorIiiEEZNS1_34radix_sort_onesweep_global_offsetsIS3_Lb1EN6thrust23THRUST_200600_302600_NS6detail15normal_iteratorINS8_10device_ptrIiEEEESD_jNS0_19identity_decomposerEEE10hipError_tT1_T2_PT3_SI_jT4_jjP12ihipStream_tbEUlT_E_NS1_11comp_targetILNS1_3genE4ELNS1_11target_archE910ELNS1_3gpuE8ELNS1_3repE0EEENS1_52radix_sort_onesweep_histogram_config_static_selectorELNS0_4arch9wavefront6targetE1EEEvSG_,comdat
.Lfunc_end985:
	.size	_ZN7rocprim17ROCPRIM_400000_NS6detail17trampoline_kernelINS0_14default_configENS1_35radix_sort_onesweep_config_selectorIiiEEZNS1_34radix_sort_onesweep_global_offsetsIS3_Lb1EN6thrust23THRUST_200600_302600_NS6detail15normal_iteratorINS8_10device_ptrIiEEEESD_jNS0_19identity_decomposerEEE10hipError_tT1_T2_PT3_SI_jT4_jjP12ihipStream_tbEUlT_E_NS1_11comp_targetILNS1_3genE4ELNS1_11target_archE910ELNS1_3gpuE8ELNS1_3repE0EEENS1_52radix_sort_onesweep_histogram_config_static_selectorELNS0_4arch9wavefront6targetE1EEEvSG_, .Lfunc_end985-_ZN7rocprim17ROCPRIM_400000_NS6detail17trampoline_kernelINS0_14default_configENS1_35radix_sort_onesweep_config_selectorIiiEEZNS1_34radix_sort_onesweep_global_offsetsIS3_Lb1EN6thrust23THRUST_200600_302600_NS6detail15normal_iteratorINS8_10device_ptrIiEEEESD_jNS0_19identity_decomposerEEE10hipError_tT1_T2_PT3_SI_jT4_jjP12ihipStream_tbEUlT_E_NS1_11comp_targetILNS1_3genE4ELNS1_11target_archE910ELNS1_3gpuE8ELNS1_3repE0EEENS1_52radix_sort_onesweep_histogram_config_static_selectorELNS0_4arch9wavefront6targetE1EEEvSG_
                                        ; -- End function
	.set _ZN7rocprim17ROCPRIM_400000_NS6detail17trampoline_kernelINS0_14default_configENS1_35radix_sort_onesweep_config_selectorIiiEEZNS1_34radix_sort_onesweep_global_offsetsIS3_Lb1EN6thrust23THRUST_200600_302600_NS6detail15normal_iteratorINS8_10device_ptrIiEEEESD_jNS0_19identity_decomposerEEE10hipError_tT1_T2_PT3_SI_jT4_jjP12ihipStream_tbEUlT_E_NS1_11comp_targetILNS1_3genE4ELNS1_11target_archE910ELNS1_3gpuE8ELNS1_3repE0EEENS1_52radix_sort_onesweep_histogram_config_static_selectorELNS0_4arch9wavefront6targetE1EEEvSG_.num_vgpr, 0
	.set _ZN7rocprim17ROCPRIM_400000_NS6detail17trampoline_kernelINS0_14default_configENS1_35radix_sort_onesweep_config_selectorIiiEEZNS1_34radix_sort_onesweep_global_offsetsIS3_Lb1EN6thrust23THRUST_200600_302600_NS6detail15normal_iteratorINS8_10device_ptrIiEEEESD_jNS0_19identity_decomposerEEE10hipError_tT1_T2_PT3_SI_jT4_jjP12ihipStream_tbEUlT_E_NS1_11comp_targetILNS1_3genE4ELNS1_11target_archE910ELNS1_3gpuE8ELNS1_3repE0EEENS1_52radix_sort_onesweep_histogram_config_static_selectorELNS0_4arch9wavefront6targetE1EEEvSG_.num_agpr, 0
	.set _ZN7rocprim17ROCPRIM_400000_NS6detail17trampoline_kernelINS0_14default_configENS1_35radix_sort_onesweep_config_selectorIiiEEZNS1_34radix_sort_onesweep_global_offsetsIS3_Lb1EN6thrust23THRUST_200600_302600_NS6detail15normal_iteratorINS8_10device_ptrIiEEEESD_jNS0_19identity_decomposerEEE10hipError_tT1_T2_PT3_SI_jT4_jjP12ihipStream_tbEUlT_E_NS1_11comp_targetILNS1_3genE4ELNS1_11target_archE910ELNS1_3gpuE8ELNS1_3repE0EEENS1_52radix_sort_onesweep_histogram_config_static_selectorELNS0_4arch9wavefront6targetE1EEEvSG_.numbered_sgpr, 0
	.set _ZN7rocprim17ROCPRIM_400000_NS6detail17trampoline_kernelINS0_14default_configENS1_35radix_sort_onesweep_config_selectorIiiEEZNS1_34radix_sort_onesweep_global_offsetsIS3_Lb1EN6thrust23THRUST_200600_302600_NS6detail15normal_iteratorINS8_10device_ptrIiEEEESD_jNS0_19identity_decomposerEEE10hipError_tT1_T2_PT3_SI_jT4_jjP12ihipStream_tbEUlT_E_NS1_11comp_targetILNS1_3genE4ELNS1_11target_archE910ELNS1_3gpuE8ELNS1_3repE0EEENS1_52radix_sort_onesweep_histogram_config_static_selectorELNS0_4arch9wavefront6targetE1EEEvSG_.num_named_barrier, 0
	.set _ZN7rocprim17ROCPRIM_400000_NS6detail17trampoline_kernelINS0_14default_configENS1_35radix_sort_onesweep_config_selectorIiiEEZNS1_34radix_sort_onesweep_global_offsetsIS3_Lb1EN6thrust23THRUST_200600_302600_NS6detail15normal_iteratorINS8_10device_ptrIiEEEESD_jNS0_19identity_decomposerEEE10hipError_tT1_T2_PT3_SI_jT4_jjP12ihipStream_tbEUlT_E_NS1_11comp_targetILNS1_3genE4ELNS1_11target_archE910ELNS1_3gpuE8ELNS1_3repE0EEENS1_52radix_sort_onesweep_histogram_config_static_selectorELNS0_4arch9wavefront6targetE1EEEvSG_.private_seg_size, 0
	.set _ZN7rocprim17ROCPRIM_400000_NS6detail17trampoline_kernelINS0_14default_configENS1_35radix_sort_onesweep_config_selectorIiiEEZNS1_34radix_sort_onesweep_global_offsetsIS3_Lb1EN6thrust23THRUST_200600_302600_NS6detail15normal_iteratorINS8_10device_ptrIiEEEESD_jNS0_19identity_decomposerEEE10hipError_tT1_T2_PT3_SI_jT4_jjP12ihipStream_tbEUlT_E_NS1_11comp_targetILNS1_3genE4ELNS1_11target_archE910ELNS1_3gpuE8ELNS1_3repE0EEENS1_52radix_sort_onesweep_histogram_config_static_selectorELNS0_4arch9wavefront6targetE1EEEvSG_.uses_vcc, 0
	.set _ZN7rocprim17ROCPRIM_400000_NS6detail17trampoline_kernelINS0_14default_configENS1_35radix_sort_onesweep_config_selectorIiiEEZNS1_34radix_sort_onesweep_global_offsetsIS3_Lb1EN6thrust23THRUST_200600_302600_NS6detail15normal_iteratorINS8_10device_ptrIiEEEESD_jNS0_19identity_decomposerEEE10hipError_tT1_T2_PT3_SI_jT4_jjP12ihipStream_tbEUlT_E_NS1_11comp_targetILNS1_3genE4ELNS1_11target_archE910ELNS1_3gpuE8ELNS1_3repE0EEENS1_52radix_sort_onesweep_histogram_config_static_selectorELNS0_4arch9wavefront6targetE1EEEvSG_.uses_flat_scratch, 0
	.set _ZN7rocprim17ROCPRIM_400000_NS6detail17trampoline_kernelINS0_14default_configENS1_35radix_sort_onesweep_config_selectorIiiEEZNS1_34radix_sort_onesweep_global_offsetsIS3_Lb1EN6thrust23THRUST_200600_302600_NS6detail15normal_iteratorINS8_10device_ptrIiEEEESD_jNS0_19identity_decomposerEEE10hipError_tT1_T2_PT3_SI_jT4_jjP12ihipStream_tbEUlT_E_NS1_11comp_targetILNS1_3genE4ELNS1_11target_archE910ELNS1_3gpuE8ELNS1_3repE0EEENS1_52radix_sort_onesweep_histogram_config_static_selectorELNS0_4arch9wavefront6targetE1EEEvSG_.has_dyn_sized_stack, 0
	.set _ZN7rocprim17ROCPRIM_400000_NS6detail17trampoline_kernelINS0_14default_configENS1_35radix_sort_onesweep_config_selectorIiiEEZNS1_34radix_sort_onesweep_global_offsetsIS3_Lb1EN6thrust23THRUST_200600_302600_NS6detail15normal_iteratorINS8_10device_ptrIiEEEESD_jNS0_19identity_decomposerEEE10hipError_tT1_T2_PT3_SI_jT4_jjP12ihipStream_tbEUlT_E_NS1_11comp_targetILNS1_3genE4ELNS1_11target_archE910ELNS1_3gpuE8ELNS1_3repE0EEENS1_52radix_sort_onesweep_histogram_config_static_selectorELNS0_4arch9wavefront6targetE1EEEvSG_.has_recursion, 0
	.set _ZN7rocprim17ROCPRIM_400000_NS6detail17trampoline_kernelINS0_14default_configENS1_35radix_sort_onesweep_config_selectorIiiEEZNS1_34radix_sort_onesweep_global_offsetsIS3_Lb1EN6thrust23THRUST_200600_302600_NS6detail15normal_iteratorINS8_10device_ptrIiEEEESD_jNS0_19identity_decomposerEEE10hipError_tT1_T2_PT3_SI_jT4_jjP12ihipStream_tbEUlT_E_NS1_11comp_targetILNS1_3genE4ELNS1_11target_archE910ELNS1_3gpuE8ELNS1_3repE0EEENS1_52radix_sort_onesweep_histogram_config_static_selectorELNS0_4arch9wavefront6targetE1EEEvSG_.has_indirect_call, 0
	.section	.AMDGPU.csdata,"",@progbits
; Kernel info:
; codeLenInByte = 0
; TotalNumSgprs: 6
; NumVgprs: 0
; NumAgprs: 0
; TotalNumVgprs: 0
; ScratchSize: 0
; MemoryBound: 0
; FloatMode: 240
; IeeeMode: 1
; LDSByteSize: 0 bytes/workgroup (compile time only)
; SGPRBlocks: 0
; VGPRBlocks: 0
; NumSGPRsForWavesPerEU: 6
; NumVGPRsForWavesPerEU: 1
; AccumOffset: 4
; Occupancy: 8
; WaveLimiterHint : 0
; COMPUTE_PGM_RSRC2:SCRATCH_EN: 0
; COMPUTE_PGM_RSRC2:USER_SGPR: 2
; COMPUTE_PGM_RSRC2:TRAP_HANDLER: 0
; COMPUTE_PGM_RSRC2:TGID_X_EN: 1
; COMPUTE_PGM_RSRC2:TGID_Y_EN: 0
; COMPUTE_PGM_RSRC2:TGID_Z_EN: 0
; COMPUTE_PGM_RSRC2:TIDIG_COMP_CNT: 0
; COMPUTE_PGM_RSRC3_GFX90A:ACCUM_OFFSET: 0
; COMPUTE_PGM_RSRC3_GFX90A:TG_SPLIT: 0
	.section	.text._ZN7rocprim17ROCPRIM_400000_NS6detail17trampoline_kernelINS0_14default_configENS1_35radix_sort_onesweep_config_selectorIiiEEZNS1_34radix_sort_onesweep_global_offsetsIS3_Lb1EN6thrust23THRUST_200600_302600_NS6detail15normal_iteratorINS8_10device_ptrIiEEEESD_jNS0_19identity_decomposerEEE10hipError_tT1_T2_PT3_SI_jT4_jjP12ihipStream_tbEUlT_E_NS1_11comp_targetILNS1_3genE3ELNS1_11target_archE908ELNS1_3gpuE7ELNS1_3repE0EEENS1_52radix_sort_onesweep_histogram_config_static_selectorELNS0_4arch9wavefront6targetE1EEEvSG_,"axG",@progbits,_ZN7rocprim17ROCPRIM_400000_NS6detail17trampoline_kernelINS0_14default_configENS1_35radix_sort_onesweep_config_selectorIiiEEZNS1_34radix_sort_onesweep_global_offsetsIS3_Lb1EN6thrust23THRUST_200600_302600_NS6detail15normal_iteratorINS8_10device_ptrIiEEEESD_jNS0_19identity_decomposerEEE10hipError_tT1_T2_PT3_SI_jT4_jjP12ihipStream_tbEUlT_E_NS1_11comp_targetILNS1_3genE3ELNS1_11target_archE908ELNS1_3gpuE7ELNS1_3repE0EEENS1_52radix_sort_onesweep_histogram_config_static_selectorELNS0_4arch9wavefront6targetE1EEEvSG_,comdat
	.protected	_ZN7rocprim17ROCPRIM_400000_NS6detail17trampoline_kernelINS0_14default_configENS1_35radix_sort_onesweep_config_selectorIiiEEZNS1_34radix_sort_onesweep_global_offsetsIS3_Lb1EN6thrust23THRUST_200600_302600_NS6detail15normal_iteratorINS8_10device_ptrIiEEEESD_jNS0_19identity_decomposerEEE10hipError_tT1_T2_PT3_SI_jT4_jjP12ihipStream_tbEUlT_E_NS1_11comp_targetILNS1_3genE3ELNS1_11target_archE908ELNS1_3gpuE7ELNS1_3repE0EEENS1_52radix_sort_onesweep_histogram_config_static_selectorELNS0_4arch9wavefront6targetE1EEEvSG_ ; -- Begin function _ZN7rocprim17ROCPRIM_400000_NS6detail17trampoline_kernelINS0_14default_configENS1_35radix_sort_onesweep_config_selectorIiiEEZNS1_34radix_sort_onesweep_global_offsetsIS3_Lb1EN6thrust23THRUST_200600_302600_NS6detail15normal_iteratorINS8_10device_ptrIiEEEESD_jNS0_19identity_decomposerEEE10hipError_tT1_T2_PT3_SI_jT4_jjP12ihipStream_tbEUlT_E_NS1_11comp_targetILNS1_3genE3ELNS1_11target_archE908ELNS1_3gpuE7ELNS1_3repE0EEENS1_52radix_sort_onesweep_histogram_config_static_selectorELNS0_4arch9wavefront6targetE1EEEvSG_
	.globl	_ZN7rocprim17ROCPRIM_400000_NS6detail17trampoline_kernelINS0_14default_configENS1_35radix_sort_onesweep_config_selectorIiiEEZNS1_34radix_sort_onesweep_global_offsetsIS3_Lb1EN6thrust23THRUST_200600_302600_NS6detail15normal_iteratorINS8_10device_ptrIiEEEESD_jNS0_19identity_decomposerEEE10hipError_tT1_T2_PT3_SI_jT4_jjP12ihipStream_tbEUlT_E_NS1_11comp_targetILNS1_3genE3ELNS1_11target_archE908ELNS1_3gpuE7ELNS1_3repE0EEENS1_52radix_sort_onesweep_histogram_config_static_selectorELNS0_4arch9wavefront6targetE1EEEvSG_
	.p2align	8
	.type	_ZN7rocprim17ROCPRIM_400000_NS6detail17trampoline_kernelINS0_14default_configENS1_35radix_sort_onesweep_config_selectorIiiEEZNS1_34radix_sort_onesweep_global_offsetsIS3_Lb1EN6thrust23THRUST_200600_302600_NS6detail15normal_iteratorINS8_10device_ptrIiEEEESD_jNS0_19identity_decomposerEEE10hipError_tT1_T2_PT3_SI_jT4_jjP12ihipStream_tbEUlT_E_NS1_11comp_targetILNS1_3genE3ELNS1_11target_archE908ELNS1_3gpuE7ELNS1_3repE0EEENS1_52radix_sort_onesweep_histogram_config_static_selectorELNS0_4arch9wavefront6targetE1EEEvSG_,@function
_ZN7rocprim17ROCPRIM_400000_NS6detail17trampoline_kernelINS0_14default_configENS1_35radix_sort_onesweep_config_selectorIiiEEZNS1_34radix_sort_onesweep_global_offsetsIS3_Lb1EN6thrust23THRUST_200600_302600_NS6detail15normal_iteratorINS8_10device_ptrIiEEEESD_jNS0_19identity_decomposerEEE10hipError_tT1_T2_PT3_SI_jT4_jjP12ihipStream_tbEUlT_E_NS1_11comp_targetILNS1_3genE3ELNS1_11target_archE908ELNS1_3gpuE7ELNS1_3repE0EEENS1_52radix_sort_onesweep_histogram_config_static_selectorELNS0_4arch9wavefront6targetE1EEEvSG_: ; @_ZN7rocprim17ROCPRIM_400000_NS6detail17trampoline_kernelINS0_14default_configENS1_35radix_sort_onesweep_config_selectorIiiEEZNS1_34radix_sort_onesweep_global_offsetsIS3_Lb1EN6thrust23THRUST_200600_302600_NS6detail15normal_iteratorINS8_10device_ptrIiEEEESD_jNS0_19identity_decomposerEEE10hipError_tT1_T2_PT3_SI_jT4_jjP12ihipStream_tbEUlT_E_NS1_11comp_targetILNS1_3genE3ELNS1_11target_archE908ELNS1_3gpuE7ELNS1_3repE0EEENS1_52radix_sort_onesweep_histogram_config_static_selectorELNS0_4arch9wavefront6targetE1EEEvSG_
; %bb.0:
	.section	.rodata,"a",@progbits
	.p2align	6, 0x0
	.amdhsa_kernel _ZN7rocprim17ROCPRIM_400000_NS6detail17trampoline_kernelINS0_14default_configENS1_35radix_sort_onesweep_config_selectorIiiEEZNS1_34radix_sort_onesweep_global_offsetsIS3_Lb1EN6thrust23THRUST_200600_302600_NS6detail15normal_iteratorINS8_10device_ptrIiEEEESD_jNS0_19identity_decomposerEEE10hipError_tT1_T2_PT3_SI_jT4_jjP12ihipStream_tbEUlT_E_NS1_11comp_targetILNS1_3genE3ELNS1_11target_archE908ELNS1_3gpuE7ELNS1_3repE0EEENS1_52radix_sort_onesweep_histogram_config_static_selectorELNS0_4arch9wavefront6targetE1EEEvSG_
		.amdhsa_group_segment_fixed_size 0
		.amdhsa_private_segment_fixed_size 0
		.amdhsa_kernarg_size 40
		.amdhsa_user_sgpr_count 2
		.amdhsa_user_sgpr_dispatch_ptr 0
		.amdhsa_user_sgpr_queue_ptr 0
		.amdhsa_user_sgpr_kernarg_segment_ptr 1
		.amdhsa_user_sgpr_dispatch_id 0
		.amdhsa_user_sgpr_kernarg_preload_length 0
		.amdhsa_user_sgpr_kernarg_preload_offset 0
		.amdhsa_user_sgpr_private_segment_size 0
		.amdhsa_uses_dynamic_stack 0
		.amdhsa_enable_private_segment 0
		.amdhsa_system_sgpr_workgroup_id_x 1
		.amdhsa_system_sgpr_workgroup_id_y 0
		.amdhsa_system_sgpr_workgroup_id_z 0
		.amdhsa_system_sgpr_workgroup_info 0
		.amdhsa_system_vgpr_workitem_id 0
		.amdhsa_next_free_vgpr 1
		.amdhsa_next_free_sgpr 0
		.amdhsa_accum_offset 4
		.amdhsa_reserve_vcc 0
		.amdhsa_float_round_mode_32 0
		.amdhsa_float_round_mode_16_64 0
		.amdhsa_float_denorm_mode_32 3
		.amdhsa_float_denorm_mode_16_64 3
		.amdhsa_dx10_clamp 1
		.amdhsa_ieee_mode 1
		.amdhsa_fp16_overflow 0
		.amdhsa_tg_split 0
		.amdhsa_exception_fp_ieee_invalid_op 0
		.amdhsa_exception_fp_denorm_src 0
		.amdhsa_exception_fp_ieee_div_zero 0
		.amdhsa_exception_fp_ieee_overflow 0
		.amdhsa_exception_fp_ieee_underflow 0
		.amdhsa_exception_fp_ieee_inexact 0
		.amdhsa_exception_int_div_zero 0
	.end_amdhsa_kernel
	.section	.text._ZN7rocprim17ROCPRIM_400000_NS6detail17trampoline_kernelINS0_14default_configENS1_35radix_sort_onesweep_config_selectorIiiEEZNS1_34radix_sort_onesweep_global_offsetsIS3_Lb1EN6thrust23THRUST_200600_302600_NS6detail15normal_iteratorINS8_10device_ptrIiEEEESD_jNS0_19identity_decomposerEEE10hipError_tT1_T2_PT3_SI_jT4_jjP12ihipStream_tbEUlT_E_NS1_11comp_targetILNS1_3genE3ELNS1_11target_archE908ELNS1_3gpuE7ELNS1_3repE0EEENS1_52radix_sort_onesweep_histogram_config_static_selectorELNS0_4arch9wavefront6targetE1EEEvSG_,"axG",@progbits,_ZN7rocprim17ROCPRIM_400000_NS6detail17trampoline_kernelINS0_14default_configENS1_35radix_sort_onesweep_config_selectorIiiEEZNS1_34radix_sort_onesweep_global_offsetsIS3_Lb1EN6thrust23THRUST_200600_302600_NS6detail15normal_iteratorINS8_10device_ptrIiEEEESD_jNS0_19identity_decomposerEEE10hipError_tT1_T2_PT3_SI_jT4_jjP12ihipStream_tbEUlT_E_NS1_11comp_targetILNS1_3genE3ELNS1_11target_archE908ELNS1_3gpuE7ELNS1_3repE0EEENS1_52radix_sort_onesweep_histogram_config_static_selectorELNS0_4arch9wavefront6targetE1EEEvSG_,comdat
.Lfunc_end986:
	.size	_ZN7rocprim17ROCPRIM_400000_NS6detail17trampoline_kernelINS0_14default_configENS1_35radix_sort_onesweep_config_selectorIiiEEZNS1_34radix_sort_onesweep_global_offsetsIS3_Lb1EN6thrust23THRUST_200600_302600_NS6detail15normal_iteratorINS8_10device_ptrIiEEEESD_jNS0_19identity_decomposerEEE10hipError_tT1_T2_PT3_SI_jT4_jjP12ihipStream_tbEUlT_E_NS1_11comp_targetILNS1_3genE3ELNS1_11target_archE908ELNS1_3gpuE7ELNS1_3repE0EEENS1_52radix_sort_onesweep_histogram_config_static_selectorELNS0_4arch9wavefront6targetE1EEEvSG_, .Lfunc_end986-_ZN7rocprim17ROCPRIM_400000_NS6detail17trampoline_kernelINS0_14default_configENS1_35radix_sort_onesweep_config_selectorIiiEEZNS1_34radix_sort_onesweep_global_offsetsIS3_Lb1EN6thrust23THRUST_200600_302600_NS6detail15normal_iteratorINS8_10device_ptrIiEEEESD_jNS0_19identity_decomposerEEE10hipError_tT1_T2_PT3_SI_jT4_jjP12ihipStream_tbEUlT_E_NS1_11comp_targetILNS1_3genE3ELNS1_11target_archE908ELNS1_3gpuE7ELNS1_3repE0EEENS1_52radix_sort_onesweep_histogram_config_static_selectorELNS0_4arch9wavefront6targetE1EEEvSG_
                                        ; -- End function
	.set _ZN7rocprim17ROCPRIM_400000_NS6detail17trampoline_kernelINS0_14default_configENS1_35radix_sort_onesweep_config_selectorIiiEEZNS1_34radix_sort_onesweep_global_offsetsIS3_Lb1EN6thrust23THRUST_200600_302600_NS6detail15normal_iteratorINS8_10device_ptrIiEEEESD_jNS0_19identity_decomposerEEE10hipError_tT1_T2_PT3_SI_jT4_jjP12ihipStream_tbEUlT_E_NS1_11comp_targetILNS1_3genE3ELNS1_11target_archE908ELNS1_3gpuE7ELNS1_3repE0EEENS1_52radix_sort_onesweep_histogram_config_static_selectorELNS0_4arch9wavefront6targetE1EEEvSG_.num_vgpr, 0
	.set _ZN7rocprim17ROCPRIM_400000_NS6detail17trampoline_kernelINS0_14default_configENS1_35radix_sort_onesweep_config_selectorIiiEEZNS1_34radix_sort_onesweep_global_offsetsIS3_Lb1EN6thrust23THRUST_200600_302600_NS6detail15normal_iteratorINS8_10device_ptrIiEEEESD_jNS0_19identity_decomposerEEE10hipError_tT1_T2_PT3_SI_jT4_jjP12ihipStream_tbEUlT_E_NS1_11comp_targetILNS1_3genE3ELNS1_11target_archE908ELNS1_3gpuE7ELNS1_3repE0EEENS1_52radix_sort_onesweep_histogram_config_static_selectorELNS0_4arch9wavefront6targetE1EEEvSG_.num_agpr, 0
	.set _ZN7rocprim17ROCPRIM_400000_NS6detail17trampoline_kernelINS0_14default_configENS1_35radix_sort_onesweep_config_selectorIiiEEZNS1_34radix_sort_onesweep_global_offsetsIS3_Lb1EN6thrust23THRUST_200600_302600_NS6detail15normal_iteratorINS8_10device_ptrIiEEEESD_jNS0_19identity_decomposerEEE10hipError_tT1_T2_PT3_SI_jT4_jjP12ihipStream_tbEUlT_E_NS1_11comp_targetILNS1_3genE3ELNS1_11target_archE908ELNS1_3gpuE7ELNS1_3repE0EEENS1_52radix_sort_onesweep_histogram_config_static_selectorELNS0_4arch9wavefront6targetE1EEEvSG_.numbered_sgpr, 0
	.set _ZN7rocprim17ROCPRIM_400000_NS6detail17trampoline_kernelINS0_14default_configENS1_35radix_sort_onesweep_config_selectorIiiEEZNS1_34radix_sort_onesweep_global_offsetsIS3_Lb1EN6thrust23THRUST_200600_302600_NS6detail15normal_iteratorINS8_10device_ptrIiEEEESD_jNS0_19identity_decomposerEEE10hipError_tT1_T2_PT3_SI_jT4_jjP12ihipStream_tbEUlT_E_NS1_11comp_targetILNS1_3genE3ELNS1_11target_archE908ELNS1_3gpuE7ELNS1_3repE0EEENS1_52radix_sort_onesweep_histogram_config_static_selectorELNS0_4arch9wavefront6targetE1EEEvSG_.num_named_barrier, 0
	.set _ZN7rocprim17ROCPRIM_400000_NS6detail17trampoline_kernelINS0_14default_configENS1_35radix_sort_onesweep_config_selectorIiiEEZNS1_34radix_sort_onesweep_global_offsetsIS3_Lb1EN6thrust23THRUST_200600_302600_NS6detail15normal_iteratorINS8_10device_ptrIiEEEESD_jNS0_19identity_decomposerEEE10hipError_tT1_T2_PT3_SI_jT4_jjP12ihipStream_tbEUlT_E_NS1_11comp_targetILNS1_3genE3ELNS1_11target_archE908ELNS1_3gpuE7ELNS1_3repE0EEENS1_52radix_sort_onesweep_histogram_config_static_selectorELNS0_4arch9wavefront6targetE1EEEvSG_.private_seg_size, 0
	.set _ZN7rocprim17ROCPRIM_400000_NS6detail17trampoline_kernelINS0_14default_configENS1_35radix_sort_onesweep_config_selectorIiiEEZNS1_34radix_sort_onesweep_global_offsetsIS3_Lb1EN6thrust23THRUST_200600_302600_NS6detail15normal_iteratorINS8_10device_ptrIiEEEESD_jNS0_19identity_decomposerEEE10hipError_tT1_T2_PT3_SI_jT4_jjP12ihipStream_tbEUlT_E_NS1_11comp_targetILNS1_3genE3ELNS1_11target_archE908ELNS1_3gpuE7ELNS1_3repE0EEENS1_52radix_sort_onesweep_histogram_config_static_selectorELNS0_4arch9wavefront6targetE1EEEvSG_.uses_vcc, 0
	.set _ZN7rocprim17ROCPRIM_400000_NS6detail17trampoline_kernelINS0_14default_configENS1_35radix_sort_onesweep_config_selectorIiiEEZNS1_34radix_sort_onesweep_global_offsetsIS3_Lb1EN6thrust23THRUST_200600_302600_NS6detail15normal_iteratorINS8_10device_ptrIiEEEESD_jNS0_19identity_decomposerEEE10hipError_tT1_T2_PT3_SI_jT4_jjP12ihipStream_tbEUlT_E_NS1_11comp_targetILNS1_3genE3ELNS1_11target_archE908ELNS1_3gpuE7ELNS1_3repE0EEENS1_52radix_sort_onesweep_histogram_config_static_selectorELNS0_4arch9wavefront6targetE1EEEvSG_.uses_flat_scratch, 0
	.set _ZN7rocprim17ROCPRIM_400000_NS6detail17trampoline_kernelINS0_14default_configENS1_35radix_sort_onesweep_config_selectorIiiEEZNS1_34radix_sort_onesweep_global_offsetsIS3_Lb1EN6thrust23THRUST_200600_302600_NS6detail15normal_iteratorINS8_10device_ptrIiEEEESD_jNS0_19identity_decomposerEEE10hipError_tT1_T2_PT3_SI_jT4_jjP12ihipStream_tbEUlT_E_NS1_11comp_targetILNS1_3genE3ELNS1_11target_archE908ELNS1_3gpuE7ELNS1_3repE0EEENS1_52radix_sort_onesweep_histogram_config_static_selectorELNS0_4arch9wavefront6targetE1EEEvSG_.has_dyn_sized_stack, 0
	.set _ZN7rocprim17ROCPRIM_400000_NS6detail17trampoline_kernelINS0_14default_configENS1_35radix_sort_onesweep_config_selectorIiiEEZNS1_34radix_sort_onesweep_global_offsetsIS3_Lb1EN6thrust23THRUST_200600_302600_NS6detail15normal_iteratorINS8_10device_ptrIiEEEESD_jNS0_19identity_decomposerEEE10hipError_tT1_T2_PT3_SI_jT4_jjP12ihipStream_tbEUlT_E_NS1_11comp_targetILNS1_3genE3ELNS1_11target_archE908ELNS1_3gpuE7ELNS1_3repE0EEENS1_52radix_sort_onesweep_histogram_config_static_selectorELNS0_4arch9wavefront6targetE1EEEvSG_.has_recursion, 0
	.set _ZN7rocprim17ROCPRIM_400000_NS6detail17trampoline_kernelINS0_14default_configENS1_35radix_sort_onesweep_config_selectorIiiEEZNS1_34radix_sort_onesweep_global_offsetsIS3_Lb1EN6thrust23THRUST_200600_302600_NS6detail15normal_iteratorINS8_10device_ptrIiEEEESD_jNS0_19identity_decomposerEEE10hipError_tT1_T2_PT3_SI_jT4_jjP12ihipStream_tbEUlT_E_NS1_11comp_targetILNS1_3genE3ELNS1_11target_archE908ELNS1_3gpuE7ELNS1_3repE0EEENS1_52radix_sort_onesweep_histogram_config_static_selectorELNS0_4arch9wavefront6targetE1EEEvSG_.has_indirect_call, 0
	.section	.AMDGPU.csdata,"",@progbits
; Kernel info:
; codeLenInByte = 0
; TotalNumSgprs: 6
; NumVgprs: 0
; NumAgprs: 0
; TotalNumVgprs: 0
; ScratchSize: 0
; MemoryBound: 0
; FloatMode: 240
; IeeeMode: 1
; LDSByteSize: 0 bytes/workgroup (compile time only)
; SGPRBlocks: 0
; VGPRBlocks: 0
; NumSGPRsForWavesPerEU: 6
; NumVGPRsForWavesPerEU: 1
; AccumOffset: 4
; Occupancy: 8
; WaveLimiterHint : 0
; COMPUTE_PGM_RSRC2:SCRATCH_EN: 0
; COMPUTE_PGM_RSRC2:USER_SGPR: 2
; COMPUTE_PGM_RSRC2:TRAP_HANDLER: 0
; COMPUTE_PGM_RSRC2:TGID_X_EN: 1
; COMPUTE_PGM_RSRC2:TGID_Y_EN: 0
; COMPUTE_PGM_RSRC2:TGID_Z_EN: 0
; COMPUTE_PGM_RSRC2:TIDIG_COMP_CNT: 0
; COMPUTE_PGM_RSRC3_GFX90A:ACCUM_OFFSET: 0
; COMPUTE_PGM_RSRC3_GFX90A:TG_SPLIT: 0
	.section	.text._ZN7rocprim17ROCPRIM_400000_NS6detail17trampoline_kernelINS0_14default_configENS1_35radix_sort_onesweep_config_selectorIiiEEZNS1_34radix_sort_onesweep_global_offsetsIS3_Lb1EN6thrust23THRUST_200600_302600_NS6detail15normal_iteratorINS8_10device_ptrIiEEEESD_jNS0_19identity_decomposerEEE10hipError_tT1_T2_PT3_SI_jT4_jjP12ihipStream_tbEUlT_E_NS1_11comp_targetILNS1_3genE10ELNS1_11target_archE1201ELNS1_3gpuE5ELNS1_3repE0EEENS1_52radix_sort_onesweep_histogram_config_static_selectorELNS0_4arch9wavefront6targetE1EEEvSG_,"axG",@progbits,_ZN7rocprim17ROCPRIM_400000_NS6detail17trampoline_kernelINS0_14default_configENS1_35radix_sort_onesweep_config_selectorIiiEEZNS1_34radix_sort_onesweep_global_offsetsIS3_Lb1EN6thrust23THRUST_200600_302600_NS6detail15normal_iteratorINS8_10device_ptrIiEEEESD_jNS0_19identity_decomposerEEE10hipError_tT1_T2_PT3_SI_jT4_jjP12ihipStream_tbEUlT_E_NS1_11comp_targetILNS1_3genE10ELNS1_11target_archE1201ELNS1_3gpuE5ELNS1_3repE0EEENS1_52radix_sort_onesweep_histogram_config_static_selectorELNS0_4arch9wavefront6targetE1EEEvSG_,comdat
	.protected	_ZN7rocprim17ROCPRIM_400000_NS6detail17trampoline_kernelINS0_14default_configENS1_35radix_sort_onesweep_config_selectorIiiEEZNS1_34radix_sort_onesweep_global_offsetsIS3_Lb1EN6thrust23THRUST_200600_302600_NS6detail15normal_iteratorINS8_10device_ptrIiEEEESD_jNS0_19identity_decomposerEEE10hipError_tT1_T2_PT3_SI_jT4_jjP12ihipStream_tbEUlT_E_NS1_11comp_targetILNS1_3genE10ELNS1_11target_archE1201ELNS1_3gpuE5ELNS1_3repE0EEENS1_52radix_sort_onesweep_histogram_config_static_selectorELNS0_4arch9wavefront6targetE1EEEvSG_ ; -- Begin function _ZN7rocprim17ROCPRIM_400000_NS6detail17trampoline_kernelINS0_14default_configENS1_35radix_sort_onesweep_config_selectorIiiEEZNS1_34radix_sort_onesweep_global_offsetsIS3_Lb1EN6thrust23THRUST_200600_302600_NS6detail15normal_iteratorINS8_10device_ptrIiEEEESD_jNS0_19identity_decomposerEEE10hipError_tT1_T2_PT3_SI_jT4_jjP12ihipStream_tbEUlT_E_NS1_11comp_targetILNS1_3genE10ELNS1_11target_archE1201ELNS1_3gpuE5ELNS1_3repE0EEENS1_52radix_sort_onesweep_histogram_config_static_selectorELNS0_4arch9wavefront6targetE1EEEvSG_
	.globl	_ZN7rocprim17ROCPRIM_400000_NS6detail17trampoline_kernelINS0_14default_configENS1_35radix_sort_onesweep_config_selectorIiiEEZNS1_34radix_sort_onesweep_global_offsetsIS3_Lb1EN6thrust23THRUST_200600_302600_NS6detail15normal_iteratorINS8_10device_ptrIiEEEESD_jNS0_19identity_decomposerEEE10hipError_tT1_T2_PT3_SI_jT4_jjP12ihipStream_tbEUlT_E_NS1_11comp_targetILNS1_3genE10ELNS1_11target_archE1201ELNS1_3gpuE5ELNS1_3repE0EEENS1_52radix_sort_onesweep_histogram_config_static_selectorELNS0_4arch9wavefront6targetE1EEEvSG_
	.p2align	8
	.type	_ZN7rocprim17ROCPRIM_400000_NS6detail17trampoline_kernelINS0_14default_configENS1_35radix_sort_onesweep_config_selectorIiiEEZNS1_34radix_sort_onesweep_global_offsetsIS3_Lb1EN6thrust23THRUST_200600_302600_NS6detail15normal_iteratorINS8_10device_ptrIiEEEESD_jNS0_19identity_decomposerEEE10hipError_tT1_T2_PT3_SI_jT4_jjP12ihipStream_tbEUlT_E_NS1_11comp_targetILNS1_3genE10ELNS1_11target_archE1201ELNS1_3gpuE5ELNS1_3repE0EEENS1_52radix_sort_onesweep_histogram_config_static_selectorELNS0_4arch9wavefront6targetE1EEEvSG_,@function
_ZN7rocprim17ROCPRIM_400000_NS6detail17trampoline_kernelINS0_14default_configENS1_35radix_sort_onesweep_config_selectorIiiEEZNS1_34radix_sort_onesweep_global_offsetsIS3_Lb1EN6thrust23THRUST_200600_302600_NS6detail15normal_iteratorINS8_10device_ptrIiEEEESD_jNS0_19identity_decomposerEEE10hipError_tT1_T2_PT3_SI_jT4_jjP12ihipStream_tbEUlT_E_NS1_11comp_targetILNS1_3genE10ELNS1_11target_archE1201ELNS1_3gpuE5ELNS1_3repE0EEENS1_52radix_sort_onesweep_histogram_config_static_selectorELNS0_4arch9wavefront6targetE1EEEvSG_: ; @_ZN7rocprim17ROCPRIM_400000_NS6detail17trampoline_kernelINS0_14default_configENS1_35radix_sort_onesweep_config_selectorIiiEEZNS1_34radix_sort_onesweep_global_offsetsIS3_Lb1EN6thrust23THRUST_200600_302600_NS6detail15normal_iteratorINS8_10device_ptrIiEEEESD_jNS0_19identity_decomposerEEE10hipError_tT1_T2_PT3_SI_jT4_jjP12ihipStream_tbEUlT_E_NS1_11comp_targetILNS1_3genE10ELNS1_11target_archE1201ELNS1_3gpuE5ELNS1_3repE0EEENS1_52radix_sort_onesweep_histogram_config_static_selectorELNS0_4arch9wavefront6targetE1EEEvSG_
; %bb.0:
	.section	.rodata,"a",@progbits
	.p2align	6, 0x0
	.amdhsa_kernel _ZN7rocprim17ROCPRIM_400000_NS6detail17trampoline_kernelINS0_14default_configENS1_35radix_sort_onesweep_config_selectorIiiEEZNS1_34radix_sort_onesweep_global_offsetsIS3_Lb1EN6thrust23THRUST_200600_302600_NS6detail15normal_iteratorINS8_10device_ptrIiEEEESD_jNS0_19identity_decomposerEEE10hipError_tT1_T2_PT3_SI_jT4_jjP12ihipStream_tbEUlT_E_NS1_11comp_targetILNS1_3genE10ELNS1_11target_archE1201ELNS1_3gpuE5ELNS1_3repE0EEENS1_52radix_sort_onesweep_histogram_config_static_selectorELNS0_4arch9wavefront6targetE1EEEvSG_
		.amdhsa_group_segment_fixed_size 0
		.amdhsa_private_segment_fixed_size 0
		.amdhsa_kernarg_size 40
		.amdhsa_user_sgpr_count 2
		.amdhsa_user_sgpr_dispatch_ptr 0
		.amdhsa_user_sgpr_queue_ptr 0
		.amdhsa_user_sgpr_kernarg_segment_ptr 1
		.amdhsa_user_sgpr_dispatch_id 0
		.amdhsa_user_sgpr_kernarg_preload_length 0
		.amdhsa_user_sgpr_kernarg_preload_offset 0
		.amdhsa_user_sgpr_private_segment_size 0
		.amdhsa_uses_dynamic_stack 0
		.amdhsa_enable_private_segment 0
		.amdhsa_system_sgpr_workgroup_id_x 1
		.amdhsa_system_sgpr_workgroup_id_y 0
		.amdhsa_system_sgpr_workgroup_id_z 0
		.amdhsa_system_sgpr_workgroup_info 0
		.amdhsa_system_vgpr_workitem_id 0
		.amdhsa_next_free_vgpr 1
		.amdhsa_next_free_sgpr 0
		.amdhsa_accum_offset 4
		.amdhsa_reserve_vcc 0
		.amdhsa_float_round_mode_32 0
		.amdhsa_float_round_mode_16_64 0
		.amdhsa_float_denorm_mode_32 3
		.amdhsa_float_denorm_mode_16_64 3
		.amdhsa_dx10_clamp 1
		.amdhsa_ieee_mode 1
		.amdhsa_fp16_overflow 0
		.amdhsa_tg_split 0
		.amdhsa_exception_fp_ieee_invalid_op 0
		.amdhsa_exception_fp_denorm_src 0
		.amdhsa_exception_fp_ieee_div_zero 0
		.amdhsa_exception_fp_ieee_overflow 0
		.amdhsa_exception_fp_ieee_underflow 0
		.amdhsa_exception_fp_ieee_inexact 0
		.amdhsa_exception_int_div_zero 0
	.end_amdhsa_kernel
	.section	.text._ZN7rocprim17ROCPRIM_400000_NS6detail17trampoline_kernelINS0_14default_configENS1_35radix_sort_onesweep_config_selectorIiiEEZNS1_34radix_sort_onesweep_global_offsetsIS3_Lb1EN6thrust23THRUST_200600_302600_NS6detail15normal_iteratorINS8_10device_ptrIiEEEESD_jNS0_19identity_decomposerEEE10hipError_tT1_T2_PT3_SI_jT4_jjP12ihipStream_tbEUlT_E_NS1_11comp_targetILNS1_3genE10ELNS1_11target_archE1201ELNS1_3gpuE5ELNS1_3repE0EEENS1_52radix_sort_onesweep_histogram_config_static_selectorELNS0_4arch9wavefront6targetE1EEEvSG_,"axG",@progbits,_ZN7rocprim17ROCPRIM_400000_NS6detail17trampoline_kernelINS0_14default_configENS1_35radix_sort_onesweep_config_selectorIiiEEZNS1_34radix_sort_onesweep_global_offsetsIS3_Lb1EN6thrust23THRUST_200600_302600_NS6detail15normal_iteratorINS8_10device_ptrIiEEEESD_jNS0_19identity_decomposerEEE10hipError_tT1_T2_PT3_SI_jT4_jjP12ihipStream_tbEUlT_E_NS1_11comp_targetILNS1_3genE10ELNS1_11target_archE1201ELNS1_3gpuE5ELNS1_3repE0EEENS1_52radix_sort_onesweep_histogram_config_static_selectorELNS0_4arch9wavefront6targetE1EEEvSG_,comdat
.Lfunc_end987:
	.size	_ZN7rocprim17ROCPRIM_400000_NS6detail17trampoline_kernelINS0_14default_configENS1_35radix_sort_onesweep_config_selectorIiiEEZNS1_34radix_sort_onesweep_global_offsetsIS3_Lb1EN6thrust23THRUST_200600_302600_NS6detail15normal_iteratorINS8_10device_ptrIiEEEESD_jNS0_19identity_decomposerEEE10hipError_tT1_T2_PT3_SI_jT4_jjP12ihipStream_tbEUlT_E_NS1_11comp_targetILNS1_3genE10ELNS1_11target_archE1201ELNS1_3gpuE5ELNS1_3repE0EEENS1_52radix_sort_onesweep_histogram_config_static_selectorELNS0_4arch9wavefront6targetE1EEEvSG_, .Lfunc_end987-_ZN7rocprim17ROCPRIM_400000_NS6detail17trampoline_kernelINS0_14default_configENS1_35radix_sort_onesweep_config_selectorIiiEEZNS1_34radix_sort_onesweep_global_offsetsIS3_Lb1EN6thrust23THRUST_200600_302600_NS6detail15normal_iteratorINS8_10device_ptrIiEEEESD_jNS0_19identity_decomposerEEE10hipError_tT1_T2_PT3_SI_jT4_jjP12ihipStream_tbEUlT_E_NS1_11comp_targetILNS1_3genE10ELNS1_11target_archE1201ELNS1_3gpuE5ELNS1_3repE0EEENS1_52radix_sort_onesweep_histogram_config_static_selectorELNS0_4arch9wavefront6targetE1EEEvSG_
                                        ; -- End function
	.set _ZN7rocprim17ROCPRIM_400000_NS6detail17trampoline_kernelINS0_14default_configENS1_35radix_sort_onesweep_config_selectorIiiEEZNS1_34radix_sort_onesweep_global_offsetsIS3_Lb1EN6thrust23THRUST_200600_302600_NS6detail15normal_iteratorINS8_10device_ptrIiEEEESD_jNS0_19identity_decomposerEEE10hipError_tT1_T2_PT3_SI_jT4_jjP12ihipStream_tbEUlT_E_NS1_11comp_targetILNS1_3genE10ELNS1_11target_archE1201ELNS1_3gpuE5ELNS1_3repE0EEENS1_52radix_sort_onesweep_histogram_config_static_selectorELNS0_4arch9wavefront6targetE1EEEvSG_.num_vgpr, 0
	.set _ZN7rocprim17ROCPRIM_400000_NS6detail17trampoline_kernelINS0_14default_configENS1_35radix_sort_onesweep_config_selectorIiiEEZNS1_34radix_sort_onesweep_global_offsetsIS3_Lb1EN6thrust23THRUST_200600_302600_NS6detail15normal_iteratorINS8_10device_ptrIiEEEESD_jNS0_19identity_decomposerEEE10hipError_tT1_T2_PT3_SI_jT4_jjP12ihipStream_tbEUlT_E_NS1_11comp_targetILNS1_3genE10ELNS1_11target_archE1201ELNS1_3gpuE5ELNS1_3repE0EEENS1_52radix_sort_onesweep_histogram_config_static_selectorELNS0_4arch9wavefront6targetE1EEEvSG_.num_agpr, 0
	.set _ZN7rocprim17ROCPRIM_400000_NS6detail17trampoline_kernelINS0_14default_configENS1_35radix_sort_onesweep_config_selectorIiiEEZNS1_34radix_sort_onesweep_global_offsetsIS3_Lb1EN6thrust23THRUST_200600_302600_NS6detail15normal_iteratorINS8_10device_ptrIiEEEESD_jNS0_19identity_decomposerEEE10hipError_tT1_T2_PT3_SI_jT4_jjP12ihipStream_tbEUlT_E_NS1_11comp_targetILNS1_3genE10ELNS1_11target_archE1201ELNS1_3gpuE5ELNS1_3repE0EEENS1_52radix_sort_onesweep_histogram_config_static_selectorELNS0_4arch9wavefront6targetE1EEEvSG_.numbered_sgpr, 0
	.set _ZN7rocprim17ROCPRIM_400000_NS6detail17trampoline_kernelINS0_14default_configENS1_35radix_sort_onesweep_config_selectorIiiEEZNS1_34radix_sort_onesweep_global_offsetsIS3_Lb1EN6thrust23THRUST_200600_302600_NS6detail15normal_iteratorINS8_10device_ptrIiEEEESD_jNS0_19identity_decomposerEEE10hipError_tT1_T2_PT3_SI_jT4_jjP12ihipStream_tbEUlT_E_NS1_11comp_targetILNS1_3genE10ELNS1_11target_archE1201ELNS1_3gpuE5ELNS1_3repE0EEENS1_52radix_sort_onesweep_histogram_config_static_selectorELNS0_4arch9wavefront6targetE1EEEvSG_.num_named_barrier, 0
	.set _ZN7rocprim17ROCPRIM_400000_NS6detail17trampoline_kernelINS0_14default_configENS1_35radix_sort_onesweep_config_selectorIiiEEZNS1_34radix_sort_onesweep_global_offsetsIS3_Lb1EN6thrust23THRUST_200600_302600_NS6detail15normal_iteratorINS8_10device_ptrIiEEEESD_jNS0_19identity_decomposerEEE10hipError_tT1_T2_PT3_SI_jT4_jjP12ihipStream_tbEUlT_E_NS1_11comp_targetILNS1_3genE10ELNS1_11target_archE1201ELNS1_3gpuE5ELNS1_3repE0EEENS1_52radix_sort_onesweep_histogram_config_static_selectorELNS0_4arch9wavefront6targetE1EEEvSG_.private_seg_size, 0
	.set _ZN7rocprim17ROCPRIM_400000_NS6detail17trampoline_kernelINS0_14default_configENS1_35radix_sort_onesweep_config_selectorIiiEEZNS1_34radix_sort_onesweep_global_offsetsIS3_Lb1EN6thrust23THRUST_200600_302600_NS6detail15normal_iteratorINS8_10device_ptrIiEEEESD_jNS0_19identity_decomposerEEE10hipError_tT1_T2_PT3_SI_jT4_jjP12ihipStream_tbEUlT_E_NS1_11comp_targetILNS1_3genE10ELNS1_11target_archE1201ELNS1_3gpuE5ELNS1_3repE0EEENS1_52radix_sort_onesweep_histogram_config_static_selectorELNS0_4arch9wavefront6targetE1EEEvSG_.uses_vcc, 0
	.set _ZN7rocprim17ROCPRIM_400000_NS6detail17trampoline_kernelINS0_14default_configENS1_35radix_sort_onesweep_config_selectorIiiEEZNS1_34radix_sort_onesweep_global_offsetsIS3_Lb1EN6thrust23THRUST_200600_302600_NS6detail15normal_iteratorINS8_10device_ptrIiEEEESD_jNS0_19identity_decomposerEEE10hipError_tT1_T2_PT3_SI_jT4_jjP12ihipStream_tbEUlT_E_NS1_11comp_targetILNS1_3genE10ELNS1_11target_archE1201ELNS1_3gpuE5ELNS1_3repE0EEENS1_52radix_sort_onesweep_histogram_config_static_selectorELNS0_4arch9wavefront6targetE1EEEvSG_.uses_flat_scratch, 0
	.set _ZN7rocprim17ROCPRIM_400000_NS6detail17trampoline_kernelINS0_14default_configENS1_35radix_sort_onesweep_config_selectorIiiEEZNS1_34radix_sort_onesweep_global_offsetsIS3_Lb1EN6thrust23THRUST_200600_302600_NS6detail15normal_iteratorINS8_10device_ptrIiEEEESD_jNS0_19identity_decomposerEEE10hipError_tT1_T2_PT3_SI_jT4_jjP12ihipStream_tbEUlT_E_NS1_11comp_targetILNS1_3genE10ELNS1_11target_archE1201ELNS1_3gpuE5ELNS1_3repE0EEENS1_52radix_sort_onesweep_histogram_config_static_selectorELNS0_4arch9wavefront6targetE1EEEvSG_.has_dyn_sized_stack, 0
	.set _ZN7rocprim17ROCPRIM_400000_NS6detail17trampoline_kernelINS0_14default_configENS1_35radix_sort_onesweep_config_selectorIiiEEZNS1_34radix_sort_onesweep_global_offsetsIS3_Lb1EN6thrust23THRUST_200600_302600_NS6detail15normal_iteratorINS8_10device_ptrIiEEEESD_jNS0_19identity_decomposerEEE10hipError_tT1_T2_PT3_SI_jT4_jjP12ihipStream_tbEUlT_E_NS1_11comp_targetILNS1_3genE10ELNS1_11target_archE1201ELNS1_3gpuE5ELNS1_3repE0EEENS1_52radix_sort_onesweep_histogram_config_static_selectorELNS0_4arch9wavefront6targetE1EEEvSG_.has_recursion, 0
	.set _ZN7rocprim17ROCPRIM_400000_NS6detail17trampoline_kernelINS0_14default_configENS1_35radix_sort_onesweep_config_selectorIiiEEZNS1_34radix_sort_onesweep_global_offsetsIS3_Lb1EN6thrust23THRUST_200600_302600_NS6detail15normal_iteratorINS8_10device_ptrIiEEEESD_jNS0_19identity_decomposerEEE10hipError_tT1_T2_PT3_SI_jT4_jjP12ihipStream_tbEUlT_E_NS1_11comp_targetILNS1_3genE10ELNS1_11target_archE1201ELNS1_3gpuE5ELNS1_3repE0EEENS1_52radix_sort_onesweep_histogram_config_static_selectorELNS0_4arch9wavefront6targetE1EEEvSG_.has_indirect_call, 0
	.section	.AMDGPU.csdata,"",@progbits
; Kernel info:
; codeLenInByte = 0
; TotalNumSgprs: 6
; NumVgprs: 0
; NumAgprs: 0
; TotalNumVgprs: 0
; ScratchSize: 0
; MemoryBound: 0
; FloatMode: 240
; IeeeMode: 1
; LDSByteSize: 0 bytes/workgroup (compile time only)
; SGPRBlocks: 0
; VGPRBlocks: 0
; NumSGPRsForWavesPerEU: 6
; NumVGPRsForWavesPerEU: 1
; AccumOffset: 4
; Occupancy: 8
; WaveLimiterHint : 0
; COMPUTE_PGM_RSRC2:SCRATCH_EN: 0
; COMPUTE_PGM_RSRC2:USER_SGPR: 2
; COMPUTE_PGM_RSRC2:TRAP_HANDLER: 0
; COMPUTE_PGM_RSRC2:TGID_X_EN: 1
; COMPUTE_PGM_RSRC2:TGID_Y_EN: 0
; COMPUTE_PGM_RSRC2:TGID_Z_EN: 0
; COMPUTE_PGM_RSRC2:TIDIG_COMP_CNT: 0
; COMPUTE_PGM_RSRC3_GFX90A:ACCUM_OFFSET: 0
; COMPUTE_PGM_RSRC3_GFX90A:TG_SPLIT: 0
	.section	.text._ZN7rocprim17ROCPRIM_400000_NS6detail17trampoline_kernelINS0_14default_configENS1_35radix_sort_onesweep_config_selectorIiiEEZNS1_34radix_sort_onesweep_global_offsetsIS3_Lb1EN6thrust23THRUST_200600_302600_NS6detail15normal_iteratorINS8_10device_ptrIiEEEESD_jNS0_19identity_decomposerEEE10hipError_tT1_T2_PT3_SI_jT4_jjP12ihipStream_tbEUlT_E_NS1_11comp_targetILNS1_3genE9ELNS1_11target_archE1100ELNS1_3gpuE3ELNS1_3repE0EEENS1_52radix_sort_onesweep_histogram_config_static_selectorELNS0_4arch9wavefront6targetE1EEEvSG_,"axG",@progbits,_ZN7rocprim17ROCPRIM_400000_NS6detail17trampoline_kernelINS0_14default_configENS1_35radix_sort_onesweep_config_selectorIiiEEZNS1_34radix_sort_onesweep_global_offsetsIS3_Lb1EN6thrust23THRUST_200600_302600_NS6detail15normal_iteratorINS8_10device_ptrIiEEEESD_jNS0_19identity_decomposerEEE10hipError_tT1_T2_PT3_SI_jT4_jjP12ihipStream_tbEUlT_E_NS1_11comp_targetILNS1_3genE9ELNS1_11target_archE1100ELNS1_3gpuE3ELNS1_3repE0EEENS1_52radix_sort_onesweep_histogram_config_static_selectorELNS0_4arch9wavefront6targetE1EEEvSG_,comdat
	.protected	_ZN7rocprim17ROCPRIM_400000_NS6detail17trampoline_kernelINS0_14default_configENS1_35radix_sort_onesweep_config_selectorIiiEEZNS1_34radix_sort_onesweep_global_offsetsIS3_Lb1EN6thrust23THRUST_200600_302600_NS6detail15normal_iteratorINS8_10device_ptrIiEEEESD_jNS0_19identity_decomposerEEE10hipError_tT1_T2_PT3_SI_jT4_jjP12ihipStream_tbEUlT_E_NS1_11comp_targetILNS1_3genE9ELNS1_11target_archE1100ELNS1_3gpuE3ELNS1_3repE0EEENS1_52radix_sort_onesweep_histogram_config_static_selectorELNS0_4arch9wavefront6targetE1EEEvSG_ ; -- Begin function _ZN7rocprim17ROCPRIM_400000_NS6detail17trampoline_kernelINS0_14default_configENS1_35radix_sort_onesweep_config_selectorIiiEEZNS1_34radix_sort_onesweep_global_offsetsIS3_Lb1EN6thrust23THRUST_200600_302600_NS6detail15normal_iteratorINS8_10device_ptrIiEEEESD_jNS0_19identity_decomposerEEE10hipError_tT1_T2_PT3_SI_jT4_jjP12ihipStream_tbEUlT_E_NS1_11comp_targetILNS1_3genE9ELNS1_11target_archE1100ELNS1_3gpuE3ELNS1_3repE0EEENS1_52radix_sort_onesweep_histogram_config_static_selectorELNS0_4arch9wavefront6targetE1EEEvSG_
	.globl	_ZN7rocprim17ROCPRIM_400000_NS6detail17trampoline_kernelINS0_14default_configENS1_35radix_sort_onesweep_config_selectorIiiEEZNS1_34radix_sort_onesweep_global_offsetsIS3_Lb1EN6thrust23THRUST_200600_302600_NS6detail15normal_iteratorINS8_10device_ptrIiEEEESD_jNS0_19identity_decomposerEEE10hipError_tT1_T2_PT3_SI_jT4_jjP12ihipStream_tbEUlT_E_NS1_11comp_targetILNS1_3genE9ELNS1_11target_archE1100ELNS1_3gpuE3ELNS1_3repE0EEENS1_52radix_sort_onesweep_histogram_config_static_selectorELNS0_4arch9wavefront6targetE1EEEvSG_
	.p2align	8
	.type	_ZN7rocprim17ROCPRIM_400000_NS6detail17trampoline_kernelINS0_14default_configENS1_35radix_sort_onesweep_config_selectorIiiEEZNS1_34radix_sort_onesweep_global_offsetsIS3_Lb1EN6thrust23THRUST_200600_302600_NS6detail15normal_iteratorINS8_10device_ptrIiEEEESD_jNS0_19identity_decomposerEEE10hipError_tT1_T2_PT3_SI_jT4_jjP12ihipStream_tbEUlT_E_NS1_11comp_targetILNS1_3genE9ELNS1_11target_archE1100ELNS1_3gpuE3ELNS1_3repE0EEENS1_52radix_sort_onesweep_histogram_config_static_selectorELNS0_4arch9wavefront6targetE1EEEvSG_,@function
_ZN7rocprim17ROCPRIM_400000_NS6detail17trampoline_kernelINS0_14default_configENS1_35radix_sort_onesweep_config_selectorIiiEEZNS1_34radix_sort_onesweep_global_offsetsIS3_Lb1EN6thrust23THRUST_200600_302600_NS6detail15normal_iteratorINS8_10device_ptrIiEEEESD_jNS0_19identity_decomposerEEE10hipError_tT1_T2_PT3_SI_jT4_jjP12ihipStream_tbEUlT_E_NS1_11comp_targetILNS1_3genE9ELNS1_11target_archE1100ELNS1_3gpuE3ELNS1_3repE0EEENS1_52radix_sort_onesweep_histogram_config_static_selectorELNS0_4arch9wavefront6targetE1EEEvSG_: ; @_ZN7rocprim17ROCPRIM_400000_NS6detail17trampoline_kernelINS0_14default_configENS1_35radix_sort_onesweep_config_selectorIiiEEZNS1_34radix_sort_onesweep_global_offsetsIS3_Lb1EN6thrust23THRUST_200600_302600_NS6detail15normal_iteratorINS8_10device_ptrIiEEEESD_jNS0_19identity_decomposerEEE10hipError_tT1_T2_PT3_SI_jT4_jjP12ihipStream_tbEUlT_E_NS1_11comp_targetILNS1_3genE9ELNS1_11target_archE1100ELNS1_3gpuE3ELNS1_3repE0EEENS1_52radix_sort_onesweep_histogram_config_static_selectorELNS0_4arch9wavefront6targetE1EEEvSG_
; %bb.0:
	.section	.rodata,"a",@progbits
	.p2align	6, 0x0
	.amdhsa_kernel _ZN7rocprim17ROCPRIM_400000_NS6detail17trampoline_kernelINS0_14default_configENS1_35radix_sort_onesweep_config_selectorIiiEEZNS1_34radix_sort_onesweep_global_offsetsIS3_Lb1EN6thrust23THRUST_200600_302600_NS6detail15normal_iteratorINS8_10device_ptrIiEEEESD_jNS0_19identity_decomposerEEE10hipError_tT1_T2_PT3_SI_jT4_jjP12ihipStream_tbEUlT_E_NS1_11comp_targetILNS1_3genE9ELNS1_11target_archE1100ELNS1_3gpuE3ELNS1_3repE0EEENS1_52radix_sort_onesweep_histogram_config_static_selectorELNS0_4arch9wavefront6targetE1EEEvSG_
		.amdhsa_group_segment_fixed_size 0
		.amdhsa_private_segment_fixed_size 0
		.amdhsa_kernarg_size 40
		.amdhsa_user_sgpr_count 2
		.amdhsa_user_sgpr_dispatch_ptr 0
		.amdhsa_user_sgpr_queue_ptr 0
		.amdhsa_user_sgpr_kernarg_segment_ptr 1
		.amdhsa_user_sgpr_dispatch_id 0
		.amdhsa_user_sgpr_kernarg_preload_length 0
		.amdhsa_user_sgpr_kernarg_preload_offset 0
		.amdhsa_user_sgpr_private_segment_size 0
		.amdhsa_uses_dynamic_stack 0
		.amdhsa_enable_private_segment 0
		.amdhsa_system_sgpr_workgroup_id_x 1
		.amdhsa_system_sgpr_workgroup_id_y 0
		.amdhsa_system_sgpr_workgroup_id_z 0
		.amdhsa_system_sgpr_workgroup_info 0
		.amdhsa_system_vgpr_workitem_id 0
		.amdhsa_next_free_vgpr 1
		.amdhsa_next_free_sgpr 0
		.amdhsa_accum_offset 4
		.amdhsa_reserve_vcc 0
		.amdhsa_float_round_mode_32 0
		.amdhsa_float_round_mode_16_64 0
		.amdhsa_float_denorm_mode_32 3
		.amdhsa_float_denorm_mode_16_64 3
		.amdhsa_dx10_clamp 1
		.amdhsa_ieee_mode 1
		.amdhsa_fp16_overflow 0
		.amdhsa_tg_split 0
		.amdhsa_exception_fp_ieee_invalid_op 0
		.amdhsa_exception_fp_denorm_src 0
		.amdhsa_exception_fp_ieee_div_zero 0
		.amdhsa_exception_fp_ieee_overflow 0
		.amdhsa_exception_fp_ieee_underflow 0
		.amdhsa_exception_fp_ieee_inexact 0
		.amdhsa_exception_int_div_zero 0
	.end_amdhsa_kernel
	.section	.text._ZN7rocprim17ROCPRIM_400000_NS6detail17trampoline_kernelINS0_14default_configENS1_35radix_sort_onesweep_config_selectorIiiEEZNS1_34radix_sort_onesweep_global_offsetsIS3_Lb1EN6thrust23THRUST_200600_302600_NS6detail15normal_iteratorINS8_10device_ptrIiEEEESD_jNS0_19identity_decomposerEEE10hipError_tT1_T2_PT3_SI_jT4_jjP12ihipStream_tbEUlT_E_NS1_11comp_targetILNS1_3genE9ELNS1_11target_archE1100ELNS1_3gpuE3ELNS1_3repE0EEENS1_52radix_sort_onesweep_histogram_config_static_selectorELNS0_4arch9wavefront6targetE1EEEvSG_,"axG",@progbits,_ZN7rocprim17ROCPRIM_400000_NS6detail17trampoline_kernelINS0_14default_configENS1_35radix_sort_onesweep_config_selectorIiiEEZNS1_34radix_sort_onesweep_global_offsetsIS3_Lb1EN6thrust23THRUST_200600_302600_NS6detail15normal_iteratorINS8_10device_ptrIiEEEESD_jNS0_19identity_decomposerEEE10hipError_tT1_T2_PT3_SI_jT4_jjP12ihipStream_tbEUlT_E_NS1_11comp_targetILNS1_3genE9ELNS1_11target_archE1100ELNS1_3gpuE3ELNS1_3repE0EEENS1_52radix_sort_onesweep_histogram_config_static_selectorELNS0_4arch9wavefront6targetE1EEEvSG_,comdat
.Lfunc_end988:
	.size	_ZN7rocprim17ROCPRIM_400000_NS6detail17trampoline_kernelINS0_14default_configENS1_35radix_sort_onesweep_config_selectorIiiEEZNS1_34radix_sort_onesweep_global_offsetsIS3_Lb1EN6thrust23THRUST_200600_302600_NS6detail15normal_iteratorINS8_10device_ptrIiEEEESD_jNS0_19identity_decomposerEEE10hipError_tT1_T2_PT3_SI_jT4_jjP12ihipStream_tbEUlT_E_NS1_11comp_targetILNS1_3genE9ELNS1_11target_archE1100ELNS1_3gpuE3ELNS1_3repE0EEENS1_52radix_sort_onesweep_histogram_config_static_selectorELNS0_4arch9wavefront6targetE1EEEvSG_, .Lfunc_end988-_ZN7rocprim17ROCPRIM_400000_NS6detail17trampoline_kernelINS0_14default_configENS1_35radix_sort_onesweep_config_selectorIiiEEZNS1_34radix_sort_onesweep_global_offsetsIS3_Lb1EN6thrust23THRUST_200600_302600_NS6detail15normal_iteratorINS8_10device_ptrIiEEEESD_jNS0_19identity_decomposerEEE10hipError_tT1_T2_PT3_SI_jT4_jjP12ihipStream_tbEUlT_E_NS1_11comp_targetILNS1_3genE9ELNS1_11target_archE1100ELNS1_3gpuE3ELNS1_3repE0EEENS1_52radix_sort_onesweep_histogram_config_static_selectorELNS0_4arch9wavefront6targetE1EEEvSG_
                                        ; -- End function
	.set _ZN7rocprim17ROCPRIM_400000_NS6detail17trampoline_kernelINS0_14default_configENS1_35radix_sort_onesweep_config_selectorIiiEEZNS1_34radix_sort_onesweep_global_offsetsIS3_Lb1EN6thrust23THRUST_200600_302600_NS6detail15normal_iteratorINS8_10device_ptrIiEEEESD_jNS0_19identity_decomposerEEE10hipError_tT1_T2_PT3_SI_jT4_jjP12ihipStream_tbEUlT_E_NS1_11comp_targetILNS1_3genE9ELNS1_11target_archE1100ELNS1_3gpuE3ELNS1_3repE0EEENS1_52radix_sort_onesweep_histogram_config_static_selectorELNS0_4arch9wavefront6targetE1EEEvSG_.num_vgpr, 0
	.set _ZN7rocprim17ROCPRIM_400000_NS6detail17trampoline_kernelINS0_14default_configENS1_35radix_sort_onesweep_config_selectorIiiEEZNS1_34radix_sort_onesweep_global_offsetsIS3_Lb1EN6thrust23THRUST_200600_302600_NS6detail15normal_iteratorINS8_10device_ptrIiEEEESD_jNS0_19identity_decomposerEEE10hipError_tT1_T2_PT3_SI_jT4_jjP12ihipStream_tbEUlT_E_NS1_11comp_targetILNS1_3genE9ELNS1_11target_archE1100ELNS1_3gpuE3ELNS1_3repE0EEENS1_52radix_sort_onesweep_histogram_config_static_selectorELNS0_4arch9wavefront6targetE1EEEvSG_.num_agpr, 0
	.set _ZN7rocprim17ROCPRIM_400000_NS6detail17trampoline_kernelINS0_14default_configENS1_35radix_sort_onesweep_config_selectorIiiEEZNS1_34radix_sort_onesweep_global_offsetsIS3_Lb1EN6thrust23THRUST_200600_302600_NS6detail15normal_iteratorINS8_10device_ptrIiEEEESD_jNS0_19identity_decomposerEEE10hipError_tT1_T2_PT3_SI_jT4_jjP12ihipStream_tbEUlT_E_NS1_11comp_targetILNS1_3genE9ELNS1_11target_archE1100ELNS1_3gpuE3ELNS1_3repE0EEENS1_52radix_sort_onesweep_histogram_config_static_selectorELNS0_4arch9wavefront6targetE1EEEvSG_.numbered_sgpr, 0
	.set _ZN7rocprim17ROCPRIM_400000_NS6detail17trampoline_kernelINS0_14default_configENS1_35radix_sort_onesweep_config_selectorIiiEEZNS1_34radix_sort_onesweep_global_offsetsIS3_Lb1EN6thrust23THRUST_200600_302600_NS6detail15normal_iteratorINS8_10device_ptrIiEEEESD_jNS0_19identity_decomposerEEE10hipError_tT1_T2_PT3_SI_jT4_jjP12ihipStream_tbEUlT_E_NS1_11comp_targetILNS1_3genE9ELNS1_11target_archE1100ELNS1_3gpuE3ELNS1_3repE0EEENS1_52radix_sort_onesweep_histogram_config_static_selectorELNS0_4arch9wavefront6targetE1EEEvSG_.num_named_barrier, 0
	.set _ZN7rocprim17ROCPRIM_400000_NS6detail17trampoline_kernelINS0_14default_configENS1_35radix_sort_onesweep_config_selectorIiiEEZNS1_34radix_sort_onesweep_global_offsetsIS3_Lb1EN6thrust23THRUST_200600_302600_NS6detail15normal_iteratorINS8_10device_ptrIiEEEESD_jNS0_19identity_decomposerEEE10hipError_tT1_T2_PT3_SI_jT4_jjP12ihipStream_tbEUlT_E_NS1_11comp_targetILNS1_3genE9ELNS1_11target_archE1100ELNS1_3gpuE3ELNS1_3repE0EEENS1_52radix_sort_onesweep_histogram_config_static_selectorELNS0_4arch9wavefront6targetE1EEEvSG_.private_seg_size, 0
	.set _ZN7rocprim17ROCPRIM_400000_NS6detail17trampoline_kernelINS0_14default_configENS1_35radix_sort_onesweep_config_selectorIiiEEZNS1_34radix_sort_onesweep_global_offsetsIS3_Lb1EN6thrust23THRUST_200600_302600_NS6detail15normal_iteratorINS8_10device_ptrIiEEEESD_jNS0_19identity_decomposerEEE10hipError_tT1_T2_PT3_SI_jT4_jjP12ihipStream_tbEUlT_E_NS1_11comp_targetILNS1_3genE9ELNS1_11target_archE1100ELNS1_3gpuE3ELNS1_3repE0EEENS1_52radix_sort_onesweep_histogram_config_static_selectorELNS0_4arch9wavefront6targetE1EEEvSG_.uses_vcc, 0
	.set _ZN7rocprim17ROCPRIM_400000_NS6detail17trampoline_kernelINS0_14default_configENS1_35radix_sort_onesweep_config_selectorIiiEEZNS1_34radix_sort_onesweep_global_offsetsIS3_Lb1EN6thrust23THRUST_200600_302600_NS6detail15normal_iteratorINS8_10device_ptrIiEEEESD_jNS0_19identity_decomposerEEE10hipError_tT1_T2_PT3_SI_jT4_jjP12ihipStream_tbEUlT_E_NS1_11comp_targetILNS1_3genE9ELNS1_11target_archE1100ELNS1_3gpuE3ELNS1_3repE0EEENS1_52radix_sort_onesweep_histogram_config_static_selectorELNS0_4arch9wavefront6targetE1EEEvSG_.uses_flat_scratch, 0
	.set _ZN7rocprim17ROCPRIM_400000_NS6detail17trampoline_kernelINS0_14default_configENS1_35radix_sort_onesweep_config_selectorIiiEEZNS1_34radix_sort_onesweep_global_offsetsIS3_Lb1EN6thrust23THRUST_200600_302600_NS6detail15normal_iteratorINS8_10device_ptrIiEEEESD_jNS0_19identity_decomposerEEE10hipError_tT1_T2_PT3_SI_jT4_jjP12ihipStream_tbEUlT_E_NS1_11comp_targetILNS1_3genE9ELNS1_11target_archE1100ELNS1_3gpuE3ELNS1_3repE0EEENS1_52radix_sort_onesweep_histogram_config_static_selectorELNS0_4arch9wavefront6targetE1EEEvSG_.has_dyn_sized_stack, 0
	.set _ZN7rocprim17ROCPRIM_400000_NS6detail17trampoline_kernelINS0_14default_configENS1_35radix_sort_onesweep_config_selectorIiiEEZNS1_34radix_sort_onesweep_global_offsetsIS3_Lb1EN6thrust23THRUST_200600_302600_NS6detail15normal_iteratorINS8_10device_ptrIiEEEESD_jNS0_19identity_decomposerEEE10hipError_tT1_T2_PT3_SI_jT4_jjP12ihipStream_tbEUlT_E_NS1_11comp_targetILNS1_3genE9ELNS1_11target_archE1100ELNS1_3gpuE3ELNS1_3repE0EEENS1_52radix_sort_onesweep_histogram_config_static_selectorELNS0_4arch9wavefront6targetE1EEEvSG_.has_recursion, 0
	.set _ZN7rocprim17ROCPRIM_400000_NS6detail17trampoline_kernelINS0_14default_configENS1_35radix_sort_onesweep_config_selectorIiiEEZNS1_34radix_sort_onesweep_global_offsetsIS3_Lb1EN6thrust23THRUST_200600_302600_NS6detail15normal_iteratorINS8_10device_ptrIiEEEESD_jNS0_19identity_decomposerEEE10hipError_tT1_T2_PT3_SI_jT4_jjP12ihipStream_tbEUlT_E_NS1_11comp_targetILNS1_3genE9ELNS1_11target_archE1100ELNS1_3gpuE3ELNS1_3repE0EEENS1_52radix_sort_onesweep_histogram_config_static_selectorELNS0_4arch9wavefront6targetE1EEEvSG_.has_indirect_call, 0
	.section	.AMDGPU.csdata,"",@progbits
; Kernel info:
; codeLenInByte = 0
; TotalNumSgprs: 6
; NumVgprs: 0
; NumAgprs: 0
; TotalNumVgprs: 0
; ScratchSize: 0
; MemoryBound: 0
; FloatMode: 240
; IeeeMode: 1
; LDSByteSize: 0 bytes/workgroup (compile time only)
; SGPRBlocks: 0
; VGPRBlocks: 0
; NumSGPRsForWavesPerEU: 6
; NumVGPRsForWavesPerEU: 1
; AccumOffset: 4
; Occupancy: 8
; WaveLimiterHint : 0
; COMPUTE_PGM_RSRC2:SCRATCH_EN: 0
; COMPUTE_PGM_RSRC2:USER_SGPR: 2
; COMPUTE_PGM_RSRC2:TRAP_HANDLER: 0
; COMPUTE_PGM_RSRC2:TGID_X_EN: 1
; COMPUTE_PGM_RSRC2:TGID_Y_EN: 0
; COMPUTE_PGM_RSRC2:TGID_Z_EN: 0
; COMPUTE_PGM_RSRC2:TIDIG_COMP_CNT: 0
; COMPUTE_PGM_RSRC3_GFX90A:ACCUM_OFFSET: 0
; COMPUTE_PGM_RSRC3_GFX90A:TG_SPLIT: 0
	.section	.text._ZN7rocprim17ROCPRIM_400000_NS6detail17trampoline_kernelINS0_14default_configENS1_35radix_sort_onesweep_config_selectorIiiEEZNS1_34radix_sort_onesweep_global_offsetsIS3_Lb1EN6thrust23THRUST_200600_302600_NS6detail15normal_iteratorINS8_10device_ptrIiEEEESD_jNS0_19identity_decomposerEEE10hipError_tT1_T2_PT3_SI_jT4_jjP12ihipStream_tbEUlT_E_NS1_11comp_targetILNS1_3genE8ELNS1_11target_archE1030ELNS1_3gpuE2ELNS1_3repE0EEENS1_52radix_sort_onesweep_histogram_config_static_selectorELNS0_4arch9wavefront6targetE1EEEvSG_,"axG",@progbits,_ZN7rocprim17ROCPRIM_400000_NS6detail17trampoline_kernelINS0_14default_configENS1_35radix_sort_onesweep_config_selectorIiiEEZNS1_34radix_sort_onesweep_global_offsetsIS3_Lb1EN6thrust23THRUST_200600_302600_NS6detail15normal_iteratorINS8_10device_ptrIiEEEESD_jNS0_19identity_decomposerEEE10hipError_tT1_T2_PT3_SI_jT4_jjP12ihipStream_tbEUlT_E_NS1_11comp_targetILNS1_3genE8ELNS1_11target_archE1030ELNS1_3gpuE2ELNS1_3repE0EEENS1_52radix_sort_onesweep_histogram_config_static_selectorELNS0_4arch9wavefront6targetE1EEEvSG_,comdat
	.protected	_ZN7rocprim17ROCPRIM_400000_NS6detail17trampoline_kernelINS0_14default_configENS1_35radix_sort_onesweep_config_selectorIiiEEZNS1_34radix_sort_onesweep_global_offsetsIS3_Lb1EN6thrust23THRUST_200600_302600_NS6detail15normal_iteratorINS8_10device_ptrIiEEEESD_jNS0_19identity_decomposerEEE10hipError_tT1_T2_PT3_SI_jT4_jjP12ihipStream_tbEUlT_E_NS1_11comp_targetILNS1_3genE8ELNS1_11target_archE1030ELNS1_3gpuE2ELNS1_3repE0EEENS1_52radix_sort_onesweep_histogram_config_static_selectorELNS0_4arch9wavefront6targetE1EEEvSG_ ; -- Begin function _ZN7rocprim17ROCPRIM_400000_NS6detail17trampoline_kernelINS0_14default_configENS1_35radix_sort_onesweep_config_selectorIiiEEZNS1_34radix_sort_onesweep_global_offsetsIS3_Lb1EN6thrust23THRUST_200600_302600_NS6detail15normal_iteratorINS8_10device_ptrIiEEEESD_jNS0_19identity_decomposerEEE10hipError_tT1_T2_PT3_SI_jT4_jjP12ihipStream_tbEUlT_E_NS1_11comp_targetILNS1_3genE8ELNS1_11target_archE1030ELNS1_3gpuE2ELNS1_3repE0EEENS1_52radix_sort_onesweep_histogram_config_static_selectorELNS0_4arch9wavefront6targetE1EEEvSG_
	.globl	_ZN7rocprim17ROCPRIM_400000_NS6detail17trampoline_kernelINS0_14default_configENS1_35radix_sort_onesweep_config_selectorIiiEEZNS1_34radix_sort_onesweep_global_offsetsIS3_Lb1EN6thrust23THRUST_200600_302600_NS6detail15normal_iteratorINS8_10device_ptrIiEEEESD_jNS0_19identity_decomposerEEE10hipError_tT1_T2_PT3_SI_jT4_jjP12ihipStream_tbEUlT_E_NS1_11comp_targetILNS1_3genE8ELNS1_11target_archE1030ELNS1_3gpuE2ELNS1_3repE0EEENS1_52radix_sort_onesweep_histogram_config_static_selectorELNS0_4arch9wavefront6targetE1EEEvSG_
	.p2align	8
	.type	_ZN7rocprim17ROCPRIM_400000_NS6detail17trampoline_kernelINS0_14default_configENS1_35radix_sort_onesweep_config_selectorIiiEEZNS1_34radix_sort_onesweep_global_offsetsIS3_Lb1EN6thrust23THRUST_200600_302600_NS6detail15normal_iteratorINS8_10device_ptrIiEEEESD_jNS0_19identity_decomposerEEE10hipError_tT1_T2_PT3_SI_jT4_jjP12ihipStream_tbEUlT_E_NS1_11comp_targetILNS1_3genE8ELNS1_11target_archE1030ELNS1_3gpuE2ELNS1_3repE0EEENS1_52radix_sort_onesweep_histogram_config_static_selectorELNS0_4arch9wavefront6targetE1EEEvSG_,@function
_ZN7rocprim17ROCPRIM_400000_NS6detail17trampoline_kernelINS0_14default_configENS1_35radix_sort_onesweep_config_selectorIiiEEZNS1_34radix_sort_onesweep_global_offsetsIS3_Lb1EN6thrust23THRUST_200600_302600_NS6detail15normal_iteratorINS8_10device_ptrIiEEEESD_jNS0_19identity_decomposerEEE10hipError_tT1_T2_PT3_SI_jT4_jjP12ihipStream_tbEUlT_E_NS1_11comp_targetILNS1_3genE8ELNS1_11target_archE1030ELNS1_3gpuE2ELNS1_3repE0EEENS1_52radix_sort_onesweep_histogram_config_static_selectorELNS0_4arch9wavefront6targetE1EEEvSG_: ; @_ZN7rocprim17ROCPRIM_400000_NS6detail17trampoline_kernelINS0_14default_configENS1_35radix_sort_onesweep_config_selectorIiiEEZNS1_34radix_sort_onesweep_global_offsetsIS3_Lb1EN6thrust23THRUST_200600_302600_NS6detail15normal_iteratorINS8_10device_ptrIiEEEESD_jNS0_19identity_decomposerEEE10hipError_tT1_T2_PT3_SI_jT4_jjP12ihipStream_tbEUlT_E_NS1_11comp_targetILNS1_3genE8ELNS1_11target_archE1030ELNS1_3gpuE2ELNS1_3repE0EEENS1_52radix_sort_onesweep_histogram_config_static_selectorELNS0_4arch9wavefront6targetE1EEEvSG_
; %bb.0:
	.section	.rodata,"a",@progbits
	.p2align	6, 0x0
	.amdhsa_kernel _ZN7rocprim17ROCPRIM_400000_NS6detail17trampoline_kernelINS0_14default_configENS1_35radix_sort_onesweep_config_selectorIiiEEZNS1_34radix_sort_onesweep_global_offsetsIS3_Lb1EN6thrust23THRUST_200600_302600_NS6detail15normal_iteratorINS8_10device_ptrIiEEEESD_jNS0_19identity_decomposerEEE10hipError_tT1_T2_PT3_SI_jT4_jjP12ihipStream_tbEUlT_E_NS1_11comp_targetILNS1_3genE8ELNS1_11target_archE1030ELNS1_3gpuE2ELNS1_3repE0EEENS1_52radix_sort_onesweep_histogram_config_static_selectorELNS0_4arch9wavefront6targetE1EEEvSG_
		.amdhsa_group_segment_fixed_size 0
		.amdhsa_private_segment_fixed_size 0
		.amdhsa_kernarg_size 40
		.amdhsa_user_sgpr_count 2
		.amdhsa_user_sgpr_dispatch_ptr 0
		.amdhsa_user_sgpr_queue_ptr 0
		.amdhsa_user_sgpr_kernarg_segment_ptr 1
		.amdhsa_user_sgpr_dispatch_id 0
		.amdhsa_user_sgpr_kernarg_preload_length 0
		.amdhsa_user_sgpr_kernarg_preload_offset 0
		.amdhsa_user_sgpr_private_segment_size 0
		.amdhsa_uses_dynamic_stack 0
		.amdhsa_enable_private_segment 0
		.amdhsa_system_sgpr_workgroup_id_x 1
		.amdhsa_system_sgpr_workgroup_id_y 0
		.amdhsa_system_sgpr_workgroup_id_z 0
		.amdhsa_system_sgpr_workgroup_info 0
		.amdhsa_system_vgpr_workitem_id 0
		.amdhsa_next_free_vgpr 1
		.amdhsa_next_free_sgpr 0
		.amdhsa_accum_offset 4
		.amdhsa_reserve_vcc 0
		.amdhsa_float_round_mode_32 0
		.amdhsa_float_round_mode_16_64 0
		.amdhsa_float_denorm_mode_32 3
		.amdhsa_float_denorm_mode_16_64 3
		.amdhsa_dx10_clamp 1
		.amdhsa_ieee_mode 1
		.amdhsa_fp16_overflow 0
		.amdhsa_tg_split 0
		.amdhsa_exception_fp_ieee_invalid_op 0
		.amdhsa_exception_fp_denorm_src 0
		.amdhsa_exception_fp_ieee_div_zero 0
		.amdhsa_exception_fp_ieee_overflow 0
		.amdhsa_exception_fp_ieee_underflow 0
		.amdhsa_exception_fp_ieee_inexact 0
		.amdhsa_exception_int_div_zero 0
	.end_amdhsa_kernel
	.section	.text._ZN7rocprim17ROCPRIM_400000_NS6detail17trampoline_kernelINS0_14default_configENS1_35radix_sort_onesweep_config_selectorIiiEEZNS1_34radix_sort_onesweep_global_offsetsIS3_Lb1EN6thrust23THRUST_200600_302600_NS6detail15normal_iteratorINS8_10device_ptrIiEEEESD_jNS0_19identity_decomposerEEE10hipError_tT1_T2_PT3_SI_jT4_jjP12ihipStream_tbEUlT_E_NS1_11comp_targetILNS1_3genE8ELNS1_11target_archE1030ELNS1_3gpuE2ELNS1_3repE0EEENS1_52radix_sort_onesweep_histogram_config_static_selectorELNS0_4arch9wavefront6targetE1EEEvSG_,"axG",@progbits,_ZN7rocprim17ROCPRIM_400000_NS6detail17trampoline_kernelINS0_14default_configENS1_35radix_sort_onesweep_config_selectorIiiEEZNS1_34radix_sort_onesweep_global_offsetsIS3_Lb1EN6thrust23THRUST_200600_302600_NS6detail15normal_iteratorINS8_10device_ptrIiEEEESD_jNS0_19identity_decomposerEEE10hipError_tT1_T2_PT3_SI_jT4_jjP12ihipStream_tbEUlT_E_NS1_11comp_targetILNS1_3genE8ELNS1_11target_archE1030ELNS1_3gpuE2ELNS1_3repE0EEENS1_52radix_sort_onesweep_histogram_config_static_selectorELNS0_4arch9wavefront6targetE1EEEvSG_,comdat
.Lfunc_end989:
	.size	_ZN7rocprim17ROCPRIM_400000_NS6detail17trampoline_kernelINS0_14default_configENS1_35radix_sort_onesweep_config_selectorIiiEEZNS1_34radix_sort_onesweep_global_offsetsIS3_Lb1EN6thrust23THRUST_200600_302600_NS6detail15normal_iteratorINS8_10device_ptrIiEEEESD_jNS0_19identity_decomposerEEE10hipError_tT1_T2_PT3_SI_jT4_jjP12ihipStream_tbEUlT_E_NS1_11comp_targetILNS1_3genE8ELNS1_11target_archE1030ELNS1_3gpuE2ELNS1_3repE0EEENS1_52radix_sort_onesweep_histogram_config_static_selectorELNS0_4arch9wavefront6targetE1EEEvSG_, .Lfunc_end989-_ZN7rocprim17ROCPRIM_400000_NS6detail17trampoline_kernelINS0_14default_configENS1_35radix_sort_onesweep_config_selectorIiiEEZNS1_34radix_sort_onesweep_global_offsetsIS3_Lb1EN6thrust23THRUST_200600_302600_NS6detail15normal_iteratorINS8_10device_ptrIiEEEESD_jNS0_19identity_decomposerEEE10hipError_tT1_T2_PT3_SI_jT4_jjP12ihipStream_tbEUlT_E_NS1_11comp_targetILNS1_3genE8ELNS1_11target_archE1030ELNS1_3gpuE2ELNS1_3repE0EEENS1_52radix_sort_onesweep_histogram_config_static_selectorELNS0_4arch9wavefront6targetE1EEEvSG_
                                        ; -- End function
	.set _ZN7rocprim17ROCPRIM_400000_NS6detail17trampoline_kernelINS0_14default_configENS1_35radix_sort_onesweep_config_selectorIiiEEZNS1_34radix_sort_onesweep_global_offsetsIS3_Lb1EN6thrust23THRUST_200600_302600_NS6detail15normal_iteratorINS8_10device_ptrIiEEEESD_jNS0_19identity_decomposerEEE10hipError_tT1_T2_PT3_SI_jT4_jjP12ihipStream_tbEUlT_E_NS1_11comp_targetILNS1_3genE8ELNS1_11target_archE1030ELNS1_3gpuE2ELNS1_3repE0EEENS1_52radix_sort_onesweep_histogram_config_static_selectorELNS0_4arch9wavefront6targetE1EEEvSG_.num_vgpr, 0
	.set _ZN7rocprim17ROCPRIM_400000_NS6detail17trampoline_kernelINS0_14default_configENS1_35radix_sort_onesweep_config_selectorIiiEEZNS1_34radix_sort_onesweep_global_offsetsIS3_Lb1EN6thrust23THRUST_200600_302600_NS6detail15normal_iteratorINS8_10device_ptrIiEEEESD_jNS0_19identity_decomposerEEE10hipError_tT1_T2_PT3_SI_jT4_jjP12ihipStream_tbEUlT_E_NS1_11comp_targetILNS1_3genE8ELNS1_11target_archE1030ELNS1_3gpuE2ELNS1_3repE0EEENS1_52radix_sort_onesweep_histogram_config_static_selectorELNS0_4arch9wavefront6targetE1EEEvSG_.num_agpr, 0
	.set _ZN7rocprim17ROCPRIM_400000_NS6detail17trampoline_kernelINS0_14default_configENS1_35radix_sort_onesweep_config_selectorIiiEEZNS1_34radix_sort_onesweep_global_offsetsIS3_Lb1EN6thrust23THRUST_200600_302600_NS6detail15normal_iteratorINS8_10device_ptrIiEEEESD_jNS0_19identity_decomposerEEE10hipError_tT1_T2_PT3_SI_jT4_jjP12ihipStream_tbEUlT_E_NS1_11comp_targetILNS1_3genE8ELNS1_11target_archE1030ELNS1_3gpuE2ELNS1_3repE0EEENS1_52radix_sort_onesweep_histogram_config_static_selectorELNS0_4arch9wavefront6targetE1EEEvSG_.numbered_sgpr, 0
	.set _ZN7rocprim17ROCPRIM_400000_NS6detail17trampoline_kernelINS0_14default_configENS1_35radix_sort_onesweep_config_selectorIiiEEZNS1_34radix_sort_onesweep_global_offsetsIS3_Lb1EN6thrust23THRUST_200600_302600_NS6detail15normal_iteratorINS8_10device_ptrIiEEEESD_jNS0_19identity_decomposerEEE10hipError_tT1_T2_PT3_SI_jT4_jjP12ihipStream_tbEUlT_E_NS1_11comp_targetILNS1_3genE8ELNS1_11target_archE1030ELNS1_3gpuE2ELNS1_3repE0EEENS1_52radix_sort_onesweep_histogram_config_static_selectorELNS0_4arch9wavefront6targetE1EEEvSG_.num_named_barrier, 0
	.set _ZN7rocprim17ROCPRIM_400000_NS6detail17trampoline_kernelINS0_14default_configENS1_35radix_sort_onesweep_config_selectorIiiEEZNS1_34radix_sort_onesweep_global_offsetsIS3_Lb1EN6thrust23THRUST_200600_302600_NS6detail15normal_iteratorINS8_10device_ptrIiEEEESD_jNS0_19identity_decomposerEEE10hipError_tT1_T2_PT3_SI_jT4_jjP12ihipStream_tbEUlT_E_NS1_11comp_targetILNS1_3genE8ELNS1_11target_archE1030ELNS1_3gpuE2ELNS1_3repE0EEENS1_52radix_sort_onesweep_histogram_config_static_selectorELNS0_4arch9wavefront6targetE1EEEvSG_.private_seg_size, 0
	.set _ZN7rocprim17ROCPRIM_400000_NS6detail17trampoline_kernelINS0_14default_configENS1_35radix_sort_onesweep_config_selectorIiiEEZNS1_34radix_sort_onesweep_global_offsetsIS3_Lb1EN6thrust23THRUST_200600_302600_NS6detail15normal_iteratorINS8_10device_ptrIiEEEESD_jNS0_19identity_decomposerEEE10hipError_tT1_T2_PT3_SI_jT4_jjP12ihipStream_tbEUlT_E_NS1_11comp_targetILNS1_3genE8ELNS1_11target_archE1030ELNS1_3gpuE2ELNS1_3repE0EEENS1_52radix_sort_onesweep_histogram_config_static_selectorELNS0_4arch9wavefront6targetE1EEEvSG_.uses_vcc, 0
	.set _ZN7rocprim17ROCPRIM_400000_NS6detail17trampoline_kernelINS0_14default_configENS1_35radix_sort_onesweep_config_selectorIiiEEZNS1_34radix_sort_onesweep_global_offsetsIS3_Lb1EN6thrust23THRUST_200600_302600_NS6detail15normal_iteratorINS8_10device_ptrIiEEEESD_jNS0_19identity_decomposerEEE10hipError_tT1_T2_PT3_SI_jT4_jjP12ihipStream_tbEUlT_E_NS1_11comp_targetILNS1_3genE8ELNS1_11target_archE1030ELNS1_3gpuE2ELNS1_3repE0EEENS1_52radix_sort_onesweep_histogram_config_static_selectorELNS0_4arch9wavefront6targetE1EEEvSG_.uses_flat_scratch, 0
	.set _ZN7rocprim17ROCPRIM_400000_NS6detail17trampoline_kernelINS0_14default_configENS1_35radix_sort_onesweep_config_selectorIiiEEZNS1_34radix_sort_onesweep_global_offsetsIS3_Lb1EN6thrust23THRUST_200600_302600_NS6detail15normal_iteratorINS8_10device_ptrIiEEEESD_jNS0_19identity_decomposerEEE10hipError_tT1_T2_PT3_SI_jT4_jjP12ihipStream_tbEUlT_E_NS1_11comp_targetILNS1_3genE8ELNS1_11target_archE1030ELNS1_3gpuE2ELNS1_3repE0EEENS1_52radix_sort_onesweep_histogram_config_static_selectorELNS0_4arch9wavefront6targetE1EEEvSG_.has_dyn_sized_stack, 0
	.set _ZN7rocprim17ROCPRIM_400000_NS6detail17trampoline_kernelINS0_14default_configENS1_35radix_sort_onesweep_config_selectorIiiEEZNS1_34radix_sort_onesweep_global_offsetsIS3_Lb1EN6thrust23THRUST_200600_302600_NS6detail15normal_iteratorINS8_10device_ptrIiEEEESD_jNS0_19identity_decomposerEEE10hipError_tT1_T2_PT3_SI_jT4_jjP12ihipStream_tbEUlT_E_NS1_11comp_targetILNS1_3genE8ELNS1_11target_archE1030ELNS1_3gpuE2ELNS1_3repE0EEENS1_52radix_sort_onesweep_histogram_config_static_selectorELNS0_4arch9wavefront6targetE1EEEvSG_.has_recursion, 0
	.set _ZN7rocprim17ROCPRIM_400000_NS6detail17trampoline_kernelINS0_14default_configENS1_35radix_sort_onesweep_config_selectorIiiEEZNS1_34radix_sort_onesweep_global_offsetsIS3_Lb1EN6thrust23THRUST_200600_302600_NS6detail15normal_iteratorINS8_10device_ptrIiEEEESD_jNS0_19identity_decomposerEEE10hipError_tT1_T2_PT3_SI_jT4_jjP12ihipStream_tbEUlT_E_NS1_11comp_targetILNS1_3genE8ELNS1_11target_archE1030ELNS1_3gpuE2ELNS1_3repE0EEENS1_52radix_sort_onesweep_histogram_config_static_selectorELNS0_4arch9wavefront6targetE1EEEvSG_.has_indirect_call, 0
	.section	.AMDGPU.csdata,"",@progbits
; Kernel info:
; codeLenInByte = 0
; TotalNumSgprs: 6
; NumVgprs: 0
; NumAgprs: 0
; TotalNumVgprs: 0
; ScratchSize: 0
; MemoryBound: 0
; FloatMode: 240
; IeeeMode: 1
; LDSByteSize: 0 bytes/workgroup (compile time only)
; SGPRBlocks: 0
; VGPRBlocks: 0
; NumSGPRsForWavesPerEU: 6
; NumVGPRsForWavesPerEU: 1
; AccumOffset: 4
; Occupancy: 8
; WaveLimiterHint : 0
; COMPUTE_PGM_RSRC2:SCRATCH_EN: 0
; COMPUTE_PGM_RSRC2:USER_SGPR: 2
; COMPUTE_PGM_RSRC2:TRAP_HANDLER: 0
; COMPUTE_PGM_RSRC2:TGID_X_EN: 1
; COMPUTE_PGM_RSRC2:TGID_Y_EN: 0
; COMPUTE_PGM_RSRC2:TGID_Z_EN: 0
; COMPUTE_PGM_RSRC2:TIDIG_COMP_CNT: 0
; COMPUTE_PGM_RSRC3_GFX90A:ACCUM_OFFSET: 0
; COMPUTE_PGM_RSRC3_GFX90A:TG_SPLIT: 0
	.section	.text._ZN7rocprim17ROCPRIM_400000_NS6detail17trampoline_kernelINS0_14default_configENS1_35radix_sort_onesweep_config_selectorIiiEEZNS1_34radix_sort_onesweep_global_offsetsIS3_Lb1EN6thrust23THRUST_200600_302600_NS6detail15normal_iteratorINS8_10device_ptrIiEEEESD_jNS0_19identity_decomposerEEE10hipError_tT1_T2_PT3_SI_jT4_jjP12ihipStream_tbEUlT_E0_NS1_11comp_targetILNS1_3genE0ELNS1_11target_archE4294967295ELNS1_3gpuE0ELNS1_3repE0EEENS1_52radix_sort_onesweep_histogram_config_static_selectorELNS0_4arch9wavefront6targetE1EEEvSG_,"axG",@progbits,_ZN7rocprim17ROCPRIM_400000_NS6detail17trampoline_kernelINS0_14default_configENS1_35radix_sort_onesweep_config_selectorIiiEEZNS1_34radix_sort_onesweep_global_offsetsIS3_Lb1EN6thrust23THRUST_200600_302600_NS6detail15normal_iteratorINS8_10device_ptrIiEEEESD_jNS0_19identity_decomposerEEE10hipError_tT1_T2_PT3_SI_jT4_jjP12ihipStream_tbEUlT_E0_NS1_11comp_targetILNS1_3genE0ELNS1_11target_archE4294967295ELNS1_3gpuE0ELNS1_3repE0EEENS1_52radix_sort_onesweep_histogram_config_static_selectorELNS0_4arch9wavefront6targetE1EEEvSG_,comdat
	.protected	_ZN7rocprim17ROCPRIM_400000_NS6detail17trampoline_kernelINS0_14default_configENS1_35radix_sort_onesweep_config_selectorIiiEEZNS1_34radix_sort_onesweep_global_offsetsIS3_Lb1EN6thrust23THRUST_200600_302600_NS6detail15normal_iteratorINS8_10device_ptrIiEEEESD_jNS0_19identity_decomposerEEE10hipError_tT1_T2_PT3_SI_jT4_jjP12ihipStream_tbEUlT_E0_NS1_11comp_targetILNS1_3genE0ELNS1_11target_archE4294967295ELNS1_3gpuE0ELNS1_3repE0EEENS1_52radix_sort_onesweep_histogram_config_static_selectorELNS0_4arch9wavefront6targetE1EEEvSG_ ; -- Begin function _ZN7rocprim17ROCPRIM_400000_NS6detail17trampoline_kernelINS0_14default_configENS1_35radix_sort_onesweep_config_selectorIiiEEZNS1_34radix_sort_onesweep_global_offsetsIS3_Lb1EN6thrust23THRUST_200600_302600_NS6detail15normal_iteratorINS8_10device_ptrIiEEEESD_jNS0_19identity_decomposerEEE10hipError_tT1_T2_PT3_SI_jT4_jjP12ihipStream_tbEUlT_E0_NS1_11comp_targetILNS1_3genE0ELNS1_11target_archE4294967295ELNS1_3gpuE0ELNS1_3repE0EEENS1_52radix_sort_onesweep_histogram_config_static_selectorELNS0_4arch9wavefront6targetE1EEEvSG_
	.globl	_ZN7rocprim17ROCPRIM_400000_NS6detail17trampoline_kernelINS0_14default_configENS1_35radix_sort_onesweep_config_selectorIiiEEZNS1_34radix_sort_onesweep_global_offsetsIS3_Lb1EN6thrust23THRUST_200600_302600_NS6detail15normal_iteratorINS8_10device_ptrIiEEEESD_jNS0_19identity_decomposerEEE10hipError_tT1_T2_PT3_SI_jT4_jjP12ihipStream_tbEUlT_E0_NS1_11comp_targetILNS1_3genE0ELNS1_11target_archE4294967295ELNS1_3gpuE0ELNS1_3repE0EEENS1_52radix_sort_onesweep_histogram_config_static_selectorELNS0_4arch9wavefront6targetE1EEEvSG_
	.p2align	8
	.type	_ZN7rocprim17ROCPRIM_400000_NS6detail17trampoline_kernelINS0_14default_configENS1_35radix_sort_onesweep_config_selectorIiiEEZNS1_34radix_sort_onesweep_global_offsetsIS3_Lb1EN6thrust23THRUST_200600_302600_NS6detail15normal_iteratorINS8_10device_ptrIiEEEESD_jNS0_19identity_decomposerEEE10hipError_tT1_T2_PT3_SI_jT4_jjP12ihipStream_tbEUlT_E0_NS1_11comp_targetILNS1_3genE0ELNS1_11target_archE4294967295ELNS1_3gpuE0ELNS1_3repE0EEENS1_52radix_sort_onesweep_histogram_config_static_selectorELNS0_4arch9wavefront6targetE1EEEvSG_,@function
_ZN7rocprim17ROCPRIM_400000_NS6detail17trampoline_kernelINS0_14default_configENS1_35radix_sort_onesweep_config_selectorIiiEEZNS1_34radix_sort_onesweep_global_offsetsIS3_Lb1EN6thrust23THRUST_200600_302600_NS6detail15normal_iteratorINS8_10device_ptrIiEEEESD_jNS0_19identity_decomposerEEE10hipError_tT1_T2_PT3_SI_jT4_jjP12ihipStream_tbEUlT_E0_NS1_11comp_targetILNS1_3genE0ELNS1_11target_archE4294967295ELNS1_3gpuE0ELNS1_3repE0EEENS1_52radix_sort_onesweep_histogram_config_static_selectorELNS0_4arch9wavefront6targetE1EEEvSG_: ; @_ZN7rocprim17ROCPRIM_400000_NS6detail17trampoline_kernelINS0_14default_configENS1_35radix_sort_onesweep_config_selectorIiiEEZNS1_34radix_sort_onesweep_global_offsetsIS3_Lb1EN6thrust23THRUST_200600_302600_NS6detail15normal_iteratorINS8_10device_ptrIiEEEESD_jNS0_19identity_decomposerEEE10hipError_tT1_T2_PT3_SI_jT4_jjP12ihipStream_tbEUlT_E0_NS1_11comp_targetILNS1_3genE0ELNS1_11target_archE4294967295ELNS1_3gpuE0ELNS1_3repE0EEENS1_52radix_sort_onesweep_histogram_config_static_selectorELNS0_4arch9wavefront6targetE1EEEvSG_
; %bb.0:
	.section	.rodata,"a",@progbits
	.p2align	6, 0x0
	.amdhsa_kernel _ZN7rocprim17ROCPRIM_400000_NS6detail17trampoline_kernelINS0_14default_configENS1_35radix_sort_onesweep_config_selectorIiiEEZNS1_34radix_sort_onesweep_global_offsetsIS3_Lb1EN6thrust23THRUST_200600_302600_NS6detail15normal_iteratorINS8_10device_ptrIiEEEESD_jNS0_19identity_decomposerEEE10hipError_tT1_T2_PT3_SI_jT4_jjP12ihipStream_tbEUlT_E0_NS1_11comp_targetILNS1_3genE0ELNS1_11target_archE4294967295ELNS1_3gpuE0ELNS1_3repE0EEENS1_52radix_sort_onesweep_histogram_config_static_selectorELNS0_4arch9wavefront6targetE1EEEvSG_
		.amdhsa_group_segment_fixed_size 0
		.amdhsa_private_segment_fixed_size 0
		.amdhsa_kernarg_size 8
		.amdhsa_user_sgpr_count 2
		.amdhsa_user_sgpr_dispatch_ptr 0
		.amdhsa_user_sgpr_queue_ptr 0
		.amdhsa_user_sgpr_kernarg_segment_ptr 1
		.amdhsa_user_sgpr_dispatch_id 0
		.amdhsa_user_sgpr_kernarg_preload_length 0
		.amdhsa_user_sgpr_kernarg_preload_offset 0
		.amdhsa_user_sgpr_private_segment_size 0
		.amdhsa_uses_dynamic_stack 0
		.amdhsa_enable_private_segment 0
		.amdhsa_system_sgpr_workgroup_id_x 1
		.amdhsa_system_sgpr_workgroup_id_y 0
		.amdhsa_system_sgpr_workgroup_id_z 0
		.amdhsa_system_sgpr_workgroup_info 0
		.amdhsa_system_vgpr_workitem_id 0
		.amdhsa_next_free_vgpr 1
		.amdhsa_next_free_sgpr 0
		.amdhsa_accum_offset 4
		.amdhsa_reserve_vcc 0
		.amdhsa_float_round_mode_32 0
		.amdhsa_float_round_mode_16_64 0
		.amdhsa_float_denorm_mode_32 3
		.amdhsa_float_denorm_mode_16_64 3
		.amdhsa_dx10_clamp 1
		.amdhsa_ieee_mode 1
		.amdhsa_fp16_overflow 0
		.amdhsa_tg_split 0
		.amdhsa_exception_fp_ieee_invalid_op 0
		.amdhsa_exception_fp_denorm_src 0
		.amdhsa_exception_fp_ieee_div_zero 0
		.amdhsa_exception_fp_ieee_overflow 0
		.amdhsa_exception_fp_ieee_underflow 0
		.amdhsa_exception_fp_ieee_inexact 0
		.amdhsa_exception_int_div_zero 0
	.end_amdhsa_kernel
	.section	.text._ZN7rocprim17ROCPRIM_400000_NS6detail17trampoline_kernelINS0_14default_configENS1_35radix_sort_onesweep_config_selectorIiiEEZNS1_34radix_sort_onesweep_global_offsetsIS3_Lb1EN6thrust23THRUST_200600_302600_NS6detail15normal_iteratorINS8_10device_ptrIiEEEESD_jNS0_19identity_decomposerEEE10hipError_tT1_T2_PT3_SI_jT4_jjP12ihipStream_tbEUlT_E0_NS1_11comp_targetILNS1_3genE0ELNS1_11target_archE4294967295ELNS1_3gpuE0ELNS1_3repE0EEENS1_52radix_sort_onesweep_histogram_config_static_selectorELNS0_4arch9wavefront6targetE1EEEvSG_,"axG",@progbits,_ZN7rocprim17ROCPRIM_400000_NS6detail17trampoline_kernelINS0_14default_configENS1_35radix_sort_onesweep_config_selectorIiiEEZNS1_34radix_sort_onesweep_global_offsetsIS3_Lb1EN6thrust23THRUST_200600_302600_NS6detail15normal_iteratorINS8_10device_ptrIiEEEESD_jNS0_19identity_decomposerEEE10hipError_tT1_T2_PT3_SI_jT4_jjP12ihipStream_tbEUlT_E0_NS1_11comp_targetILNS1_3genE0ELNS1_11target_archE4294967295ELNS1_3gpuE0ELNS1_3repE0EEENS1_52radix_sort_onesweep_histogram_config_static_selectorELNS0_4arch9wavefront6targetE1EEEvSG_,comdat
.Lfunc_end990:
	.size	_ZN7rocprim17ROCPRIM_400000_NS6detail17trampoline_kernelINS0_14default_configENS1_35radix_sort_onesweep_config_selectorIiiEEZNS1_34radix_sort_onesweep_global_offsetsIS3_Lb1EN6thrust23THRUST_200600_302600_NS6detail15normal_iteratorINS8_10device_ptrIiEEEESD_jNS0_19identity_decomposerEEE10hipError_tT1_T2_PT3_SI_jT4_jjP12ihipStream_tbEUlT_E0_NS1_11comp_targetILNS1_3genE0ELNS1_11target_archE4294967295ELNS1_3gpuE0ELNS1_3repE0EEENS1_52radix_sort_onesweep_histogram_config_static_selectorELNS0_4arch9wavefront6targetE1EEEvSG_, .Lfunc_end990-_ZN7rocprim17ROCPRIM_400000_NS6detail17trampoline_kernelINS0_14default_configENS1_35radix_sort_onesweep_config_selectorIiiEEZNS1_34radix_sort_onesweep_global_offsetsIS3_Lb1EN6thrust23THRUST_200600_302600_NS6detail15normal_iteratorINS8_10device_ptrIiEEEESD_jNS0_19identity_decomposerEEE10hipError_tT1_T2_PT3_SI_jT4_jjP12ihipStream_tbEUlT_E0_NS1_11comp_targetILNS1_3genE0ELNS1_11target_archE4294967295ELNS1_3gpuE0ELNS1_3repE0EEENS1_52radix_sort_onesweep_histogram_config_static_selectorELNS0_4arch9wavefront6targetE1EEEvSG_
                                        ; -- End function
	.set _ZN7rocprim17ROCPRIM_400000_NS6detail17trampoline_kernelINS0_14default_configENS1_35radix_sort_onesweep_config_selectorIiiEEZNS1_34radix_sort_onesweep_global_offsetsIS3_Lb1EN6thrust23THRUST_200600_302600_NS6detail15normal_iteratorINS8_10device_ptrIiEEEESD_jNS0_19identity_decomposerEEE10hipError_tT1_T2_PT3_SI_jT4_jjP12ihipStream_tbEUlT_E0_NS1_11comp_targetILNS1_3genE0ELNS1_11target_archE4294967295ELNS1_3gpuE0ELNS1_3repE0EEENS1_52radix_sort_onesweep_histogram_config_static_selectorELNS0_4arch9wavefront6targetE1EEEvSG_.num_vgpr, 0
	.set _ZN7rocprim17ROCPRIM_400000_NS6detail17trampoline_kernelINS0_14default_configENS1_35radix_sort_onesweep_config_selectorIiiEEZNS1_34radix_sort_onesweep_global_offsetsIS3_Lb1EN6thrust23THRUST_200600_302600_NS6detail15normal_iteratorINS8_10device_ptrIiEEEESD_jNS0_19identity_decomposerEEE10hipError_tT1_T2_PT3_SI_jT4_jjP12ihipStream_tbEUlT_E0_NS1_11comp_targetILNS1_3genE0ELNS1_11target_archE4294967295ELNS1_3gpuE0ELNS1_3repE0EEENS1_52radix_sort_onesweep_histogram_config_static_selectorELNS0_4arch9wavefront6targetE1EEEvSG_.num_agpr, 0
	.set _ZN7rocprim17ROCPRIM_400000_NS6detail17trampoline_kernelINS0_14default_configENS1_35radix_sort_onesweep_config_selectorIiiEEZNS1_34radix_sort_onesweep_global_offsetsIS3_Lb1EN6thrust23THRUST_200600_302600_NS6detail15normal_iteratorINS8_10device_ptrIiEEEESD_jNS0_19identity_decomposerEEE10hipError_tT1_T2_PT3_SI_jT4_jjP12ihipStream_tbEUlT_E0_NS1_11comp_targetILNS1_3genE0ELNS1_11target_archE4294967295ELNS1_3gpuE0ELNS1_3repE0EEENS1_52radix_sort_onesweep_histogram_config_static_selectorELNS0_4arch9wavefront6targetE1EEEvSG_.numbered_sgpr, 0
	.set _ZN7rocprim17ROCPRIM_400000_NS6detail17trampoline_kernelINS0_14default_configENS1_35radix_sort_onesweep_config_selectorIiiEEZNS1_34radix_sort_onesweep_global_offsetsIS3_Lb1EN6thrust23THRUST_200600_302600_NS6detail15normal_iteratorINS8_10device_ptrIiEEEESD_jNS0_19identity_decomposerEEE10hipError_tT1_T2_PT3_SI_jT4_jjP12ihipStream_tbEUlT_E0_NS1_11comp_targetILNS1_3genE0ELNS1_11target_archE4294967295ELNS1_3gpuE0ELNS1_3repE0EEENS1_52radix_sort_onesweep_histogram_config_static_selectorELNS0_4arch9wavefront6targetE1EEEvSG_.num_named_barrier, 0
	.set _ZN7rocprim17ROCPRIM_400000_NS6detail17trampoline_kernelINS0_14default_configENS1_35radix_sort_onesweep_config_selectorIiiEEZNS1_34radix_sort_onesweep_global_offsetsIS3_Lb1EN6thrust23THRUST_200600_302600_NS6detail15normal_iteratorINS8_10device_ptrIiEEEESD_jNS0_19identity_decomposerEEE10hipError_tT1_T2_PT3_SI_jT4_jjP12ihipStream_tbEUlT_E0_NS1_11comp_targetILNS1_3genE0ELNS1_11target_archE4294967295ELNS1_3gpuE0ELNS1_3repE0EEENS1_52radix_sort_onesweep_histogram_config_static_selectorELNS0_4arch9wavefront6targetE1EEEvSG_.private_seg_size, 0
	.set _ZN7rocprim17ROCPRIM_400000_NS6detail17trampoline_kernelINS0_14default_configENS1_35radix_sort_onesweep_config_selectorIiiEEZNS1_34radix_sort_onesweep_global_offsetsIS3_Lb1EN6thrust23THRUST_200600_302600_NS6detail15normal_iteratorINS8_10device_ptrIiEEEESD_jNS0_19identity_decomposerEEE10hipError_tT1_T2_PT3_SI_jT4_jjP12ihipStream_tbEUlT_E0_NS1_11comp_targetILNS1_3genE0ELNS1_11target_archE4294967295ELNS1_3gpuE0ELNS1_3repE0EEENS1_52radix_sort_onesweep_histogram_config_static_selectorELNS0_4arch9wavefront6targetE1EEEvSG_.uses_vcc, 0
	.set _ZN7rocprim17ROCPRIM_400000_NS6detail17trampoline_kernelINS0_14default_configENS1_35radix_sort_onesweep_config_selectorIiiEEZNS1_34radix_sort_onesweep_global_offsetsIS3_Lb1EN6thrust23THRUST_200600_302600_NS6detail15normal_iteratorINS8_10device_ptrIiEEEESD_jNS0_19identity_decomposerEEE10hipError_tT1_T2_PT3_SI_jT4_jjP12ihipStream_tbEUlT_E0_NS1_11comp_targetILNS1_3genE0ELNS1_11target_archE4294967295ELNS1_3gpuE0ELNS1_3repE0EEENS1_52radix_sort_onesweep_histogram_config_static_selectorELNS0_4arch9wavefront6targetE1EEEvSG_.uses_flat_scratch, 0
	.set _ZN7rocprim17ROCPRIM_400000_NS6detail17trampoline_kernelINS0_14default_configENS1_35radix_sort_onesweep_config_selectorIiiEEZNS1_34radix_sort_onesweep_global_offsetsIS3_Lb1EN6thrust23THRUST_200600_302600_NS6detail15normal_iteratorINS8_10device_ptrIiEEEESD_jNS0_19identity_decomposerEEE10hipError_tT1_T2_PT3_SI_jT4_jjP12ihipStream_tbEUlT_E0_NS1_11comp_targetILNS1_3genE0ELNS1_11target_archE4294967295ELNS1_3gpuE0ELNS1_3repE0EEENS1_52radix_sort_onesweep_histogram_config_static_selectorELNS0_4arch9wavefront6targetE1EEEvSG_.has_dyn_sized_stack, 0
	.set _ZN7rocprim17ROCPRIM_400000_NS6detail17trampoline_kernelINS0_14default_configENS1_35radix_sort_onesweep_config_selectorIiiEEZNS1_34radix_sort_onesweep_global_offsetsIS3_Lb1EN6thrust23THRUST_200600_302600_NS6detail15normal_iteratorINS8_10device_ptrIiEEEESD_jNS0_19identity_decomposerEEE10hipError_tT1_T2_PT3_SI_jT4_jjP12ihipStream_tbEUlT_E0_NS1_11comp_targetILNS1_3genE0ELNS1_11target_archE4294967295ELNS1_3gpuE0ELNS1_3repE0EEENS1_52radix_sort_onesweep_histogram_config_static_selectorELNS0_4arch9wavefront6targetE1EEEvSG_.has_recursion, 0
	.set _ZN7rocprim17ROCPRIM_400000_NS6detail17trampoline_kernelINS0_14default_configENS1_35radix_sort_onesweep_config_selectorIiiEEZNS1_34radix_sort_onesweep_global_offsetsIS3_Lb1EN6thrust23THRUST_200600_302600_NS6detail15normal_iteratorINS8_10device_ptrIiEEEESD_jNS0_19identity_decomposerEEE10hipError_tT1_T2_PT3_SI_jT4_jjP12ihipStream_tbEUlT_E0_NS1_11comp_targetILNS1_3genE0ELNS1_11target_archE4294967295ELNS1_3gpuE0ELNS1_3repE0EEENS1_52radix_sort_onesweep_histogram_config_static_selectorELNS0_4arch9wavefront6targetE1EEEvSG_.has_indirect_call, 0
	.section	.AMDGPU.csdata,"",@progbits
; Kernel info:
; codeLenInByte = 0
; TotalNumSgprs: 6
; NumVgprs: 0
; NumAgprs: 0
; TotalNumVgprs: 0
; ScratchSize: 0
; MemoryBound: 0
; FloatMode: 240
; IeeeMode: 1
; LDSByteSize: 0 bytes/workgroup (compile time only)
; SGPRBlocks: 0
; VGPRBlocks: 0
; NumSGPRsForWavesPerEU: 6
; NumVGPRsForWavesPerEU: 1
; AccumOffset: 4
; Occupancy: 8
; WaveLimiterHint : 0
; COMPUTE_PGM_RSRC2:SCRATCH_EN: 0
; COMPUTE_PGM_RSRC2:USER_SGPR: 2
; COMPUTE_PGM_RSRC2:TRAP_HANDLER: 0
; COMPUTE_PGM_RSRC2:TGID_X_EN: 1
; COMPUTE_PGM_RSRC2:TGID_Y_EN: 0
; COMPUTE_PGM_RSRC2:TGID_Z_EN: 0
; COMPUTE_PGM_RSRC2:TIDIG_COMP_CNT: 0
; COMPUTE_PGM_RSRC3_GFX90A:ACCUM_OFFSET: 0
; COMPUTE_PGM_RSRC3_GFX90A:TG_SPLIT: 0
	.section	.text._ZN7rocprim17ROCPRIM_400000_NS6detail17trampoline_kernelINS0_14default_configENS1_35radix_sort_onesweep_config_selectorIiiEEZNS1_34radix_sort_onesweep_global_offsetsIS3_Lb1EN6thrust23THRUST_200600_302600_NS6detail15normal_iteratorINS8_10device_ptrIiEEEESD_jNS0_19identity_decomposerEEE10hipError_tT1_T2_PT3_SI_jT4_jjP12ihipStream_tbEUlT_E0_NS1_11comp_targetILNS1_3genE6ELNS1_11target_archE950ELNS1_3gpuE13ELNS1_3repE0EEENS1_52radix_sort_onesweep_histogram_config_static_selectorELNS0_4arch9wavefront6targetE1EEEvSG_,"axG",@progbits,_ZN7rocprim17ROCPRIM_400000_NS6detail17trampoline_kernelINS0_14default_configENS1_35radix_sort_onesweep_config_selectorIiiEEZNS1_34radix_sort_onesweep_global_offsetsIS3_Lb1EN6thrust23THRUST_200600_302600_NS6detail15normal_iteratorINS8_10device_ptrIiEEEESD_jNS0_19identity_decomposerEEE10hipError_tT1_T2_PT3_SI_jT4_jjP12ihipStream_tbEUlT_E0_NS1_11comp_targetILNS1_3genE6ELNS1_11target_archE950ELNS1_3gpuE13ELNS1_3repE0EEENS1_52radix_sort_onesweep_histogram_config_static_selectorELNS0_4arch9wavefront6targetE1EEEvSG_,comdat
	.protected	_ZN7rocprim17ROCPRIM_400000_NS6detail17trampoline_kernelINS0_14default_configENS1_35radix_sort_onesweep_config_selectorIiiEEZNS1_34radix_sort_onesweep_global_offsetsIS3_Lb1EN6thrust23THRUST_200600_302600_NS6detail15normal_iteratorINS8_10device_ptrIiEEEESD_jNS0_19identity_decomposerEEE10hipError_tT1_T2_PT3_SI_jT4_jjP12ihipStream_tbEUlT_E0_NS1_11comp_targetILNS1_3genE6ELNS1_11target_archE950ELNS1_3gpuE13ELNS1_3repE0EEENS1_52radix_sort_onesweep_histogram_config_static_selectorELNS0_4arch9wavefront6targetE1EEEvSG_ ; -- Begin function _ZN7rocprim17ROCPRIM_400000_NS6detail17trampoline_kernelINS0_14default_configENS1_35radix_sort_onesweep_config_selectorIiiEEZNS1_34radix_sort_onesweep_global_offsetsIS3_Lb1EN6thrust23THRUST_200600_302600_NS6detail15normal_iteratorINS8_10device_ptrIiEEEESD_jNS0_19identity_decomposerEEE10hipError_tT1_T2_PT3_SI_jT4_jjP12ihipStream_tbEUlT_E0_NS1_11comp_targetILNS1_3genE6ELNS1_11target_archE950ELNS1_3gpuE13ELNS1_3repE0EEENS1_52radix_sort_onesweep_histogram_config_static_selectorELNS0_4arch9wavefront6targetE1EEEvSG_
	.globl	_ZN7rocprim17ROCPRIM_400000_NS6detail17trampoline_kernelINS0_14default_configENS1_35radix_sort_onesweep_config_selectorIiiEEZNS1_34radix_sort_onesweep_global_offsetsIS3_Lb1EN6thrust23THRUST_200600_302600_NS6detail15normal_iteratorINS8_10device_ptrIiEEEESD_jNS0_19identity_decomposerEEE10hipError_tT1_T2_PT3_SI_jT4_jjP12ihipStream_tbEUlT_E0_NS1_11comp_targetILNS1_3genE6ELNS1_11target_archE950ELNS1_3gpuE13ELNS1_3repE0EEENS1_52radix_sort_onesweep_histogram_config_static_selectorELNS0_4arch9wavefront6targetE1EEEvSG_
	.p2align	8
	.type	_ZN7rocprim17ROCPRIM_400000_NS6detail17trampoline_kernelINS0_14default_configENS1_35radix_sort_onesweep_config_selectorIiiEEZNS1_34radix_sort_onesweep_global_offsetsIS3_Lb1EN6thrust23THRUST_200600_302600_NS6detail15normal_iteratorINS8_10device_ptrIiEEEESD_jNS0_19identity_decomposerEEE10hipError_tT1_T2_PT3_SI_jT4_jjP12ihipStream_tbEUlT_E0_NS1_11comp_targetILNS1_3genE6ELNS1_11target_archE950ELNS1_3gpuE13ELNS1_3repE0EEENS1_52radix_sort_onesweep_histogram_config_static_selectorELNS0_4arch9wavefront6targetE1EEEvSG_,@function
_ZN7rocprim17ROCPRIM_400000_NS6detail17trampoline_kernelINS0_14default_configENS1_35radix_sort_onesweep_config_selectorIiiEEZNS1_34radix_sort_onesweep_global_offsetsIS3_Lb1EN6thrust23THRUST_200600_302600_NS6detail15normal_iteratorINS8_10device_ptrIiEEEESD_jNS0_19identity_decomposerEEE10hipError_tT1_T2_PT3_SI_jT4_jjP12ihipStream_tbEUlT_E0_NS1_11comp_targetILNS1_3genE6ELNS1_11target_archE950ELNS1_3gpuE13ELNS1_3repE0EEENS1_52radix_sort_onesweep_histogram_config_static_selectorELNS0_4arch9wavefront6targetE1EEEvSG_: ; @_ZN7rocprim17ROCPRIM_400000_NS6detail17trampoline_kernelINS0_14default_configENS1_35radix_sort_onesweep_config_selectorIiiEEZNS1_34radix_sort_onesweep_global_offsetsIS3_Lb1EN6thrust23THRUST_200600_302600_NS6detail15normal_iteratorINS8_10device_ptrIiEEEESD_jNS0_19identity_decomposerEEE10hipError_tT1_T2_PT3_SI_jT4_jjP12ihipStream_tbEUlT_E0_NS1_11comp_targetILNS1_3genE6ELNS1_11target_archE950ELNS1_3gpuE13ELNS1_3repE0EEENS1_52radix_sort_onesweep_histogram_config_static_selectorELNS0_4arch9wavefront6targetE1EEEvSG_
; %bb.0:
	s_load_dwordx2 s[0:1], s[0:1], 0x0
	s_lshl_b32 s2, s2, 8
	s_mov_b32 s3, 0
	s_lshl_b64 s[2:3], s[2:3], 2
	v_lshlrev_b32_e32 v1, 2, v0
	s_waitcnt lgkmcnt(0)
	s_add_u32 s10, s0, s2
	s_movk_i32 s0, 0x100
	s_addc_u32 s11, s1, s3
	v_cmp_gt_u32_e32 vcc, s0, v0
                                        ; implicit-def: $vgpr3
	s_and_saveexec_b64 s[0:1], vcc
	s_cbranch_execz .LBB991_2
; %bb.1:
	global_load_dword v3, v1, s[10:11]
.LBB991_2:
	s_or_b64 exec, exec, s[0:1]
	v_mbcnt_lo_u32_b32 v2, -1, 0
	v_mbcnt_hi_u32_b32 v2, -1, v2
	v_and_b32_e32 v4, 15, v2
	s_waitcnt vmcnt(0)
	v_mov_b32_dpp v5, v3 row_shr:1 row_mask:0xf bank_mask:0xf
	v_cmp_eq_u32_e64 s[0:1], 0, v4
	v_cmp_lt_u32_e64 s[2:3], 1, v4
	v_cmp_lt_u32_e64 s[4:5], 3, v4
	v_cndmask_b32_e64 v5, v5, 0, s[0:1]
	v_add_u32_e32 v3, v5, v3
	v_cmp_lt_u32_e64 s[6:7], 7, v4
	v_cmp_lt_u32_e64 s[8:9], 31, v2
	v_mov_b32_dpp v5, v3 row_shr:2 row_mask:0xf bank_mask:0xf
	v_cndmask_b32_e64 v5, 0, v5, s[2:3]
	v_add_u32_e32 v3, v3, v5
	s_nop 1
	v_mov_b32_dpp v5, v3 row_shr:4 row_mask:0xf bank_mask:0xf
	v_cndmask_b32_e64 v5, 0, v5, s[4:5]
	v_add_u32_e32 v3, v3, v5
	s_nop 1
	v_mov_b32_dpp v5, v3 row_shr:8 row_mask:0xf bank_mask:0xf
	v_cndmask_b32_e64 v4, 0, v5, s[6:7]
	v_add_u32_e32 v3, v3, v4
	v_bfe_i32 v5, v2, 4, 1
	s_nop 0
	v_mov_b32_dpp v4, v3 row_bcast:15 row_mask:0xf bank_mask:0xf
	v_and_b32_e32 v4, v5, v4
	v_add_u32_e32 v3, v3, v4
	v_and_b32_e32 v5, 63, v0
	s_nop 0
	v_mov_b32_dpp v4, v3 row_bcast:31 row_mask:0xf bank_mask:0xf
	v_cndmask_b32_e64 v4, 0, v4, s[8:9]
	v_add_u32_e32 v3, v3, v4
	v_lshrrev_b32_e32 v4, 6, v0
	v_cmp_eq_u32_e64 s[8:9], 63, v5
	s_and_saveexec_b64 s[12:13], s[8:9]
; %bb.3:
	v_lshlrev_b32_e32 v5, 2, v4
	ds_write_b32 v5, v3
; %bb.4:
	s_or_b64 exec, exec, s[12:13]
	v_cmp_gt_u32_e64 s[8:9], 16, v0
	s_waitcnt lgkmcnt(0)
	s_barrier
	s_and_saveexec_b64 s[12:13], s[8:9]
	s_cbranch_execz .LBB991_6
; %bb.5:
	ds_read_b32 v5, v1
	s_waitcnt lgkmcnt(0)
	s_nop 0
	v_mov_b32_dpp v6, v5 row_shr:1 row_mask:0xf bank_mask:0xf
	v_cndmask_b32_e64 v6, v6, 0, s[0:1]
	v_add_u32_e32 v5, v6, v5
	s_nop 1
	v_mov_b32_dpp v6, v5 row_shr:2 row_mask:0xf bank_mask:0xf
	v_cndmask_b32_e64 v6, 0, v6, s[2:3]
	v_add_u32_e32 v5, v5, v6
	;; [unrolled: 4-line block ×4, first 2 shown]
	ds_write_b32 v1, v5
.LBB991_6:
	s_or_b64 exec, exec, s[12:13]
	v_cmp_lt_u32_e64 s[0:1], 63, v0
	v_mov_b32_e32 v0, 0
	s_waitcnt lgkmcnt(0)
	s_barrier
	s_and_saveexec_b64 s[2:3], s[0:1]
; %bb.7:
	v_lshl_add_u32 v0, v4, 2, -4
	ds_read_b32 v0, v0
; %bb.8:
	s_or_b64 exec, exec, s[2:3]
	v_add_u32_e32 v4, -1, v2
	v_and_b32_e32 v5, 64, v2
	v_cmp_lt_i32_e64 s[0:1], v4, v5
	s_waitcnt lgkmcnt(0)
	v_add_u32_e32 v3, v0, v3
	v_cndmask_b32_e64 v4, v4, v2, s[0:1]
	v_lshlrev_b32_e32 v4, 2, v4
	ds_bpermute_b32 v3, v4, v3
	s_and_saveexec_b64 s[0:1], vcc
	s_cbranch_execz .LBB991_10
; %bb.9:
	v_cmp_eq_u32_e32 vcc, 0, v2
	s_waitcnt lgkmcnt(0)
	s_nop 0
	v_cndmask_b32_e32 v0, v3, v0, vcc
	global_store_dword v1, v0, s[10:11]
.LBB991_10:
	s_endpgm
	.section	.rodata,"a",@progbits
	.p2align	6, 0x0
	.amdhsa_kernel _ZN7rocprim17ROCPRIM_400000_NS6detail17trampoline_kernelINS0_14default_configENS1_35radix_sort_onesweep_config_selectorIiiEEZNS1_34radix_sort_onesweep_global_offsetsIS3_Lb1EN6thrust23THRUST_200600_302600_NS6detail15normal_iteratorINS8_10device_ptrIiEEEESD_jNS0_19identity_decomposerEEE10hipError_tT1_T2_PT3_SI_jT4_jjP12ihipStream_tbEUlT_E0_NS1_11comp_targetILNS1_3genE6ELNS1_11target_archE950ELNS1_3gpuE13ELNS1_3repE0EEENS1_52radix_sort_onesweep_histogram_config_static_selectorELNS0_4arch9wavefront6targetE1EEEvSG_
		.amdhsa_group_segment_fixed_size 64
		.amdhsa_private_segment_fixed_size 0
		.amdhsa_kernarg_size 8
		.amdhsa_user_sgpr_count 2
		.amdhsa_user_sgpr_dispatch_ptr 0
		.amdhsa_user_sgpr_queue_ptr 0
		.amdhsa_user_sgpr_kernarg_segment_ptr 1
		.amdhsa_user_sgpr_dispatch_id 0
		.amdhsa_user_sgpr_kernarg_preload_length 0
		.amdhsa_user_sgpr_kernarg_preload_offset 0
		.amdhsa_user_sgpr_private_segment_size 0
		.amdhsa_uses_dynamic_stack 0
		.amdhsa_enable_private_segment 0
		.amdhsa_system_sgpr_workgroup_id_x 1
		.amdhsa_system_sgpr_workgroup_id_y 0
		.amdhsa_system_sgpr_workgroup_id_z 0
		.amdhsa_system_sgpr_workgroup_info 0
		.amdhsa_system_vgpr_workitem_id 0
		.amdhsa_next_free_vgpr 7
		.amdhsa_next_free_sgpr 14
		.amdhsa_accum_offset 8
		.amdhsa_reserve_vcc 1
		.amdhsa_float_round_mode_32 0
		.amdhsa_float_round_mode_16_64 0
		.amdhsa_float_denorm_mode_32 3
		.amdhsa_float_denorm_mode_16_64 3
		.amdhsa_dx10_clamp 1
		.amdhsa_ieee_mode 1
		.amdhsa_fp16_overflow 0
		.amdhsa_tg_split 0
		.amdhsa_exception_fp_ieee_invalid_op 0
		.amdhsa_exception_fp_denorm_src 0
		.amdhsa_exception_fp_ieee_div_zero 0
		.amdhsa_exception_fp_ieee_overflow 0
		.amdhsa_exception_fp_ieee_underflow 0
		.amdhsa_exception_fp_ieee_inexact 0
		.amdhsa_exception_int_div_zero 0
	.end_amdhsa_kernel
	.section	.text._ZN7rocprim17ROCPRIM_400000_NS6detail17trampoline_kernelINS0_14default_configENS1_35radix_sort_onesweep_config_selectorIiiEEZNS1_34radix_sort_onesweep_global_offsetsIS3_Lb1EN6thrust23THRUST_200600_302600_NS6detail15normal_iteratorINS8_10device_ptrIiEEEESD_jNS0_19identity_decomposerEEE10hipError_tT1_T2_PT3_SI_jT4_jjP12ihipStream_tbEUlT_E0_NS1_11comp_targetILNS1_3genE6ELNS1_11target_archE950ELNS1_3gpuE13ELNS1_3repE0EEENS1_52radix_sort_onesweep_histogram_config_static_selectorELNS0_4arch9wavefront6targetE1EEEvSG_,"axG",@progbits,_ZN7rocprim17ROCPRIM_400000_NS6detail17trampoline_kernelINS0_14default_configENS1_35radix_sort_onesweep_config_selectorIiiEEZNS1_34radix_sort_onesweep_global_offsetsIS3_Lb1EN6thrust23THRUST_200600_302600_NS6detail15normal_iteratorINS8_10device_ptrIiEEEESD_jNS0_19identity_decomposerEEE10hipError_tT1_T2_PT3_SI_jT4_jjP12ihipStream_tbEUlT_E0_NS1_11comp_targetILNS1_3genE6ELNS1_11target_archE950ELNS1_3gpuE13ELNS1_3repE0EEENS1_52radix_sort_onesweep_histogram_config_static_selectorELNS0_4arch9wavefront6targetE1EEEvSG_,comdat
.Lfunc_end991:
	.size	_ZN7rocprim17ROCPRIM_400000_NS6detail17trampoline_kernelINS0_14default_configENS1_35radix_sort_onesweep_config_selectorIiiEEZNS1_34radix_sort_onesweep_global_offsetsIS3_Lb1EN6thrust23THRUST_200600_302600_NS6detail15normal_iteratorINS8_10device_ptrIiEEEESD_jNS0_19identity_decomposerEEE10hipError_tT1_T2_PT3_SI_jT4_jjP12ihipStream_tbEUlT_E0_NS1_11comp_targetILNS1_3genE6ELNS1_11target_archE950ELNS1_3gpuE13ELNS1_3repE0EEENS1_52radix_sort_onesweep_histogram_config_static_selectorELNS0_4arch9wavefront6targetE1EEEvSG_, .Lfunc_end991-_ZN7rocprim17ROCPRIM_400000_NS6detail17trampoline_kernelINS0_14default_configENS1_35radix_sort_onesweep_config_selectorIiiEEZNS1_34radix_sort_onesweep_global_offsetsIS3_Lb1EN6thrust23THRUST_200600_302600_NS6detail15normal_iteratorINS8_10device_ptrIiEEEESD_jNS0_19identity_decomposerEEE10hipError_tT1_T2_PT3_SI_jT4_jjP12ihipStream_tbEUlT_E0_NS1_11comp_targetILNS1_3genE6ELNS1_11target_archE950ELNS1_3gpuE13ELNS1_3repE0EEENS1_52radix_sort_onesweep_histogram_config_static_selectorELNS0_4arch9wavefront6targetE1EEEvSG_
                                        ; -- End function
	.set _ZN7rocprim17ROCPRIM_400000_NS6detail17trampoline_kernelINS0_14default_configENS1_35radix_sort_onesweep_config_selectorIiiEEZNS1_34radix_sort_onesweep_global_offsetsIS3_Lb1EN6thrust23THRUST_200600_302600_NS6detail15normal_iteratorINS8_10device_ptrIiEEEESD_jNS0_19identity_decomposerEEE10hipError_tT1_T2_PT3_SI_jT4_jjP12ihipStream_tbEUlT_E0_NS1_11comp_targetILNS1_3genE6ELNS1_11target_archE950ELNS1_3gpuE13ELNS1_3repE0EEENS1_52radix_sort_onesweep_histogram_config_static_selectorELNS0_4arch9wavefront6targetE1EEEvSG_.num_vgpr, 7
	.set _ZN7rocprim17ROCPRIM_400000_NS6detail17trampoline_kernelINS0_14default_configENS1_35radix_sort_onesweep_config_selectorIiiEEZNS1_34radix_sort_onesweep_global_offsetsIS3_Lb1EN6thrust23THRUST_200600_302600_NS6detail15normal_iteratorINS8_10device_ptrIiEEEESD_jNS0_19identity_decomposerEEE10hipError_tT1_T2_PT3_SI_jT4_jjP12ihipStream_tbEUlT_E0_NS1_11comp_targetILNS1_3genE6ELNS1_11target_archE950ELNS1_3gpuE13ELNS1_3repE0EEENS1_52radix_sort_onesweep_histogram_config_static_selectorELNS0_4arch9wavefront6targetE1EEEvSG_.num_agpr, 0
	.set _ZN7rocprim17ROCPRIM_400000_NS6detail17trampoline_kernelINS0_14default_configENS1_35radix_sort_onesweep_config_selectorIiiEEZNS1_34radix_sort_onesweep_global_offsetsIS3_Lb1EN6thrust23THRUST_200600_302600_NS6detail15normal_iteratorINS8_10device_ptrIiEEEESD_jNS0_19identity_decomposerEEE10hipError_tT1_T2_PT3_SI_jT4_jjP12ihipStream_tbEUlT_E0_NS1_11comp_targetILNS1_3genE6ELNS1_11target_archE950ELNS1_3gpuE13ELNS1_3repE0EEENS1_52radix_sort_onesweep_histogram_config_static_selectorELNS0_4arch9wavefront6targetE1EEEvSG_.numbered_sgpr, 14
	.set _ZN7rocprim17ROCPRIM_400000_NS6detail17trampoline_kernelINS0_14default_configENS1_35radix_sort_onesweep_config_selectorIiiEEZNS1_34radix_sort_onesweep_global_offsetsIS3_Lb1EN6thrust23THRUST_200600_302600_NS6detail15normal_iteratorINS8_10device_ptrIiEEEESD_jNS0_19identity_decomposerEEE10hipError_tT1_T2_PT3_SI_jT4_jjP12ihipStream_tbEUlT_E0_NS1_11comp_targetILNS1_3genE6ELNS1_11target_archE950ELNS1_3gpuE13ELNS1_3repE0EEENS1_52radix_sort_onesweep_histogram_config_static_selectorELNS0_4arch9wavefront6targetE1EEEvSG_.num_named_barrier, 0
	.set _ZN7rocprim17ROCPRIM_400000_NS6detail17trampoline_kernelINS0_14default_configENS1_35radix_sort_onesweep_config_selectorIiiEEZNS1_34radix_sort_onesweep_global_offsetsIS3_Lb1EN6thrust23THRUST_200600_302600_NS6detail15normal_iteratorINS8_10device_ptrIiEEEESD_jNS0_19identity_decomposerEEE10hipError_tT1_T2_PT3_SI_jT4_jjP12ihipStream_tbEUlT_E0_NS1_11comp_targetILNS1_3genE6ELNS1_11target_archE950ELNS1_3gpuE13ELNS1_3repE0EEENS1_52radix_sort_onesweep_histogram_config_static_selectorELNS0_4arch9wavefront6targetE1EEEvSG_.private_seg_size, 0
	.set _ZN7rocprim17ROCPRIM_400000_NS6detail17trampoline_kernelINS0_14default_configENS1_35radix_sort_onesweep_config_selectorIiiEEZNS1_34radix_sort_onesweep_global_offsetsIS3_Lb1EN6thrust23THRUST_200600_302600_NS6detail15normal_iteratorINS8_10device_ptrIiEEEESD_jNS0_19identity_decomposerEEE10hipError_tT1_T2_PT3_SI_jT4_jjP12ihipStream_tbEUlT_E0_NS1_11comp_targetILNS1_3genE6ELNS1_11target_archE950ELNS1_3gpuE13ELNS1_3repE0EEENS1_52radix_sort_onesweep_histogram_config_static_selectorELNS0_4arch9wavefront6targetE1EEEvSG_.uses_vcc, 1
	.set _ZN7rocprim17ROCPRIM_400000_NS6detail17trampoline_kernelINS0_14default_configENS1_35radix_sort_onesweep_config_selectorIiiEEZNS1_34radix_sort_onesweep_global_offsetsIS3_Lb1EN6thrust23THRUST_200600_302600_NS6detail15normal_iteratorINS8_10device_ptrIiEEEESD_jNS0_19identity_decomposerEEE10hipError_tT1_T2_PT3_SI_jT4_jjP12ihipStream_tbEUlT_E0_NS1_11comp_targetILNS1_3genE6ELNS1_11target_archE950ELNS1_3gpuE13ELNS1_3repE0EEENS1_52radix_sort_onesweep_histogram_config_static_selectorELNS0_4arch9wavefront6targetE1EEEvSG_.uses_flat_scratch, 0
	.set _ZN7rocprim17ROCPRIM_400000_NS6detail17trampoline_kernelINS0_14default_configENS1_35radix_sort_onesweep_config_selectorIiiEEZNS1_34radix_sort_onesweep_global_offsetsIS3_Lb1EN6thrust23THRUST_200600_302600_NS6detail15normal_iteratorINS8_10device_ptrIiEEEESD_jNS0_19identity_decomposerEEE10hipError_tT1_T2_PT3_SI_jT4_jjP12ihipStream_tbEUlT_E0_NS1_11comp_targetILNS1_3genE6ELNS1_11target_archE950ELNS1_3gpuE13ELNS1_3repE0EEENS1_52radix_sort_onesweep_histogram_config_static_selectorELNS0_4arch9wavefront6targetE1EEEvSG_.has_dyn_sized_stack, 0
	.set _ZN7rocprim17ROCPRIM_400000_NS6detail17trampoline_kernelINS0_14default_configENS1_35radix_sort_onesweep_config_selectorIiiEEZNS1_34radix_sort_onesweep_global_offsetsIS3_Lb1EN6thrust23THRUST_200600_302600_NS6detail15normal_iteratorINS8_10device_ptrIiEEEESD_jNS0_19identity_decomposerEEE10hipError_tT1_T2_PT3_SI_jT4_jjP12ihipStream_tbEUlT_E0_NS1_11comp_targetILNS1_3genE6ELNS1_11target_archE950ELNS1_3gpuE13ELNS1_3repE0EEENS1_52radix_sort_onesweep_histogram_config_static_selectorELNS0_4arch9wavefront6targetE1EEEvSG_.has_recursion, 0
	.set _ZN7rocprim17ROCPRIM_400000_NS6detail17trampoline_kernelINS0_14default_configENS1_35radix_sort_onesweep_config_selectorIiiEEZNS1_34radix_sort_onesweep_global_offsetsIS3_Lb1EN6thrust23THRUST_200600_302600_NS6detail15normal_iteratorINS8_10device_ptrIiEEEESD_jNS0_19identity_decomposerEEE10hipError_tT1_T2_PT3_SI_jT4_jjP12ihipStream_tbEUlT_E0_NS1_11comp_targetILNS1_3genE6ELNS1_11target_archE950ELNS1_3gpuE13ELNS1_3repE0EEENS1_52radix_sort_onesweep_histogram_config_static_selectorELNS0_4arch9wavefront6targetE1EEEvSG_.has_indirect_call, 0
	.section	.AMDGPU.csdata,"",@progbits
; Kernel info:
; codeLenInByte = 572
; TotalNumSgprs: 20
; NumVgprs: 7
; NumAgprs: 0
; TotalNumVgprs: 7
; ScratchSize: 0
; MemoryBound: 0
; FloatMode: 240
; IeeeMode: 1
; LDSByteSize: 64 bytes/workgroup (compile time only)
; SGPRBlocks: 2
; VGPRBlocks: 0
; NumSGPRsForWavesPerEU: 20
; NumVGPRsForWavesPerEU: 7
; AccumOffset: 8
; Occupancy: 8
; WaveLimiterHint : 0
; COMPUTE_PGM_RSRC2:SCRATCH_EN: 0
; COMPUTE_PGM_RSRC2:USER_SGPR: 2
; COMPUTE_PGM_RSRC2:TRAP_HANDLER: 0
; COMPUTE_PGM_RSRC2:TGID_X_EN: 1
; COMPUTE_PGM_RSRC2:TGID_Y_EN: 0
; COMPUTE_PGM_RSRC2:TGID_Z_EN: 0
; COMPUTE_PGM_RSRC2:TIDIG_COMP_CNT: 0
; COMPUTE_PGM_RSRC3_GFX90A:ACCUM_OFFSET: 1
; COMPUTE_PGM_RSRC3_GFX90A:TG_SPLIT: 0
	.section	.text._ZN7rocprim17ROCPRIM_400000_NS6detail17trampoline_kernelINS0_14default_configENS1_35radix_sort_onesweep_config_selectorIiiEEZNS1_34radix_sort_onesweep_global_offsetsIS3_Lb1EN6thrust23THRUST_200600_302600_NS6detail15normal_iteratorINS8_10device_ptrIiEEEESD_jNS0_19identity_decomposerEEE10hipError_tT1_T2_PT3_SI_jT4_jjP12ihipStream_tbEUlT_E0_NS1_11comp_targetILNS1_3genE5ELNS1_11target_archE942ELNS1_3gpuE9ELNS1_3repE0EEENS1_52radix_sort_onesweep_histogram_config_static_selectorELNS0_4arch9wavefront6targetE1EEEvSG_,"axG",@progbits,_ZN7rocprim17ROCPRIM_400000_NS6detail17trampoline_kernelINS0_14default_configENS1_35radix_sort_onesweep_config_selectorIiiEEZNS1_34radix_sort_onesweep_global_offsetsIS3_Lb1EN6thrust23THRUST_200600_302600_NS6detail15normal_iteratorINS8_10device_ptrIiEEEESD_jNS0_19identity_decomposerEEE10hipError_tT1_T2_PT3_SI_jT4_jjP12ihipStream_tbEUlT_E0_NS1_11comp_targetILNS1_3genE5ELNS1_11target_archE942ELNS1_3gpuE9ELNS1_3repE0EEENS1_52radix_sort_onesweep_histogram_config_static_selectorELNS0_4arch9wavefront6targetE1EEEvSG_,comdat
	.protected	_ZN7rocprim17ROCPRIM_400000_NS6detail17trampoline_kernelINS0_14default_configENS1_35radix_sort_onesweep_config_selectorIiiEEZNS1_34radix_sort_onesweep_global_offsetsIS3_Lb1EN6thrust23THRUST_200600_302600_NS6detail15normal_iteratorINS8_10device_ptrIiEEEESD_jNS0_19identity_decomposerEEE10hipError_tT1_T2_PT3_SI_jT4_jjP12ihipStream_tbEUlT_E0_NS1_11comp_targetILNS1_3genE5ELNS1_11target_archE942ELNS1_3gpuE9ELNS1_3repE0EEENS1_52radix_sort_onesweep_histogram_config_static_selectorELNS0_4arch9wavefront6targetE1EEEvSG_ ; -- Begin function _ZN7rocprim17ROCPRIM_400000_NS6detail17trampoline_kernelINS0_14default_configENS1_35radix_sort_onesweep_config_selectorIiiEEZNS1_34radix_sort_onesweep_global_offsetsIS3_Lb1EN6thrust23THRUST_200600_302600_NS6detail15normal_iteratorINS8_10device_ptrIiEEEESD_jNS0_19identity_decomposerEEE10hipError_tT1_T2_PT3_SI_jT4_jjP12ihipStream_tbEUlT_E0_NS1_11comp_targetILNS1_3genE5ELNS1_11target_archE942ELNS1_3gpuE9ELNS1_3repE0EEENS1_52radix_sort_onesweep_histogram_config_static_selectorELNS0_4arch9wavefront6targetE1EEEvSG_
	.globl	_ZN7rocprim17ROCPRIM_400000_NS6detail17trampoline_kernelINS0_14default_configENS1_35radix_sort_onesweep_config_selectorIiiEEZNS1_34radix_sort_onesweep_global_offsetsIS3_Lb1EN6thrust23THRUST_200600_302600_NS6detail15normal_iteratorINS8_10device_ptrIiEEEESD_jNS0_19identity_decomposerEEE10hipError_tT1_T2_PT3_SI_jT4_jjP12ihipStream_tbEUlT_E0_NS1_11comp_targetILNS1_3genE5ELNS1_11target_archE942ELNS1_3gpuE9ELNS1_3repE0EEENS1_52radix_sort_onesweep_histogram_config_static_selectorELNS0_4arch9wavefront6targetE1EEEvSG_
	.p2align	8
	.type	_ZN7rocprim17ROCPRIM_400000_NS6detail17trampoline_kernelINS0_14default_configENS1_35radix_sort_onesweep_config_selectorIiiEEZNS1_34radix_sort_onesweep_global_offsetsIS3_Lb1EN6thrust23THRUST_200600_302600_NS6detail15normal_iteratorINS8_10device_ptrIiEEEESD_jNS0_19identity_decomposerEEE10hipError_tT1_T2_PT3_SI_jT4_jjP12ihipStream_tbEUlT_E0_NS1_11comp_targetILNS1_3genE5ELNS1_11target_archE942ELNS1_3gpuE9ELNS1_3repE0EEENS1_52radix_sort_onesweep_histogram_config_static_selectorELNS0_4arch9wavefront6targetE1EEEvSG_,@function
_ZN7rocprim17ROCPRIM_400000_NS6detail17trampoline_kernelINS0_14default_configENS1_35radix_sort_onesweep_config_selectorIiiEEZNS1_34radix_sort_onesweep_global_offsetsIS3_Lb1EN6thrust23THRUST_200600_302600_NS6detail15normal_iteratorINS8_10device_ptrIiEEEESD_jNS0_19identity_decomposerEEE10hipError_tT1_T2_PT3_SI_jT4_jjP12ihipStream_tbEUlT_E0_NS1_11comp_targetILNS1_3genE5ELNS1_11target_archE942ELNS1_3gpuE9ELNS1_3repE0EEENS1_52radix_sort_onesweep_histogram_config_static_selectorELNS0_4arch9wavefront6targetE1EEEvSG_: ; @_ZN7rocprim17ROCPRIM_400000_NS6detail17trampoline_kernelINS0_14default_configENS1_35radix_sort_onesweep_config_selectorIiiEEZNS1_34radix_sort_onesweep_global_offsetsIS3_Lb1EN6thrust23THRUST_200600_302600_NS6detail15normal_iteratorINS8_10device_ptrIiEEEESD_jNS0_19identity_decomposerEEE10hipError_tT1_T2_PT3_SI_jT4_jjP12ihipStream_tbEUlT_E0_NS1_11comp_targetILNS1_3genE5ELNS1_11target_archE942ELNS1_3gpuE9ELNS1_3repE0EEENS1_52radix_sort_onesweep_histogram_config_static_selectorELNS0_4arch9wavefront6targetE1EEEvSG_
; %bb.0:
	.section	.rodata,"a",@progbits
	.p2align	6, 0x0
	.amdhsa_kernel _ZN7rocprim17ROCPRIM_400000_NS6detail17trampoline_kernelINS0_14default_configENS1_35radix_sort_onesweep_config_selectorIiiEEZNS1_34radix_sort_onesweep_global_offsetsIS3_Lb1EN6thrust23THRUST_200600_302600_NS6detail15normal_iteratorINS8_10device_ptrIiEEEESD_jNS0_19identity_decomposerEEE10hipError_tT1_T2_PT3_SI_jT4_jjP12ihipStream_tbEUlT_E0_NS1_11comp_targetILNS1_3genE5ELNS1_11target_archE942ELNS1_3gpuE9ELNS1_3repE0EEENS1_52radix_sort_onesweep_histogram_config_static_selectorELNS0_4arch9wavefront6targetE1EEEvSG_
		.amdhsa_group_segment_fixed_size 0
		.amdhsa_private_segment_fixed_size 0
		.amdhsa_kernarg_size 8
		.amdhsa_user_sgpr_count 2
		.amdhsa_user_sgpr_dispatch_ptr 0
		.amdhsa_user_sgpr_queue_ptr 0
		.amdhsa_user_sgpr_kernarg_segment_ptr 1
		.amdhsa_user_sgpr_dispatch_id 0
		.amdhsa_user_sgpr_kernarg_preload_length 0
		.amdhsa_user_sgpr_kernarg_preload_offset 0
		.amdhsa_user_sgpr_private_segment_size 0
		.amdhsa_uses_dynamic_stack 0
		.amdhsa_enable_private_segment 0
		.amdhsa_system_sgpr_workgroup_id_x 1
		.amdhsa_system_sgpr_workgroup_id_y 0
		.amdhsa_system_sgpr_workgroup_id_z 0
		.amdhsa_system_sgpr_workgroup_info 0
		.amdhsa_system_vgpr_workitem_id 0
		.amdhsa_next_free_vgpr 1
		.amdhsa_next_free_sgpr 0
		.amdhsa_accum_offset 4
		.amdhsa_reserve_vcc 0
		.amdhsa_float_round_mode_32 0
		.amdhsa_float_round_mode_16_64 0
		.amdhsa_float_denorm_mode_32 3
		.amdhsa_float_denorm_mode_16_64 3
		.amdhsa_dx10_clamp 1
		.amdhsa_ieee_mode 1
		.amdhsa_fp16_overflow 0
		.amdhsa_tg_split 0
		.amdhsa_exception_fp_ieee_invalid_op 0
		.amdhsa_exception_fp_denorm_src 0
		.amdhsa_exception_fp_ieee_div_zero 0
		.amdhsa_exception_fp_ieee_overflow 0
		.amdhsa_exception_fp_ieee_underflow 0
		.amdhsa_exception_fp_ieee_inexact 0
		.amdhsa_exception_int_div_zero 0
	.end_amdhsa_kernel
	.section	.text._ZN7rocprim17ROCPRIM_400000_NS6detail17trampoline_kernelINS0_14default_configENS1_35radix_sort_onesweep_config_selectorIiiEEZNS1_34radix_sort_onesweep_global_offsetsIS3_Lb1EN6thrust23THRUST_200600_302600_NS6detail15normal_iteratorINS8_10device_ptrIiEEEESD_jNS0_19identity_decomposerEEE10hipError_tT1_T2_PT3_SI_jT4_jjP12ihipStream_tbEUlT_E0_NS1_11comp_targetILNS1_3genE5ELNS1_11target_archE942ELNS1_3gpuE9ELNS1_3repE0EEENS1_52radix_sort_onesweep_histogram_config_static_selectorELNS0_4arch9wavefront6targetE1EEEvSG_,"axG",@progbits,_ZN7rocprim17ROCPRIM_400000_NS6detail17trampoline_kernelINS0_14default_configENS1_35radix_sort_onesweep_config_selectorIiiEEZNS1_34radix_sort_onesweep_global_offsetsIS3_Lb1EN6thrust23THRUST_200600_302600_NS6detail15normal_iteratorINS8_10device_ptrIiEEEESD_jNS0_19identity_decomposerEEE10hipError_tT1_T2_PT3_SI_jT4_jjP12ihipStream_tbEUlT_E0_NS1_11comp_targetILNS1_3genE5ELNS1_11target_archE942ELNS1_3gpuE9ELNS1_3repE0EEENS1_52radix_sort_onesweep_histogram_config_static_selectorELNS0_4arch9wavefront6targetE1EEEvSG_,comdat
.Lfunc_end992:
	.size	_ZN7rocprim17ROCPRIM_400000_NS6detail17trampoline_kernelINS0_14default_configENS1_35radix_sort_onesweep_config_selectorIiiEEZNS1_34radix_sort_onesweep_global_offsetsIS3_Lb1EN6thrust23THRUST_200600_302600_NS6detail15normal_iteratorINS8_10device_ptrIiEEEESD_jNS0_19identity_decomposerEEE10hipError_tT1_T2_PT3_SI_jT4_jjP12ihipStream_tbEUlT_E0_NS1_11comp_targetILNS1_3genE5ELNS1_11target_archE942ELNS1_3gpuE9ELNS1_3repE0EEENS1_52radix_sort_onesweep_histogram_config_static_selectorELNS0_4arch9wavefront6targetE1EEEvSG_, .Lfunc_end992-_ZN7rocprim17ROCPRIM_400000_NS6detail17trampoline_kernelINS0_14default_configENS1_35radix_sort_onesweep_config_selectorIiiEEZNS1_34radix_sort_onesweep_global_offsetsIS3_Lb1EN6thrust23THRUST_200600_302600_NS6detail15normal_iteratorINS8_10device_ptrIiEEEESD_jNS0_19identity_decomposerEEE10hipError_tT1_T2_PT3_SI_jT4_jjP12ihipStream_tbEUlT_E0_NS1_11comp_targetILNS1_3genE5ELNS1_11target_archE942ELNS1_3gpuE9ELNS1_3repE0EEENS1_52radix_sort_onesweep_histogram_config_static_selectorELNS0_4arch9wavefront6targetE1EEEvSG_
                                        ; -- End function
	.set _ZN7rocprim17ROCPRIM_400000_NS6detail17trampoline_kernelINS0_14default_configENS1_35radix_sort_onesweep_config_selectorIiiEEZNS1_34radix_sort_onesweep_global_offsetsIS3_Lb1EN6thrust23THRUST_200600_302600_NS6detail15normal_iteratorINS8_10device_ptrIiEEEESD_jNS0_19identity_decomposerEEE10hipError_tT1_T2_PT3_SI_jT4_jjP12ihipStream_tbEUlT_E0_NS1_11comp_targetILNS1_3genE5ELNS1_11target_archE942ELNS1_3gpuE9ELNS1_3repE0EEENS1_52radix_sort_onesweep_histogram_config_static_selectorELNS0_4arch9wavefront6targetE1EEEvSG_.num_vgpr, 0
	.set _ZN7rocprim17ROCPRIM_400000_NS6detail17trampoline_kernelINS0_14default_configENS1_35radix_sort_onesweep_config_selectorIiiEEZNS1_34radix_sort_onesweep_global_offsetsIS3_Lb1EN6thrust23THRUST_200600_302600_NS6detail15normal_iteratorINS8_10device_ptrIiEEEESD_jNS0_19identity_decomposerEEE10hipError_tT1_T2_PT3_SI_jT4_jjP12ihipStream_tbEUlT_E0_NS1_11comp_targetILNS1_3genE5ELNS1_11target_archE942ELNS1_3gpuE9ELNS1_3repE0EEENS1_52radix_sort_onesweep_histogram_config_static_selectorELNS0_4arch9wavefront6targetE1EEEvSG_.num_agpr, 0
	.set _ZN7rocprim17ROCPRIM_400000_NS6detail17trampoline_kernelINS0_14default_configENS1_35radix_sort_onesweep_config_selectorIiiEEZNS1_34radix_sort_onesweep_global_offsetsIS3_Lb1EN6thrust23THRUST_200600_302600_NS6detail15normal_iteratorINS8_10device_ptrIiEEEESD_jNS0_19identity_decomposerEEE10hipError_tT1_T2_PT3_SI_jT4_jjP12ihipStream_tbEUlT_E0_NS1_11comp_targetILNS1_3genE5ELNS1_11target_archE942ELNS1_3gpuE9ELNS1_3repE0EEENS1_52radix_sort_onesweep_histogram_config_static_selectorELNS0_4arch9wavefront6targetE1EEEvSG_.numbered_sgpr, 0
	.set _ZN7rocprim17ROCPRIM_400000_NS6detail17trampoline_kernelINS0_14default_configENS1_35radix_sort_onesweep_config_selectorIiiEEZNS1_34radix_sort_onesweep_global_offsetsIS3_Lb1EN6thrust23THRUST_200600_302600_NS6detail15normal_iteratorINS8_10device_ptrIiEEEESD_jNS0_19identity_decomposerEEE10hipError_tT1_T2_PT3_SI_jT4_jjP12ihipStream_tbEUlT_E0_NS1_11comp_targetILNS1_3genE5ELNS1_11target_archE942ELNS1_3gpuE9ELNS1_3repE0EEENS1_52radix_sort_onesweep_histogram_config_static_selectorELNS0_4arch9wavefront6targetE1EEEvSG_.num_named_barrier, 0
	.set _ZN7rocprim17ROCPRIM_400000_NS6detail17trampoline_kernelINS0_14default_configENS1_35radix_sort_onesweep_config_selectorIiiEEZNS1_34radix_sort_onesweep_global_offsetsIS3_Lb1EN6thrust23THRUST_200600_302600_NS6detail15normal_iteratorINS8_10device_ptrIiEEEESD_jNS0_19identity_decomposerEEE10hipError_tT1_T2_PT3_SI_jT4_jjP12ihipStream_tbEUlT_E0_NS1_11comp_targetILNS1_3genE5ELNS1_11target_archE942ELNS1_3gpuE9ELNS1_3repE0EEENS1_52radix_sort_onesweep_histogram_config_static_selectorELNS0_4arch9wavefront6targetE1EEEvSG_.private_seg_size, 0
	.set _ZN7rocprim17ROCPRIM_400000_NS6detail17trampoline_kernelINS0_14default_configENS1_35radix_sort_onesweep_config_selectorIiiEEZNS1_34radix_sort_onesweep_global_offsetsIS3_Lb1EN6thrust23THRUST_200600_302600_NS6detail15normal_iteratorINS8_10device_ptrIiEEEESD_jNS0_19identity_decomposerEEE10hipError_tT1_T2_PT3_SI_jT4_jjP12ihipStream_tbEUlT_E0_NS1_11comp_targetILNS1_3genE5ELNS1_11target_archE942ELNS1_3gpuE9ELNS1_3repE0EEENS1_52radix_sort_onesweep_histogram_config_static_selectorELNS0_4arch9wavefront6targetE1EEEvSG_.uses_vcc, 0
	.set _ZN7rocprim17ROCPRIM_400000_NS6detail17trampoline_kernelINS0_14default_configENS1_35radix_sort_onesweep_config_selectorIiiEEZNS1_34radix_sort_onesweep_global_offsetsIS3_Lb1EN6thrust23THRUST_200600_302600_NS6detail15normal_iteratorINS8_10device_ptrIiEEEESD_jNS0_19identity_decomposerEEE10hipError_tT1_T2_PT3_SI_jT4_jjP12ihipStream_tbEUlT_E0_NS1_11comp_targetILNS1_3genE5ELNS1_11target_archE942ELNS1_3gpuE9ELNS1_3repE0EEENS1_52radix_sort_onesweep_histogram_config_static_selectorELNS0_4arch9wavefront6targetE1EEEvSG_.uses_flat_scratch, 0
	.set _ZN7rocprim17ROCPRIM_400000_NS6detail17trampoline_kernelINS0_14default_configENS1_35radix_sort_onesweep_config_selectorIiiEEZNS1_34radix_sort_onesweep_global_offsetsIS3_Lb1EN6thrust23THRUST_200600_302600_NS6detail15normal_iteratorINS8_10device_ptrIiEEEESD_jNS0_19identity_decomposerEEE10hipError_tT1_T2_PT3_SI_jT4_jjP12ihipStream_tbEUlT_E0_NS1_11comp_targetILNS1_3genE5ELNS1_11target_archE942ELNS1_3gpuE9ELNS1_3repE0EEENS1_52radix_sort_onesweep_histogram_config_static_selectorELNS0_4arch9wavefront6targetE1EEEvSG_.has_dyn_sized_stack, 0
	.set _ZN7rocprim17ROCPRIM_400000_NS6detail17trampoline_kernelINS0_14default_configENS1_35radix_sort_onesweep_config_selectorIiiEEZNS1_34radix_sort_onesweep_global_offsetsIS3_Lb1EN6thrust23THRUST_200600_302600_NS6detail15normal_iteratorINS8_10device_ptrIiEEEESD_jNS0_19identity_decomposerEEE10hipError_tT1_T2_PT3_SI_jT4_jjP12ihipStream_tbEUlT_E0_NS1_11comp_targetILNS1_3genE5ELNS1_11target_archE942ELNS1_3gpuE9ELNS1_3repE0EEENS1_52radix_sort_onesweep_histogram_config_static_selectorELNS0_4arch9wavefront6targetE1EEEvSG_.has_recursion, 0
	.set _ZN7rocprim17ROCPRIM_400000_NS6detail17trampoline_kernelINS0_14default_configENS1_35radix_sort_onesweep_config_selectorIiiEEZNS1_34radix_sort_onesweep_global_offsetsIS3_Lb1EN6thrust23THRUST_200600_302600_NS6detail15normal_iteratorINS8_10device_ptrIiEEEESD_jNS0_19identity_decomposerEEE10hipError_tT1_T2_PT3_SI_jT4_jjP12ihipStream_tbEUlT_E0_NS1_11comp_targetILNS1_3genE5ELNS1_11target_archE942ELNS1_3gpuE9ELNS1_3repE0EEENS1_52radix_sort_onesweep_histogram_config_static_selectorELNS0_4arch9wavefront6targetE1EEEvSG_.has_indirect_call, 0
	.section	.AMDGPU.csdata,"",@progbits
; Kernel info:
; codeLenInByte = 0
; TotalNumSgprs: 6
; NumVgprs: 0
; NumAgprs: 0
; TotalNumVgprs: 0
; ScratchSize: 0
; MemoryBound: 0
; FloatMode: 240
; IeeeMode: 1
; LDSByteSize: 0 bytes/workgroup (compile time only)
; SGPRBlocks: 0
; VGPRBlocks: 0
; NumSGPRsForWavesPerEU: 6
; NumVGPRsForWavesPerEU: 1
; AccumOffset: 4
; Occupancy: 8
; WaveLimiterHint : 0
; COMPUTE_PGM_RSRC2:SCRATCH_EN: 0
; COMPUTE_PGM_RSRC2:USER_SGPR: 2
; COMPUTE_PGM_RSRC2:TRAP_HANDLER: 0
; COMPUTE_PGM_RSRC2:TGID_X_EN: 1
; COMPUTE_PGM_RSRC2:TGID_Y_EN: 0
; COMPUTE_PGM_RSRC2:TGID_Z_EN: 0
; COMPUTE_PGM_RSRC2:TIDIG_COMP_CNT: 0
; COMPUTE_PGM_RSRC3_GFX90A:ACCUM_OFFSET: 0
; COMPUTE_PGM_RSRC3_GFX90A:TG_SPLIT: 0
	.section	.text._ZN7rocprim17ROCPRIM_400000_NS6detail17trampoline_kernelINS0_14default_configENS1_35radix_sort_onesweep_config_selectorIiiEEZNS1_34radix_sort_onesweep_global_offsetsIS3_Lb1EN6thrust23THRUST_200600_302600_NS6detail15normal_iteratorINS8_10device_ptrIiEEEESD_jNS0_19identity_decomposerEEE10hipError_tT1_T2_PT3_SI_jT4_jjP12ihipStream_tbEUlT_E0_NS1_11comp_targetILNS1_3genE2ELNS1_11target_archE906ELNS1_3gpuE6ELNS1_3repE0EEENS1_52radix_sort_onesweep_histogram_config_static_selectorELNS0_4arch9wavefront6targetE1EEEvSG_,"axG",@progbits,_ZN7rocprim17ROCPRIM_400000_NS6detail17trampoline_kernelINS0_14default_configENS1_35radix_sort_onesweep_config_selectorIiiEEZNS1_34radix_sort_onesweep_global_offsetsIS3_Lb1EN6thrust23THRUST_200600_302600_NS6detail15normal_iteratorINS8_10device_ptrIiEEEESD_jNS0_19identity_decomposerEEE10hipError_tT1_T2_PT3_SI_jT4_jjP12ihipStream_tbEUlT_E0_NS1_11comp_targetILNS1_3genE2ELNS1_11target_archE906ELNS1_3gpuE6ELNS1_3repE0EEENS1_52radix_sort_onesweep_histogram_config_static_selectorELNS0_4arch9wavefront6targetE1EEEvSG_,comdat
	.protected	_ZN7rocprim17ROCPRIM_400000_NS6detail17trampoline_kernelINS0_14default_configENS1_35radix_sort_onesweep_config_selectorIiiEEZNS1_34radix_sort_onesweep_global_offsetsIS3_Lb1EN6thrust23THRUST_200600_302600_NS6detail15normal_iteratorINS8_10device_ptrIiEEEESD_jNS0_19identity_decomposerEEE10hipError_tT1_T2_PT3_SI_jT4_jjP12ihipStream_tbEUlT_E0_NS1_11comp_targetILNS1_3genE2ELNS1_11target_archE906ELNS1_3gpuE6ELNS1_3repE0EEENS1_52radix_sort_onesweep_histogram_config_static_selectorELNS0_4arch9wavefront6targetE1EEEvSG_ ; -- Begin function _ZN7rocprim17ROCPRIM_400000_NS6detail17trampoline_kernelINS0_14default_configENS1_35radix_sort_onesweep_config_selectorIiiEEZNS1_34radix_sort_onesweep_global_offsetsIS3_Lb1EN6thrust23THRUST_200600_302600_NS6detail15normal_iteratorINS8_10device_ptrIiEEEESD_jNS0_19identity_decomposerEEE10hipError_tT1_T2_PT3_SI_jT4_jjP12ihipStream_tbEUlT_E0_NS1_11comp_targetILNS1_3genE2ELNS1_11target_archE906ELNS1_3gpuE6ELNS1_3repE0EEENS1_52radix_sort_onesweep_histogram_config_static_selectorELNS0_4arch9wavefront6targetE1EEEvSG_
	.globl	_ZN7rocprim17ROCPRIM_400000_NS6detail17trampoline_kernelINS0_14default_configENS1_35radix_sort_onesweep_config_selectorIiiEEZNS1_34radix_sort_onesweep_global_offsetsIS3_Lb1EN6thrust23THRUST_200600_302600_NS6detail15normal_iteratorINS8_10device_ptrIiEEEESD_jNS0_19identity_decomposerEEE10hipError_tT1_T2_PT3_SI_jT4_jjP12ihipStream_tbEUlT_E0_NS1_11comp_targetILNS1_3genE2ELNS1_11target_archE906ELNS1_3gpuE6ELNS1_3repE0EEENS1_52radix_sort_onesweep_histogram_config_static_selectorELNS0_4arch9wavefront6targetE1EEEvSG_
	.p2align	8
	.type	_ZN7rocprim17ROCPRIM_400000_NS6detail17trampoline_kernelINS0_14default_configENS1_35radix_sort_onesweep_config_selectorIiiEEZNS1_34radix_sort_onesweep_global_offsetsIS3_Lb1EN6thrust23THRUST_200600_302600_NS6detail15normal_iteratorINS8_10device_ptrIiEEEESD_jNS0_19identity_decomposerEEE10hipError_tT1_T2_PT3_SI_jT4_jjP12ihipStream_tbEUlT_E0_NS1_11comp_targetILNS1_3genE2ELNS1_11target_archE906ELNS1_3gpuE6ELNS1_3repE0EEENS1_52radix_sort_onesweep_histogram_config_static_selectorELNS0_4arch9wavefront6targetE1EEEvSG_,@function
_ZN7rocprim17ROCPRIM_400000_NS6detail17trampoline_kernelINS0_14default_configENS1_35radix_sort_onesweep_config_selectorIiiEEZNS1_34radix_sort_onesweep_global_offsetsIS3_Lb1EN6thrust23THRUST_200600_302600_NS6detail15normal_iteratorINS8_10device_ptrIiEEEESD_jNS0_19identity_decomposerEEE10hipError_tT1_T2_PT3_SI_jT4_jjP12ihipStream_tbEUlT_E0_NS1_11comp_targetILNS1_3genE2ELNS1_11target_archE906ELNS1_3gpuE6ELNS1_3repE0EEENS1_52radix_sort_onesweep_histogram_config_static_selectorELNS0_4arch9wavefront6targetE1EEEvSG_: ; @_ZN7rocprim17ROCPRIM_400000_NS6detail17trampoline_kernelINS0_14default_configENS1_35radix_sort_onesweep_config_selectorIiiEEZNS1_34radix_sort_onesweep_global_offsetsIS3_Lb1EN6thrust23THRUST_200600_302600_NS6detail15normal_iteratorINS8_10device_ptrIiEEEESD_jNS0_19identity_decomposerEEE10hipError_tT1_T2_PT3_SI_jT4_jjP12ihipStream_tbEUlT_E0_NS1_11comp_targetILNS1_3genE2ELNS1_11target_archE906ELNS1_3gpuE6ELNS1_3repE0EEENS1_52radix_sort_onesweep_histogram_config_static_selectorELNS0_4arch9wavefront6targetE1EEEvSG_
; %bb.0:
	.section	.rodata,"a",@progbits
	.p2align	6, 0x0
	.amdhsa_kernel _ZN7rocprim17ROCPRIM_400000_NS6detail17trampoline_kernelINS0_14default_configENS1_35radix_sort_onesweep_config_selectorIiiEEZNS1_34radix_sort_onesweep_global_offsetsIS3_Lb1EN6thrust23THRUST_200600_302600_NS6detail15normal_iteratorINS8_10device_ptrIiEEEESD_jNS0_19identity_decomposerEEE10hipError_tT1_T2_PT3_SI_jT4_jjP12ihipStream_tbEUlT_E0_NS1_11comp_targetILNS1_3genE2ELNS1_11target_archE906ELNS1_3gpuE6ELNS1_3repE0EEENS1_52radix_sort_onesweep_histogram_config_static_selectorELNS0_4arch9wavefront6targetE1EEEvSG_
		.amdhsa_group_segment_fixed_size 0
		.amdhsa_private_segment_fixed_size 0
		.amdhsa_kernarg_size 8
		.amdhsa_user_sgpr_count 2
		.amdhsa_user_sgpr_dispatch_ptr 0
		.amdhsa_user_sgpr_queue_ptr 0
		.amdhsa_user_sgpr_kernarg_segment_ptr 1
		.amdhsa_user_sgpr_dispatch_id 0
		.amdhsa_user_sgpr_kernarg_preload_length 0
		.amdhsa_user_sgpr_kernarg_preload_offset 0
		.amdhsa_user_sgpr_private_segment_size 0
		.amdhsa_uses_dynamic_stack 0
		.amdhsa_enable_private_segment 0
		.amdhsa_system_sgpr_workgroup_id_x 1
		.amdhsa_system_sgpr_workgroup_id_y 0
		.amdhsa_system_sgpr_workgroup_id_z 0
		.amdhsa_system_sgpr_workgroup_info 0
		.amdhsa_system_vgpr_workitem_id 0
		.amdhsa_next_free_vgpr 1
		.amdhsa_next_free_sgpr 0
		.amdhsa_accum_offset 4
		.amdhsa_reserve_vcc 0
		.amdhsa_float_round_mode_32 0
		.amdhsa_float_round_mode_16_64 0
		.amdhsa_float_denorm_mode_32 3
		.amdhsa_float_denorm_mode_16_64 3
		.amdhsa_dx10_clamp 1
		.amdhsa_ieee_mode 1
		.amdhsa_fp16_overflow 0
		.amdhsa_tg_split 0
		.amdhsa_exception_fp_ieee_invalid_op 0
		.amdhsa_exception_fp_denorm_src 0
		.amdhsa_exception_fp_ieee_div_zero 0
		.amdhsa_exception_fp_ieee_overflow 0
		.amdhsa_exception_fp_ieee_underflow 0
		.amdhsa_exception_fp_ieee_inexact 0
		.amdhsa_exception_int_div_zero 0
	.end_amdhsa_kernel
	.section	.text._ZN7rocprim17ROCPRIM_400000_NS6detail17trampoline_kernelINS0_14default_configENS1_35radix_sort_onesweep_config_selectorIiiEEZNS1_34radix_sort_onesweep_global_offsetsIS3_Lb1EN6thrust23THRUST_200600_302600_NS6detail15normal_iteratorINS8_10device_ptrIiEEEESD_jNS0_19identity_decomposerEEE10hipError_tT1_T2_PT3_SI_jT4_jjP12ihipStream_tbEUlT_E0_NS1_11comp_targetILNS1_3genE2ELNS1_11target_archE906ELNS1_3gpuE6ELNS1_3repE0EEENS1_52radix_sort_onesweep_histogram_config_static_selectorELNS0_4arch9wavefront6targetE1EEEvSG_,"axG",@progbits,_ZN7rocprim17ROCPRIM_400000_NS6detail17trampoline_kernelINS0_14default_configENS1_35radix_sort_onesweep_config_selectorIiiEEZNS1_34radix_sort_onesweep_global_offsetsIS3_Lb1EN6thrust23THRUST_200600_302600_NS6detail15normal_iteratorINS8_10device_ptrIiEEEESD_jNS0_19identity_decomposerEEE10hipError_tT1_T2_PT3_SI_jT4_jjP12ihipStream_tbEUlT_E0_NS1_11comp_targetILNS1_3genE2ELNS1_11target_archE906ELNS1_3gpuE6ELNS1_3repE0EEENS1_52radix_sort_onesweep_histogram_config_static_selectorELNS0_4arch9wavefront6targetE1EEEvSG_,comdat
.Lfunc_end993:
	.size	_ZN7rocprim17ROCPRIM_400000_NS6detail17trampoline_kernelINS0_14default_configENS1_35radix_sort_onesweep_config_selectorIiiEEZNS1_34radix_sort_onesweep_global_offsetsIS3_Lb1EN6thrust23THRUST_200600_302600_NS6detail15normal_iteratorINS8_10device_ptrIiEEEESD_jNS0_19identity_decomposerEEE10hipError_tT1_T2_PT3_SI_jT4_jjP12ihipStream_tbEUlT_E0_NS1_11comp_targetILNS1_3genE2ELNS1_11target_archE906ELNS1_3gpuE6ELNS1_3repE0EEENS1_52radix_sort_onesweep_histogram_config_static_selectorELNS0_4arch9wavefront6targetE1EEEvSG_, .Lfunc_end993-_ZN7rocprim17ROCPRIM_400000_NS6detail17trampoline_kernelINS0_14default_configENS1_35radix_sort_onesweep_config_selectorIiiEEZNS1_34radix_sort_onesweep_global_offsetsIS3_Lb1EN6thrust23THRUST_200600_302600_NS6detail15normal_iteratorINS8_10device_ptrIiEEEESD_jNS0_19identity_decomposerEEE10hipError_tT1_T2_PT3_SI_jT4_jjP12ihipStream_tbEUlT_E0_NS1_11comp_targetILNS1_3genE2ELNS1_11target_archE906ELNS1_3gpuE6ELNS1_3repE0EEENS1_52radix_sort_onesweep_histogram_config_static_selectorELNS0_4arch9wavefront6targetE1EEEvSG_
                                        ; -- End function
	.set _ZN7rocprim17ROCPRIM_400000_NS6detail17trampoline_kernelINS0_14default_configENS1_35radix_sort_onesweep_config_selectorIiiEEZNS1_34radix_sort_onesweep_global_offsetsIS3_Lb1EN6thrust23THRUST_200600_302600_NS6detail15normal_iteratorINS8_10device_ptrIiEEEESD_jNS0_19identity_decomposerEEE10hipError_tT1_T2_PT3_SI_jT4_jjP12ihipStream_tbEUlT_E0_NS1_11comp_targetILNS1_3genE2ELNS1_11target_archE906ELNS1_3gpuE6ELNS1_3repE0EEENS1_52radix_sort_onesweep_histogram_config_static_selectorELNS0_4arch9wavefront6targetE1EEEvSG_.num_vgpr, 0
	.set _ZN7rocprim17ROCPRIM_400000_NS6detail17trampoline_kernelINS0_14default_configENS1_35radix_sort_onesweep_config_selectorIiiEEZNS1_34radix_sort_onesweep_global_offsetsIS3_Lb1EN6thrust23THRUST_200600_302600_NS6detail15normal_iteratorINS8_10device_ptrIiEEEESD_jNS0_19identity_decomposerEEE10hipError_tT1_T2_PT3_SI_jT4_jjP12ihipStream_tbEUlT_E0_NS1_11comp_targetILNS1_3genE2ELNS1_11target_archE906ELNS1_3gpuE6ELNS1_3repE0EEENS1_52radix_sort_onesweep_histogram_config_static_selectorELNS0_4arch9wavefront6targetE1EEEvSG_.num_agpr, 0
	.set _ZN7rocprim17ROCPRIM_400000_NS6detail17trampoline_kernelINS0_14default_configENS1_35radix_sort_onesweep_config_selectorIiiEEZNS1_34radix_sort_onesweep_global_offsetsIS3_Lb1EN6thrust23THRUST_200600_302600_NS6detail15normal_iteratorINS8_10device_ptrIiEEEESD_jNS0_19identity_decomposerEEE10hipError_tT1_T2_PT3_SI_jT4_jjP12ihipStream_tbEUlT_E0_NS1_11comp_targetILNS1_3genE2ELNS1_11target_archE906ELNS1_3gpuE6ELNS1_3repE0EEENS1_52radix_sort_onesweep_histogram_config_static_selectorELNS0_4arch9wavefront6targetE1EEEvSG_.numbered_sgpr, 0
	.set _ZN7rocprim17ROCPRIM_400000_NS6detail17trampoline_kernelINS0_14default_configENS1_35radix_sort_onesweep_config_selectorIiiEEZNS1_34radix_sort_onesweep_global_offsetsIS3_Lb1EN6thrust23THRUST_200600_302600_NS6detail15normal_iteratorINS8_10device_ptrIiEEEESD_jNS0_19identity_decomposerEEE10hipError_tT1_T2_PT3_SI_jT4_jjP12ihipStream_tbEUlT_E0_NS1_11comp_targetILNS1_3genE2ELNS1_11target_archE906ELNS1_3gpuE6ELNS1_3repE0EEENS1_52radix_sort_onesweep_histogram_config_static_selectorELNS0_4arch9wavefront6targetE1EEEvSG_.num_named_barrier, 0
	.set _ZN7rocprim17ROCPRIM_400000_NS6detail17trampoline_kernelINS0_14default_configENS1_35radix_sort_onesweep_config_selectorIiiEEZNS1_34radix_sort_onesweep_global_offsetsIS3_Lb1EN6thrust23THRUST_200600_302600_NS6detail15normal_iteratorINS8_10device_ptrIiEEEESD_jNS0_19identity_decomposerEEE10hipError_tT1_T2_PT3_SI_jT4_jjP12ihipStream_tbEUlT_E0_NS1_11comp_targetILNS1_3genE2ELNS1_11target_archE906ELNS1_3gpuE6ELNS1_3repE0EEENS1_52radix_sort_onesweep_histogram_config_static_selectorELNS0_4arch9wavefront6targetE1EEEvSG_.private_seg_size, 0
	.set _ZN7rocprim17ROCPRIM_400000_NS6detail17trampoline_kernelINS0_14default_configENS1_35radix_sort_onesweep_config_selectorIiiEEZNS1_34radix_sort_onesweep_global_offsetsIS3_Lb1EN6thrust23THRUST_200600_302600_NS6detail15normal_iteratorINS8_10device_ptrIiEEEESD_jNS0_19identity_decomposerEEE10hipError_tT1_T2_PT3_SI_jT4_jjP12ihipStream_tbEUlT_E0_NS1_11comp_targetILNS1_3genE2ELNS1_11target_archE906ELNS1_3gpuE6ELNS1_3repE0EEENS1_52radix_sort_onesweep_histogram_config_static_selectorELNS0_4arch9wavefront6targetE1EEEvSG_.uses_vcc, 0
	.set _ZN7rocprim17ROCPRIM_400000_NS6detail17trampoline_kernelINS0_14default_configENS1_35radix_sort_onesweep_config_selectorIiiEEZNS1_34radix_sort_onesweep_global_offsetsIS3_Lb1EN6thrust23THRUST_200600_302600_NS6detail15normal_iteratorINS8_10device_ptrIiEEEESD_jNS0_19identity_decomposerEEE10hipError_tT1_T2_PT3_SI_jT4_jjP12ihipStream_tbEUlT_E0_NS1_11comp_targetILNS1_3genE2ELNS1_11target_archE906ELNS1_3gpuE6ELNS1_3repE0EEENS1_52radix_sort_onesweep_histogram_config_static_selectorELNS0_4arch9wavefront6targetE1EEEvSG_.uses_flat_scratch, 0
	.set _ZN7rocprim17ROCPRIM_400000_NS6detail17trampoline_kernelINS0_14default_configENS1_35radix_sort_onesweep_config_selectorIiiEEZNS1_34radix_sort_onesweep_global_offsetsIS3_Lb1EN6thrust23THRUST_200600_302600_NS6detail15normal_iteratorINS8_10device_ptrIiEEEESD_jNS0_19identity_decomposerEEE10hipError_tT1_T2_PT3_SI_jT4_jjP12ihipStream_tbEUlT_E0_NS1_11comp_targetILNS1_3genE2ELNS1_11target_archE906ELNS1_3gpuE6ELNS1_3repE0EEENS1_52radix_sort_onesweep_histogram_config_static_selectorELNS0_4arch9wavefront6targetE1EEEvSG_.has_dyn_sized_stack, 0
	.set _ZN7rocprim17ROCPRIM_400000_NS6detail17trampoline_kernelINS0_14default_configENS1_35radix_sort_onesweep_config_selectorIiiEEZNS1_34radix_sort_onesweep_global_offsetsIS3_Lb1EN6thrust23THRUST_200600_302600_NS6detail15normal_iteratorINS8_10device_ptrIiEEEESD_jNS0_19identity_decomposerEEE10hipError_tT1_T2_PT3_SI_jT4_jjP12ihipStream_tbEUlT_E0_NS1_11comp_targetILNS1_3genE2ELNS1_11target_archE906ELNS1_3gpuE6ELNS1_3repE0EEENS1_52radix_sort_onesweep_histogram_config_static_selectorELNS0_4arch9wavefront6targetE1EEEvSG_.has_recursion, 0
	.set _ZN7rocprim17ROCPRIM_400000_NS6detail17trampoline_kernelINS0_14default_configENS1_35radix_sort_onesweep_config_selectorIiiEEZNS1_34radix_sort_onesweep_global_offsetsIS3_Lb1EN6thrust23THRUST_200600_302600_NS6detail15normal_iteratorINS8_10device_ptrIiEEEESD_jNS0_19identity_decomposerEEE10hipError_tT1_T2_PT3_SI_jT4_jjP12ihipStream_tbEUlT_E0_NS1_11comp_targetILNS1_3genE2ELNS1_11target_archE906ELNS1_3gpuE6ELNS1_3repE0EEENS1_52radix_sort_onesweep_histogram_config_static_selectorELNS0_4arch9wavefront6targetE1EEEvSG_.has_indirect_call, 0
	.section	.AMDGPU.csdata,"",@progbits
; Kernel info:
; codeLenInByte = 0
; TotalNumSgprs: 6
; NumVgprs: 0
; NumAgprs: 0
; TotalNumVgprs: 0
; ScratchSize: 0
; MemoryBound: 0
; FloatMode: 240
; IeeeMode: 1
; LDSByteSize: 0 bytes/workgroup (compile time only)
; SGPRBlocks: 0
; VGPRBlocks: 0
; NumSGPRsForWavesPerEU: 6
; NumVGPRsForWavesPerEU: 1
; AccumOffset: 4
; Occupancy: 8
; WaveLimiterHint : 0
; COMPUTE_PGM_RSRC2:SCRATCH_EN: 0
; COMPUTE_PGM_RSRC2:USER_SGPR: 2
; COMPUTE_PGM_RSRC2:TRAP_HANDLER: 0
; COMPUTE_PGM_RSRC2:TGID_X_EN: 1
; COMPUTE_PGM_RSRC2:TGID_Y_EN: 0
; COMPUTE_PGM_RSRC2:TGID_Z_EN: 0
; COMPUTE_PGM_RSRC2:TIDIG_COMP_CNT: 0
; COMPUTE_PGM_RSRC3_GFX90A:ACCUM_OFFSET: 0
; COMPUTE_PGM_RSRC3_GFX90A:TG_SPLIT: 0
	.section	.text._ZN7rocprim17ROCPRIM_400000_NS6detail17trampoline_kernelINS0_14default_configENS1_35radix_sort_onesweep_config_selectorIiiEEZNS1_34radix_sort_onesweep_global_offsetsIS3_Lb1EN6thrust23THRUST_200600_302600_NS6detail15normal_iteratorINS8_10device_ptrIiEEEESD_jNS0_19identity_decomposerEEE10hipError_tT1_T2_PT3_SI_jT4_jjP12ihipStream_tbEUlT_E0_NS1_11comp_targetILNS1_3genE4ELNS1_11target_archE910ELNS1_3gpuE8ELNS1_3repE0EEENS1_52radix_sort_onesweep_histogram_config_static_selectorELNS0_4arch9wavefront6targetE1EEEvSG_,"axG",@progbits,_ZN7rocprim17ROCPRIM_400000_NS6detail17trampoline_kernelINS0_14default_configENS1_35radix_sort_onesweep_config_selectorIiiEEZNS1_34radix_sort_onesweep_global_offsetsIS3_Lb1EN6thrust23THRUST_200600_302600_NS6detail15normal_iteratorINS8_10device_ptrIiEEEESD_jNS0_19identity_decomposerEEE10hipError_tT1_T2_PT3_SI_jT4_jjP12ihipStream_tbEUlT_E0_NS1_11comp_targetILNS1_3genE4ELNS1_11target_archE910ELNS1_3gpuE8ELNS1_3repE0EEENS1_52radix_sort_onesweep_histogram_config_static_selectorELNS0_4arch9wavefront6targetE1EEEvSG_,comdat
	.protected	_ZN7rocprim17ROCPRIM_400000_NS6detail17trampoline_kernelINS0_14default_configENS1_35radix_sort_onesweep_config_selectorIiiEEZNS1_34radix_sort_onesweep_global_offsetsIS3_Lb1EN6thrust23THRUST_200600_302600_NS6detail15normal_iteratorINS8_10device_ptrIiEEEESD_jNS0_19identity_decomposerEEE10hipError_tT1_T2_PT3_SI_jT4_jjP12ihipStream_tbEUlT_E0_NS1_11comp_targetILNS1_3genE4ELNS1_11target_archE910ELNS1_3gpuE8ELNS1_3repE0EEENS1_52radix_sort_onesweep_histogram_config_static_selectorELNS0_4arch9wavefront6targetE1EEEvSG_ ; -- Begin function _ZN7rocprim17ROCPRIM_400000_NS6detail17trampoline_kernelINS0_14default_configENS1_35radix_sort_onesweep_config_selectorIiiEEZNS1_34radix_sort_onesweep_global_offsetsIS3_Lb1EN6thrust23THRUST_200600_302600_NS6detail15normal_iteratorINS8_10device_ptrIiEEEESD_jNS0_19identity_decomposerEEE10hipError_tT1_T2_PT3_SI_jT4_jjP12ihipStream_tbEUlT_E0_NS1_11comp_targetILNS1_3genE4ELNS1_11target_archE910ELNS1_3gpuE8ELNS1_3repE0EEENS1_52radix_sort_onesweep_histogram_config_static_selectorELNS0_4arch9wavefront6targetE1EEEvSG_
	.globl	_ZN7rocprim17ROCPRIM_400000_NS6detail17trampoline_kernelINS0_14default_configENS1_35radix_sort_onesweep_config_selectorIiiEEZNS1_34radix_sort_onesweep_global_offsetsIS3_Lb1EN6thrust23THRUST_200600_302600_NS6detail15normal_iteratorINS8_10device_ptrIiEEEESD_jNS0_19identity_decomposerEEE10hipError_tT1_T2_PT3_SI_jT4_jjP12ihipStream_tbEUlT_E0_NS1_11comp_targetILNS1_3genE4ELNS1_11target_archE910ELNS1_3gpuE8ELNS1_3repE0EEENS1_52radix_sort_onesweep_histogram_config_static_selectorELNS0_4arch9wavefront6targetE1EEEvSG_
	.p2align	8
	.type	_ZN7rocprim17ROCPRIM_400000_NS6detail17trampoline_kernelINS0_14default_configENS1_35radix_sort_onesweep_config_selectorIiiEEZNS1_34radix_sort_onesweep_global_offsetsIS3_Lb1EN6thrust23THRUST_200600_302600_NS6detail15normal_iteratorINS8_10device_ptrIiEEEESD_jNS0_19identity_decomposerEEE10hipError_tT1_T2_PT3_SI_jT4_jjP12ihipStream_tbEUlT_E0_NS1_11comp_targetILNS1_3genE4ELNS1_11target_archE910ELNS1_3gpuE8ELNS1_3repE0EEENS1_52radix_sort_onesweep_histogram_config_static_selectorELNS0_4arch9wavefront6targetE1EEEvSG_,@function
_ZN7rocprim17ROCPRIM_400000_NS6detail17trampoline_kernelINS0_14default_configENS1_35radix_sort_onesweep_config_selectorIiiEEZNS1_34radix_sort_onesweep_global_offsetsIS3_Lb1EN6thrust23THRUST_200600_302600_NS6detail15normal_iteratorINS8_10device_ptrIiEEEESD_jNS0_19identity_decomposerEEE10hipError_tT1_T2_PT3_SI_jT4_jjP12ihipStream_tbEUlT_E0_NS1_11comp_targetILNS1_3genE4ELNS1_11target_archE910ELNS1_3gpuE8ELNS1_3repE0EEENS1_52radix_sort_onesweep_histogram_config_static_selectorELNS0_4arch9wavefront6targetE1EEEvSG_: ; @_ZN7rocprim17ROCPRIM_400000_NS6detail17trampoline_kernelINS0_14default_configENS1_35radix_sort_onesweep_config_selectorIiiEEZNS1_34radix_sort_onesweep_global_offsetsIS3_Lb1EN6thrust23THRUST_200600_302600_NS6detail15normal_iteratorINS8_10device_ptrIiEEEESD_jNS0_19identity_decomposerEEE10hipError_tT1_T2_PT3_SI_jT4_jjP12ihipStream_tbEUlT_E0_NS1_11comp_targetILNS1_3genE4ELNS1_11target_archE910ELNS1_3gpuE8ELNS1_3repE0EEENS1_52radix_sort_onesweep_histogram_config_static_selectorELNS0_4arch9wavefront6targetE1EEEvSG_
; %bb.0:
	.section	.rodata,"a",@progbits
	.p2align	6, 0x0
	.amdhsa_kernel _ZN7rocprim17ROCPRIM_400000_NS6detail17trampoline_kernelINS0_14default_configENS1_35radix_sort_onesweep_config_selectorIiiEEZNS1_34radix_sort_onesweep_global_offsetsIS3_Lb1EN6thrust23THRUST_200600_302600_NS6detail15normal_iteratorINS8_10device_ptrIiEEEESD_jNS0_19identity_decomposerEEE10hipError_tT1_T2_PT3_SI_jT4_jjP12ihipStream_tbEUlT_E0_NS1_11comp_targetILNS1_3genE4ELNS1_11target_archE910ELNS1_3gpuE8ELNS1_3repE0EEENS1_52radix_sort_onesweep_histogram_config_static_selectorELNS0_4arch9wavefront6targetE1EEEvSG_
		.amdhsa_group_segment_fixed_size 0
		.amdhsa_private_segment_fixed_size 0
		.amdhsa_kernarg_size 8
		.amdhsa_user_sgpr_count 2
		.amdhsa_user_sgpr_dispatch_ptr 0
		.amdhsa_user_sgpr_queue_ptr 0
		.amdhsa_user_sgpr_kernarg_segment_ptr 1
		.amdhsa_user_sgpr_dispatch_id 0
		.amdhsa_user_sgpr_kernarg_preload_length 0
		.amdhsa_user_sgpr_kernarg_preload_offset 0
		.amdhsa_user_sgpr_private_segment_size 0
		.amdhsa_uses_dynamic_stack 0
		.amdhsa_enable_private_segment 0
		.amdhsa_system_sgpr_workgroup_id_x 1
		.amdhsa_system_sgpr_workgroup_id_y 0
		.amdhsa_system_sgpr_workgroup_id_z 0
		.amdhsa_system_sgpr_workgroup_info 0
		.amdhsa_system_vgpr_workitem_id 0
		.amdhsa_next_free_vgpr 1
		.amdhsa_next_free_sgpr 0
		.amdhsa_accum_offset 4
		.amdhsa_reserve_vcc 0
		.amdhsa_float_round_mode_32 0
		.amdhsa_float_round_mode_16_64 0
		.amdhsa_float_denorm_mode_32 3
		.amdhsa_float_denorm_mode_16_64 3
		.amdhsa_dx10_clamp 1
		.amdhsa_ieee_mode 1
		.amdhsa_fp16_overflow 0
		.amdhsa_tg_split 0
		.amdhsa_exception_fp_ieee_invalid_op 0
		.amdhsa_exception_fp_denorm_src 0
		.amdhsa_exception_fp_ieee_div_zero 0
		.amdhsa_exception_fp_ieee_overflow 0
		.amdhsa_exception_fp_ieee_underflow 0
		.amdhsa_exception_fp_ieee_inexact 0
		.amdhsa_exception_int_div_zero 0
	.end_amdhsa_kernel
	.section	.text._ZN7rocprim17ROCPRIM_400000_NS6detail17trampoline_kernelINS0_14default_configENS1_35radix_sort_onesweep_config_selectorIiiEEZNS1_34radix_sort_onesweep_global_offsetsIS3_Lb1EN6thrust23THRUST_200600_302600_NS6detail15normal_iteratorINS8_10device_ptrIiEEEESD_jNS0_19identity_decomposerEEE10hipError_tT1_T2_PT3_SI_jT4_jjP12ihipStream_tbEUlT_E0_NS1_11comp_targetILNS1_3genE4ELNS1_11target_archE910ELNS1_3gpuE8ELNS1_3repE0EEENS1_52radix_sort_onesweep_histogram_config_static_selectorELNS0_4arch9wavefront6targetE1EEEvSG_,"axG",@progbits,_ZN7rocprim17ROCPRIM_400000_NS6detail17trampoline_kernelINS0_14default_configENS1_35radix_sort_onesweep_config_selectorIiiEEZNS1_34radix_sort_onesweep_global_offsetsIS3_Lb1EN6thrust23THRUST_200600_302600_NS6detail15normal_iteratorINS8_10device_ptrIiEEEESD_jNS0_19identity_decomposerEEE10hipError_tT1_T2_PT3_SI_jT4_jjP12ihipStream_tbEUlT_E0_NS1_11comp_targetILNS1_3genE4ELNS1_11target_archE910ELNS1_3gpuE8ELNS1_3repE0EEENS1_52radix_sort_onesweep_histogram_config_static_selectorELNS0_4arch9wavefront6targetE1EEEvSG_,comdat
.Lfunc_end994:
	.size	_ZN7rocprim17ROCPRIM_400000_NS6detail17trampoline_kernelINS0_14default_configENS1_35radix_sort_onesweep_config_selectorIiiEEZNS1_34radix_sort_onesweep_global_offsetsIS3_Lb1EN6thrust23THRUST_200600_302600_NS6detail15normal_iteratorINS8_10device_ptrIiEEEESD_jNS0_19identity_decomposerEEE10hipError_tT1_T2_PT3_SI_jT4_jjP12ihipStream_tbEUlT_E0_NS1_11comp_targetILNS1_3genE4ELNS1_11target_archE910ELNS1_3gpuE8ELNS1_3repE0EEENS1_52radix_sort_onesweep_histogram_config_static_selectorELNS0_4arch9wavefront6targetE1EEEvSG_, .Lfunc_end994-_ZN7rocprim17ROCPRIM_400000_NS6detail17trampoline_kernelINS0_14default_configENS1_35radix_sort_onesweep_config_selectorIiiEEZNS1_34radix_sort_onesweep_global_offsetsIS3_Lb1EN6thrust23THRUST_200600_302600_NS6detail15normal_iteratorINS8_10device_ptrIiEEEESD_jNS0_19identity_decomposerEEE10hipError_tT1_T2_PT3_SI_jT4_jjP12ihipStream_tbEUlT_E0_NS1_11comp_targetILNS1_3genE4ELNS1_11target_archE910ELNS1_3gpuE8ELNS1_3repE0EEENS1_52radix_sort_onesweep_histogram_config_static_selectorELNS0_4arch9wavefront6targetE1EEEvSG_
                                        ; -- End function
	.set _ZN7rocprim17ROCPRIM_400000_NS6detail17trampoline_kernelINS0_14default_configENS1_35radix_sort_onesweep_config_selectorIiiEEZNS1_34radix_sort_onesweep_global_offsetsIS3_Lb1EN6thrust23THRUST_200600_302600_NS6detail15normal_iteratorINS8_10device_ptrIiEEEESD_jNS0_19identity_decomposerEEE10hipError_tT1_T2_PT3_SI_jT4_jjP12ihipStream_tbEUlT_E0_NS1_11comp_targetILNS1_3genE4ELNS1_11target_archE910ELNS1_3gpuE8ELNS1_3repE0EEENS1_52radix_sort_onesweep_histogram_config_static_selectorELNS0_4arch9wavefront6targetE1EEEvSG_.num_vgpr, 0
	.set _ZN7rocprim17ROCPRIM_400000_NS6detail17trampoline_kernelINS0_14default_configENS1_35radix_sort_onesweep_config_selectorIiiEEZNS1_34radix_sort_onesweep_global_offsetsIS3_Lb1EN6thrust23THRUST_200600_302600_NS6detail15normal_iteratorINS8_10device_ptrIiEEEESD_jNS0_19identity_decomposerEEE10hipError_tT1_T2_PT3_SI_jT4_jjP12ihipStream_tbEUlT_E0_NS1_11comp_targetILNS1_3genE4ELNS1_11target_archE910ELNS1_3gpuE8ELNS1_3repE0EEENS1_52radix_sort_onesweep_histogram_config_static_selectorELNS0_4arch9wavefront6targetE1EEEvSG_.num_agpr, 0
	.set _ZN7rocprim17ROCPRIM_400000_NS6detail17trampoline_kernelINS0_14default_configENS1_35radix_sort_onesweep_config_selectorIiiEEZNS1_34radix_sort_onesweep_global_offsetsIS3_Lb1EN6thrust23THRUST_200600_302600_NS6detail15normal_iteratorINS8_10device_ptrIiEEEESD_jNS0_19identity_decomposerEEE10hipError_tT1_T2_PT3_SI_jT4_jjP12ihipStream_tbEUlT_E0_NS1_11comp_targetILNS1_3genE4ELNS1_11target_archE910ELNS1_3gpuE8ELNS1_3repE0EEENS1_52radix_sort_onesweep_histogram_config_static_selectorELNS0_4arch9wavefront6targetE1EEEvSG_.numbered_sgpr, 0
	.set _ZN7rocprim17ROCPRIM_400000_NS6detail17trampoline_kernelINS0_14default_configENS1_35radix_sort_onesweep_config_selectorIiiEEZNS1_34radix_sort_onesweep_global_offsetsIS3_Lb1EN6thrust23THRUST_200600_302600_NS6detail15normal_iteratorINS8_10device_ptrIiEEEESD_jNS0_19identity_decomposerEEE10hipError_tT1_T2_PT3_SI_jT4_jjP12ihipStream_tbEUlT_E0_NS1_11comp_targetILNS1_3genE4ELNS1_11target_archE910ELNS1_3gpuE8ELNS1_3repE0EEENS1_52radix_sort_onesweep_histogram_config_static_selectorELNS0_4arch9wavefront6targetE1EEEvSG_.num_named_barrier, 0
	.set _ZN7rocprim17ROCPRIM_400000_NS6detail17trampoline_kernelINS0_14default_configENS1_35radix_sort_onesweep_config_selectorIiiEEZNS1_34radix_sort_onesweep_global_offsetsIS3_Lb1EN6thrust23THRUST_200600_302600_NS6detail15normal_iteratorINS8_10device_ptrIiEEEESD_jNS0_19identity_decomposerEEE10hipError_tT1_T2_PT3_SI_jT4_jjP12ihipStream_tbEUlT_E0_NS1_11comp_targetILNS1_3genE4ELNS1_11target_archE910ELNS1_3gpuE8ELNS1_3repE0EEENS1_52radix_sort_onesweep_histogram_config_static_selectorELNS0_4arch9wavefront6targetE1EEEvSG_.private_seg_size, 0
	.set _ZN7rocprim17ROCPRIM_400000_NS6detail17trampoline_kernelINS0_14default_configENS1_35radix_sort_onesweep_config_selectorIiiEEZNS1_34radix_sort_onesweep_global_offsetsIS3_Lb1EN6thrust23THRUST_200600_302600_NS6detail15normal_iteratorINS8_10device_ptrIiEEEESD_jNS0_19identity_decomposerEEE10hipError_tT1_T2_PT3_SI_jT4_jjP12ihipStream_tbEUlT_E0_NS1_11comp_targetILNS1_3genE4ELNS1_11target_archE910ELNS1_3gpuE8ELNS1_3repE0EEENS1_52radix_sort_onesweep_histogram_config_static_selectorELNS0_4arch9wavefront6targetE1EEEvSG_.uses_vcc, 0
	.set _ZN7rocprim17ROCPRIM_400000_NS6detail17trampoline_kernelINS0_14default_configENS1_35radix_sort_onesweep_config_selectorIiiEEZNS1_34radix_sort_onesweep_global_offsetsIS3_Lb1EN6thrust23THRUST_200600_302600_NS6detail15normal_iteratorINS8_10device_ptrIiEEEESD_jNS0_19identity_decomposerEEE10hipError_tT1_T2_PT3_SI_jT4_jjP12ihipStream_tbEUlT_E0_NS1_11comp_targetILNS1_3genE4ELNS1_11target_archE910ELNS1_3gpuE8ELNS1_3repE0EEENS1_52radix_sort_onesweep_histogram_config_static_selectorELNS0_4arch9wavefront6targetE1EEEvSG_.uses_flat_scratch, 0
	.set _ZN7rocprim17ROCPRIM_400000_NS6detail17trampoline_kernelINS0_14default_configENS1_35radix_sort_onesweep_config_selectorIiiEEZNS1_34radix_sort_onesweep_global_offsetsIS3_Lb1EN6thrust23THRUST_200600_302600_NS6detail15normal_iteratorINS8_10device_ptrIiEEEESD_jNS0_19identity_decomposerEEE10hipError_tT1_T2_PT3_SI_jT4_jjP12ihipStream_tbEUlT_E0_NS1_11comp_targetILNS1_3genE4ELNS1_11target_archE910ELNS1_3gpuE8ELNS1_3repE0EEENS1_52radix_sort_onesweep_histogram_config_static_selectorELNS0_4arch9wavefront6targetE1EEEvSG_.has_dyn_sized_stack, 0
	.set _ZN7rocprim17ROCPRIM_400000_NS6detail17trampoline_kernelINS0_14default_configENS1_35radix_sort_onesweep_config_selectorIiiEEZNS1_34radix_sort_onesweep_global_offsetsIS3_Lb1EN6thrust23THRUST_200600_302600_NS6detail15normal_iteratorINS8_10device_ptrIiEEEESD_jNS0_19identity_decomposerEEE10hipError_tT1_T2_PT3_SI_jT4_jjP12ihipStream_tbEUlT_E0_NS1_11comp_targetILNS1_3genE4ELNS1_11target_archE910ELNS1_3gpuE8ELNS1_3repE0EEENS1_52radix_sort_onesweep_histogram_config_static_selectorELNS0_4arch9wavefront6targetE1EEEvSG_.has_recursion, 0
	.set _ZN7rocprim17ROCPRIM_400000_NS6detail17trampoline_kernelINS0_14default_configENS1_35radix_sort_onesweep_config_selectorIiiEEZNS1_34radix_sort_onesweep_global_offsetsIS3_Lb1EN6thrust23THRUST_200600_302600_NS6detail15normal_iteratorINS8_10device_ptrIiEEEESD_jNS0_19identity_decomposerEEE10hipError_tT1_T2_PT3_SI_jT4_jjP12ihipStream_tbEUlT_E0_NS1_11comp_targetILNS1_3genE4ELNS1_11target_archE910ELNS1_3gpuE8ELNS1_3repE0EEENS1_52radix_sort_onesweep_histogram_config_static_selectorELNS0_4arch9wavefront6targetE1EEEvSG_.has_indirect_call, 0
	.section	.AMDGPU.csdata,"",@progbits
; Kernel info:
; codeLenInByte = 0
; TotalNumSgprs: 6
; NumVgprs: 0
; NumAgprs: 0
; TotalNumVgprs: 0
; ScratchSize: 0
; MemoryBound: 0
; FloatMode: 240
; IeeeMode: 1
; LDSByteSize: 0 bytes/workgroup (compile time only)
; SGPRBlocks: 0
; VGPRBlocks: 0
; NumSGPRsForWavesPerEU: 6
; NumVGPRsForWavesPerEU: 1
; AccumOffset: 4
; Occupancy: 8
; WaveLimiterHint : 0
; COMPUTE_PGM_RSRC2:SCRATCH_EN: 0
; COMPUTE_PGM_RSRC2:USER_SGPR: 2
; COMPUTE_PGM_RSRC2:TRAP_HANDLER: 0
; COMPUTE_PGM_RSRC2:TGID_X_EN: 1
; COMPUTE_PGM_RSRC2:TGID_Y_EN: 0
; COMPUTE_PGM_RSRC2:TGID_Z_EN: 0
; COMPUTE_PGM_RSRC2:TIDIG_COMP_CNT: 0
; COMPUTE_PGM_RSRC3_GFX90A:ACCUM_OFFSET: 0
; COMPUTE_PGM_RSRC3_GFX90A:TG_SPLIT: 0
	.section	.text._ZN7rocprim17ROCPRIM_400000_NS6detail17trampoline_kernelINS0_14default_configENS1_35radix_sort_onesweep_config_selectorIiiEEZNS1_34radix_sort_onesweep_global_offsetsIS3_Lb1EN6thrust23THRUST_200600_302600_NS6detail15normal_iteratorINS8_10device_ptrIiEEEESD_jNS0_19identity_decomposerEEE10hipError_tT1_T2_PT3_SI_jT4_jjP12ihipStream_tbEUlT_E0_NS1_11comp_targetILNS1_3genE3ELNS1_11target_archE908ELNS1_3gpuE7ELNS1_3repE0EEENS1_52radix_sort_onesweep_histogram_config_static_selectorELNS0_4arch9wavefront6targetE1EEEvSG_,"axG",@progbits,_ZN7rocprim17ROCPRIM_400000_NS6detail17trampoline_kernelINS0_14default_configENS1_35radix_sort_onesweep_config_selectorIiiEEZNS1_34radix_sort_onesweep_global_offsetsIS3_Lb1EN6thrust23THRUST_200600_302600_NS6detail15normal_iteratorINS8_10device_ptrIiEEEESD_jNS0_19identity_decomposerEEE10hipError_tT1_T2_PT3_SI_jT4_jjP12ihipStream_tbEUlT_E0_NS1_11comp_targetILNS1_3genE3ELNS1_11target_archE908ELNS1_3gpuE7ELNS1_3repE0EEENS1_52radix_sort_onesweep_histogram_config_static_selectorELNS0_4arch9wavefront6targetE1EEEvSG_,comdat
	.protected	_ZN7rocprim17ROCPRIM_400000_NS6detail17trampoline_kernelINS0_14default_configENS1_35radix_sort_onesweep_config_selectorIiiEEZNS1_34radix_sort_onesweep_global_offsetsIS3_Lb1EN6thrust23THRUST_200600_302600_NS6detail15normal_iteratorINS8_10device_ptrIiEEEESD_jNS0_19identity_decomposerEEE10hipError_tT1_T2_PT3_SI_jT4_jjP12ihipStream_tbEUlT_E0_NS1_11comp_targetILNS1_3genE3ELNS1_11target_archE908ELNS1_3gpuE7ELNS1_3repE0EEENS1_52radix_sort_onesweep_histogram_config_static_selectorELNS0_4arch9wavefront6targetE1EEEvSG_ ; -- Begin function _ZN7rocprim17ROCPRIM_400000_NS6detail17trampoline_kernelINS0_14default_configENS1_35radix_sort_onesweep_config_selectorIiiEEZNS1_34radix_sort_onesweep_global_offsetsIS3_Lb1EN6thrust23THRUST_200600_302600_NS6detail15normal_iteratorINS8_10device_ptrIiEEEESD_jNS0_19identity_decomposerEEE10hipError_tT1_T2_PT3_SI_jT4_jjP12ihipStream_tbEUlT_E0_NS1_11comp_targetILNS1_3genE3ELNS1_11target_archE908ELNS1_3gpuE7ELNS1_3repE0EEENS1_52radix_sort_onesweep_histogram_config_static_selectorELNS0_4arch9wavefront6targetE1EEEvSG_
	.globl	_ZN7rocprim17ROCPRIM_400000_NS6detail17trampoline_kernelINS0_14default_configENS1_35radix_sort_onesweep_config_selectorIiiEEZNS1_34radix_sort_onesweep_global_offsetsIS3_Lb1EN6thrust23THRUST_200600_302600_NS6detail15normal_iteratorINS8_10device_ptrIiEEEESD_jNS0_19identity_decomposerEEE10hipError_tT1_T2_PT3_SI_jT4_jjP12ihipStream_tbEUlT_E0_NS1_11comp_targetILNS1_3genE3ELNS1_11target_archE908ELNS1_3gpuE7ELNS1_3repE0EEENS1_52radix_sort_onesweep_histogram_config_static_selectorELNS0_4arch9wavefront6targetE1EEEvSG_
	.p2align	8
	.type	_ZN7rocprim17ROCPRIM_400000_NS6detail17trampoline_kernelINS0_14default_configENS1_35radix_sort_onesweep_config_selectorIiiEEZNS1_34radix_sort_onesweep_global_offsetsIS3_Lb1EN6thrust23THRUST_200600_302600_NS6detail15normal_iteratorINS8_10device_ptrIiEEEESD_jNS0_19identity_decomposerEEE10hipError_tT1_T2_PT3_SI_jT4_jjP12ihipStream_tbEUlT_E0_NS1_11comp_targetILNS1_3genE3ELNS1_11target_archE908ELNS1_3gpuE7ELNS1_3repE0EEENS1_52radix_sort_onesweep_histogram_config_static_selectorELNS0_4arch9wavefront6targetE1EEEvSG_,@function
_ZN7rocprim17ROCPRIM_400000_NS6detail17trampoline_kernelINS0_14default_configENS1_35radix_sort_onesweep_config_selectorIiiEEZNS1_34radix_sort_onesweep_global_offsetsIS3_Lb1EN6thrust23THRUST_200600_302600_NS6detail15normal_iteratorINS8_10device_ptrIiEEEESD_jNS0_19identity_decomposerEEE10hipError_tT1_T2_PT3_SI_jT4_jjP12ihipStream_tbEUlT_E0_NS1_11comp_targetILNS1_3genE3ELNS1_11target_archE908ELNS1_3gpuE7ELNS1_3repE0EEENS1_52radix_sort_onesweep_histogram_config_static_selectorELNS0_4arch9wavefront6targetE1EEEvSG_: ; @_ZN7rocprim17ROCPRIM_400000_NS6detail17trampoline_kernelINS0_14default_configENS1_35radix_sort_onesweep_config_selectorIiiEEZNS1_34radix_sort_onesweep_global_offsetsIS3_Lb1EN6thrust23THRUST_200600_302600_NS6detail15normal_iteratorINS8_10device_ptrIiEEEESD_jNS0_19identity_decomposerEEE10hipError_tT1_T2_PT3_SI_jT4_jjP12ihipStream_tbEUlT_E0_NS1_11comp_targetILNS1_3genE3ELNS1_11target_archE908ELNS1_3gpuE7ELNS1_3repE0EEENS1_52radix_sort_onesweep_histogram_config_static_selectorELNS0_4arch9wavefront6targetE1EEEvSG_
; %bb.0:
	.section	.rodata,"a",@progbits
	.p2align	6, 0x0
	.amdhsa_kernel _ZN7rocprim17ROCPRIM_400000_NS6detail17trampoline_kernelINS0_14default_configENS1_35radix_sort_onesweep_config_selectorIiiEEZNS1_34radix_sort_onesweep_global_offsetsIS3_Lb1EN6thrust23THRUST_200600_302600_NS6detail15normal_iteratorINS8_10device_ptrIiEEEESD_jNS0_19identity_decomposerEEE10hipError_tT1_T2_PT3_SI_jT4_jjP12ihipStream_tbEUlT_E0_NS1_11comp_targetILNS1_3genE3ELNS1_11target_archE908ELNS1_3gpuE7ELNS1_3repE0EEENS1_52radix_sort_onesweep_histogram_config_static_selectorELNS0_4arch9wavefront6targetE1EEEvSG_
		.amdhsa_group_segment_fixed_size 0
		.amdhsa_private_segment_fixed_size 0
		.amdhsa_kernarg_size 8
		.amdhsa_user_sgpr_count 2
		.amdhsa_user_sgpr_dispatch_ptr 0
		.amdhsa_user_sgpr_queue_ptr 0
		.amdhsa_user_sgpr_kernarg_segment_ptr 1
		.amdhsa_user_sgpr_dispatch_id 0
		.amdhsa_user_sgpr_kernarg_preload_length 0
		.amdhsa_user_sgpr_kernarg_preload_offset 0
		.amdhsa_user_sgpr_private_segment_size 0
		.amdhsa_uses_dynamic_stack 0
		.amdhsa_enable_private_segment 0
		.amdhsa_system_sgpr_workgroup_id_x 1
		.amdhsa_system_sgpr_workgroup_id_y 0
		.amdhsa_system_sgpr_workgroup_id_z 0
		.amdhsa_system_sgpr_workgroup_info 0
		.amdhsa_system_vgpr_workitem_id 0
		.amdhsa_next_free_vgpr 1
		.amdhsa_next_free_sgpr 0
		.amdhsa_accum_offset 4
		.amdhsa_reserve_vcc 0
		.amdhsa_float_round_mode_32 0
		.amdhsa_float_round_mode_16_64 0
		.amdhsa_float_denorm_mode_32 3
		.amdhsa_float_denorm_mode_16_64 3
		.amdhsa_dx10_clamp 1
		.amdhsa_ieee_mode 1
		.amdhsa_fp16_overflow 0
		.amdhsa_tg_split 0
		.amdhsa_exception_fp_ieee_invalid_op 0
		.amdhsa_exception_fp_denorm_src 0
		.amdhsa_exception_fp_ieee_div_zero 0
		.amdhsa_exception_fp_ieee_overflow 0
		.amdhsa_exception_fp_ieee_underflow 0
		.amdhsa_exception_fp_ieee_inexact 0
		.amdhsa_exception_int_div_zero 0
	.end_amdhsa_kernel
	.section	.text._ZN7rocprim17ROCPRIM_400000_NS6detail17trampoline_kernelINS0_14default_configENS1_35radix_sort_onesweep_config_selectorIiiEEZNS1_34radix_sort_onesweep_global_offsetsIS3_Lb1EN6thrust23THRUST_200600_302600_NS6detail15normal_iteratorINS8_10device_ptrIiEEEESD_jNS0_19identity_decomposerEEE10hipError_tT1_T2_PT3_SI_jT4_jjP12ihipStream_tbEUlT_E0_NS1_11comp_targetILNS1_3genE3ELNS1_11target_archE908ELNS1_3gpuE7ELNS1_3repE0EEENS1_52radix_sort_onesweep_histogram_config_static_selectorELNS0_4arch9wavefront6targetE1EEEvSG_,"axG",@progbits,_ZN7rocprim17ROCPRIM_400000_NS6detail17trampoline_kernelINS0_14default_configENS1_35radix_sort_onesweep_config_selectorIiiEEZNS1_34radix_sort_onesweep_global_offsetsIS3_Lb1EN6thrust23THRUST_200600_302600_NS6detail15normal_iteratorINS8_10device_ptrIiEEEESD_jNS0_19identity_decomposerEEE10hipError_tT1_T2_PT3_SI_jT4_jjP12ihipStream_tbEUlT_E0_NS1_11comp_targetILNS1_3genE3ELNS1_11target_archE908ELNS1_3gpuE7ELNS1_3repE0EEENS1_52radix_sort_onesweep_histogram_config_static_selectorELNS0_4arch9wavefront6targetE1EEEvSG_,comdat
.Lfunc_end995:
	.size	_ZN7rocprim17ROCPRIM_400000_NS6detail17trampoline_kernelINS0_14default_configENS1_35radix_sort_onesweep_config_selectorIiiEEZNS1_34radix_sort_onesweep_global_offsetsIS3_Lb1EN6thrust23THRUST_200600_302600_NS6detail15normal_iteratorINS8_10device_ptrIiEEEESD_jNS0_19identity_decomposerEEE10hipError_tT1_T2_PT3_SI_jT4_jjP12ihipStream_tbEUlT_E0_NS1_11comp_targetILNS1_3genE3ELNS1_11target_archE908ELNS1_3gpuE7ELNS1_3repE0EEENS1_52radix_sort_onesweep_histogram_config_static_selectorELNS0_4arch9wavefront6targetE1EEEvSG_, .Lfunc_end995-_ZN7rocprim17ROCPRIM_400000_NS6detail17trampoline_kernelINS0_14default_configENS1_35radix_sort_onesweep_config_selectorIiiEEZNS1_34radix_sort_onesweep_global_offsetsIS3_Lb1EN6thrust23THRUST_200600_302600_NS6detail15normal_iteratorINS8_10device_ptrIiEEEESD_jNS0_19identity_decomposerEEE10hipError_tT1_T2_PT3_SI_jT4_jjP12ihipStream_tbEUlT_E0_NS1_11comp_targetILNS1_3genE3ELNS1_11target_archE908ELNS1_3gpuE7ELNS1_3repE0EEENS1_52radix_sort_onesweep_histogram_config_static_selectorELNS0_4arch9wavefront6targetE1EEEvSG_
                                        ; -- End function
	.set _ZN7rocprim17ROCPRIM_400000_NS6detail17trampoline_kernelINS0_14default_configENS1_35radix_sort_onesweep_config_selectorIiiEEZNS1_34radix_sort_onesweep_global_offsetsIS3_Lb1EN6thrust23THRUST_200600_302600_NS6detail15normal_iteratorINS8_10device_ptrIiEEEESD_jNS0_19identity_decomposerEEE10hipError_tT1_T2_PT3_SI_jT4_jjP12ihipStream_tbEUlT_E0_NS1_11comp_targetILNS1_3genE3ELNS1_11target_archE908ELNS1_3gpuE7ELNS1_3repE0EEENS1_52radix_sort_onesweep_histogram_config_static_selectorELNS0_4arch9wavefront6targetE1EEEvSG_.num_vgpr, 0
	.set _ZN7rocprim17ROCPRIM_400000_NS6detail17trampoline_kernelINS0_14default_configENS1_35radix_sort_onesweep_config_selectorIiiEEZNS1_34radix_sort_onesweep_global_offsetsIS3_Lb1EN6thrust23THRUST_200600_302600_NS6detail15normal_iteratorINS8_10device_ptrIiEEEESD_jNS0_19identity_decomposerEEE10hipError_tT1_T2_PT3_SI_jT4_jjP12ihipStream_tbEUlT_E0_NS1_11comp_targetILNS1_3genE3ELNS1_11target_archE908ELNS1_3gpuE7ELNS1_3repE0EEENS1_52radix_sort_onesweep_histogram_config_static_selectorELNS0_4arch9wavefront6targetE1EEEvSG_.num_agpr, 0
	.set _ZN7rocprim17ROCPRIM_400000_NS6detail17trampoline_kernelINS0_14default_configENS1_35radix_sort_onesweep_config_selectorIiiEEZNS1_34radix_sort_onesweep_global_offsetsIS3_Lb1EN6thrust23THRUST_200600_302600_NS6detail15normal_iteratorINS8_10device_ptrIiEEEESD_jNS0_19identity_decomposerEEE10hipError_tT1_T2_PT3_SI_jT4_jjP12ihipStream_tbEUlT_E0_NS1_11comp_targetILNS1_3genE3ELNS1_11target_archE908ELNS1_3gpuE7ELNS1_3repE0EEENS1_52radix_sort_onesweep_histogram_config_static_selectorELNS0_4arch9wavefront6targetE1EEEvSG_.numbered_sgpr, 0
	.set _ZN7rocprim17ROCPRIM_400000_NS6detail17trampoline_kernelINS0_14default_configENS1_35radix_sort_onesweep_config_selectorIiiEEZNS1_34radix_sort_onesweep_global_offsetsIS3_Lb1EN6thrust23THRUST_200600_302600_NS6detail15normal_iteratorINS8_10device_ptrIiEEEESD_jNS0_19identity_decomposerEEE10hipError_tT1_T2_PT3_SI_jT4_jjP12ihipStream_tbEUlT_E0_NS1_11comp_targetILNS1_3genE3ELNS1_11target_archE908ELNS1_3gpuE7ELNS1_3repE0EEENS1_52radix_sort_onesweep_histogram_config_static_selectorELNS0_4arch9wavefront6targetE1EEEvSG_.num_named_barrier, 0
	.set _ZN7rocprim17ROCPRIM_400000_NS6detail17trampoline_kernelINS0_14default_configENS1_35radix_sort_onesweep_config_selectorIiiEEZNS1_34radix_sort_onesweep_global_offsetsIS3_Lb1EN6thrust23THRUST_200600_302600_NS6detail15normal_iteratorINS8_10device_ptrIiEEEESD_jNS0_19identity_decomposerEEE10hipError_tT1_T2_PT3_SI_jT4_jjP12ihipStream_tbEUlT_E0_NS1_11comp_targetILNS1_3genE3ELNS1_11target_archE908ELNS1_3gpuE7ELNS1_3repE0EEENS1_52radix_sort_onesweep_histogram_config_static_selectorELNS0_4arch9wavefront6targetE1EEEvSG_.private_seg_size, 0
	.set _ZN7rocprim17ROCPRIM_400000_NS6detail17trampoline_kernelINS0_14default_configENS1_35radix_sort_onesweep_config_selectorIiiEEZNS1_34radix_sort_onesweep_global_offsetsIS3_Lb1EN6thrust23THRUST_200600_302600_NS6detail15normal_iteratorINS8_10device_ptrIiEEEESD_jNS0_19identity_decomposerEEE10hipError_tT1_T2_PT3_SI_jT4_jjP12ihipStream_tbEUlT_E0_NS1_11comp_targetILNS1_3genE3ELNS1_11target_archE908ELNS1_3gpuE7ELNS1_3repE0EEENS1_52radix_sort_onesweep_histogram_config_static_selectorELNS0_4arch9wavefront6targetE1EEEvSG_.uses_vcc, 0
	.set _ZN7rocprim17ROCPRIM_400000_NS6detail17trampoline_kernelINS0_14default_configENS1_35radix_sort_onesweep_config_selectorIiiEEZNS1_34radix_sort_onesweep_global_offsetsIS3_Lb1EN6thrust23THRUST_200600_302600_NS6detail15normal_iteratorINS8_10device_ptrIiEEEESD_jNS0_19identity_decomposerEEE10hipError_tT1_T2_PT3_SI_jT4_jjP12ihipStream_tbEUlT_E0_NS1_11comp_targetILNS1_3genE3ELNS1_11target_archE908ELNS1_3gpuE7ELNS1_3repE0EEENS1_52radix_sort_onesweep_histogram_config_static_selectorELNS0_4arch9wavefront6targetE1EEEvSG_.uses_flat_scratch, 0
	.set _ZN7rocprim17ROCPRIM_400000_NS6detail17trampoline_kernelINS0_14default_configENS1_35radix_sort_onesweep_config_selectorIiiEEZNS1_34radix_sort_onesweep_global_offsetsIS3_Lb1EN6thrust23THRUST_200600_302600_NS6detail15normal_iteratorINS8_10device_ptrIiEEEESD_jNS0_19identity_decomposerEEE10hipError_tT1_T2_PT3_SI_jT4_jjP12ihipStream_tbEUlT_E0_NS1_11comp_targetILNS1_3genE3ELNS1_11target_archE908ELNS1_3gpuE7ELNS1_3repE0EEENS1_52radix_sort_onesweep_histogram_config_static_selectorELNS0_4arch9wavefront6targetE1EEEvSG_.has_dyn_sized_stack, 0
	.set _ZN7rocprim17ROCPRIM_400000_NS6detail17trampoline_kernelINS0_14default_configENS1_35radix_sort_onesweep_config_selectorIiiEEZNS1_34radix_sort_onesweep_global_offsetsIS3_Lb1EN6thrust23THRUST_200600_302600_NS6detail15normal_iteratorINS8_10device_ptrIiEEEESD_jNS0_19identity_decomposerEEE10hipError_tT1_T2_PT3_SI_jT4_jjP12ihipStream_tbEUlT_E0_NS1_11comp_targetILNS1_3genE3ELNS1_11target_archE908ELNS1_3gpuE7ELNS1_3repE0EEENS1_52radix_sort_onesweep_histogram_config_static_selectorELNS0_4arch9wavefront6targetE1EEEvSG_.has_recursion, 0
	.set _ZN7rocprim17ROCPRIM_400000_NS6detail17trampoline_kernelINS0_14default_configENS1_35radix_sort_onesweep_config_selectorIiiEEZNS1_34radix_sort_onesweep_global_offsetsIS3_Lb1EN6thrust23THRUST_200600_302600_NS6detail15normal_iteratorINS8_10device_ptrIiEEEESD_jNS0_19identity_decomposerEEE10hipError_tT1_T2_PT3_SI_jT4_jjP12ihipStream_tbEUlT_E0_NS1_11comp_targetILNS1_3genE3ELNS1_11target_archE908ELNS1_3gpuE7ELNS1_3repE0EEENS1_52radix_sort_onesweep_histogram_config_static_selectorELNS0_4arch9wavefront6targetE1EEEvSG_.has_indirect_call, 0
	.section	.AMDGPU.csdata,"",@progbits
; Kernel info:
; codeLenInByte = 0
; TotalNumSgprs: 6
; NumVgprs: 0
; NumAgprs: 0
; TotalNumVgprs: 0
; ScratchSize: 0
; MemoryBound: 0
; FloatMode: 240
; IeeeMode: 1
; LDSByteSize: 0 bytes/workgroup (compile time only)
; SGPRBlocks: 0
; VGPRBlocks: 0
; NumSGPRsForWavesPerEU: 6
; NumVGPRsForWavesPerEU: 1
; AccumOffset: 4
; Occupancy: 8
; WaveLimiterHint : 0
; COMPUTE_PGM_RSRC2:SCRATCH_EN: 0
; COMPUTE_PGM_RSRC2:USER_SGPR: 2
; COMPUTE_PGM_RSRC2:TRAP_HANDLER: 0
; COMPUTE_PGM_RSRC2:TGID_X_EN: 1
; COMPUTE_PGM_RSRC2:TGID_Y_EN: 0
; COMPUTE_PGM_RSRC2:TGID_Z_EN: 0
; COMPUTE_PGM_RSRC2:TIDIG_COMP_CNT: 0
; COMPUTE_PGM_RSRC3_GFX90A:ACCUM_OFFSET: 0
; COMPUTE_PGM_RSRC3_GFX90A:TG_SPLIT: 0
	.section	.text._ZN7rocprim17ROCPRIM_400000_NS6detail17trampoline_kernelINS0_14default_configENS1_35radix_sort_onesweep_config_selectorIiiEEZNS1_34radix_sort_onesweep_global_offsetsIS3_Lb1EN6thrust23THRUST_200600_302600_NS6detail15normal_iteratorINS8_10device_ptrIiEEEESD_jNS0_19identity_decomposerEEE10hipError_tT1_T2_PT3_SI_jT4_jjP12ihipStream_tbEUlT_E0_NS1_11comp_targetILNS1_3genE10ELNS1_11target_archE1201ELNS1_3gpuE5ELNS1_3repE0EEENS1_52radix_sort_onesweep_histogram_config_static_selectorELNS0_4arch9wavefront6targetE1EEEvSG_,"axG",@progbits,_ZN7rocprim17ROCPRIM_400000_NS6detail17trampoline_kernelINS0_14default_configENS1_35radix_sort_onesweep_config_selectorIiiEEZNS1_34radix_sort_onesweep_global_offsetsIS3_Lb1EN6thrust23THRUST_200600_302600_NS6detail15normal_iteratorINS8_10device_ptrIiEEEESD_jNS0_19identity_decomposerEEE10hipError_tT1_T2_PT3_SI_jT4_jjP12ihipStream_tbEUlT_E0_NS1_11comp_targetILNS1_3genE10ELNS1_11target_archE1201ELNS1_3gpuE5ELNS1_3repE0EEENS1_52radix_sort_onesweep_histogram_config_static_selectorELNS0_4arch9wavefront6targetE1EEEvSG_,comdat
	.protected	_ZN7rocprim17ROCPRIM_400000_NS6detail17trampoline_kernelINS0_14default_configENS1_35radix_sort_onesweep_config_selectorIiiEEZNS1_34radix_sort_onesweep_global_offsetsIS3_Lb1EN6thrust23THRUST_200600_302600_NS6detail15normal_iteratorINS8_10device_ptrIiEEEESD_jNS0_19identity_decomposerEEE10hipError_tT1_T2_PT3_SI_jT4_jjP12ihipStream_tbEUlT_E0_NS1_11comp_targetILNS1_3genE10ELNS1_11target_archE1201ELNS1_3gpuE5ELNS1_3repE0EEENS1_52radix_sort_onesweep_histogram_config_static_selectorELNS0_4arch9wavefront6targetE1EEEvSG_ ; -- Begin function _ZN7rocprim17ROCPRIM_400000_NS6detail17trampoline_kernelINS0_14default_configENS1_35radix_sort_onesweep_config_selectorIiiEEZNS1_34radix_sort_onesweep_global_offsetsIS3_Lb1EN6thrust23THRUST_200600_302600_NS6detail15normal_iteratorINS8_10device_ptrIiEEEESD_jNS0_19identity_decomposerEEE10hipError_tT1_T2_PT3_SI_jT4_jjP12ihipStream_tbEUlT_E0_NS1_11comp_targetILNS1_3genE10ELNS1_11target_archE1201ELNS1_3gpuE5ELNS1_3repE0EEENS1_52radix_sort_onesweep_histogram_config_static_selectorELNS0_4arch9wavefront6targetE1EEEvSG_
	.globl	_ZN7rocprim17ROCPRIM_400000_NS6detail17trampoline_kernelINS0_14default_configENS1_35radix_sort_onesweep_config_selectorIiiEEZNS1_34radix_sort_onesweep_global_offsetsIS3_Lb1EN6thrust23THRUST_200600_302600_NS6detail15normal_iteratorINS8_10device_ptrIiEEEESD_jNS0_19identity_decomposerEEE10hipError_tT1_T2_PT3_SI_jT4_jjP12ihipStream_tbEUlT_E0_NS1_11comp_targetILNS1_3genE10ELNS1_11target_archE1201ELNS1_3gpuE5ELNS1_3repE0EEENS1_52radix_sort_onesweep_histogram_config_static_selectorELNS0_4arch9wavefront6targetE1EEEvSG_
	.p2align	8
	.type	_ZN7rocprim17ROCPRIM_400000_NS6detail17trampoline_kernelINS0_14default_configENS1_35radix_sort_onesweep_config_selectorIiiEEZNS1_34radix_sort_onesweep_global_offsetsIS3_Lb1EN6thrust23THRUST_200600_302600_NS6detail15normal_iteratorINS8_10device_ptrIiEEEESD_jNS0_19identity_decomposerEEE10hipError_tT1_T2_PT3_SI_jT4_jjP12ihipStream_tbEUlT_E0_NS1_11comp_targetILNS1_3genE10ELNS1_11target_archE1201ELNS1_3gpuE5ELNS1_3repE0EEENS1_52radix_sort_onesweep_histogram_config_static_selectorELNS0_4arch9wavefront6targetE1EEEvSG_,@function
_ZN7rocprim17ROCPRIM_400000_NS6detail17trampoline_kernelINS0_14default_configENS1_35radix_sort_onesweep_config_selectorIiiEEZNS1_34radix_sort_onesweep_global_offsetsIS3_Lb1EN6thrust23THRUST_200600_302600_NS6detail15normal_iteratorINS8_10device_ptrIiEEEESD_jNS0_19identity_decomposerEEE10hipError_tT1_T2_PT3_SI_jT4_jjP12ihipStream_tbEUlT_E0_NS1_11comp_targetILNS1_3genE10ELNS1_11target_archE1201ELNS1_3gpuE5ELNS1_3repE0EEENS1_52radix_sort_onesweep_histogram_config_static_selectorELNS0_4arch9wavefront6targetE1EEEvSG_: ; @_ZN7rocprim17ROCPRIM_400000_NS6detail17trampoline_kernelINS0_14default_configENS1_35radix_sort_onesweep_config_selectorIiiEEZNS1_34radix_sort_onesweep_global_offsetsIS3_Lb1EN6thrust23THRUST_200600_302600_NS6detail15normal_iteratorINS8_10device_ptrIiEEEESD_jNS0_19identity_decomposerEEE10hipError_tT1_T2_PT3_SI_jT4_jjP12ihipStream_tbEUlT_E0_NS1_11comp_targetILNS1_3genE10ELNS1_11target_archE1201ELNS1_3gpuE5ELNS1_3repE0EEENS1_52radix_sort_onesweep_histogram_config_static_selectorELNS0_4arch9wavefront6targetE1EEEvSG_
; %bb.0:
	.section	.rodata,"a",@progbits
	.p2align	6, 0x0
	.amdhsa_kernel _ZN7rocprim17ROCPRIM_400000_NS6detail17trampoline_kernelINS0_14default_configENS1_35radix_sort_onesweep_config_selectorIiiEEZNS1_34radix_sort_onesweep_global_offsetsIS3_Lb1EN6thrust23THRUST_200600_302600_NS6detail15normal_iteratorINS8_10device_ptrIiEEEESD_jNS0_19identity_decomposerEEE10hipError_tT1_T2_PT3_SI_jT4_jjP12ihipStream_tbEUlT_E0_NS1_11comp_targetILNS1_3genE10ELNS1_11target_archE1201ELNS1_3gpuE5ELNS1_3repE0EEENS1_52radix_sort_onesweep_histogram_config_static_selectorELNS0_4arch9wavefront6targetE1EEEvSG_
		.amdhsa_group_segment_fixed_size 0
		.amdhsa_private_segment_fixed_size 0
		.amdhsa_kernarg_size 8
		.amdhsa_user_sgpr_count 2
		.amdhsa_user_sgpr_dispatch_ptr 0
		.amdhsa_user_sgpr_queue_ptr 0
		.amdhsa_user_sgpr_kernarg_segment_ptr 1
		.amdhsa_user_sgpr_dispatch_id 0
		.amdhsa_user_sgpr_kernarg_preload_length 0
		.amdhsa_user_sgpr_kernarg_preload_offset 0
		.amdhsa_user_sgpr_private_segment_size 0
		.amdhsa_uses_dynamic_stack 0
		.amdhsa_enable_private_segment 0
		.amdhsa_system_sgpr_workgroup_id_x 1
		.amdhsa_system_sgpr_workgroup_id_y 0
		.amdhsa_system_sgpr_workgroup_id_z 0
		.amdhsa_system_sgpr_workgroup_info 0
		.amdhsa_system_vgpr_workitem_id 0
		.amdhsa_next_free_vgpr 1
		.amdhsa_next_free_sgpr 0
		.amdhsa_accum_offset 4
		.amdhsa_reserve_vcc 0
		.amdhsa_float_round_mode_32 0
		.amdhsa_float_round_mode_16_64 0
		.amdhsa_float_denorm_mode_32 3
		.amdhsa_float_denorm_mode_16_64 3
		.amdhsa_dx10_clamp 1
		.amdhsa_ieee_mode 1
		.amdhsa_fp16_overflow 0
		.amdhsa_tg_split 0
		.amdhsa_exception_fp_ieee_invalid_op 0
		.amdhsa_exception_fp_denorm_src 0
		.amdhsa_exception_fp_ieee_div_zero 0
		.amdhsa_exception_fp_ieee_overflow 0
		.amdhsa_exception_fp_ieee_underflow 0
		.amdhsa_exception_fp_ieee_inexact 0
		.amdhsa_exception_int_div_zero 0
	.end_amdhsa_kernel
	.section	.text._ZN7rocprim17ROCPRIM_400000_NS6detail17trampoline_kernelINS0_14default_configENS1_35radix_sort_onesweep_config_selectorIiiEEZNS1_34radix_sort_onesweep_global_offsetsIS3_Lb1EN6thrust23THRUST_200600_302600_NS6detail15normal_iteratorINS8_10device_ptrIiEEEESD_jNS0_19identity_decomposerEEE10hipError_tT1_T2_PT3_SI_jT4_jjP12ihipStream_tbEUlT_E0_NS1_11comp_targetILNS1_3genE10ELNS1_11target_archE1201ELNS1_3gpuE5ELNS1_3repE0EEENS1_52radix_sort_onesweep_histogram_config_static_selectorELNS0_4arch9wavefront6targetE1EEEvSG_,"axG",@progbits,_ZN7rocprim17ROCPRIM_400000_NS6detail17trampoline_kernelINS0_14default_configENS1_35radix_sort_onesweep_config_selectorIiiEEZNS1_34radix_sort_onesweep_global_offsetsIS3_Lb1EN6thrust23THRUST_200600_302600_NS6detail15normal_iteratorINS8_10device_ptrIiEEEESD_jNS0_19identity_decomposerEEE10hipError_tT1_T2_PT3_SI_jT4_jjP12ihipStream_tbEUlT_E0_NS1_11comp_targetILNS1_3genE10ELNS1_11target_archE1201ELNS1_3gpuE5ELNS1_3repE0EEENS1_52radix_sort_onesweep_histogram_config_static_selectorELNS0_4arch9wavefront6targetE1EEEvSG_,comdat
.Lfunc_end996:
	.size	_ZN7rocprim17ROCPRIM_400000_NS6detail17trampoline_kernelINS0_14default_configENS1_35radix_sort_onesweep_config_selectorIiiEEZNS1_34radix_sort_onesweep_global_offsetsIS3_Lb1EN6thrust23THRUST_200600_302600_NS6detail15normal_iteratorINS8_10device_ptrIiEEEESD_jNS0_19identity_decomposerEEE10hipError_tT1_T2_PT3_SI_jT4_jjP12ihipStream_tbEUlT_E0_NS1_11comp_targetILNS1_3genE10ELNS1_11target_archE1201ELNS1_3gpuE5ELNS1_3repE0EEENS1_52radix_sort_onesweep_histogram_config_static_selectorELNS0_4arch9wavefront6targetE1EEEvSG_, .Lfunc_end996-_ZN7rocprim17ROCPRIM_400000_NS6detail17trampoline_kernelINS0_14default_configENS1_35radix_sort_onesweep_config_selectorIiiEEZNS1_34radix_sort_onesweep_global_offsetsIS3_Lb1EN6thrust23THRUST_200600_302600_NS6detail15normal_iteratorINS8_10device_ptrIiEEEESD_jNS0_19identity_decomposerEEE10hipError_tT1_T2_PT3_SI_jT4_jjP12ihipStream_tbEUlT_E0_NS1_11comp_targetILNS1_3genE10ELNS1_11target_archE1201ELNS1_3gpuE5ELNS1_3repE0EEENS1_52radix_sort_onesweep_histogram_config_static_selectorELNS0_4arch9wavefront6targetE1EEEvSG_
                                        ; -- End function
	.set _ZN7rocprim17ROCPRIM_400000_NS6detail17trampoline_kernelINS0_14default_configENS1_35radix_sort_onesweep_config_selectorIiiEEZNS1_34radix_sort_onesweep_global_offsetsIS3_Lb1EN6thrust23THRUST_200600_302600_NS6detail15normal_iteratorINS8_10device_ptrIiEEEESD_jNS0_19identity_decomposerEEE10hipError_tT1_T2_PT3_SI_jT4_jjP12ihipStream_tbEUlT_E0_NS1_11comp_targetILNS1_3genE10ELNS1_11target_archE1201ELNS1_3gpuE5ELNS1_3repE0EEENS1_52radix_sort_onesweep_histogram_config_static_selectorELNS0_4arch9wavefront6targetE1EEEvSG_.num_vgpr, 0
	.set _ZN7rocprim17ROCPRIM_400000_NS6detail17trampoline_kernelINS0_14default_configENS1_35radix_sort_onesweep_config_selectorIiiEEZNS1_34radix_sort_onesweep_global_offsetsIS3_Lb1EN6thrust23THRUST_200600_302600_NS6detail15normal_iteratorINS8_10device_ptrIiEEEESD_jNS0_19identity_decomposerEEE10hipError_tT1_T2_PT3_SI_jT4_jjP12ihipStream_tbEUlT_E0_NS1_11comp_targetILNS1_3genE10ELNS1_11target_archE1201ELNS1_3gpuE5ELNS1_3repE0EEENS1_52radix_sort_onesweep_histogram_config_static_selectorELNS0_4arch9wavefront6targetE1EEEvSG_.num_agpr, 0
	.set _ZN7rocprim17ROCPRIM_400000_NS6detail17trampoline_kernelINS0_14default_configENS1_35radix_sort_onesweep_config_selectorIiiEEZNS1_34radix_sort_onesweep_global_offsetsIS3_Lb1EN6thrust23THRUST_200600_302600_NS6detail15normal_iteratorINS8_10device_ptrIiEEEESD_jNS0_19identity_decomposerEEE10hipError_tT1_T2_PT3_SI_jT4_jjP12ihipStream_tbEUlT_E0_NS1_11comp_targetILNS1_3genE10ELNS1_11target_archE1201ELNS1_3gpuE5ELNS1_3repE0EEENS1_52radix_sort_onesweep_histogram_config_static_selectorELNS0_4arch9wavefront6targetE1EEEvSG_.numbered_sgpr, 0
	.set _ZN7rocprim17ROCPRIM_400000_NS6detail17trampoline_kernelINS0_14default_configENS1_35radix_sort_onesweep_config_selectorIiiEEZNS1_34radix_sort_onesweep_global_offsetsIS3_Lb1EN6thrust23THRUST_200600_302600_NS6detail15normal_iteratorINS8_10device_ptrIiEEEESD_jNS0_19identity_decomposerEEE10hipError_tT1_T2_PT3_SI_jT4_jjP12ihipStream_tbEUlT_E0_NS1_11comp_targetILNS1_3genE10ELNS1_11target_archE1201ELNS1_3gpuE5ELNS1_3repE0EEENS1_52radix_sort_onesweep_histogram_config_static_selectorELNS0_4arch9wavefront6targetE1EEEvSG_.num_named_barrier, 0
	.set _ZN7rocprim17ROCPRIM_400000_NS6detail17trampoline_kernelINS0_14default_configENS1_35radix_sort_onesweep_config_selectorIiiEEZNS1_34radix_sort_onesweep_global_offsetsIS3_Lb1EN6thrust23THRUST_200600_302600_NS6detail15normal_iteratorINS8_10device_ptrIiEEEESD_jNS0_19identity_decomposerEEE10hipError_tT1_T2_PT3_SI_jT4_jjP12ihipStream_tbEUlT_E0_NS1_11comp_targetILNS1_3genE10ELNS1_11target_archE1201ELNS1_3gpuE5ELNS1_3repE0EEENS1_52radix_sort_onesweep_histogram_config_static_selectorELNS0_4arch9wavefront6targetE1EEEvSG_.private_seg_size, 0
	.set _ZN7rocprim17ROCPRIM_400000_NS6detail17trampoline_kernelINS0_14default_configENS1_35radix_sort_onesweep_config_selectorIiiEEZNS1_34radix_sort_onesweep_global_offsetsIS3_Lb1EN6thrust23THRUST_200600_302600_NS6detail15normal_iteratorINS8_10device_ptrIiEEEESD_jNS0_19identity_decomposerEEE10hipError_tT1_T2_PT3_SI_jT4_jjP12ihipStream_tbEUlT_E0_NS1_11comp_targetILNS1_3genE10ELNS1_11target_archE1201ELNS1_3gpuE5ELNS1_3repE0EEENS1_52radix_sort_onesweep_histogram_config_static_selectorELNS0_4arch9wavefront6targetE1EEEvSG_.uses_vcc, 0
	.set _ZN7rocprim17ROCPRIM_400000_NS6detail17trampoline_kernelINS0_14default_configENS1_35radix_sort_onesweep_config_selectorIiiEEZNS1_34radix_sort_onesweep_global_offsetsIS3_Lb1EN6thrust23THRUST_200600_302600_NS6detail15normal_iteratorINS8_10device_ptrIiEEEESD_jNS0_19identity_decomposerEEE10hipError_tT1_T2_PT3_SI_jT4_jjP12ihipStream_tbEUlT_E0_NS1_11comp_targetILNS1_3genE10ELNS1_11target_archE1201ELNS1_3gpuE5ELNS1_3repE0EEENS1_52radix_sort_onesweep_histogram_config_static_selectorELNS0_4arch9wavefront6targetE1EEEvSG_.uses_flat_scratch, 0
	.set _ZN7rocprim17ROCPRIM_400000_NS6detail17trampoline_kernelINS0_14default_configENS1_35radix_sort_onesweep_config_selectorIiiEEZNS1_34radix_sort_onesweep_global_offsetsIS3_Lb1EN6thrust23THRUST_200600_302600_NS6detail15normal_iteratorINS8_10device_ptrIiEEEESD_jNS0_19identity_decomposerEEE10hipError_tT1_T2_PT3_SI_jT4_jjP12ihipStream_tbEUlT_E0_NS1_11comp_targetILNS1_3genE10ELNS1_11target_archE1201ELNS1_3gpuE5ELNS1_3repE0EEENS1_52radix_sort_onesweep_histogram_config_static_selectorELNS0_4arch9wavefront6targetE1EEEvSG_.has_dyn_sized_stack, 0
	.set _ZN7rocprim17ROCPRIM_400000_NS6detail17trampoline_kernelINS0_14default_configENS1_35radix_sort_onesweep_config_selectorIiiEEZNS1_34radix_sort_onesweep_global_offsetsIS3_Lb1EN6thrust23THRUST_200600_302600_NS6detail15normal_iteratorINS8_10device_ptrIiEEEESD_jNS0_19identity_decomposerEEE10hipError_tT1_T2_PT3_SI_jT4_jjP12ihipStream_tbEUlT_E0_NS1_11comp_targetILNS1_3genE10ELNS1_11target_archE1201ELNS1_3gpuE5ELNS1_3repE0EEENS1_52radix_sort_onesweep_histogram_config_static_selectorELNS0_4arch9wavefront6targetE1EEEvSG_.has_recursion, 0
	.set _ZN7rocprim17ROCPRIM_400000_NS6detail17trampoline_kernelINS0_14default_configENS1_35radix_sort_onesweep_config_selectorIiiEEZNS1_34radix_sort_onesweep_global_offsetsIS3_Lb1EN6thrust23THRUST_200600_302600_NS6detail15normal_iteratorINS8_10device_ptrIiEEEESD_jNS0_19identity_decomposerEEE10hipError_tT1_T2_PT3_SI_jT4_jjP12ihipStream_tbEUlT_E0_NS1_11comp_targetILNS1_3genE10ELNS1_11target_archE1201ELNS1_3gpuE5ELNS1_3repE0EEENS1_52radix_sort_onesweep_histogram_config_static_selectorELNS0_4arch9wavefront6targetE1EEEvSG_.has_indirect_call, 0
	.section	.AMDGPU.csdata,"",@progbits
; Kernel info:
; codeLenInByte = 0
; TotalNumSgprs: 6
; NumVgprs: 0
; NumAgprs: 0
; TotalNumVgprs: 0
; ScratchSize: 0
; MemoryBound: 0
; FloatMode: 240
; IeeeMode: 1
; LDSByteSize: 0 bytes/workgroup (compile time only)
; SGPRBlocks: 0
; VGPRBlocks: 0
; NumSGPRsForWavesPerEU: 6
; NumVGPRsForWavesPerEU: 1
; AccumOffset: 4
; Occupancy: 8
; WaveLimiterHint : 0
; COMPUTE_PGM_RSRC2:SCRATCH_EN: 0
; COMPUTE_PGM_RSRC2:USER_SGPR: 2
; COMPUTE_PGM_RSRC2:TRAP_HANDLER: 0
; COMPUTE_PGM_RSRC2:TGID_X_EN: 1
; COMPUTE_PGM_RSRC2:TGID_Y_EN: 0
; COMPUTE_PGM_RSRC2:TGID_Z_EN: 0
; COMPUTE_PGM_RSRC2:TIDIG_COMP_CNT: 0
; COMPUTE_PGM_RSRC3_GFX90A:ACCUM_OFFSET: 0
; COMPUTE_PGM_RSRC3_GFX90A:TG_SPLIT: 0
	.section	.text._ZN7rocprim17ROCPRIM_400000_NS6detail17trampoline_kernelINS0_14default_configENS1_35radix_sort_onesweep_config_selectorIiiEEZNS1_34radix_sort_onesweep_global_offsetsIS3_Lb1EN6thrust23THRUST_200600_302600_NS6detail15normal_iteratorINS8_10device_ptrIiEEEESD_jNS0_19identity_decomposerEEE10hipError_tT1_T2_PT3_SI_jT4_jjP12ihipStream_tbEUlT_E0_NS1_11comp_targetILNS1_3genE9ELNS1_11target_archE1100ELNS1_3gpuE3ELNS1_3repE0EEENS1_52radix_sort_onesweep_histogram_config_static_selectorELNS0_4arch9wavefront6targetE1EEEvSG_,"axG",@progbits,_ZN7rocprim17ROCPRIM_400000_NS6detail17trampoline_kernelINS0_14default_configENS1_35radix_sort_onesweep_config_selectorIiiEEZNS1_34radix_sort_onesweep_global_offsetsIS3_Lb1EN6thrust23THRUST_200600_302600_NS6detail15normal_iteratorINS8_10device_ptrIiEEEESD_jNS0_19identity_decomposerEEE10hipError_tT1_T2_PT3_SI_jT4_jjP12ihipStream_tbEUlT_E0_NS1_11comp_targetILNS1_3genE9ELNS1_11target_archE1100ELNS1_3gpuE3ELNS1_3repE0EEENS1_52radix_sort_onesweep_histogram_config_static_selectorELNS0_4arch9wavefront6targetE1EEEvSG_,comdat
	.protected	_ZN7rocprim17ROCPRIM_400000_NS6detail17trampoline_kernelINS0_14default_configENS1_35radix_sort_onesweep_config_selectorIiiEEZNS1_34radix_sort_onesweep_global_offsetsIS3_Lb1EN6thrust23THRUST_200600_302600_NS6detail15normal_iteratorINS8_10device_ptrIiEEEESD_jNS0_19identity_decomposerEEE10hipError_tT1_T2_PT3_SI_jT4_jjP12ihipStream_tbEUlT_E0_NS1_11comp_targetILNS1_3genE9ELNS1_11target_archE1100ELNS1_3gpuE3ELNS1_3repE0EEENS1_52radix_sort_onesweep_histogram_config_static_selectorELNS0_4arch9wavefront6targetE1EEEvSG_ ; -- Begin function _ZN7rocprim17ROCPRIM_400000_NS6detail17trampoline_kernelINS0_14default_configENS1_35radix_sort_onesweep_config_selectorIiiEEZNS1_34radix_sort_onesweep_global_offsetsIS3_Lb1EN6thrust23THRUST_200600_302600_NS6detail15normal_iteratorINS8_10device_ptrIiEEEESD_jNS0_19identity_decomposerEEE10hipError_tT1_T2_PT3_SI_jT4_jjP12ihipStream_tbEUlT_E0_NS1_11comp_targetILNS1_3genE9ELNS1_11target_archE1100ELNS1_3gpuE3ELNS1_3repE0EEENS1_52radix_sort_onesweep_histogram_config_static_selectorELNS0_4arch9wavefront6targetE1EEEvSG_
	.globl	_ZN7rocprim17ROCPRIM_400000_NS6detail17trampoline_kernelINS0_14default_configENS1_35radix_sort_onesweep_config_selectorIiiEEZNS1_34radix_sort_onesweep_global_offsetsIS3_Lb1EN6thrust23THRUST_200600_302600_NS6detail15normal_iteratorINS8_10device_ptrIiEEEESD_jNS0_19identity_decomposerEEE10hipError_tT1_T2_PT3_SI_jT4_jjP12ihipStream_tbEUlT_E0_NS1_11comp_targetILNS1_3genE9ELNS1_11target_archE1100ELNS1_3gpuE3ELNS1_3repE0EEENS1_52radix_sort_onesweep_histogram_config_static_selectorELNS0_4arch9wavefront6targetE1EEEvSG_
	.p2align	8
	.type	_ZN7rocprim17ROCPRIM_400000_NS6detail17trampoline_kernelINS0_14default_configENS1_35radix_sort_onesweep_config_selectorIiiEEZNS1_34radix_sort_onesweep_global_offsetsIS3_Lb1EN6thrust23THRUST_200600_302600_NS6detail15normal_iteratorINS8_10device_ptrIiEEEESD_jNS0_19identity_decomposerEEE10hipError_tT1_T2_PT3_SI_jT4_jjP12ihipStream_tbEUlT_E0_NS1_11comp_targetILNS1_3genE9ELNS1_11target_archE1100ELNS1_3gpuE3ELNS1_3repE0EEENS1_52radix_sort_onesweep_histogram_config_static_selectorELNS0_4arch9wavefront6targetE1EEEvSG_,@function
_ZN7rocprim17ROCPRIM_400000_NS6detail17trampoline_kernelINS0_14default_configENS1_35radix_sort_onesweep_config_selectorIiiEEZNS1_34radix_sort_onesweep_global_offsetsIS3_Lb1EN6thrust23THRUST_200600_302600_NS6detail15normal_iteratorINS8_10device_ptrIiEEEESD_jNS0_19identity_decomposerEEE10hipError_tT1_T2_PT3_SI_jT4_jjP12ihipStream_tbEUlT_E0_NS1_11comp_targetILNS1_3genE9ELNS1_11target_archE1100ELNS1_3gpuE3ELNS1_3repE0EEENS1_52radix_sort_onesweep_histogram_config_static_selectorELNS0_4arch9wavefront6targetE1EEEvSG_: ; @_ZN7rocprim17ROCPRIM_400000_NS6detail17trampoline_kernelINS0_14default_configENS1_35radix_sort_onesweep_config_selectorIiiEEZNS1_34radix_sort_onesweep_global_offsetsIS3_Lb1EN6thrust23THRUST_200600_302600_NS6detail15normal_iteratorINS8_10device_ptrIiEEEESD_jNS0_19identity_decomposerEEE10hipError_tT1_T2_PT3_SI_jT4_jjP12ihipStream_tbEUlT_E0_NS1_11comp_targetILNS1_3genE9ELNS1_11target_archE1100ELNS1_3gpuE3ELNS1_3repE0EEENS1_52radix_sort_onesweep_histogram_config_static_selectorELNS0_4arch9wavefront6targetE1EEEvSG_
; %bb.0:
	.section	.rodata,"a",@progbits
	.p2align	6, 0x0
	.amdhsa_kernel _ZN7rocprim17ROCPRIM_400000_NS6detail17trampoline_kernelINS0_14default_configENS1_35radix_sort_onesweep_config_selectorIiiEEZNS1_34radix_sort_onesweep_global_offsetsIS3_Lb1EN6thrust23THRUST_200600_302600_NS6detail15normal_iteratorINS8_10device_ptrIiEEEESD_jNS0_19identity_decomposerEEE10hipError_tT1_T2_PT3_SI_jT4_jjP12ihipStream_tbEUlT_E0_NS1_11comp_targetILNS1_3genE9ELNS1_11target_archE1100ELNS1_3gpuE3ELNS1_3repE0EEENS1_52radix_sort_onesweep_histogram_config_static_selectorELNS0_4arch9wavefront6targetE1EEEvSG_
		.amdhsa_group_segment_fixed_size 0
		.amdhsa_private_segment_fixed_size 0
		.amdhsa_kernarg_size 8
		.amdhsa_user_sgpr_count 2
		.amdhsa_user_sgpr_dispatch_ptr 0
		.amdhsa_user_sgpr_queue_ptr 0
		.amdhsa_user_sgpr_kernarg_segment_ptr 1
		.amdhsa_user_sgpr_dispatch_id 0
		.amdhsa_user_sgpr_kernarg_preload_length 0
		.amdhsa_user_sgpr_kernarg_preload_offset 0
		.amdhsa_user_sgpr_private_segment_size 0
		.amdhsa_uses_dynamic_stack 0
		.amdhsa_enable_private_segment 0
		.amdhsa_system_sgpr_workgroup_id_x 1
		.amdhsa_system_sgpr_workgroup_id_y 0
		.amdhsa_system_sgpr_workgroup_id_z 0
		.amdhsa_system_sgpr_workgroup_info 0
		.amdhsa_system_vgpr_workitem_id 0
		.amdhsa_next_free_vgpr 1
		.amdhsa_next_free_sgpr 0
		.amdhsa_accum_offset 4
		.amdhsa_reserve_vcc 0
		.amdhsa_float_round_mode_32 0
		.amdhsa_float_round_mode_16_64 0
		.amdhsa_float_denorm_mode_32 3
		.amdhsa_float_denorm_mode_16_64 3
		.amdhsa_dx10_clamp 1
		.amdhsa_ieee_mode 1
		.amdhsa_fp16_overflow 0
		.amdhsa_tg_split 0
		.amdhsa_exception_fp_ieee_invalid_op 0
		.amdhsa_exception_fp_denorm_src 0
		.amdhsa_exception_fp_ieee_div_zero 0
		.amdhsa_exception_fp_ieee_overflow 0
		.amdhsa_exception_fp_ieee_underflow 0
		.amdhsa_exception_fp_ieee_inexact 0
		.amdhsa_exception_int_div_zero 0
	.end_amdhsa_kernel
	.section	.text._ZN7rocprim17ROCPRIM_400000_NS6detail17trampoline_kernelINS0_14default_configENS1_35radix_sort_onesweep_config_selectorIiiEEZNS1_34radix_sort_onesweep_global_offsetsIS3_Lb1EN6thrust23THRUST_200600_302600_NS6detail15normal_iteratorINS8_10device_ptrIiEEEESD_jNS0_19identity_decomposerEEE10hipError_tT1_T2_PT3_SI_jT4_jjP12ihipStream_tbEUlT_E0_NS1_11comp_targetILNS1_3genE9ELNS1_11target_archE1100ELNS1_3gpuE3ELNS1_3repE0EEENS1_52radix_sort_onesweep_histogram_config_static_selectorELNS0_4arch9wavefront6targetE1EEEvSG_,"axG",@progbits,_ZN7rocprim17ROCPRIM_400000_NS6detail17trampoline_kernelINS0_14default_configENS1_35radix_sort_onesweep_config_selectorIiiEEZNS1_34radix_sort_onesweep_global_offsetsIS3_Lb1EN6thrust23THRUST_200600_302600_NS6detail15normal_iteratorINS8_10device_ptrIiEEEESD_jNS0_19identity_decomposerEEE10hipError_tT1_T2_PT3_SI_jT4_jjP12ihipStream_tbEUlT_E0_NS1_11comp_targetILNS1_3genE9ELNS1_11target_archE1100ELNS1_3gpuE3ELNS1_3repE0EEENS1_52radix_sort_onesweep_histogram_config_static_selectorELNS0_4arch9wavefront6targetE1EEEvSG_,comdat
.Lfunc_end997:
	.size	_ZN7rocprim17ROCPRIM_400000_NS6detail17trampoline_kernelINS0_14default_configENS1_35radix_sort_onesweep_config_selectorIiiEEZNS1_34radix_sort_onesweep_global_offsetsIS3_Lb1EN6thrust23THRUST_200600_302600_NS6detail15normal_iteratorINS8_10device_ptrIiEEEESD_jNS0_19identity_decomposerEEE10hipError_tT1_T2_PT3_SI_jT4_jjP12ihipStream_tbEUlT_E0_NS1_11comp_targetILNS1_3genE9ELNS1_11target_archE1100ELNS1_3gpuE3ELNS1_3repE0EEENS1_52radix_sort_onesweep_histogram_config_static_selectorELNS0_4arch9wavefront6targetE1EEEvSG_, .Lfunc_end997-_ZN7rocprim17ROCPRIM_400000_NS6detail17trampoline_kernelINS0_14default_configENS1_35radix_sort_onesweep_config_selectorIiiEEZNS1_34radix_sort_onesweep_global_offsetsIS3_Lb1EN6thrust23THRUST_200600_302600_NS6detail15normal_iteratorINS8_10device_ptrIiEEEESD_jNS0_19identity_decomposerEEE10hipError_tT1_T2_PT3_SI_jT4_jjP12ihipStream_tbEUlT_E0_NS1_11comp_targetILNS1_3genE9ELNS1_11target_archE1100ELNS1_3gpuE3ELNS1_3repE0EEENS1_52radix_sort_onesweep_histogram_config_static_selectorELNS0_4arch9wavefront6targetE1EEEvSG_
                                        ; -- End function
	.set _ZN7rocprim17ROCPRIM_400000_NS6detail17trampoline_kernelINS0_14default_configENS1_35radix_sort_onesweep_config_selectorIiiEEZNS1_34radix_sort_onesweep_global_offsetsIS3_Lb1EN6thrust23THRUST_200600_302600_NS6detail15normal_iteratorINS8_10device_ptrIiEEEESD_jNS0_19identity_decomposerEEE10hipError_tT1_T2_PT3_SI_jT4_jjP12ihipStream_tbEUlT_E0_NS1_11comp_targetILNS1_3genE9ELNS1_11target_archE1100ELNS1_3gpuE3ELNS1_3repE0EEENS1_52radix_sort_onesweep_histogram_config_static_selectorELNS0_4arch9wavefront6targetE1EEEvSG_.num_vgpr, 0
	.set _ZN7rocprim17ROCPRIM_400000_NS6detail17trampoline_kernelINS0_14default_configENS1_35radix_sort_onesweep_config_selectorIiiEEZNS1_34radix_sort_onesweep_global_offsetsIS3_Lb1EN6thrust23THRUST_200600_302600_NS6detail15normal_iteratorINS8_10device_ptrIiEEEESD_jNS0_19identity_decomposerEEE10hipError_tT1_T2_PT3_SI_jT4_jjP12ihipStream_tbEUlT_E0_NS1_11comp_targetILNS1_3genE9ELNS1_11target_archE1100ELNS1_3gpuE3ELNS1_3repE0EEENS1_52radix_sort_onesweep_histogram_config_static_selectorELNS0_4arch9wavefront6targetE1EEEvSG_.num_agpr, 0
	.set _ZN7rocprim17ROCPRIM_400000_NS6detail17trampoline_kernelINS0_14default_configENS1_35radix_sort_onesweep_config_selectorIiiEEZNS1_34radix_sort_onesweep_global_offsetsIS3_Lb1EN6thrust23THRUST_200600_302600_NS6detail15normal_iteratorINS8_10device_ptrIiEEEESD_jNS0_19identity_decomposerEEE10hipError_tT1_T2_PT3_SI_jT4_jjP12ihipStream_tbEUlT_E0_NS1_11comp_targetILNS1_3genE9ELNS1_11target_archE1100ELNS1_3gpuE3ELNS1_3repE0EEENS1_52radix_sort_onesweep_histogram_config_static_selectorELNS0_4arch9wavefront6targetE1EEEvSG_.numbered_sgpr, 0
	.set _ZN7rocprim17ROCPRIM_400000_NS6detail17trampoline_kernelINS0_14default_configENS1_35radix_sort_onesweep_config_selectorIiiEEZNS1_34radix_sort_onesweep_global_offsetsIS3_Lb1EN6thrust23THRUST_200600_302600_NS6detail15normal_iteratorINS8_10device_ptrIiEEEESD_jNS0_19identity_decomposerEEE10hipError_tT1_T2_PT3_SI_jT4_jjP12ihipStream_tbEUlT_E0_NS1_11comp_targetILNS1_3genE9ELNS1_11target_archE1100ELNS1_3gpuE3ELNS1_3repE0EEENS1_52radix_sort_onesweep_histogram_config_static_selectorELNS0_4arch9wavefront6targetE1EEEvSG_.num_named_barrier, 0
	.set _ZN7rocprim17ROCPRIM_400000_NS6detail17trampoline_kernelINS0_14default_configENS1_35radix_sort_onesweep_config_selectorIiiEEZNS1_34radix_sort_onesweep_global_offsetsIS3_Lb1EN6thrust23THRUST_200600_302600_NS6detail15normal_iteratorINS8_10device_ptrIiEEEESD_jNS0_19identity_decomposerEEE10hipError_tT1_T2_PT3_SI_jT4_jjP12ihipStream_tbEUlT_E0_NS1_11comp_targetILNS1_3genE9ELNS1_11target_archE1100ELNS1_3gpuE3ELNS1_3repE0EEENS1_52radix_sort_onesweep_histogram_config_static_selectorELNS0_4arch9wavefront6targetE1EEEvSG_.private_seg_size, 0
	.set _ZN7rocprim17ROCPRIM_400000_NS6detail17trampoline_kernelINS0_14default_configENS1_35radix_sort_onesweep_config_selectorIiiEEZNS1_34radix_sort_onesweep_global_offsetsIS3_Lb1EN6thrust23THRUST_200600_302600_NS6detail15normal_iteratorINS8_10device_ptrIiEEEESD_jNS0_19identity_decomposerEEE10hipError_tT1_T2_PT3_SI_jT4_jjP12ihipStream_tbEUlT_E0_NS1_11comp_targetILNS1_3genE9ELNS1_11target_archE1100ELNS1_3gpuE3ELNS1_3repE0EEENS1_52radix_sort_onesweep_histogram_config_static_selectorELNS0_4arch9wavefront6targetE1EEEvSG_.uses_vcc, 0
	.set _ZN7rocprim17ROCPRIM_400000_NS6detail17trampoline_kernelINS0_14default_configENS1_35radix_sort_onesweep_config_selectorIiiEEZNS1_34radix_sort_onesweep_global_offsetsIS3_Lb1EN6thrust23THRUST_200600_302600_NS6detail15normal_iteratorINS8_10device_ptrIiEEEESD_jNS0_19identity_decomposerEEE10hipError_tT1_T2_PT3_SI_jT4_jjP12ihipStream_tbEUlT_E0_NS1_11comp_targetILNS1_3genE9ELNS1_11target_archE1100ELNS1_3gpuE3ELNS1_3repE0EEENS1_52radix_sort_onesweep_histogram_config_static_selectorELNS0_4arch9wavefront6targetE1EEEvSG_.uses_flat_scratch, 0
	.set _ZN7rocprim17ROCPRIM_400000_NS6detail17trampoline_kernelINS0_14default_configENS1_35radix_sort_onesweep_config_selectorIiiEEZNS1_34radix_sort_onesweep_global_offsetsIS3_Lb1EN6thrust23THRUST_200600_302600_NS6detail15normal_iteratorINS8_10device_ptrIiEEEESD_jNS0_19identity_decomposerEEE10hipError_tT1_T2_PT3_SI_jT4_jjP12ihipStream_tbEUlT_E0_NS1_11comp_targetILNS1_3genE9ELNS1_11target_archE1100ELNS1_3gpuE3ELNS1_3repE0EEENS1_52radix_sort_onesweep_histogram_config_static_selectorELNS0_4arch9wavefront6targetE1EEEvSG_.has_dyn_sized_stack, 0
	.set _ZN7rocprim17ROCPRIM_400000_NS6detail17trampoline_kernelINS0_14default_configENS1_35radix_sort_onesweep_config_selectorIiiEEZNS1_34radix_sort_onesweep_global_offsetsIS3_Lb1EN6thrust23THRUST_200600_302600_NS6detail15normal_iteratorINS8_10device_ptrIiEEEESD_jNS0_19identity_decomposerEEE10hipError_tT1_T2_PT3_SI_jT4_jjP12ihipStream_tbEUlT_E0_NS1_11comp_targetILNS1_3genE9ELNS1_11target_archE1100ELNS1_3gpuE3ELNS1_3repE0EEENS1_52radix_sort_onesweep_histogram_config_static_selectorELNS0_4arch9wavefront6targetE1EEEvSG_.has_recursion, 0
	.set _ZN7rocprim17ROCPRIM_400000_NS6detail17trampoline_kernelINS0_14default_configENS1_35radix_sort_onesweep_config_selectorIiiEEZNS1_34radix_sort_onesweep_global_offsetsIS3_Lb1EN6thrust23THRUST_200600_302600_NS6detail15normal_iteratorINS8_10device_ptrIiEEEESD_jNS0_19identity_decomposerEEE10hipError_tT1_T2_PT3_SI_jT4_jjP12ihipStream_tbEUlT_E0_NS1_11comp_targetILNS1_3genE9ELNS1_11target_archE1100ELNS1_3gpuE3ELNS1_3repE0EEENS1_52radix_sort_onesweep_histogram_config_static_selectorELNS0_4arch9wavefront6targetE1EEEvSG_.has_indirect_call, 0
	.section	.AMDGPU.csdata,"",@progbits
; Kernel info:
; codeLenInByte = 0
; TotalNumSgprs: 6
; NumVgprs: 0
; NumAgprs: 0
; TotalNumVgprs: 0
; ScratchSize: 0
; MemoryBound: 0
; FloatMode: 240
; IeeeMode: 1
; LDSByteSize: 0 bytes/workgroup (compile time only)
; SGPRBlocks: 0
; VGPRBlocks: 0
; NumSGPRsForWavesPerEU: 6
; NumVGPRsForWavesPerEU: 1
; AccumOffset: 4
; Occupancy: 8
; WaveLimiterHint : 0
; COMPUTE_PGM_RSRC2:SCRATCH_EN: 0
; COMPUTE_PGM_RSRC2:USER_SGPR: 2
; COMPUTE_PGM_RSRC2:TRAP_HANDLER: 0
; COMPUTE_PGM_RSRC2:TGID_X_EN: 1
; COMPUTE_PGM_RSRC2:TGID_Y_EN: 0
; COMPUTE_PGM_RSRC2:TGID_Z_EN: 0
; COMPUTE_PGM_RSRC2:TIDIG_COMP_CNT: 0
; COMPUTE_PGM_RSRC3_GFX90A:ACCUM_OFFSET: 0
; COMPUTE_PGM_RSRC3_GFX90A:TG_SPLIT: 0
	.section	.text._ZN7rocprim17ROCPRIM_400000_NS6detail17trampoline_kernelINS0_14default_configENS1_35radix_sort_onesweep_config_selectorIiiEEZNS1_34radix_sort_onesweep_global_offsetsIS3_Lb1EN6thrust23THRUST_200600_302600_NS6detail15normal_iteratorINS8_10device_ptrIiEEEESD_jNS0_19identity_decomposerEEE10hipError_tT1_T2_PT3_SI_jT4_jjP12ihipStream_tbEUlT_E0_NS1_11comp_targetILNS1_3genE8ELNS1_11target_archE1030ELNS1_3gpuE2ELNS1_3repE0EEENS1_52radix_sort_onesweep_histogram_config_static_selectorELNS0_4arch9wavefront6targetE1EEEvSG_,"axG",@progbits,_ZN7rocprim17ROCPRIM_400000_NS6detail17trampoline_kernelINS0_14default_configENS1_35radix_sort_onesweep_config_selectorIiiEEZNS1_34radix_sort_onesweep_global_offsetsIS3_Lb1EN6thrust23THRUST_200600_302600_NS6detail15normal_iteratorINS8_10device_ptrIiEEEESD_jNS0_19identity_decomposerEEE10hipError_tT1_T2_PT3_SI_jT4_jjP12ihipStream_tbEUlT_E0_NS1_11comp_targetILNS1_3genE8ELNS1_11target_archE1030ELNS1_3gpuE2ELNS1_3repE0EEENS1_52radix_sort_onesweep_histogram_config_static_selectorELNS0_4arch9wavefront6targetE1EEEvSG_,comdat
	.protected	_ZN7rocprim17ROCPRIM_400000_NS6detail17trampoline_kernelINS0_14default_configENS1_35radix_sort_onesweep_config_selectorIiiEEZNS1_34radix_sort_onesweep_global_offsetsIS3_Lb1EN6thrust23THRUST_200600_302600_NS6detail15normal_iteratorINS8_10device_ptrIiEEEESD_jNS0_19identity_decomposerEEE10hipError_tT1_T2_PT3_SI_jT4_jjP12ihipStream_tbEUlT_E0_NS1_11comp_targetILNS1_3genE8ELNS1_11target_archE1030ELNS1_3gpuE2ELNS1_3repE0EEENS1_52radix_sort_onesweep_histogram_config_static_selectorELNS0_4arch9wavefront6targetE1EEEvSG_ ; -- Begin function _ZN7rocprim17ROCPRIM_400000_NS6detail17trampoline_kernelINS0_14default_configENS1_35radix_sort_onesweep_config_selectorIiiEEZNS1_34radix_sort_onesweep_global_offsetsIS3_Lb1EN6thrust23THRUST_200600_302600_NS6detail15normal_iteratorINS8_10device_ptrIiEEEESD_jNS0_19identity_decomposerEEE10hipError_tT1_T2_PT3_SI_jT4_jjP12ihipStream_tbEUlT_E0_NS1_11comp_targetILNS1_3genE8ELNS1_11target_archE1030ELNS1_3gpuE2ELNS1_3repE0EEENS1_52radix_sort_onesweep_histogram_config_static_selectorELNS0_4arch9wavefront6targetE1EEEvSG_
	.globl	_ZN7rocprim17ROCPRIM_400000_NS6detail17trampoline_kernelINS0_14default_configENS1_35radix_sort_onesweep_config_selectorIiiEEZNS1_34radix_sort_onesweep_global_offsetsIS3_Lb1EN6thrust23THRUST_200600_302600_NS6detail15normal_iteratorINS8_10device_ptrIiEEEESD_jNS0_19identity_decomposerEEE10hipError_tT1_T2_PT3_SI_jT4_jjP12ihipStream_tbEUlT_E0_NS1_11comp_targetILNS1_3genE8ELNS1_11target_archE1030ELNS1_3gpuE2ELNS1_3repE0EEENS1_52radix_sort_onesweep_histogram_config_static_selectorELNS0_4arch9wavefront6targetE1EEEvSG_
	.p2align	8
	.type	_ZN7rocprim17ROCPRIM_400000_NS6detail17trampoline_kernelINS0_14default_configENS1_35radix_sort_onesweep_config_selectorIiiEEZNS1_34radix_sort_onesweep_global_offsetsIS3_Lb1EN6thrust23THRUST_200600_302600_NS6detail15normal_iteratorINS8_10device_ptrIiEEEESD_jNS0_19identity_decomposerEEE10hipError_tT1_T2_PT3_SI_jT4_jjP12ihipStream_tbEUlT_E0_NS1_11comp_targetILNS1_3genE8ELNS1_11target_archE1030ELNS1_3gpuE2ELNS1_3repE0EEENS1_52radix_sort_onesweep_histogram_config_static_selectorELNS0_4arch9wavefront6targetE1EEEvSG_,@function
_ZN7rocprim17ROCPRIM_400000_NS6detail17trampoline_kernelINS0_14default_configENS1_35radix_sort_onesweep_config_selectorIiiEEZNS1_34radix_sort_onesweep_global_offsetsIS3_Lb1EN6thrust23THRUST_200600_302600_NS6detail15normal_iteratorINS8_10device_ptrIiEEEESD_jNS0_19identity_decomposerEEE10hipError_tT1_T2_PT3_SI_jT4_jjP12ihipStream_tbEUlT_E0_NS1_11comp_targetILNS1_3genE8ELNS1_11target_archE1030ELNS1_3gpuE2ELNS1_3repE0EEENS1_52radix_sort_onesweep_histogram_config_static_selectorELNS0_4arch9wavefront6targetE1EEEvSG_: ; @_ZN7rocprim17ROCPRIM_400000_NS6detail17trampoline_kernelINS0_14default_configENS1_35radix_sort_onesweep_config_selectorIiiEEZNS1_34radix_sort_onesweep_global_offsetsIS3_Lb1EN6thrust23THRUST_200600_302600_NS6detail15normal_iteratorINS8_10device_ptrIiEEEESD_jNS0_19identity_decomposerEEE10hipError_tT1_T2_PT3_SI_jT4_jjP12ihipStream_tbEUlT_E0_NS1_11comp_targetILNS1_3genE8ELNS1_11target_archE1030ELNS1_3gpuE2ELNS1_3repE0EEENS1_52radix_sort_onesweep_histogram_config_static_selectorELNS0_4arch9wavefront6targetE1EEEvSG_
; %bb.0:
	.section	.rodata,"a",@progbits
	.p2align	6, 0x0
	.amdhsa_kernel _ZN7rocprim17ROCPRIM_400000_NS6detail17trampoline_kernelINS0_14default_configENS1_35radix_sort_onesweep_config_selectorIiiEEZNS1_34radix_sort_onesweep_global_offsetsIS3_Lb1EN6thrust23THRUST_200600_302600_NS6detail15normal_iteratorINS8_10device_ptrIiEEEESD_jNS0_19identity_decomposerEEE10hipError_tT1_T2_PT3_SI_jT4_jjP12ihipStream_tbEUlT_E0_NS1_11comp_targetILNS1_3genE8ELNS1_11target_archE1030ELNS1_3gpuE2ELNS1_3repE0EEENS1_52radix_sort_onesweep_histogram_config_static_selectorELNS0_4arch9wavefront6targetE1EEEvSG_
		.amdhsa_group_segment_fixed_size 0
		.amdhsa_private_segment_fixed_size 0
		.amdhsa_kernarg_size 8
		.amdhsa_user_sgpr_count 2
		.amdhsa_user_sgpr_dispatch_ptr 0
		.amdhsa_user_sgpr_queue_ptr 0
		.amdhsa_user_sgpr_kernarg_segment_ptr 1
		.amdhsa_user_sgpr_dispatch_id 0
		.amdhsa_user_sgpr_kernarg_preload_length 0
		.amdhsa_user_sgpr_kernarg_preload_offset 0
		.amdhsa_user_sgpr_private_segment_size 0
		.amdhsa_uses_dynamic_stack 0
		.amdhsa_enable_private_segment 0
		.amdhsa_system_sgpr_workgroup_id_x 1
		.amdhsa_system_sgpr_workgroup_id_y 0
		.amdhsa_system_sgpr_workgroup_id_z 0
		.amdhsa_system_sgpr_workgroup_info 0
		.amdhsa_system_vgpr_workitem_id 0
		.amdhsa_next_free_vgpr 1
		.amdhsa_next_free_sgpr 0
		.amdhsa_accum_offset 4
		.amdhsa_reserve_vcc 0
		.amdhsa_float_round_mode_32 0
		.amdhsa_float_round_mode_16_64 0
		.amdhsa_float_denorm_mode_32 3
		.amdhsa_float_denorm_mode_16_64 3
		.amdhsa_dx10_clamp 1
		.amdhsa_ieee_mode 1
		.amdhsa_fp16_overflow 0
		.amdhsa_tg_split 0
		.amdhsa_exception_fp_ieee_invalid_op 0
		.amdhsa_exception_fp_denorm_src 0
		.amdhsa_exception_fp_ieee_div_zero 0
		.amdhsa_exception_fp_ieee_overflow 0
		.amdhsa_exception_fp_ieee_underflow 0
		.amdhsa_exception_fp_ieee_inexact 0
		.amdhsa_exception_int_div_zero 0
	.end_amdhsa_kernel
	.section	.text._ZN7rocprim17ROCPRIM_400000_NS6detail17trampoline_kernelINS0_14default_configENS1_35radix_sort_onesweep_config_selectorIiiEEZNS1_34radix_sort_onesweep_global_offsetsIS3_Lb1EN6thrust23THRUST_200600_302600_NS6detail15normal_iteratorINS8_10device_ptrIiEEEESD_jNS0_19identity_decomposerEEE10hipError_tT1_T2_PT3_SI_jT4_jjP12ihipStream_tbEUlT_E0_NS1_11comp_targetILNS1_3genE8ELNS1_11target_archE1030ELNS1_3gpuE2ELNS1_3repE0EEENS1_52radix_sort_onesweep_histogram_config_static_selectorELNS0_4arch9wavefront6targetE1EEEvSG_,"axG",@progbits,_ZN7rocprim17ROCPRIM_400000_NS6detail17trampoline_kernelINS0_14default_configENS1_35radix_sort_onesweep_config_selectorIiiEEZNS1_34radix_sort_onesweep_global_offsetsIS3_Lb1EN6thrust23THRUST_200600_302600_NS6detail15normal_iteratorINS8_10device_ptrIiEEEESD_jNS0_19identity_decomposerEEE10hipError_tT1_T2_PT3_SI_jT4_jjP12ihipStream_tbEUlT_E0_NS1_11comp_targetILNS1_3genE8ELNS1_11target_archE1030ELNS1_3gpuE2ELNS1_3repE0EEENS1_52radix_sort_onesweep_histogram_config_static_selectorELNS0_4arch9wavefront6targetE1EEEvSG_,comdat
.Lfunc_end998:
	.size	_ZN7rocprim17ROCPRIM_400000_NS6detail17trampoline_kernelINS0_14default_configENS1_35radix_sort_onesweep_config_selectorIiiEEZNS1_34radix_sort_onesweep_global_offsetsIS3_Lb1EN6thrust23THRUST_200600_302600_NS6detail15normal_iteratorINS8_10device_ptrIiEEEESD_jNS0_19identity_decomposerEEE10hipError_tT1_T2_PT3_SI_jT4_jjP12ihipStream_tbEUlT_E0_NS1_11comp_targetILNS1_3genE8ELNS1_11target_archE1030ELNS1_3gpuE2ELNS1_3repE0EEENS1_52radix_sort_onesweep_histogram_config_static_selectorELNS0_4arch9wavefront6targetE1EEEvSG_, .Lfunc_end998-_ZN7rocprim17ROCPRIM_400000_NS6detail17trampoline_kernelINS0_14default_configENS1_35radix_sort_onesweep_config_selectorIiiEEZNS1_34radix_sort_onesweep_global_offsetsIS3_Lb1EN6thrust23THRUST_200600_302600_NS6detail15normal_iteratorINS8_10device_ptrIiEEEESD_jNS0_19identity_decomposerEEE10hipError_tT1_T2_PT3_SI_jT4_jjP12ihipStream_tbEUlT_E0_NS1_11comp_targetILNS1_3genE8ELNS1_11target_archE1030ELNS1_3gpuE2ELNS1_3repE0EEENS1_52radix_sort_onesweep_histogram_config_static_selectorELNS0_4arch9wavefront6targetE1EEEvSG_
                                        ; -- End function
	.set _ZN7rocprim17ROCPRIM_400000_NS6detail17trampoline_kernelINS0_14default_configENS1_35radix_sort_onesweep_config_selectorIiiEEZNS1_34radix_sort_onesweep_global_offsetsIS3_Lb1EN6thrust23THRUST_200600_302600_NS6detail15normal_iteratorINS8_10device_ptrIiEEEESD_jNS0_19identity_decomposerEEE10hipError_tT1_T2_PT3_SI_jT4_jjP12ihipStream_tbEUlT_E0_NS1_11comp_targetILNS1_3genE8ELNS1_11target_archE1030ELNS1_3gpuE2ELNS1_3repE0EEENS1_52radix_sort_onesweep_histogram_config_static_selectorELNS0_4arch9wavefront6targetE1EEEvSG_.num_vgpr, 0
	.set _ZN7rocprim17ROCPRIM_400000_NS6detail17trampoline_kernelINS0_14default_configENS1_35radix_sort_onesweep_config_selectorIiiEEZNS1_34radix_sort_onesweep_global_offsetsIS3_Lb1EN6thrust23THRUST_200600_302600_NS6detail15normal_iteratorINS8_10device_ptrIiEEEESD_jNS0_19identity_decomposerEEE10hipError_tT1_T2_PT3_SI_jT4_jjP12ihipStream_tbEUlT_E0_NS1_11comp_targetILNS1_3genE8ELNS1_11target_archE1030ELNS1_3gpuE2ELNS1_3repE0EEENS1_52radix_sort_onesweep_histogram_config_static_selectorELNS0_4arch9wavefront6targetE1EEEvSG_.num_agpr, 0
	.set _ZN7rocprim17ROCPRIM_400000_NS6detail17trampoline_kernelINS0_14default_configENS1_35radix_sort_onesweep_config_selectorIiiEEZNS1_34radix_sort_onesweep_global_offsetsIS3_Lb1EN6thrust23THRUST_200600_302600_NS6detail15normal_iteratorINS8_10device_ptrIiEEEESD_jNS0_19identity_decomposerEEE10hipError_tT1_T2_PT3_SI_jT4_jjP12ihipStream_tbEUlT_E0_NS1_11comp_targetILNS1_3genE8ELNS1_11target_archE1030ELNS1_3gpuE2ELNS1_3repE0EEENS1_52radix_sort_onesweep_histogram_config_static_selectorELNS0_4arch9wavefront6targetE1EEEvSG_.numbered_sgpr, 0
	.set _ZN7rocprim17ROCPRIM_400000_NS6detail17trampoline_kernelINS0_14default_configENS1_35radix_sort_onesweep_config_selectorIiiEEZNS1_34radix_sort_onesweep_global_offsetsIS3_Lb1EN6thrust23THRUST_200600_302600_NS6detail15normal_iteratorINS8_10device_ptrIiEEEESD_jNS0_19identity_decomposerEEE10hipError_tT1_T2_PT3_SI_jT4_jjP12ihipStream_tbEUlT_E0_NS1_11comp_targetILNS1_3genE8ELNS1_11target_archE1030ELNS1_3gpuE2ELNS1_3repE0EEENS1_52radix_sort_onesweep_histogram_config_static_selectorELNS0_4arch9wavefront6targetE1EEEvSG_.num_named_barrier, 0
	.set _ZN7rocprim17ROCPRIM_400000_NS6detail17trampoline_kernelINS0_14default_configENS1_35radix_sort_onesweep_config_selectorIiiEEZNS1_34radix_sort_onesweep_global_offsetsIS3_Lb1EN6thrust23THRUST_200600_302600_NS6detail15normal_iteratorINS8_10device_ptrIiEEEESD_jNS0_19identity_decomposerEEE10hipError_tT1_T2_PT3_SI_jT4_jjP12ihipStream_tbEUlT_E0_NS1_11comp_targetILNS1_3genE8ELNS1_11target_archE1030ELNS1_3gpuE2ELNS1_3repE0EEENS1_52radix_sort_onesweep_histogram_config_static_selectorELNS0_4arch9wavefront6targetE1EEEvSG_.private_seg_size, 0
	.set _ZN7rocprim17ROCPRIM_400000_NS6detail17trampoline_kernelINS0_14default_configENS1_35radix_sort_onesweep_config_selectorIiiEEZNS1_34radix_sort_onesweep_global_offsetsIS3_Lb1EN6thrust23THRUST_200600_302600_NS6detail15normal_iteratorINS8_10device_ptrIiEEEESD_jNS0_19identity_decomposerEEE10hipError_tT1_T2_PT3_SI_jT4_jjP12ihipStream_tbEUlT_E0_NS1_11comp_targetILNS1_3genE8ELNS1_11target_archE1030ELNS1_3gpuE2ELNS1_3repE0EEENS1_52radix_sort_onesweep_histogram_config_static_selectorELNS0_4arch9wavefront6targetE1EEEvSG_.uses_vcc, 0
	.set _ZN7rocprim17ROCPRIM_400000_NS6detail17trampoline_kernelINS0_14default_configENS1_35radix_sort_onesweep_config_selectorIiiEEZNS1_34radix_sort_onesweep_global_offsetsIS3_Lb1EN6thrust23THRUST_200600_302600_NS6detail15normal_iteratorINS8_10device_ptrIiEEEESD_jNS0_19identity_decomposerEEE10hipError_tT1_T2_PT3_SI_jT4_jjP12ihipStream_tbEUlT_E0_NS1_11comp_targetILNS1_3genE8ELNS1_11target_archE1030ELNS1_3gpuE2ELNS1_3repE0EEENS1_52radix_sort_onesweep_histogram_config_static_selectorELNS0_4arch9wavefront6targetE1EEEvSG_.uses_flat_scratch, 0
	.set _ZN7rocprim17ROCPRIM_400000_NS6detail17trampoline_kernelINS0_14default_configENS1_35radix_sort_onesweep_config_selectorIiiEEZNS1_34radix_sort_onesweep_global_offsetsIS3_Lb1EN6thrust23THRUST_200600_302600_NS6detail15normal_iteratorINS8_10device_ptrIiEEEESD_jNS0_19identity_decomposerEEE10hipError_tT1_T2_PT3_SI_jT4_jjP12ihipStream_tbEUlT_E0_NS1_11comp_targetILNS1_3genE8ELNS1_11target_archE1030ELNS1_3gpuE2ELNS1_3repE0EEENS1_52radix_sort_onesweep_histogram_config_static_selectorELNS0_4arch9wavefront6targetE1EEEvSG_.has_dyn_sized_stack, 0
	.set _ZN7rocprim17ROCPRIM_400000_NS6detail17trampoline_kernelINS0_14default_configENS1_35radix_sort_onesweep_config_selectorIiiEEZNS1_34radix_sort_onesweep_global_offsetsIS3_Lb1EN6thrust23THRUST_200600_302600_NS6detail15normal_iteratorINS8_10device_ptrIiEEEESD_jNS0_19identity_decomposerEEE10hipError_tT1_T2_PT3_SI_jT4_jjP12ihipStream_tbEUlT_E0_NS1_11comp_targetILNS1_3genE8ELNS1_11target_archE1030ELNS1_3gpuE2ELNS1_3repE0EEENS1_52radix_sort_onesweep_histogram_config_static_selectorELNS0_4arch9wavefront6targetE1EEEvSG_.has_recursion, 0
	.set _ZN7rocprim17ROCPRIM_400000_NS6detail17trampoline_kernelINS0_14default_configENS1_35radix_sort_onesweep_config_selectorIiiEEZNS1_34radix_sort_onesweep_global_offsetsIS3_Lb1EN6thrust23THRUST_200600_302600_NS6detail15normal_iteratorINS8_10device_ptrIiEEEESD_jNS0_19identity_decomposerEEE10hipError_tT1_T2_PT3_SI_jT4_jjP12ihipStream_tbEUlT_E0_NS1_11comp_targetILNS1_3genE8ELNS1_11target_archE1030ELNS1_3gpuE2ELNS1_3repE0EEENS1_52radix_sort_onesweep_histogram_config_static_selectorELNS0_4arch9wavefront6targetE1EEEvSG_.has_indirect_call, 0
	.section	.AMDGPU.csdata,"",@progbits
; Kernel info:
; codeLenInByte = 0
; TotalNumSgprs: 6
; NumVgprs: 0
; NumAgprs: 0
; TotalNumVgprs: 0
; ScratchSize: 0
; MemoryBound: 0
; FloatMode: 240
; IeeeMode: 1
; LDSByteSize: 0 bytes/workgroup (compile time only)
; SGPRBlocks: 0
; VGPRBlocks: 0
; NumSGPRsForWavesPerEU: 6
; NumVGPRsForWavesPerEU: 1
; AccumOffset: 4
; Occupancy: 8
; WaveLimiterHint : 0
; COMPUTE_PGM_RSRC2:SCRATCH_EN: 0
; COMPUTE_PGM_RSRC2:USER_SGPR: 2
; COMPUTE_PGM_RSRC2:TRAP_HANDLER: 0
; COMPUTE_PGM_RSRC2:TGID_X_EN: 1
; COMPUTE_PGM_RSRC2:TGID_Y_EN: 0
; COMPUTE_PGM_RSRC2:TGID_Z_EN: 0
; COMPUTE_PGM_RSRC2:TIDIG_COMP_CNT: 0
; COMPUTE_PGM_RSRC3_GFX90A:ACCUM_OFFSET: 0
; COMPUTE_PGM_RSRC3_GFX90A:TG_SPLIT: 0
	.section	.text._ZN7rocprim17ROCPRIM_400000_NS6detail17trampoline_kernelINS0_14default_configENS1_35radix_sort_onesweep_config_selectorIiiEEZZNS1_29radix_sort_onesweep_iterationIS3_Lb1EN6thrust23THRUST_200600_302600_NS6detail15normal_iteratorINS8_10device_ptrIiEEEESD_SD_SD_jNS0_19identity_decomposerENS1_16block_id_wrapperIjLb1EEEEE10hipError_tT1_PNSt15iterator_traitsISI_E10value_typeET2_T3_PNSJ_ISO_E10value_typeET4_T5_PST_SU_PNS1_23onesweep_lookback_stateEbbT6_jjT7_P12ihipStream_tbENKUlT_T0_SI_SN_E_clISD_SD_SD_SD_EEDaS11_S12_SI_SN_EUlS11_E_NS1_11comp_targetILNS1_3genE0ELNS1_11target_archE4294967295ELNS1_3gpuE0ELNS1_3repE0EEENS1_47radix_sort_onesweep_sort_config_static_selectorELNS0_4arch9wavefront6targetE1EEEvSI_,"axG",@progbits,_ZN7rocprim17ROCPRIM_400000_NS6detail17trampoline_kernelINS0_14default_configENS1_35radix_sort_onesweep_config_selectorIiiEEZZNS1_29radix_sort_onesweep_iterationIS3_Lb1EN6thrust23THRUST_200600_302600_NS6detail15normal_iteratorINS8_10device_ptrIiEEEESD_SD_SD_jNS0_19identity_decomposerENS1_16block_id_wrapperIjLb1EEEEE10hipError_tT1_PNSt15iterator_traitsISI_E10value_typeET2_T3_PNSJ_ISO_E10value_typeET4_T5_PST_SU_PNS1_23onesweep_lookback_stateEbbT6_jjT7_P12ihipStream_tbENKUlT_T0_SI_SN_E_clISD_SD_SD_SD_EEDaS11_S12_SI_SN_EUlS11_E_NS1_11comp_targetILNS1_3genE0ELNS1_11target_archE4294967295ELNS1_3gpuE0ELNS1_3repE0EEENS1_47radix_sort_onesweep_sort_config_static_selectorELNS0_4arch9wavefront6targetE1EEEvSI_,comdat
	.protected	_ZN7rocprim17ROCPRIM_400000_NS6detail17trampoline_kernelINS0_14default_configENS1_35radix_sort_onesweep_config_selectorIiiEEZZNS1_29radix_sort_onesweep_iterationIS3_Lb1EN6thrust23THRUST_200600_302600_NS6detail15normal_iteratorINS8_10device_ptrIiEEEESD_SD_SD_jNS0_19identity_decomposerENS1_16block_id_wrapperIjLb1EEEEE10hipError_tT1_PNSt15iterator_traitsISI_E10value_typeET2_T3_PNSJ_ISO_E10value_typeET4_T5_PST_SU_PNS1_23onesweep_lookback_stateEbbT6_jjT7_P12ihipStream_tbENKUlT_T0_SI_SN_E_clISD_SD_SD_SD_EEDaS11_S12_SI_SN_EUlS11_E_NS1_11comp_targetILNS1_3genE0ELNS1_11target_archE4294967295ELNS1_3gpuE0ELNS1_3repE0EEENS1_47radix_sort_onesweep_sort_config_static_selectorELNS0_4arch9wavefront6targetE1EEEvSI_ ; -- Begin function _ZN7rocprim17ROCPRIM_400000_NS6detail17trampoline_kernelINS0_14default_configENS1_35radix_sort_onesweep_config_selectorIiiEEZZNS1_29radix_sort_onesweep_iterationIS3_Lb1EN6thrust23THRUST_200600_302600_NS6detail15normal_iteratorINS8_10device_ptrIiEEEESD_SD_SD_jNS0_19identity_decomposerENS1_16block_id_wrapperIjLb1EEEEE10hipError_tT1_PNSt15iterator_traitsISI_E10value_typeET2_T3_PNSJ_ISO_E10value_typeET4_T5_PST_SU_PNS1_23onesweep_lookback_stateEbbT6_jjT7_P12ihipStream_tbENKUlT_T0_SI_SN_E_clISD_SD_SD_SD_EEDaS11_S12_SI_SN_EUlS11_E_NS1_11comp_targetILNS1_3genE0ELNS1_11target_archE4294967295ELNS1_3gpuE0ELNS1_3repE0EEENS1_47radix_sort_onesweep_sort_config_static_selectorELNS0_4arch9wavefront6targetE1EEEvSI_
	.globl	_ZN7rocprim17ROCPRIM_400000_NS6detail17trampoline_kernelINS0_14default_configENS1_35radix_sort_onesweep_config_selectorIiiEEZZNS1_29radix_sort_onesweep_iterationIS3_Lb1EN6thrust23THRUST_200600_302600_NS6detail15normal_iteratorINS8_10device_ptrIiEEEESD_SD_SD_jNS0_19identity_decomposerENS1_16block_id_wrapperIjLb1EEEEE10hipError_tT1_PNSt15iterator_traitsISI_E10value_typeET2_T3_PNSJ_ISO_E10value_typeET4_T5_PST_SU_PNS1_23onesweep_lookback_stateEbbT6_jjT7_P12ihipStream_tbENKUlT_T0_SI_SN_E_clISD_SD_SD_SD_EEDaS11_S12_SI_SN_EUlS11_E_NS1_11comp_targetILNS1_3genE0ELNS1_11target_archE4294967295ELNS1_3gpuE0ELNS1_3repE0EEENS1_47radix_sort_onesweep_sort_config_static_selectorELNS0_4arch9wavefront6targetE1EEEvSI_
	.p2align	8
	.type	_ZN7rocprim17ROCPRIM_400000_NS6detail17trampoline_kernelINS0_14default_configENS1_35radix_sort_onesweep_config_selectorIiiEEZZNS1_29radix_sort_onesweep_iterationIS3_Lb1EN6thrust23THRUST_200600_302600_NS6detail15normal_iteratorINS8_10device_ptrIiEEEESD_SD_SD_jNS0_19identity_decomposerENS1_16block_id_wrapperIjLb1EEEEE10hipError_tT1_PNSt15iterator_traitsISI_E10value_typeET2_T3_PNSJ_ISO_E10value_typeET4_T5_PST_SU_PNS1_23onesweep_lookback_stateEbbT6_jjT7_P12ihipStream_tbENKUlT_T0_SI_SN_E_clISD_SD_SD_SD_EEDaS11_S12_SI_SN_EUlS11_E_NS1_11comp_targetILNS1_3genE0ELNS1_11target_archE4294967295ELNS1_3gpuE0ELNS1_3repE0EEENS1_47radix_sort_onesweep_sort_config_static_selectorELNS0_4arch9wavefront6targetE1EEEvSI_,@function
_ZN7rocprim17ROCPRIM_400000_NS6detail17trampoline_kernelINS0_14default_configENS1_35radix_sort_onesweep_config_selectorIiiEEZZNS1_29radix_sort_onesweep_iterationIS3_Lb1EN6thrust23THRUST_200600_302600_NS6detail15normal_iteratorINS8_10device_ptrIiEEEESD_SD_SD_jNS0_19identity_decomposerENS1_16block_id_wrapperIjLb1EEEEE10hipError_tT1_PNSt15iterator_traitsISI_E10value_typeET2_T3_PNSJ_ISO_E10value_typeET4_T5_PST_SU_PNS1_23onesweep_lookback_stateEbbT6_jjT7_P12ihipStream_tbENKUlT_T0_SI_SN_E_clISD_SD_SD_SD_EEDaS11_S12_SI_SN_EUlS11_E_NS1_11comp_targetILNS1_3genE0ELNS1_11target_archE4294967295ELNS1_3gpuE0ELNS1_3repE0EEENS1_47radix_sort_onesweep_sort_config_static_selectorELNS0_4arch9wavefront6targetE1EEEvSI_: ; @_ZN7rocprim17ROCPRIM_400000_NS6detail17trampoline_kernelINS0_14default_configENS1_35radix_sort_onesweep_config_selectorIiiEEZZNS1_29radix_sort_onesweep_iterationIS3_Lb1EN6thrust23THRUST_200600_302600_NS6detail15normal_iteratorINS8_10device_ptrIiEEEESD_SD_SD_jNS0_19identity_decomposerENS1_16block_id_wrapperIjLb1EEEEE10hipError_tT1_PNSt15iterator_traitsISI_E10value_typeET2_T3_PNSJ_ISO_E10value_typeET4_T5_PST_SU_PNS1_23onesweep_lookback_stateEbbT6_jjT7_P12ihipStream_tbENKUlT_T0_SI_SN_E_clISD_SD_SD_SD_EEDaS11_S12_SI_SN_EUlS11_E_NS1_11comp_targetILNS1_3genE0ELNS1_11target_archE4294967295ELNS1_3gpuE0ELNS1_3repE0EEENS1_47radix_sort_onesweep_sort_config_static_selectorELNS0_4arch9wavefront6targetE1EEEvSI_
; %bb.0:
	.section	.rodata,"a",@progbits
	.p2align	6, 0x0
	.amdhsa_kernel _ZN7rocprim17ROCPRIM_400000_NS6detail17trampoline_kernelINS0_14default_configENS1_35radix_sort_onesweep_config_selectorIiiEEZZNS1_29radix_sort_onesweep_iterationIS3_Lb1EN6thrust23THRUST_200600_302600_NS6detail15normal_iteratorINS8_10device_ptrIiEEEESD_SD_SD_jNS0_19identity_decomposerENS1_16block_id_wrapperIjLb1EEEEE10hipError_tT1_PNSt15iterator_traitsISI_E10value_typeET2_T3_PNSJ_ISO_E10value_typeET4_T5_PST_SU_PNS1_23onesweep_lookback_stateEbbT6_jjT7_P12ihipStream_tbENKUlT_T0_SI_SN_E_clISD_SD_SD_SD_EEDaS11_S12_SI_SN_EUlS11_E_NS1_11comp_targetILNS1_3genE0ELNS1_11target_archE4294967295ELNS1_3gpuE0ELNS1_3repE0EEENS1_47radix_sort_onesweep_sort_config_static_selectorELNS0_4arch9wavefront6targetE1EEEvSI_
		.amdhsa_group_segment_fixed_size 0
		.amdhsa_private_segment_fixed_size 0
		.amdhsa_kernarg_size 88
		.amdhsa_user_sgpr_count 2
		.amdhsa_user_sgpr_dispatch_ptr 0
		.amdhsa_user_sgpr_queue_ptr 0
		.amdhsa_user_sgpr_kernarg_segment_ptr 1
		.amdhsa_user_sgpr_dispatch_id 0
		.amdhsa_user_sgpr_kernarg_preload_length 0
		.amdhsa_user_sgpr_kernarg_preload_offset 0
		.amdhsa_user_sgpr_private_segment_size 0
		.amdhsa_uses_dynamic_stack 0
		.amdhsa_enable_private_segment 0
		.amdhsa_system_sgpr_workgroup_id_x 1
		.amdhsa_system_sgpr_workgroup_id_y 0
		.amdhsa_system_sgpr_workgroup_id_z 0
		.amdhsa_system_sgpr_workgroup_info 0
		.amdhsa_system_vgpr_workitem_id 0
		.amdhsa_next_free_vgpr 1
		.amdhsa_next_free_sgpr 0
		.amdhsa_accum_offset 4
		.amdhsa_reserve_vcc 0
		.amdhsa_float_round_mode_32 0
		.amdhsa_float_round_mode_16_64 0
		.amdhsa_float_denorm_mode_32 3
		.amdhsa_float_denorm_mode_16_64 3
		.amdhsa_dx10_clamp 1
		.amdhsa_ieee_mode 1
		.amdhsa_fp16_overflow 0
		.amdhsa_tg_split 0
		.amdhsa_exception_fp_ieee_invalid_op 0
		.amdhsa_exception_fp_denorm_src 0
		.amdhsa_exception_fp_ieee_div_zero 0
		.amdhsa_exception_fp_ieee_overflow 0
		.amdhsa_exception_fp_ieee_underflow 0
		.amdhsa_exception_fp_ieee_inexact 0
		.amdhsa_exception_int_div_zero 0
	.end_amdhsa_kernel
	.section	.text._ZN7rocprim17ROCPRIM_400000_NS6detail17trampoline_kernelINS0_14default_configENS1_35radix_sort_onesweep_config_selectorIiiEEZZNS1_29radix_sort_onesweep_iterationIS3_Lb1EN6thrust23THRUST_200600_302600_NS6detail15normal_iteratorINS8_10device_ptrIiEEEESD_SD_SD_jNS0_19identity_decomposerENS1_16block_id_wrapperIjLb1EEEEE10hipError_tT1_PNSt15iterator_traitsISI_E10value_typeET2_T3_PNSJ_ISO_E10value_typeET4_T5_PST_SU_PNS1_23onesweep_lookback_stateEbbT6_jjT7_P12ihipStream_tbENKUlT_T0_SI_SN_E_clISD_SD_SD_SD_EEDaS11_S12_SI_SN_EUlS11_E_NS1_11comp_targetILNS1_3genE0ELNS1_11target_archE4294967295ELNS1_3gpuE0ELNS1_3repE0EEENS1_47radix_sort_onesweep_sort_config_static_selectorELNS0_4arch9wavefront6targetE1EEEvSI_,"axG",@progbits,_ZN7rocprim17ROCPRIM_400000_NS6detail17trampoline_kernelINS0_14default_configENS1_35radix_sort_onesweep_config_selectorIiiEEZZNS1_29radix_sort_onesweep_iterationIS3_Lb1EN6thrust23THRUST_200600_302600_NS6detail15normal_iteratorINS8_10device_ptrIiEEEESD_SD_SD_jNS0_19identity_decomposerENS1_16block_id_wrapperIjLb1EEEEE10hipError_tT1_PNSt15iterator_traitsISI_E10value_typeET2_T3_PNSJ_ISO_E10value_typeET4_T5_PST_SU_PNS1_23onesweep_lookback_stateEbbT6_jjT7_P12ihipStream_tbENKUlT_T0_SI_SN_E_clISD_SD_SD_SD_EEDaS11_S12_SI_SN_EUlS11_E_NS1_11comp_targetILNS1_3genE0ELNS1_11target_archE4294967295ELNS1_3gpuE0ELNS1_3repE0EEENS1_47radix_sort_onesweep_sort_config_static_selectorELNS0_4arch9wavefront6targetE1EEEvSI_,comdat
.Lfunc_end999:
	.size	_ZN7rocprim17ROCPRIM_400000_NS6detail17trampoline_kernelINS0_14default_configENS1_35radix_sort_onesweep_config_selectorIiiEEZZNS1_29radix_sort_onesweep_iterationIS3_Lb1EN6thrust23THRUST_200600_302600_NS6detail15normal_iteratorINS8_10device_ptrIiEEEESD_SD_SD_jNS0_19identity_decomposerENS1_16block_id_wrapperIjLb1EEEEE10hipError_tT1_PNSt15iterator_traitsISI_E10value_typeET2_T3_PNSJ_ISO_E10value_typeET4_T5_PST_SU_PNS1_23onesweep_lookback_stateEbbT6_jjT7_P12ihipStream_tbENKUlT_T0_SI_SN_E_clISD_SD_SD_SD_EEDaS11_S12_SI_SN_EUlS11_E_NS1_11comp_targetILNS1_3genE0ELNS1_11target_archE4294967295ELNS1_3gpuE0ELNS1_3repE0EEENS1_47radix_sort_onesweep_sort_config_static_selectorELNS0_4arch9wavefront6targetE1EEEvSI_, .Lfunc_end999-_ZN7rocprim17ROCPRIM_400000_NS6detail17trampoline_kernelINS0_14default_configENS1_35radix_sort_onesweep_config_selectorIiiEEZZNS1_29radix_sort_onesweep_iterationIS3_Lb1EN6thrust23THRUST_200600_302600_NS6detail15normal_iteratorINS8_10device_ptrIiEEEESD_SD_SD_jNS0_19identity_decomposerENS1_16block_id_wrapperIjLb1EEEEE10hipError_tT1_PNSt15iterator_traitsISI_E10value_typeET2_T3_PNSJ_ISO_E10value_typeET4_T5_PST_SU_PNS1_23onesweep_lookback_stateEbbT6_jjT7_P12ihipStream_tbENKUlT_T0_SI_SN_E_clISD_SD_SD_SD_EEDaS11_S12_SI_SN_EUlS11_E_NS1_11comp_targetILNS1_3genE0ELNS1_11target_archE4294967295ELNS1_3gpuE0ELNS1_3repE0EEENS1_47radix_sort_onesweep_sort_config_static_selectorELNS0_4arch9wavefront6targetE1EEEvSI_
                                        ; -- End function
	.set _ZN7rocprim17ROCPRIM_400000_NS6detail17trampoline_kernelINS0_14default_configENS1_35radix_sort_onesweep_config_selectorIiiEEZZNS1_29radix_sort_onesweep_iterationIS3_Lb1EN6thrust23THRUST_200600_302600_NS6detail15normal_iteratorINS8_10device_ptrIiEEEESD_SD_SD_jNS0_19identity_decomposerENS1_16block_id_wrapperIjLb1EEEEE10hipError_tT1_PNSt15iterator_traitsISI_E10value_typeET2_T3_PNSJ_ISO_E10value_typeET4_T5_PST_SU_PNS1_23onesweep_lookback_stateEbbT6_jjT7_P12ihipStream_tbENKUlT_T0_SI_SN_E_clISD_SD_SD_SD_EEDaS11_S12_SI_SN_EUlS11_E_NS1_11comp_targetILNS1_3genE0ELNS1_11target_archE4294967295ELNS1_3gpuE0ELNS1_3repE0EEENS1_47radix_sort_onesweep_sort_config_static_selectorELNS0_4arch9wavefront6targetE1EEEvSI_.num_vgpr, 0
	.set _ZN7rocprim17ROCPRIM_400000_NS6detail17trampoline_kernelINS0_14default_configENS1_35radix_sort_onesweep_config_selectorIiiEEZZNS1_29radix_sort_onesweep_iterationIS3_Lb1EN6thrust23THRUST_200600_302600_NS6detail15normal_iteratorINS8_10device_ptrIiEEEESD_SD_SD_jNS0_19identity_decomposerENS1_16block_id_wrapperIjLb1EEEEE10hipError_tT1_PNSt15iterator_traitsISI_E10value_typeET2_T3_PNSJ_ISO_E10value_typeET4_T5_PST_SU_PNS1_23onesweep_lookback_stateEbbT6_jjT7_P12ihipStream_tbENKUlT_T0_SI_SN_E_clISD_SD_SD_SD_EEDaS11_S12_SI_SN_EUlS11_E_NS1_11comp_targetILNS1_3genE0ELNS1_11target_archE4294967295ELNS1_3gpuE0ELNS1_3repE0EEENS1_47radix_sort_onesweep_sort_config_static_selectorELNS0_4arch9wavefront6targetE1EEEvSI_.num_agpr, 0
	.set _ZN7rocprim17ROCPRIM_400000_NS6detail17trampoline_kernelINS0_14default_configENS1_35radix_sort_onesweep_config_selectorIiiEEZZNS1_29radix_sort_onesweep_iterationIS3_Lb1EN6thrust23THRUST_200600_302600_NS6detail15normal_iteratorINS8_10device_ptrIiEEEESD_SD_SD_jNS0_19identity_decomposerENS1_16block_id_wrapperIjLb1EEEEE10hipError_tT1_PNSt15iterator_traitsISI_E10value_typeET2_T3_PNSJ_ISO_E10value_typeET4_T5_PST_SU_PNS1_23onesweep_lookback_stateEbbT6_jjT7_P12ihipStream_tbENKUlT_T0_SI_SN_E_clISD_SD_SD_SD_EEDaS11_S12_SI_SN_EUlS11_E_NS1_11comp_targetILNS1_3genE0ELNS1_11target_archE4294967295ELNS1_3gpuE0ELNS1_3repE0EEENS1_47radix_sort_onesweep_sort_config_static_selectorELNS0_4arch9wavefront6targetE1EEEvSI_.numbered_sgpr, 0
	.set _ZN7rocprim17ROCPRIM_400000_NS6detail17trampoline_kernelINS0_14default_configENS1_35radix_sort_onesweep_config_selectorIiiEEZZNS1_29radix_sort_onesweep_iterationIS3_Lb1EN6thrust23THRUST_200600_302600_NS6detail15normal_iteratorINS8_10device_ptrIiEEEESD_SD_SD_jNS0_19identity_decomposerENS1_16block_id_wrapperIjLb1EEEEE10hipError_tT1_PNSt15iterator_traitsISI_E10value_typeET2_T3_PNSJ_ISO_E10value_typeET4_T5_PST_SU_PNS1_23onesweep_lookback_stateEbbT6_jjT7_P12ihipStream_tbENKUlT_T0_SI_SN_E_clISD_SD_SD_SD_EEDaS11_S12_SI_SN_EUlS11_E_NS1_11comp_targetILNS1_3genE0ELNS1_11target_archE4294967295ELNS1_3gpuE0ELNS1_3repE0EEENS1_47radix_sort_onesweep_sort_config_static_selectorELNS0_4arch9wavefront6targetE1EEEvSI_.num_named_barrier, 0
	.set _ZN7rocprim17ROCPRIM_400000_NS6detail17trampoline_kernelINS0_14default_configENS1_35radix_sort_onesweep_config_selectorIiiEEZZNS1_29radix_sort_onesweep_iterationIS3_Lb1EN6thrust23THRUST_200600_302600_NS6detail15normal_iteratorINS8_10device_ptrIiEEEESD_SD_SD_jNS0_19identity_decomposerENS1_16block_id_wrapperIjLb1EEEEE10hipError_tT1_PNSt15iterator_traitsISI_E10value_typeET2_T3_PNSJ_ISO_E10value_typeET4_T5_PST_SU_PNS1_23onesweep_lookback_stateEbbT6_jjT7_P12ihipStream_tbENKUlT_T0_SI_SN_E_clISD_SD_SD_SD_EEDaS11_S12_SI_SN_EUlS11_E_NS1_11comp_targetILNS1_3genE0ELNS1_11target_archE4294967295ELNS1_3gpuE0ELNS1_3repE0EEENS1_47radix_sort_onesweep_sort_config_static_selectorELNS0_4arch9wavefront6targetE1EEEvSI_.private_seg_size, 0
	.set _ZN7rocprim17ROCPRIM_400000_NS6detail17trampoline_kernelINS0_14default_configENS1_35radix_sort_onesweep_config_selectorIiiEEZZNS1_29radix_sort_onesweep_iterationIS3_Lb1EN6thrust23THRUST_200600_302600_NS6detail15normal_iteratorINS8_10device_ptrIiEEEESD_SD_SD_jNS0_19identity_decomposerENS1_16block_id_wrapperIjLb1EEEEE10hipError_tT1_PNSt15iterator_traitsISI_E10value_typeET2_T3_PNSJ_ISO_E10value_typeET4_T5_PST_SU_PNS1_23onesweep_lookback_stateEbbT6_jjT7_P12ihipStream_tbENKUlT_T0_SI_SN_E_clISD_SD_SD_SD_EEDaS11_S12_SI_SN_EUlS11_E_NS1_11comp_targetILNS1_3genE0ELNS1_11target_archE4294967295ELNS1_3gpuE0ELNS1_3repE0EEENS1_47radix_sort_onesweep_sort_config_static_selectorELNS0_4arch9wavefront6targetE1EEEvSI_.uses_vcc, 0
	.set _ZN7rocprim17ROCPRIM_400000_NS6detail17trampoline_kernelINS0_14default_configENS1_35radix_sort_onesweep_config_selectorIiiEEZZNS1_29radix_sort_onesweep_iterationIS3_Lb1EN6thrust23THRUST_200600_302600_NS6detail15normal_iteratorINS8_10device_ptrIiEEEESD_SD_SD_jNS0_19identity_decomposerENS1_16block_id_wrapperIjLb1EEEEE10hipError_tT1_PNSt15iterator_traitsISI_E10value_typeET2_T3_PNSJ_ISO_E10value_typeET4_T5_PST_SU_PNS1_23onesweep_lookback_stateEbbT6_jjT7_P12ihipStream_tbENKUlT_T0_SI_SN_E_clISD_SD_SD_SD_EEDaS11_S12_SI_SN_EUlS11_E_NS1_11comp_targetILNS1_3genE0ELNS1_11target_archE4294967295ELNS1_3gpuE0ELNS1_3repE0EEENS1_47radix_sort_onesweep_sort_config_static_selectorELNS0_4arch9wavefront6targetE1EEEvSI_.uses_flat_scratch, 0
	.set _ZN7rocprim17ROCPRIM_400000_NS6detail17trampoline_kernelINS0_14default_configENS1_35radix_sort_onesweep_config_selectorIiiEEZZNS1_29radix_sort_onesweep_iterationIS3_Lb1EN6thrust23THRUST_200600_302600_NS6detail15normal_iteratorINS8_10device_ptrIiEEEESD_SD_SD_jNS0_19identity_decomposerENS1_16block_id_wrapperIjLb1EEEEE10hipError_tT1_PNSt15iterator_traitsISI_E10value_typeET2_T3_PNSJ_ISO_E10value_typeET4_T5_PST_SU_PNS1_23onesweep_lookback_stateEbbT6_jjT7_P12ihipStream_tbENKUlT_T0_SI_SN_E_clISD_SD_SD_SD_EEDaS11_S12_SI_SN_EUlS11_E_NS1_11comp_targetILNS1_3genE0ELNS1_11target_archE4294967295ELNS1_3gpuE0ELNS1_3repE0EEENS1_47radix_sort_onesweep_sort_config_static_selectorELNS0_4arch9wavefront6targetE1EEEvSI_.has_dyn_sized_stack, 0
	.set _ZN7rocprim17ROCPRIM_400000_NS6detail17trampoline_kernelINS0_14default_configENS1_35radix_sort_onesweep_config_selectorIiiEEZZNS1_29radix_sort_onesweep_iterationIS3_Lb1EN6thrust23THRUST_200600_302600_NS6detail15normal_iteratorINS8_10device_ptrIiEEEESD_SD_SD_jNS0_19identity_decomposerENS1_16block_id_wrapperIjLb1EEEEE10hipError_tT1_PNSt15iterator_traitsISI_E10value_typeET2_T3_PNSJ_ISO_E10value_typeET4_T5_PST_SU_PNS1_23onesweep_lookback_stateEbbT6_jjT7_P12ihipStream_tbENKUlT_T0_SI_SN_E_clISD_SD_SD_SD_EEDaS11_S12_SI_SN_EUlS11_E_NS1_11comp_targetILNS1_3genE0ELNS1_11target_archE4294967295ELNS1_3gpuE0ELNS1_3repE0EEENS1_47radix_sort_onesweep_sort_config_static_selectorELNS0_4arch9wavefront6targetE1EEEvSI_.has_recursion, 0
	.set _ZN7rocprim17ROCPRIM_400000_NS6detail17trampoline_kernelINS0_14default_configENS1_35radix_sort_onesweep_config_selectorIiiEEZZNS1_29radix_sort_onesweep_iterationIS3_Lb1EN6thrust23THRUST_200600_302600_NS6detail15normal_iteratorINS8_10device_ptrIiEEEESD_SD_SD_jNS0_19identity_decomposerENS1_16block_id_wrapperIjLb1EEEEE10hipError_tT1_PNSt15iterator_traitsISI_E10value_typeET2_T3_PNSJ_ISO_E10value_typeET4_T5_PST_SU_PNS1_23onesweep_lookback_stateEbbT6_jjT7_P12ihipStream_tbENKUlT_T0_SI_SN_E_clISD_SD_SD_SD_EEDaS11_S12_SI_SN_EUlS11_E_NS1_11comp_targetILNS1_3genE0ELNS1_11target_archE4294967295ELNS1_3gpuE0ELNS1_3repE0EEENS1_47radix_sort_onesweep_sort_config_static_selectorELNS0_4arch9wavefront6targetE1EEEvSI_.has_indirect_call, 0
	.section	.AMDGPU.csdata,"",@progbits
; Kernel info:
; codeLenInByte = 0
; TotalNumSgprs: 6
; NumVgprs: 0
; NumAgprs: 0
; TotalNumVgprs: 0
; ScratchSize: 0
; MemoryBound: 0
; FloatMode: 240
; IeeeMode: 1
; LDSByteSize: 0 bytes/workgroup (compile time only)
; SGPRBlocks: 0
; VGPRBlocks: 0
; NumSGPRsForWavesPerEU: 6
; NumVGPRsForWavesPerEU: 1
; AccumOffset: 4
; Occupancy: 8
; WaveLimiterHint : 0
; COMPUTE_PGM_RSRC2:SCRATCH_EN: 0
; COMPUTE_PGM_RSRC2:USER_SGPR: 2
; COMPUTE_PGM_RSRC2:TRAP_HANDLER: 0
; COMPUTE_PGM_RSRC2:TGID_X_EN: 1
; COMPUTE_PGM_RSRC2:TGID_Y_EN: 0
; COMPUTE_PGM_RSRC2:TGID_Z_EN: 0
; COMPUTE_PGM_RSRC2:TIDIG_COMP_CNT: 0
; COMPUTE_PGM_RSRC3_GFX90A:ACCUM_OFFSET: 0
; COMPUTE_PGM_RSRC3_GFX90A:TG_SPLIT: 0
	.section	.text._ZN7rocprim17ROCPRIM_400000_NS6detail17trampoline_kernelINS0_14default_configENS1_35radix_sort_onesweep_config_selectorIiiEEZZNS1_29radix_sort_onesweep_iterationIS3_Lb1EN6thrust23THRUST_200600_302600_NS6detail15normal_iteratorINS8_10device_ptrIiEEEESD_SD_SD_jNS0_19identity_decomposerENS1_16block_id_wrapperIjLb1EEEEE10hipError_tT1_PNSt15iterator_traitsISI_E10value_typeET2_T3_PNSJ_ISO_E10value_typeET4_T5_PST_SU_PNS1_23onesweep_lookback_stateEbbT6_jjT7_P12ihipStream_tbENKUlT_T0_SI_SN_E_clISD_SD_SD_SD_EEDaS11_S12_SI_SN_EUlS11_E_NS1_11comp_targetILNS1_3genE6ELNS1_11target_archE950ELNS1_3gpuE13ELNS1_3repE0EEENS1_47radix_sort_onesweep_sort_config_static_selectorELNS0_4arch9wavefront6targetE1EEEvSI_,"axG",@progbits,_ZN7rocprim17ROCPRIM_400000_NS6detail17trampoline_kernelINS0_14default_configENS1_35radix_sort_onesweep_config_selectorIiiEEZZNS1_29radix_sort_onesweep_iterationIS3_Lb1EN6thrust23THRUST_200600_302600_NS6detail15normal_iteratorINS8_10device_ptrIiEEEESD_SD_SD_jNS0_19identity_decomposerENS1_16block_id_wrapperIjLb1EEEEE10hipError_tT1_PNSt15iterator_traitsISI_E10value_typeET2_T3_PNSJ_ISO_E10value_typeET4_T5_PST_SU_PNS1_23onesweep_lookback_stateEbbT6_jjT7_P12ihipStream_tbENKUlT_T0_SI_SN_E_clISD_SD_SD_SD_EEDaS11_S12_SI_SN_EUlS11_E_NS1_11comp_targetILNS1_3genE6ELNS1_11target_archE950ELNS1_3gpuE13ELNS1_3repE0EEENS1_47radix_sort_onesweep_sort_config_static_selectorELNS0_4arch9wavefront6targetE1EEEvSI_,comdat
	.protected	_ZN7rocprim17ROCPRIM_400000_NS6detail17trampoline_kernelINS0_14default_configENS1_35radix_sort_onesweep_config_selectorIiiEEZZNS1_29radix_sort_onesweep_iterationIS3_Lb1EN6thrust23THRUST_200600_302600_NS6detail15normal_iteratorINS8_10device_ptrIiEEEESD_SD_SD_jNS0_19identity_decomposerENS1_16block_id_wrapperIjLb1EEEEE10hipError_tT1_PNSt15iterator_traitsISI_E10value_typeET2_T3_PNSJ_ISO_E10value_typeET4_T5_PST_SU_PNS1_23onesweep_lookback_stateEbbT6_jjT7_P12ihipStream_tbENKUlT_T0_SI_SN_E_clISD_SD_SD_SD_EEDaS11_S12_SI_SN_EUlS11_E_NS1_11comp_targetILNS1_3genE6ELNS1_11target_archE950ELNS1_3gpuE13ELNS1_3repE0EEENS1_47radix_sort_onesweep_sort_config_static_selectorELNS0_4arch9wavefront6targetE1EEEvSI_ ; -- Begin function _ZN7rocprim17ROCPRIM_400000_NS6detail17trampoline_kernelINS0_14default_configENS1_35radix_sort_onesweep_config_selectorIiiEEZZNS1_29radix_sort_onesweep_iterationIS3_Lb1EN6thrust23THRUST_200600_302600_NS6detail15normal_iteratorINS8_10device_ptrIiEEEESD_SD_SD_jNS0_19identity_decomposerENS1_16block_id_wrapperIjLb1EEEEE10hipError_tT1_PNSt15iterator_traitsISI_E10value_typeET2_T3_PNSJ_ISO_E10value_typeET4_T5_PST_SU_PNS1_23onesweep_lookback_stateEbbT6_jjT7_P12ihipStream_tbENKUlT_T0_SI_SN_E_clISD_SD_SD_SD_EEDaS11_S12_SI_SN_EUlS11_E_NS1_11comp_targetILNS1_3genE6ELNS1_11target_archE950ELNS1_3gpuE13ELNS1_3repE0EEENS1_47radix_sort_onesweep_sort_config_static_selectorELNS0_4arch9wavefront6targetE1EEEvSI_
	.globl	_ZN7rocprim17ROCPRIM_400000_NS6detail17trampoline_kernelINS0_14default_configENS1_35radix_sort_onesweep_config_selectorIiiEEZZNS1_29radix_sort_onesweep_iterationIS3_Lb1EN6thrust23THRUST_200600_302600_NS6detail15normal_iteratorINS8_10device_ptrIiEEEESD_SD_SD_jNS0_19identity_decomposerENS1_16block_id_wrapperIjLb1EEEEE10hipError_tT1_PNSt15iterator_traitsISI_E10value_typeET2_T3_PNSJ_ISO_E10value_typeET4_T5_PST_SU_PNS1_23onesweep_lookback_stateEbbT6_jjT7_P12ihipStream_tbENKUlT_T0_SI_SN_E_clISD_SD_SD_SD_EEDaS11_S12_SI_SN_EUlS11_E_NS1_11comp_targetILNS1_3genE6ELNS1_11target_archE950ELNS1_3gpuE13ELNS1_3repE0EEENS1_47radix_sort_onesweep_sort_config_static_selectorELNS0_4arch9wavefront6targetE1EEEvSI_
	.p2align	8
	.type	_ZN7rocprim17ROCPRIM_400000_NS6detail17trampoline_kernelINS0_14default_configENS1_35radix_sort_onesweep_config_selectorIiiEEZZNS1_29radix_sort_onesweep_iterationIS3_Lb1EN6thrust23THRUST_200600_302600_NS6detail15normal_iteratorINS8_10device_ptrIiEEEESD_SD_SD_jNS0_19identity_decomposerENS1_16block_id_wrapperIjLb1EEEEE10hipError_tT1_PNSt15iterator_traitsISI_E10value_typeET2_T3_PNSJ_ISO_E10value_typeET4_T5_PST_SU_PNS1_23onesweep_lookback_stateEbbT6_jjT7_P12ihipStream_tbENKUlT_T0_SI_SN_E_clISD_SD_SD_SD_EEDaS11_S12_SI_SN_EUlS11_E_NS1_11comp_targetILNS1_3genE6ELNS1_11target_archE950ELNS1_3gpuE13ELNS1_3repE0EEENS1_47radix_sort_onesweep_sort_config_static_selectorELNS0_4arch9wavefront6targetE1EEEvSI_,@function
_ZN7rocprim17ROCPRIM_400000_NS6detail17trampoline_kernelINS0_14default_configENS1_35radix_sort_onesweep_config_selectorIiiEEZZNS1_29radix_sort_onesweep_iterationIS3_Lb1EN6thrust23THRUST_200600_302600_NS6detail15normal_iteratorINS8_10device_ptrIiEEEESD_SD_SD_jNS0_19identity_decomposerENS1_16block_id_wrapperIjLb1EEEEE10hipError_tT1_PNSt15iterator_traitsISI_E10value_typeET2_T3_PNSJ_ISO_E10value_typeET4_T5_PST_SU_PNS1_23onesweep_lookback_stateEbbT6_jjT7_P12ihipStream_tbENKUlT_T0_SI_SN_E_clISD_SD_SD_SD_EEDaS11_S12_SI_SN_EUlS11_E_NS1_11comp_targetILNS1_3genE6ELNS1_11target_archE950ELNS1_3gpuE13ELNS1_3repE0EEENS1_47radix_sort_onesweep_sort_config_static_selectorELNS0_4arch9wavefront6targetE1EEEvSI_: ; @_ZN7rocprim17ROCPRIM_400000_NS6detail17trampoline_kernelINS0_14default_configENS1_35radix_sort_onesweep_config_selectorIiiEEZZNS1_29radix_sort_onesweep_iterationIS3_Lb1EN6thrust23THRUST_200600_302600_NS6detail15normal_iteratorINS8_10device_ptrIiEEEESD_SD_SD_jNS0_19identity_decomposerENS1_16block_id_wrapperIjLb1EEEEE10hipError_tT1_PNSt15iterator_traitsISI_E10value_typeET2_T3_PNSJ_ISO_E10value_typeET4_T5_PST_SU_PNS1_23onesweep_lookback_stateEbbT6_jjT7_P12ihipStream_tbENKUlT_T0_SI_SN_E_clISD_SD_SD_SD_EEDaS11_S12_SI_SN_EUlS11_E_NS1_11comp_targetILNS1_3genE6ELNS1_11target_archE950ELNS1_3gpuE13ELNS1_3repE0EEENS1_47radix_sort_onesweep_sort_config_static_selectorELNS0_4arch9wavefront6targetE1EEEvSI_
; %bb.0:
	s_load_dwordx4 s[60:63], s[0:1], 0x28
	s_load_dwordx2 s[68:69], s[0:1], 0x38
	s_load_dwordx4 s[64:67], s[0:1], 0x44
	v_and_b32_e32 v2, 0x3ff, v0
	v_cmp_eq_u32_e64 s[44:45], 0, v2
	s_and_saveexec_b64 s[4:5], s[44:45]
	s_cbranch_execz .LBB1000_4
; %bb.1:
	s_mov_b64 s[8:9], exec
	v_mbcnt_lo_u32_b32 v1, s8, 0
	v_mbcnt_hi_u32_b32 v1, s9, v1
	v_cmp_eq_u32_e32 vcc, 0, v1
                                        ; implicit-def: $vgpr3
	s_and_saveexec_b64 s[6:7], vcc
	s_cbranch_execz .LBB1000_3
; %bb.2:
	s_load_dwordx2 s[10:11], s[0:1], 0x50
	s_bcnt1_i32_b64 s3, s[8:9]
	v_mov_b32_e32 v3, 0
	v_mov_b32_e32 v4, s3
	s_waitcnt lgkmcnt(0)
	global_atomic_add v3, v3, v4, s[10:11] sc0
.LBB1000_3:
	s_or_b64 exec, exec, s[6:7]
	s_waitcnt vmcnt(0)
	v_readfirstlane_b32 s3, v3
	v_mov_b32_e32 v3, 0
	s_nop 0
	v_add_u32_e32 v1, s3, v1
	ds_write_b32 v3, v1 offset:20544
.LBB1000_4:
	s_or_b64 exec, exec, s[4:5]
	v_mov_b32_e32 v5, 0
	s_load_dwordx8 s[52:59], s[0:1], 0x0
	s_load_dword s3, s[0:1], 0x20
	s_waitcnt lgkmcnt(0)
	s_barrier
	ds_read_b32 v1, v5 offset:20544
	s_mov_b64 s[4:5], -1
	v_mbcnt_lo_u32_b32 v3, -1, 0
	s_waitcnt lgkmcnt(0)
	s_barrier
	v_cmp_le_u32_e32 vcc, s66, v1
	v_readfirstlane_b32 s33, v1
	v_lshlrev_b32_e32 v1, 4, v2
	s_cbranch_vccz .LBB1000_208
; %bb.5:
	s_lshl_b32 s4, s66, 14
	s_sub_i32 s3, s3, s4
	s_lshl_b32 s4, s33, 14
	s_mov_b32 s5, 0
	s_lshl_b64 s[66:67], s[4:5], 2
	v_mbcnt_hi_u32_b32 v12, -1, v3
	s_add_u32 s4, s52, s66
	v_and_b32_e32 v10, 63, v12
	s_addc_u32 s5, s53, s67
	v_and_b32_e32 v11, 0x3c00, v1
	v_lshlrev_b32_e32 v4, 2, v10
	v_lshl_add_u64 v[8:9], s[4:5], 0, v[4:5]
	v_lshlrev_b32_e32 v6, 2, v11
	v_mov_b32_e32 v7, v5
	v_or_b32_e32 v10, v10, v11
	v_mov_b32_e32 v14, -1
	v_lshl_add_u64 v[8:9], v[8:9], 0, v[6:7]
	v_cmp_gt_u32_e32 vcc, s3, v10
	v_mov_b32_e32 v5, -1
	s_and_saveexec_b64 s[4:5], vcc
	s_cbranch_execz .LBB1000_7
; %bb.6:
	global_load_dword v5, v[8:9], off
	s_waitcnt vmcnt(0)
	v_xor_b32_e32 v5, 0x7fffffff, v5
.LBB1000_7:
	s_or_b64 exec, exec, s[4:5]
	v_or_b32_e32 v7, 64, v10
	v_cmp_gt_u32_e64 s[4:5], s3, v7
	s_and_saveexec_b64 s[6:7], s[4:5]
	s_cbranch_execz .LBB1000_9
; %bb.8:
	global_load_dword v7, v[8:9], off offset:256
	s_waitcnt vmcnt(0)
	v_xor_b32_e32 v14, 0x7fffffff, v7
.LBB1000_9:
	s_or_b64 exec, exec, s[6:7]
	v_or_b32_e32 v7, 0x80, v10
	v_cmp_gt_u32_e64 s[6:7], s3, v7
	v_mov_b32_e32 v7, -1
	v_mov_b32_e32 v15, -1
	s_and_saveexec_b64 s[8:9], s[6:7]
	s_cbranch_execz .LBB1000_11
; %bb.10:
	global_load_dword v11, v[8:9], off offset:512
	s_waitcnt vmcnt(0)
	v_xor_b32_e32 v15, 0x7fffffff, v11
.LBB1000_11:
	s_or_b64 exec, exec, s[8:9]
	v_or_b32_e32 v11, 0xc0, v10
	v_cmp_gt_u32_e64 s[8:9], s3, v11
	s_and_saveexec_b64 s[10:11], s[8:9]
	s_cbranch_execz .LBB1000_13
; %bb.12:
	global_load_dword v7, v[8:9], off offset:768
	s_waitcnt vmcnt(0)
	v_xor_b32_e32 v7, 0x7fffffff, v7
.LBB1000_13:
	s_or_b64 exec, exec, s[10:11]
	v_or_b32_e32 v11, 0x100, v10
	v_cmp_gt_u32_e64 s[10:11], s3, v11
	v_mov_b32_e32 v16, -1
	v_mov_b32_e32 v17, -1
	s_and_saveexec_b64 s[12:13], s[10:11]
	s_cbranch_execz .LBB1000_15
; %bb.14:
	global_load_dword v11, v[8:9], off offset:1024
	s_waitcnt vmcnt(0)
	v_xor_b32_e32 v17, 0x7fffffff, v11
.LBB1000_15:
	;; [unrolled: 22-line block ×7, first 2 shown]
	s_or_b64 exec, exec, s[34:35]
	v_or_b32_e32 v10, 0x3c0, v10
	v_cmp_gt_u32_e64 s[34:35], s3, v10
	s_and_saveexec_b64 s[36:37], s[34:35]
	s_cbranch_execz .LBB1000_37
; %bb.36:
	global_load_dword v8, v[8:9], off offset:3840
	s_waitcnt vmcnt(0)
	v_xor_b32_e32 v26, 0x7fffffff, v8
.LBB1000_37:
	s_or_b64 exec, exec, s[36:37]
	s_load_dword s36, s[0:1], 0x64
	s_load_dword s70, s[0:1], 0x58
	s_add_u32 s37, s0, 0x58
	s_addc_u32 s38, s1, 0
	v_mov_b32_e32 v9, 0
	s_waitcnt lgkmcnt(0)
	s_lshr_b32 s39, s36, 16
	s_cmp_lt_u32 s2, s70
	s_cselect_b32 s36, 12, 18
	s_add_u32 s36, s37, s36
	s_addc_u32 s37, s38, 0
	global_load_ushort v40, v9, s[36:37]
	v_lshrrev_b32_e32 v29, s64, v5
	s_lshl_b32 s36, -1, s65
	v_bfe_u32 v8, v0, 10, 10
	v_bfe_u32 v11, v0, 20, 10
	v_bitop3_b32 v38, v29, s36, v29 bitop3:0x30
	s_movk_i32 s72, 0x44
	v_mad_u32_u24 v42, v11, s39, v8
	v_and_b32_e32 v8, 1, v38
	v_lshlrev_b32_e32 v11, 30, v38
	v_mov_b32_e32 v10, v9
	v_mov_b32_e32 v30, v9
	s_not_b32 s71, s36
	v_mul_lo_u32 v43, v38, s72
	v_lshlrev_b32_e32 v29, 29, v38
	v_lshlrev_b32_e32 v31, 28, v38
	;; [unrolled: 1-line block ×6, first 2 shown]
	v_lshl_add_u64 v[38:39], v[8:9], 0, -1
	v_cmp_ne_u32_e64 s[36:37], 0, v8
	v_not_b32_e32 v8, v11
	v_mov_b32_e32 v28, v9
	v_mov_b32_e32 v32, v9
	v_cmp_gt_i64_e64 s[38:39], 0, v[10:11]
	v_not_b32_e32 v10, v29
	v_cmp_gt_i64_e64 s[42:43], 0, v[30:31]
	v_not_b32_e32 v11, v31
	v_xor_b32_e32 v31, s37, v39
	v_ashrrev_i32_e32 v8, 31, v8
	v_mov_b32_e32 v34, v9
	v_cmp_gt_i64_e64 s[40:41], 0, v[28:29]
	v_cmp_gt_i64_e64 s[46:47], 0, v[32:33]
	v_not_b32_e32 v28, v33
	v_xor_b32_e32 v32, s36, v38
	v_ashrrev_i32_e32 v10, 31, v10
	v_and_b32_e32 v31, exec_hi, v31
	v_xor_b32_e32 v33, s39, v8
	v_cmp_gt_i64_e64 s[48:49], 0, v[34:35]
	v_ashrrev_i32_e32 v11, 31, v11
	v_and_b32_e32 v32, exec_lo, v32
	v_xor_b32_e32 v8, s38, v8
	v_xor_b32_e32 v34, s41, v10
	v_and_b32_e32 v31, v31, v33
	v_mov_b32_e32 v36, v9
	v_not_b32_e32 v29, v35
	v_ashrrev_i32_e32 v28, 31, v28
	v_xor_b32_e32 v10, s40, v10
	v_xor_b32_e32 v35, s43, v11
	v_and_b32_e32 v8, v32, v8
	v_and_b32_e32 v31, v31, v34
	v_cmp_gt_i64_e64 s[50:51], 0, v[36:37]
	v_not_b32_e32 v30, v37
	v_ashrrev_i32_e32 v29, 31, v29
	v_xor_b32_e32 v36, s47, v28
	v_and_b32_e32 v8, v8, v10
	v_and_b32_e32 v10, v31, v35
	v_ashrrev_i32_e32 v30, 31, v30
	v_xor_b32_e32 v11, s42, v11
	v_xor_b32_e32 v37, s49, v29
	v_and_b32_e32 v10, v10, v36
	v_xor_b32_e32 v28, s46, v28
	v_xor_b32_e32 v38, s51, v30
	v_and_b32_e32 v8, v8, v11
	v_and_b32_e32 v10, v10, v37
	;; [unrolled: 1-line block ×4, first 2 shown]
	v_xor_b32_e32 v29, s48, v29
	v_xor_b32_e32 v30, s50, v30
	v_and_b32_e32 v8, v8, v29
	v_and_b32_e32 v8, v8, v30
	v_mul_u32_u24_e32 v13, 20, v2
	ds_write2_b32 v13, v9, v9 offset0:16 offset1:17
	ds_write2_b32 v13, v9, v9 offset0:18 offset1:19
	ds_write_b32 v13, v9 offset:80
	s_waitcnt lgkmcnt(0)
	s_barrier
	s_waitcnt vmcnt(0)
	; wave barrier
	v_mad_u64_u32 v[10:11], s[36:37], v42, v40, v[2:3]
	v_lshrrev_b32_e32 v39, 6, v10
	v_mov_b32_e32 v40, v9
	v_not_b32_e32 v10, v41
	v_cmp_gt_i64_e64 s[36:37], 0, v[40:41]
	v_ashrrev_i32_e32 v10, 31, v10
	v_lshl_add_u32 v32, v39, 2, v43
	v_xor_b32_e32 v11, s37, v10
	v_xor_b32_e32 v10, s36, v10
	v_and_b32_e32 v10, v8, v10
	v_and_b32_e32 v11, v28, v11
	v_mbcnt_lo_u32_b32 v8, v10, 0
	v_mbcnt_hi_u32_b32 v29, v11, v8
	v_cmp_eq_u32_e64 s[36:37], 0, v29
	v_cmp_ne_u64_e64 s[38:39], 0, v[10:11]
	s_and_b64 s[38:39], s[38:39], s[36:37]
	s_and_saveexec_b64 s[36:37], s[38:39]
; %bb.38:
	v_bcnt_u32_b32 v8, v10, 0
	v_bcnt_u32_b32 v8, v11, v8
	ds_write_b32 v32, v8 offset:64
; %bb.39:
	s_or_b64 exec, exec, s[36:37]
	v_lshrrev_b32_e32 v8, s64, v14
	v_and_b32_e32 v30, s71, v8
	v_mul_lo_u32 v8, v30, s72
	v_lshl_add_u32 v34, v39, 2, v8
	v_and_b32_e32 v8, 1, v30
	v_lshl_add_u64 v[10:11], v[8:9], 0, -1
	v_cmp_ne_u32_e64 s[36:37], 0, v8
	; wave barrier
	s_nop 1
	v_xor_b32_e32 v10, s36, v10
	v_xor_b32_e32 v8, s37, v11
	v_and_b32_e32 v31, exec_lo, v10
	v_lshlrev_b32_e32 v11, 30, v30
	v_mov_b32_e32 v10, v9
	v_cmp_gt_i64_e64 s[36:37], 0, v[10:11]
	v_not_b32_e32 v10, v11
	v_ashrrev_i32_e32 v10, 31, v10
	v_and_b32_e32 v8, exec_hi, v8
	v_xor_b32_e32 v11, s37, v10
	v_xor_b32_e32 v10, s36, v10
	v_and_b32_e32 v8, v8, v11
	v_and_b32_e32 v31, v31, v10
	v_lshlrev_b32_e32 v11, 29, v30
	v_mov_b32_e32 v10, v9
	v_cmp_gt_i64_e64 s[36:37], 0, v[10:11]
	v_not_b32_e32 v10, v11
	v_ashrrev_i32_e32 v10, 31, v10
	v_xor_b32_e32 v11, s37, v10
	v_xor_b32_e32 v10, s36, v10
	v_and_b32_e32 v8, v8, v11
	v_and_b32_e32 v31, v31, v10
	v_lshlrev_b32_e32 v11, 28, v30
	v_mov_b32_e32 v10, v9
	v_cmp_gt_i64_e64 s[36:37], 0, v[10:11]
	v_not_b32_e32 v10, v11
	v_ashrrev_i32_e32 v10, 31, v10
	;; [unrolled: 9-line block ×5, first 2 shown]
	v_xor_b32_e32 v11, s37, v10
	v_xor_b32_e32 v10, s36, v10
	v_and_b32_e32 v8, v8, v11
	v_lshlrev_b32_e32 v11, 24, v30
	v_and_b32_e32 v31, v31, v10
	v_mov_b32_e32 v10, v9
	v_not_b32_e32 v9, v11
	v_cmp_gt_i64_e64 s[36:37], 0, v[10:11]
	v_ashrrev_i32_e32 v9, 31, v9
	ds_read_b32 v28, v34 offset:64
	v_xor_b32_e32 v10, s37, v9
	v_xor_b32_e32 v11, s36, v9
	v_and_b32_e32 v9, v8, v10
	v_and_b32_e32 v8, v31, v11
	v_mbcnt_lo_u32_b32 v10, v8, 0
	v_mbcnt_hi_u32_b32 v30, v9, v10
	v_cmp_eq_u32_e64 s[36:37], 0, v30
	v_cmp_ne_u64_e64 s[38:39], 0, v[8:9]
	s_and_b64 s[38:39], s[38:39], s[36:37]
	; wave barrier
	s_and_saveexec_b64 s[36:37], s[38:39]
	s_cbranch_execz .LBB1000_41
; %bb.40:
	v_bcnt_u32_b32 v8, v8, 0
	v_bcnt_u32_b32 v8, v9, v8
	s_waitcnt lgkmcnt(0)
	v_add_u32_e32 v8, v28, v8
	ds_write_b32 v34, v8 offset:64
.LBB1000_41:
	s_or_b64 exec, exec, s[36:37]
	v_lshrrev_b32_e32 v8, s64, v15
	v_and_b32_e32 v33, s71, v8
	s_movk_i32 s40, 0x44
	v_mul_lo_u32 v8, v33, s40
	v_lshl_add_u32 v37, v39, 2, v8
	v_and_b32_e32 v8, 1, v33
	v_mov_b32_e32 v9, 0
	v_lshl_add_u64 v[10:11], v[8:9], 0, -1
	v_cmp_ne_u32_e64 s[36:37], 0, v8
	; wave barrier
	s_nop 1
	v_xor_b32_e32 v10, s36, v10
	v_xor_b32_e32 v8, s37, v11
	v_and_b32_e32 v35, exec_lo, v10
	v_lshlrev_b32_e32 v11, 30, v33
	v_mov_b32_e32 v10, v9
	v_cmp_gt_i64_e64 s[36:37], 0, v[10:11]
	v_not_b32_e32 v10, v11
	v_ashrrev_i32_e32 v10, 31, v10
	v_and_b32_e32 v8, exec_hi, v8
	v_xor_b32_e32 v11, s37, v10
	v_xor_b32_e32 v10, s36, v10
	v_and_b32_e32 v8, v8, v11
	v_and_b32_e32 v35, v35, v10
	v_lshlrev_b32_e32 v11, 29, v33
	v_mov_b32_e32 v10, v9
	v_cmp_gt_i64_e64 s[36:37], 0, v[10:11]
	v_not_b32_e32 v10, v11
	v_ashrrev_i32_e32 v10, 31, v10
	v_xor_b32_e32 v11, s37, v10
	v_xor_b32_e32 v10, s36, v10
	v_and_b32_e32 v8, v8, v11
	v_and_b32_e32 v35, v35, v10
	v_lshlrev_b32_e32 v11, 28, v33
	v_mov_b32_e32 v10, v9
	v_cmp_gt_i64_e64 s[36:37], 0, v[10:11]
	v_not_b32_e32 v10, v11
	v_ashrrev_i32_e32 v10, 31, v10
	;; [unrolled: 9-line block ×6, first 2 shown]
	v_xor_b32_e32 v11, s37, v10
	v_xor_b32_e32 v10, s36, v10
	ds_read_b32 v31, v37 offset:64
	v_and_b32_e32 v10, v35, v10
	v_and_b32_e32 v11, v8, v11
	v_mbcnt_lo_u32_b32 v8, v10, 0
	v_mbcnt_hi_u32_b32 v33, v11, v8
	v_cmp_eq_u32_e64 s[36:37], 0, v33
	v_cmp_ne_u64_e64 s[38:39], 0, v[10:11]
	s_and_b64 s[38:39], s[38:39], s[36:37]
	; wave barrier
	s_and_saveexec_b64 s[36:37], s[38:39]
	s_cbranch_execz .LBB1000_43
; %bb.42:
	v_bcnt_u32_b32 v8, v10, 0
	v_bcnt_u32_b32 v8, v11, v8
	s_waitcnt lgkmcnt(0)
	v_add_u32_e32 v8, v31, v8
	ds_write_b32 v37, v8 offset:64
.LBB1000_43:
	s_or_b64 exec, exec, s[36:37]
	v_lshrrev_b32_e32 v8, s64, v7
	v_and_b32_e32 v36, s71, v8
	v_mul_lo_u32 v8, v36, s40
	v_lshl_add_u32 v41, v39, 2, v8
	v_and_b32_e32 v8, 1, v36
	v_lshl_add_u64 v[10:11], v[8:9], 0, -1
	v_cmp_ne_u32_e64 s[36:37], 0, v8
	; wave barrier
	s_nop 1
	v_xor_b32_e32 v10, s36, v10
	v_xor_b32_e32 v8, s37, v11
	v_and_b32_e32 v38, exec_lo, v10
	v_lshlrev_b32_e32 v11, 30, v36
	v_mov_b32_e32 v10, v9
	v_cmp_gt_i64_e64 s[36:37], 0, v[10:11]
	v_not_b32_e32 v10, v11
	v_ashrrev_i32_e32 v10, 31, v10
	v_and_b32_e32 v8, exec_hi, v8
	v_xor_b32_e32 v11, s37, v10
	v_xor_b32_e32 v10, s36, v10
	v_and_b32_e32 v8, v8, v11
	v_and_b32_e32 v38, v38, v10
	v_lshlrev_b32_e32 v11, 29, v36
	v_mov_b32_e32 v10, v9
	v_cmp_gt_i64_e64 s[36:37], 0, v[10:11]
	v_not_b32_e32 v10, v11
	v_ashrrev_i32_e32 v10, 31, v10
	v_xor_b32_e32 v11, s37, v10
	v_xor_b32_e32 v10, s36, v10
	v_and_b32_e32 v8, v8, v11
	v_and_b32_e32 v38, v38, v10
	v_lshlrev_b32_e32 v11, 28, v36
	v_mov_b32_e32 v10, v9
	v_cmp_gt_i64_e64 s[36:37], 0, v[10:11]
	v_not_b32_e32 v10, v11
	v_ashrrev_i32_e32 v10, 31, v10
	;; [unrolled: 9-line block ×5, first 2 shown]
	v_xor_b32_e32 v11, s37, v10
	v_xor_b32_e32 v10, s36, v10
	v_and_b32_e32 v8, v8, v11
	v_lshlrev_b32_e32 v11, 24, v36
	v_and_b32_e32 v38, v38, v10
	v_mov_b32_e32 v10, v9
	v_not_b32_e32 v9, v11
	v_cmp_gt_i64_e64 s[36:37], 0, v[10:11]
	v_ashrrev_i32_e32 v9, 31, v9
	ds_read_b32 v35, v41 offset:64
	v_xor_b32_e32 v10, s37, v9
	v_xor_b32_e32 v11, s36, v9
	v_and_b32_e32 v9, v8, v10
	v_and_b32_e32 v8, v38, v11
	v_mbcnt_lo_u32_b32 v10, v8, 0
	v_mbcnt_hi_u32_b32 v36, v9, v10
	v_cmp_eq_u32_e64 s[36:37], 0, v36
	v_cmp_ne_u64_e64 s[38:39], 0, v[8:9]
	s_and_b64 s[38:39], s[38:39], s[36:37]
	; wave barrier
	s_and_saveexec_b64 s[36:37], s[38:39]
	s_cbranch_execz .LBB1000_45
; %bb.44:
	v_bcnt_u32_b32 v8, v8, 0
	v_bcnt_u32_b32 v8, v9, v8
	s_waitcnt lgkmcnt(0)
	v_add_u32_e32 v8, v35, v8
	ds_write_b32 v41, v8 offset:64
.LBB1000_45:
	s_or_b64 exec, exec, s[36:37]
	v_lshrrev_b32_e32 v8, s64, v17
	v_and_b32_e32 v40, s71, v8
	v_mul_lo_u32 v8, v40, s40
	v_lshl_add_u32 v44, v39, 2, v8
	v_and_b32_e32 v8, 1, v40
	v_mov_b32_e32 v9, 0
	v_lshl_add_u64 v[10:11], v[8:9], 0, -1
	v_cmp_ne_u32_e64 s[36:37], 0, v8
	; wave barrier
	s_nop 1
	v_xor_b32_e32 v10, s36, v10
	v_xor_b32_e32 v8, s37, v11
	v_and_b32_e32 v42, exec_lo, v10
	v_lshlrev_b32_e32 v11, 30, v40
	v_mov_b32_e32 v10, v9
	v_cmp_gt_i64_e64 s[36:37], 0, v[10:11]
	v_not_b32_e32 v10, v11
	v_ashrrev_i32_e32 v10, 31, v10
	v_and_b32_e32 v8, exec_hi, v8
	v_xor_b32_e32 v11, s37, v10
	v_xor_b32_e32 v10, s36, v10
	v_and_b32_e32 v8, v8, v11
	v_and_b32_e32 v42, v42, v10
	v_lshlrev_b32_e32 v11, 29, v40
	v_mov_b32_e32 v10, v9
	v_cmp_gt_i64_e64 s[36:37], 0, v[10:11]
	v_not_b32_e32 v10, v11
	v_ashrrev_i32_e32 v10, 31, v10
	v_xor_b32_e32 v11, s37, v10
	v_xor_b32_e32 v10, s36, v10
	v_and_b32_e32 v8, v8, v11
	v_and_b32_e32 v42, v42, v10
	v_lshlrev_b32_e32 v11, 28, v40
	v_mov_b32_e32 v10, v9
	v_cmp_gt_i64_e64 s[36:37], 0, v[10:11]
	v_not_b32_e32 v10, v11
	v_ashrrev_i32_e32 v10, 31, v10
	;; [unrolled: 9-line block ×6, first 2 shown]
	v_xor_b32_e32 v11, s37, v10
	v_xor_b32_e32 v10, s36, v10
	ds_read_b32 v38, v44 offset:64
	v_and_b32_e32 v10, v42, v10
	v_and_b32_e32 v11, v8, v11
	v_mbcnt_lo_u32_b32 v8, v10, 0
	v_mbcnt_hi_u32_b32 v40, v11, v8
	v_cmp_eq_u32_e64 s[36:37], 0, v40
	v_cmp_ne_u64_e64 s[38:39], 0, v[10:11]
	s_and_b64 s[38:39], s[38:39], s[36:37]
	; wave barrier
	s_and_saveexec_b64 s[36:37], s[38:39]
	s_cbranch_execz .LBB1000_47
; %bb.46:
	v_bcnt_u32_b32 v8, v10, 0
	v_bcnt_u32_b32 v8, v11, v8
	s_waitcnt lgkmcnt(0)
	v_add_u32_e32 v8, v38, v8
	ds_write_b32 v44, v8 offset:64
.LBB1000_47:
	s_or_b64 exec, exec, s[36:37]
	v_lshrrev_b32_e32 v8, s64, v16
	v_and_b32_e32 v43, s71, v8
	v_mul_lo_u32 v8, v43, s40
	v_lshl_add_u32 v46, v39, 2, v8
	v_and_b32_e32 v8, 1, v43
	v_lshl_add_u64 v[10:11], v[8:9], 0, -1
	v_cmp_ne_u32_e64 s[36:37], 0, v8
	; wave barrier
	s_nop 1
	v_xor_b32_e32 v10, s36, v10
	v_xor_b32_e32 v8, s37, v11
	v_and_b32_e32 v45, exec_lo, v10
	v_lshlrev_b32_e32 v11, 30, v43
	v_mov_b32_e32 v10, v9
	v_cmp_gt_i64_e64 s[36:37], 0, v[10:11]
	v_not_b32_e32 v10, v11
	v_ashrrev_i32_e32 v10, 31, v10
	v_and_b32_e32 v8, exec_hi, v8
	v_xor_b32_e32 v11, s37, v10
	v_xor_b32_e32 v10, s36, v10
	v_and_b32_e32 v8, v8, v11
	v_and_b32_e32 v45, v45, v10
	v_lshlrev_b32_e32 v11, 29, v43
	v_mov_b32_e32 v10, v9
	v_cmp_gt_i64_e64 s[36:37], 0, v[10:11]
	v_not_b32_e32 v10, v11
	v_ashrrev_i32_e32 v10, 31, v10
	v_xor_b32_e32 v11, s37, v10
	v_xor_b32_e32 v10, s36, v10
	v_and_b32_e32 v8, v8, v11
	v_and_b32_e32 v45, v45, v10
	v_lshlrev_b32_e32 v11, 28, v43
	v_mov_b32_e32 v10, v9
	v_cmp_gt_i64_e64 s[36:37], 0, v[10:11]
	v_not_b32_e32 v10, v11
	v_ashrrev_i32_e32 v10, 31, v10
	;; [unrolled: 9-line block ×5, first 2 shown]
	v_xor_b32_e32 v11, s37, v10
	v_xor_b32_e32 v10, s36, v10
	v_and_b32_e32 v8, v8, v11
	v_lshlrev_b32_e32 v11, 24, v43
	v_and_b32_e32 v45, v45, v10
	v_mov_b32_e32 v10, v9
	v_not_b32_e32 v9, v11
	v_cmp_gt_i64_e64 s[36:37], 0, v[10:11]
	v_ashrrev_i32_e32 v9, 31, v9
	ds_read_b32 v42, v46 offset:64
	v_xor_b32_e32 v10, s37, v9
	v_xor_b32_e32 v11, s36, v9
	v_and_b32_e32 v9, v8, v10
	v_and_b32_e32 v8, v45, v11
	v_mbcnt_lo_u32_b32 v10, v8, 0
	v_mbcnt_hi_u32_b32 v43, v9, v10
	v_cmp_eq_u32_e64 s[36:37], 0, v43
	v_cmp_ne_u64_e64 s[38:39], 0, v[8:9]
	s_and_b64 s[38:39], s[38:39], s[36:37]
	; wave barrier
	s_and_saveexec_b64 s[36:37], s[38:39]
	s_cbranch_execz .LBB1000_49
; %bb.48:
	v_bcnt_u32_b32 v8, v8, 0
	v_bcnt_u32_b32 v8, v9, v8
	s_waitcnt lgkmcnt(0)
	v_add_u32_e32 v8, v42, v8
	ds_write_b32 v46, v8 offset:64
.LBB1000_49:
	s_or_b64 exec, exec, s[36:37]
	v_lshrrev_b32_e32 v8, s64, v19
	v_and_b32_e32 v47, s71, v8
	v_mul_lo_u32 v8, v47, s40
	v_lshl_add_u32 v49, v39, 2, v8
	v_and_b32_e32 v8, 1, v47
	v_mov_b32_e32 v9, 0
	v_lshl_add_u64 v[10:11], v[8:9], 0, -1
	v_cmp_ne_u32_e64 s[36:37], 0, v8
	; wave barrier
	s_nop 1
	v_xor_b32_e32 v10, s36, v10
	v_xor_b32_e32 v8, s37, v11
	v_and_b32_e32 v48, exec_lo, v10
	v_lshlrev_b32_e32 v11, 30, v47
	v_mov_b32_e32 v10, v9
	v_cmp_gt_i64_e64 s[36:37], 0, v[10:11]
	v_not_b32_e32 v10, v11
	v_ashrrev_i32_e32 v10, 31, v10
	v_and_b32_e32 v8, exec_hi, v8
	v_xor_b32_e32 v11, s37, v10
	v_xor_b32_e32 v10, s36, v10
	v_and_b32_e32 v8, v8, v11
	v_and_b32_e32 v48, v48, v10
	v_lshlrev_b32_e32 v11, 29, v47
	v_mov_b32_e32 v10, v9
	v_cmp_gt_i64_e64 s[36:37], 0, v[10:11]
	v_not_b32_e32 v10, v11
	v_ashrrev_i32_e32 v10, 31, v10
	v_xor_b32_e32 v11, s37, v10
	v_xor_b32_e32 v10, s36, v10
	v_and_b32_e32 v8, v8, v11
	v_and_b32_e32 v48, v48, v10
	v_lshlrev_b32_e32 v11, 28, v47
	v_mov_b32_e32 v10, v9
	v_cmp_gt_i64_e64 s[36:37], 0, v[10:11]
	v_not_b32_e32 v10, v11
	v_ashrrev_i32_e32 v10, 31, v10
	;; [unrolled: 9-line block ×6, first 2 shown]
	v_xor_b32_e32 v11, s37, v10
	v_xor_b32_e32 v10, s36, v10
	ds_read_b32 v45, v49 offset:64
	v_and_b32_e32 v10, v48, v10
	v_and_b32_e32 v11, v8, v11
	v_mbcnt_lo_u32_b32 v8, v10, 0
	v_mbcnt_hi_u32_b32 v47, v11, v8
	v_cmp_eq_u32_e64 s[36:37], 0, v47
	v_cmp_ne_u64_e64 s[38:39], 0, v[10:11]
	s_and_b64 s[38:39], s[38:39], s[36:37]
	; wave barrier
	s_and_saveexec_b64 s[36:37], s[38:39]
	s_cbranch_execz .LBB1000_51
; %bb.50:
	v_bcnt_u32_b32 v8, v10, 0
	v_bcnt_u32_b32 v8, v11, v8
	s_waitcnt lgkmcnt(0)
	v_add_u32_e32 v8, v45, v8
	ds_write_b32 v49, v8 offset:64
.LBB1000_51:
	s_or_b64 exec, exec, s[36:37]
	v_lshrrev_b32_e32 v8, s64, v18
	v_and_b32_e32 v50, s71, v8
	v_mul_lo_u32 v8, v50, s40
	v_lshl_add_u32 v52, v39, 2, v8
	v_and_b32_e32 v8, 1, v50
	v_lshl_add_u64 v[10:11], v[8:9], 0, -1
	v_cmp_ne_u32_e64 s[36:37], 0, v8
	; wave barrier
	s_nop 1
	v_xor_b32_e32 v10, s36, v10
	v_xor_b32_e32 v8, s37, v11
	v_and_b32_e32 v51, exec_lo, v10
	v_lshlrev_b32_e32 v11, 30, v50
	v_mov_b32_e32 v10, v9
	v_cmp_gt_i64_e64 s[36:37], 0, v[10:11]
	v_not_b32_e32 v10, v11
	v_ashrrev_i32_e32 v10, 31, v10
	v_and_b32_e32 v8, exec_hi, v8
	v_xor_b32_e32 v11, s37, v10
	v_xor_b32_e32 v10, s36, v10
	v_and_b32_e32 v8, v8, v11
	v_and_b32_e32 v51, v51, v10
	v_lshlrev_b32_e32 v11, 29, v50
	v_mov_b32_e32 v10, v9
	v_cmp_gt_i64_e64 s[36:37], 0, v[10:11]
	v_not_b32_e32 v10, v11
	v_ashrrev_i32_e32 v10, 31, v10
	v_xor_b32_e32 v11, s37, v10
	v_xor_b32_e32 v10, s36, v10
	v_and_b32_e32 v8, v8, v11
	v_and_b32_e32 v51, v51, v10
	v_lshlrev_b32_e32 v11, 28, v50
	v_mov_b32_e32 v10, v9
	v_cmp_gt_i64_e64 s[36:37], 0, v[10:11]
	v_not_b32_e32 v10, v11
	v_ashrrev_i32_e32 v10, 31, v10
	;; [unrolled: 9-line block ×5, first 2 shown]
	v_xor_b32_e32 v11, s37, v10
	v_xor_b32_e32 v10, s36, v10
	v_and_b32_e32 v8, v8, v11
	v_lshlrev_b32_e32 v11, 24, v50
	v_and_b32_e32 v51, v51, v10
	v_mov_b32_e32 v10, v9
	v_not_b32_e32 v9, v11
	v_cmp_gt_i64_e64 s[36:37], 0, v[10:11]
	v_ashrrev_i32_e32 v9, 31, v9
	ds_read_b32 v48, v52 offset:64
	v_xor_b32_e32 v10, s37, v9
	v_xor_b32_e32 v11, s36, v9
	v_and_b32_e32 v9, v8, v10
	v_and_b32_e32 v8, v51, v11
	v_mbcnt_lo_u32_b32 v10, v8, 0
	v_mbcnt_hi_u32_b32 v50, v9, v10
	v_cmp_eq_u32_e64 s[36:37], 0, v50
	v_cmp_ne_u64_e64 s[38:39], 0, v[8:9]
	s_and_b64 s[38:39], s[38:39], s[36:37]
	; wave barrier
	s_and_saveexec_b64 s[36:37], s[38:39]
	s_cbranch_execz .LBB1000_53
; %bb.52:
	v_bcnt_u32_b32 v8, v8, 0
	v_bcnt_u32_b32 v8, v9, v8
	s_waitcnt lgkmcnt(0)
	v_add_u32_e32 v8, v48, v8
	ds_write_b32 v52, v8 offset:64
.LBB1000_53:
	s_or_b64 exec, exec, s[36:37]
	v_lshrrev_b32_e32 v8, s64, v21
	v_and_b32_e32 v53, s71, v8
	v_mul_lo_u32 v8, v53, s40
	v_lshl_add_u32 v55, v39, 2, v8
	v_and_b32_e32 v8, 1, v53
	v_mov_b32_e32 v9, 0
	v_lshl_add_u64 v[10:11], v[8:9], 0, -1
	v_cmp_ne_u32_e64 s[36:37], 0, v8
	; wave barrier
	s_nop 1
	v_xor_b32_e32 v10, s36, v10
	v_xor_b32_e32 v8, s37, v11
	v_and_b32_e32 v54, exec_lo, v10
	v_lshlrev_b32_e32 v11, 30, v53
	v_mov_b32_e32 v10, v9
	v_cmp_gt_i64_e64 s[36:37], 0, v[10:11]
	v_not_b32_e32 v10, v11
	v_ashrrev_i32_e32 v10, 31, v10
	v_and_b32_e32 v8, exec_hi, v8
	v_xor_b32_e32 v11, s37, v10
	v_xor_b32_e32 v10, s36, v10
	v_and_b32_e32 v8, v8, v11
	v_and_b32_e32 v54, v54, v10
	v_lshlrev_b32_e32 v11, 29, v53
	v_mov_b32_e32 v10, v9
	v_cmp_gt_i64_e64 s[36:37], 0, v[10:11]
	v_not_b32_e32 v10, v11
	v_ashrrev_i32_e32 v10, 31, v10
	v_xor_b32_e32 v11, s37, v10
	v_xor_b32_e32 v10, s36, v10
	v_and_b32_e32 v8, v8, v11
	v_and_b32_e32 v54, v54, v10
	v_lshlrev_b32_e32 v11, 28, v53
	v_mov_b32_e32 v10, v9
	v_cmp_gt_i64_e64 s[36:37], 0, v[10:11]
	v_not_b32_e32 v10, v11
	v_ashrrev_i32_e32 v10, 31, v10
	;; [unrolled: 9-line block ×6, first 2 shown]
	v_xor_b32_e32 v11, s37, v10
	v_xor_b32_e32 v10, s36, v10
	ds_read_b32 v51, v55 offset:64
	v_and_b32_e32 v10, v54, v10
	v_and_b32_e32 v11, v8, v11
	v_mbcnt_lo_u32_b32 v8, v10, 0
	v_mbcnt_hi_u32_b32 v53, v11, v8
	v_cmp_eq_u32_e64 s[36:37], 0, v53
	v_cmp_ne_u64_e64 s[38:39], 0, v[10:11]
	s_and_b64 s[38:39], s[38:39], s[36:37]
	; wave barrier
	s_and_saveexec_b64 s[36:37], s[38:39]
	s_cbranch_execz .LBB1000_55
; %bb.54:
	v_bcnt_u32_b32 v8, v10, 0
	v_bcnt_u32_b32 v8, v11, v8
	s_waitcnt lgkmcnt(0)
	v_add_u32_e32 v8, v51, v8
	ds_write_b32 v55, v8 offset:64
.LBB1000_55:
	s_or_b64 exec, exec, s[36:37]
	v_lshrrev_b32_e32 v8, s64, v20
	v_and_b32_e32 v56, s71, v8
	v_mul_lo_u32 v8, v56, s40
	v_lshl_add_u32 v58, v39, 2, v8
	v_and_b32_e32 v8, 1, v56
	v_lshl_add_u64 v[10:11], v[8:9], 0, -1
	v_cmp_ne_u32_e64 s[36:37], 0, v8
	; wave barrier
	s_nop 1
	v_xor_b32_e32 v10, s36, v10
	v_xor_b32_e32 v8, s37, v11
	v_and_b32_e32 v57, exec_lo, v10
	v_lshlrev_b32_e32 v11, 30, v56
	v_mov_b32_e32 v10, v9
	v_cmp_gt_i64_e64 s[36:37], 0, v[10:11]
	v_not_b32_e32 v10, v11
	v_ashrrev_i32_e32 v10, 31, v10
	v_and_b32_e32 v8, exec_hi, v8
	v_xor_b32_e32 v11, s37, v10
	v_xor_b32_e32 v10, s36, v10
	v_and_b32_e32 v8, v8, v11
	v_and_b32_e32 v57, v57, v10
	v_lshlrev_b32_e32 v11, 29, v56
	v_mov_b32_e32 v10, v9
	v_cmp_gt_i64_e64 s[36:37], 0, v[10:11]
	v_not_b32_e32 v10, v11
	v_ashrrev_i32_e32 v10, 31, v10
	v_xor_b32_e32 v11, s37, v10
	v_xor_b32_e32 v10, s36, v10
	v_and_b32_e32 v8, v8, v11
	v_and_b32_e32 v57, v57, v10
	v_lshlrev_b32_e32 v11, 28, v56
	v_mov_b32_e32 v10, v9
	v_cmp_gt_i64_e64 s[36:37], 0, v[10:11]
	v_not_b32_e32 v10, v11
	v_ashrrev_i32_e32 v10, 31, v10
	;; [unrolled: 9-line block ×5, first 2 shown]
	v_xor_b32_e32 v11, s37, v10
	v_xor_b32_e32 v10, s36, v10
	v_and_b32_e32 v8, v8, v11
	v_lshlrev_b32_e32 v11, 24, v56
	v_and_b32_e32 v57, v57, v10
	v_mov_b32_e32 v10, v9
	v_not_b32_e32 v9, v11
	v_cmp_gt_i64_e64 s[36:37], 0, v[10:11]
	v_ashrrev_i32_e32 v9, 31, v9
	ds_read_b32 v54, v58 offset:64
	v_xor_b32_e32 v10, s37, v9
	v_xor_b32_e32 v11, s36, v9
	v_and_b32_e32 v9, v8, v10
	v_and_b32_e32 v8, v57, v11
	v_mbcnt_lo_u32_b32 v10, v8, 0
	v_mbcnt_hi_u32_b32 v56, v9, v10
	v_cmp_eq_u32_e64 s[36:37], 0, v56
	v_cmp_ne_u64_e64 s[38:39], 0, v[8:9]
	s_and_b64 s[38:39], s[38:39], s[36:37]
	; wave barrier
	s_and_saveexec_b64 s[36:37], s[38:39]
	s_cbranch_execz .LBB1000_57
; %bb.56:
	v_bcnt_u32_b32 v8, v8, 0
	v_bcnt_u32_b32 v8, v9, v8
	s_waitcnt lgkmcnt(0)
	v_add_u32_e32 v8, v54, v8
	ds_write_b32 v58, v8 offset:64
.LBB1000_57:
	s_or_b64 exec, exec, s[36:37]
	v_lshrrev_b32_e32 v8, s64, v23
	v_and_b32_e32 v59, s71, v8
	v_mul_lo_u32 v8, v59, s40
	v_lshl_add_u32 v61, v39, 2, v8
	v_and_b32_e32 v8, 1, v59
	v_mov_b32_e32 v9, 0
	v_lshl_add_u64 v[10:11], v[8:9], 0, -1
	v_cmp_ne_u32_e64 s[36:37], 0, v8
	; wave barrier
	s_nop 1
	v_xor_b32_e32 v10, s36, v10
	v_xor_b32_e32 v8, s37, v11
	v_and_b32_e32 v60, exec_lo, v10
	v_lshlrev_b32_e32 v11, 30, v59
	v_mov_b32_e32 v10, v9
	v_cmp_gt_i64_e64 s[36:37], 0, v[10:11]
	v_not_b32_e32 v10, v11
	v_ashrrev_i32_e32 v10, 31, v10
	v_and_b32_e32 v8, exec_hi, v8
	v_xor_b32_e32 v11, s37, v10
	v_xor_b32_e32 v10, s36, v10
	v_and_b32_e32 v8, v8, v11
	v_and_b32_e32 v60, v60, v10
	v_lshlrev_b32_e32 v11, 29, v59
	v_mov_b32_e32 v10, v9
	v_cmp_gt_i64_e64 s[36:37], 0, v[10:11]
	v_not_b32_e32 v10, v11
	v_ashrrev_i32_e32 v10, 31, v10
	v_xor_b32_e32 v11, s37, v10
	v_xor_b32_e32 v10, s36, v10
	v_and_b32_e32 v8, v8, v11
	v_and_b32_e32 v60, v60, v10
	v_lshlrev_b32_e32 v11, 28, v59
	v_mov_b32_e32 v10, v9
	v_cmp_gt_i64_e64 s[36:37], 0, v[10:11]
	v_not_b32_e32 v10, v11
	v_ashrrev_i32_e32 v10, 31, v10
	;; [unrolled: 9-line block ×6, first 2 shown]
	v_xor_b32_e32 v11, s37, v10
	v_xor_b32_e32 v10, s36, v10
	ds_read_b32 v57, v61 offset:64
	v_and_b32_e32 v10, v60, v10
	v_and_b32_e32 v11, v8, v11
	v_mbcnt_lo_u32_b32 v8, v10, 0
	v_mbcnt_hi_u32_b32 v59, v11, v8
	v_cmp_eq_u32_e64 s[36:37], 0, v59
	v_cmp_ne_u64_e64 s[38:39], 0, v[10:11]
	s_and_b64 s[38:39], s[38:39], s[36:37]
	; wave barrier
	s_and_saveexec_b64 s[36:37], s[38:39]
	s_cbranch_execz .LBB1000_59
; %bb.58:
	v_bcnt_u32_b32 v8, v10, 0
	v_bcnt_u32_b32 v8, v11, v8
	s_waitcnt lgkmcnt(0)
	v_add_u32_e32 v8, v57, v8
	ds_write_b32 v61, v8 offset:64
.LBB1000_59:
	s_or_b64 exec, exec, s[36:37]
	v_lshrrev_b32_e32 v8, s64, v22
	v_and_b32_e32 v62, s71, v8
	v_mul_lo_u32 v8, v62, s40
	v_lshl_add_u32 v64, v39, 2, v8
	v_and_b32_e32 v8, 1, v62
	v_lshl_add_u64 v[10:11], v[8:9], 0, -1
	v_cmp_ne_u32_e64 s[36:37], 0, v8
	; wave barrier
	s_nop 1
	v_xor_b32_e32 v10, s36, v10
	v_xor_b32_e32 v8, s37, v11
	v_and_b32_e32 v63, exec_lo, v10
	v_lshlrev_b32_e32 v11, 30, v62
	v_mov_b32_e32 v10, v9
	v_cmp_gt_i64_e64 s[36:37], 0, v[10:11]
	v_not_b32_e32 v10, v11
	v_ashrrev_i32_e32 v10, 31, v10
	v_and_b32_e32 v8, exec_hi, v8
	v_xor_b32_e32 v11, s37, v10
	v_xor_b32_e32 v10, s36, v10
	v_and_b32_e32 v8, v8, v11
	v_and_b32_e32 v63, v63, v10
	v_lshlrev_b32_e32 v11, 29, v62
	v_mov_b32_e32 v10, v9
	v_cmp_gt_i64_e64 s[36:37], 0, v[10:11]
	v_not_b32_e32 v10, v11
	v_ashrrev_i32_e32 v10, 31, v10
	v_xor_b32_e32 v11, s37, v10
	v_xor_b32_e32 v10, s36, v10
	v_and_b32_e32 v8, v8, v11
	v_and_b32_e32 v63, v63, v10
	v_lshlrev_b32_e32 v11, 28, v62
	v_mov_b32_e32 v10, v9
	v_cmp_gt_i64_e64 s[36:37], 0, v[10:11]
	v_not_b32_e32 v10, v11
	v_ashrrev_i32_e32 v10, 31, v10
	;; [unrolled: 9-line block ×5, first 2 shown]
	v_xor_b32_e32 v11, s37, v10
	v_xor_b32_e32 v10, s36, v10
	v_and_b32_e32 v8, v8, v11
	v_lshlrev_b32_e32 v11, 24, v62
	v_and_b32_e32 v63, v63, v10
	v_mov_b32_e32 v10, v9
	v_not_b32_e32 v9, v11
	v_cmp_gt_i64_e64 s[36:37], 0, v[10:11]
	v_ashrrev_i32_e32 v9, 31, v9
	ds_read_b32 v60, v64 offset:64
	v_xor_b32_e32 v10, s37, v9
	v_xor_b32_e32 v11, s36, v9
	v_and_b32_e32 v9, v8, v10
	v_and_b32_e32 v8, v63, v11
	v_mbcnt_lo_u32_b32 v10, v8, 0
	v_mbcnt_hi_u32_b32 v62, v9, v10
	v_cmp_eq_u32_e64 s[36:37], 0, v62
	v_cmp_ne_u64_e64 s[38:39], 0, v[8:9]
	s_and_b64 s[38:39], s[38:39], s[36:37]
	; wave barrier
	s_and_saveexec_b64 s[36:37], s[38:39]
	s_cbranch_execz .LBB1000_61
; %bb.60:
	v_bcnt_u32_b32 v8, v8, 0
	v_bcnt_u32_b32 v8, v9, v8
	s_waitcnt lgkmcnt(0)
	v_add_u32_e32 v8, v60, v8
	ds_write_b32 v64, v8 offset:64
.LBB1000_61:
	s_or_b64 exec, exec, s[36:37]
	v_lshrrev_b32_e32 v8, s64, v25
	v_and_b32_e32 v65, s71, v8
	v_mul_lo_u32 v8, v65, s40
	v_lshl_add_u32 v67, v39, 2, v8
	v_and_b32_e32 v8, 1, v65
	v_mov_b32_e32 v9, 0
	v_lshl_add_u64 v[10:11], v[8:9], 0, -1
	v_cmp_ne_u32_e64 s[36:37], 0, v8
	; wave barrier
	s_nop 1
	v_xor_b32_e32 v10, s36, v10
	v_xor_b32_e32 v8, s37, v11
	v_and_b32_e32 v66, exec_lo, v10
	v_lshlrev_b32_e32 v11, 30, v65
	v_mov_b32_e32 v10, v9
	v_cmp_gt_i64_e64 s[36:37], 0, v[10:11]
	v_not_b32_e32 v10, v11
	v_ashrrev_i32_e32 v10, 31, v10
	v_and_b32_e32 v8, exec_hi, v8
	v_xor_b32_e32 v11, s37, v10
	v_xor_b32_e32 v10, s36, v10
	v_and_b32_e32 v8, v8, v11
	v_and_b32_e32 v66, v66, v10
	v_lshlrev_b32_e32 v11, 29, v65
	v_mov_b32_e32 v10, v9
	v_cmp_gt_i64_e64 s[36:37], 0, v[10:11]
	v_not_b32_e32 v10, v11
	v_ashrrev_i32_e32 v10, 31, v10
	v_xor_b32_e32 v11, s37, v10
	v_xor_b32_e32 v10, s36, v10
	v_and_b32_e32 v8, v8, v11
	v_and_b32_e32 v66, v66, v10
	v_lshlrev_b32_e32 v11, 28, v65
	v_mov_b32_e32 v10, v9
	v_cmp_gt_i64_e64 s[36:37], 0, v[10:11]
	v_not_b32_e32 v10, v11
	v_ashrrev_i32_e32 v10, 31, v10
	;; [unrolled: 9-line block ×6, first 2 shown]
	v_xor_b32_e32 v11, s37, v10
	v_xor_b32_e32 v10, s36, v10
	ds_read_b32 v63, v67 offset:64
	v_and_b32_e32 v10, v66, v10
	v_and_b32_e32 v11, v8, v11
	v_mbcnt_lo_u32_b32 v8, v10, 0
	v_mbcnt_hi_u32_b32 v65, v11, v8
	v_cmp_eq_u32_e64 s[36:37], 0, v65
	v_cmp_ne_u64_e64 s[38:39], 0, v[10:11]
	s_and_b64 s[38:39], s[38:39], s[36:37]
	; wave barrier
	s_and_saveexec_b64 s[36:37], s[38:39]
	s_cbranch_execz .LBB1000_63
; %bb.62:
	v_bcnt_u32_b32 v8, v10, 0
	v_bcnt_u32_b32 v8, v11, v8
	s_waitcnt lgkmcnt(0)
	v_add_u32_e32 v8, v63, v8
	ds_write_b32 v67, v8 offset:64
.LBB1000_63:
	s_or_b64 exec, exec, s[36:37]
	v_lshrrev_b32_e32 v8, s64, v24
	v_and_b32_e32 v68, s71, v8
	v_mul_lo_u32 v8, v68, s40
	v_lshl_add_u32 v70, v39, 2, v8
	v_and_b32_e32 v8, 1, v68
	v_lshl_add_u64 v[10:11], v[8:9], 0, -1
	v_cmp_ne_u32_e64 s[36:37], 0, v8
	; wave barrier
	s_nop 1
	v_xor_b32_e32 v10, s36, v10
	v_xor_b32_e32 v8, s37, v11
	v_and_b32_e32 v69, exec_lo, v10
	v_lshlrev_b32_e32 v11, 30, v68
	v_mov_b32_e32 v10, v9
	v_cmp_gt_i64_e64 s[36:37], 0, v[10:11]
	v_not_b32_e32 v10, v11
	v_ashrrev_i32_e32 v10, 31, v10
	v_and_b32_e32 v8, exec_hi, v8
	v_xor_b32_e32 v11, s37, v10
	v_xor_b32_e32 v10, s36, v10
	v_and_b32_e32 v8, v8, v11
	v_and_b32_e32 v69, v69, v10
	v_lshlrev_b32_e32 v11, 29, v68
	v_mov_b32_e32 v10, v9
	v_cmp_gt_i64_e64 s[36:37], 0, v[10:11]
	v_not_b32_e32 v10, v11
	v_ashrrev_i32_e32 v10, 31, v10
	v_xor_b32_e32 v11, s37, v10
	v_xor_b32_e32 v10, s36, v10
	v_and_b32_e32 v8, v8, v11
	v_and_b32_e32 v69, v69, v10
	v_lshlrev_b32_e32 v11, 28, v68
	v_mov_b32_e32 v10, v9
	v_cmp_gt_i64_e64 s[36:37], 0, v[10:11]
	v_not_b32_e32 v10, v11
	v_ashrrev_i32_e32 v10, 31, v10
	;; [unrolled: 9-line block ×5, first 2 shown]
	v_xor_b32_e32 v11, s37, v10
	v_xor_b32_e32 v10, s36, v10
	v_and_b32_e32 v8, v8, v11
	v_lshlrev_b32_e32 v11, 24, v68
	v_and_b32_e32 v69, v69, v10
	v_mov_b32_e32 v10, v9
	v_not_b32_e32 v9, v11
	v_cmp_gt_i64_e64 s[36:37], 0, v[10:11]
	v_ashrrev_i32_e32 v9, 31, v9
	ds_read_b32 v66, v70 offset:64
	v_xor_b32_e32 v10, s37, v9
	v_xor_b32_e32 v11, s36, v9
	v_and_b32_e32 v9, v8, v10
	v_and_b32_e32 v8, v69, v11
	v_mbcnt_lo_u32_b32 v10, v8, 0
	v_mbcnt_hi_u32_b32 v68, v9, v10
	v_cmp_eq_u32_e64 s[36:37], 0, v68
	v_cmp_ne_u64_e64 s[38:39], 0, v[8:9]
	s_and_b64 s[38:39], s[38:39], s[36:37]
	; wave barrier
	s_and_saveexec_b64 s[36:37], s[38:39]
	s_cbranch_execz .LBB1000_65
; %bb.64:
	v_bcnt_u32_b32 v8, v8, 0
	v_bcnt_u32_b32 v8, v9, v8
	s_waitcnt lgkmcnt(0)
	v_add_u32_e32 v8, v66, v8
	ds_write_b32 v70, v8 offset:64
.LBB1000_65:
	s_or_b64 exec, exec, s[36:37]
	v_lshrrev_b32_e32 v8, s64, v27
	v_and_b32_e32 v71, s71, v8
	v_mul_lo_u32 v8, v71, s40
	v_lshl_add_u32 v72, v39, 2, v8
	v_and_b32_e32 v8, 1, v71
	v_mov_b32_e32 v9, 0
	v_lshl_add_u64 v[10:11], v[8:9], 0, -1
	v_cmp_ne_u32_e64 s[36:37], 0, v8
	; wave barrier
	s_nop 1
	v_xor_b32_e32 v10, s36, v10
	v_xor_b32_e32 v8, s37, v11
	v_and_b32_e32 v73, exec_lo, v10
	v_lshlrev_b32_e32 v11, 30, v71
	v_mov_b32_e32 v10, v9
	v_cmp_gt_i64_e64 s[36:37], 0, v[10:11]
	v_not_b32_e32 v10, v11
	v_ashrrev_i32_e32 v10, 31, v10
	v_and_b32_e32 v8, exec_hi, v8
	v_xor_b32_e32 v11, s37, v10
	v_xor_b32_e32 v10, s36, v10
	v_and_b32_e32 v8, v8, v11
	v_and_b32_e32 v73, v73, v10
	v_lshlrev_b32_e32 v11, 29, v71
	v_mov_b32_e32 v10, v9
	v_cmp_gt_i64_e64 s[36:37], 0, v[10:11]
	v_not_b32_e32 v10, v11
	v_ashrrev_i32_e32 v10, 31, v10
	v_xor_b32_e32 v11, s37, v10
	v_xor_b32_e32 v10, s36, v10
	v_and_b32_e32 v8, v8, v11
	v_and_b32_e32 v73, v73, v10
	v_lshlrev_b32_e32 v11, 28, v71
	v_mov_b32_e32 v10, v9
	v_cmp_gt_i64_e64 s[36:37], 0, v[10:11]
	v_not_b32_e32 v10, v11
	v_ashrrev_i32_e32 v10, 31, v10
	;; [unrolled: 9-line block ×6, first 2 shown]
	v_xor_b32_e32 v11, s37, v10
	v_xor_b32_e32 v10, s36, v10
	ds_read_b32 v69, v72 offset:64
	v_and_b32_e32 v10, v73, v10
	v_and_b32_e32 v11, v8, v11
	v_mbcnt_lo_u32_b32 v8, v10, 0
	v_mbcnt_hi_u32_b32 v71, v11, v8
	v_cmp_eq_u32_e64 s[36:37], 0, v71
	v_cmp_ne_u64_e64 s[38:39], 0, v[10:11]
	s_and_b64 s[38:39], s[38:39], s[36:37]
	; wave barrier
	s_and_saveexec_b64 s[36:37], s[38:39]
	s_cbranch_execz .LBB1000_67
; %bb.66:
	v_bcnt_u32_b32 v8, v10, 0
	v_bcnt_u32_b32 v8, v11, v8
	s_waitcnt lgkmcnt(0)
	v_add_u32_e32 v8, v69, v8
	ds_write_b32 v72, v8 offset:64
.LBB1000_67:
	s_or_b64 exec, exec, s[36:37]
	v_lshrrev_b32_e32 v8, s64, v26
	v_and_b32_e32 v73, s71, v8
	v_mul_lo_u32 v8, v73, s40
	v_lshl_add_u32 v74, v39, 2, v8
	v_and_b32_e32 v8, 1, v73
	v_lshl_add_u64 v[10:11], v[8:9], 0, -1
	v_cmp_ne_u32_e64 s[36:37], 0, v8
	; wave barrier
	s_nop 1
	v_xor_b32_e32 v10, s36, v10
	v_xor_b32_e32 v8, s37, v11
	v_and_b32_e32 v75, exec_lo, v10
	v_lshlrev_b32_e32 v11, 30, v73
	v_mov_b32_e32 v10, v9
	v_cmp_gt_i64_e64 s[36:37], 0, v[10:11]
	v_not_b32_e32 v10, v11
	v_ashrrev_i32_e32 v10, 31, v10
	v_and_b32_e32 v8, exec_hi, v8
	v_xor_b32_e32 v11, s37, v10
	v_xor_b32_e32 v10, s36, v10
	v_and_b32_e32 v8, v8, v11
	v_and_b32_e32 v75, v75, v10
	v_lshlrev_b32_e32 v11, 29, v73
	v_mov_b32_e32 v10, v9
	v_cmp_gt_i64_e64 s[36:37], 0, v[10:11]
	v_not_b32_e32 v10, v11
	v_ashrrev_i32_e32 v10, 31, v10
	v_xor_b32_e32 v11, s37, v10
	v_xor_b32_e32 v10, s36, v10
	v_and_b32_e32 v8, v8, v11
	v_and_b32_e32 v75, v75, v10
	v_lshlrev_b32_e32 v11, 28, v73
	v_mov_b32_e32 v10, v9
	v_cmp_gt_i64_e64 s[36:37], 0, v[10:11]
	v_not_b32_e32 v10, v11
	v_ashrrev_i32_e32 v10, 31, v10
	;; [unrolled: 9-line block ×5, first 2 shown]
	v_xor_b32_e32 v11, s37, v10
	v_xor_b32_e32 v10, s36, v10
	v_and_b32_e32 v8, v8, v11
	v_lshlrev_b32_e32 v11, 24, v73
	v_and_b32_e32 v75, v75, v10
	v_mov_b32_e32 v10, v9
	v_not_b32_e32 v9, v11
	v_cmp_gt_i64_e64 s[36:37], 0, v[10:11]
	v_ashrrev_i32_e32 v9, 31, v9
	ds_read_b32 v39, v74 offset:64
	v_xor_b32_e32 v10, s37, v9
	v_xor_b32_e32 v11, s36, v9
	v_and_b32_e32 v9, v8, v10
	v_and_b32_e32 v8, v75, v11
	v_mbcnt_lo_u32_b32 v10, v8, 0
	v_mbcnt_hi_u32_b32 v73, v9, v10
	v_cmp_eq_u32_e64 s[36:37], 0, v73
	v_cmp_ne_u64_e64 s[38:39], 0, v[8:9]
	s_and_b64 s[38:39], s[38:39], s[36:37]
	; wave barrier
	s_and_saveexec_b64 s[36:37], s[38:39]
	s_cbranch_execz .LBB1000_69
; %bb.68:
	v_bcnt_u32_b32 v8, v8, 0
	v_bcnt_u32_b32 v8, v9, v8
	s_waitcnt lgkmcnt(0)
	v_add_u32_e32 v8, v39, v8
	ds_write_b32 v74, v8 offset:64
.LBB1000_69:
	s_or_b64 exec, exec, s[36:37]
	; wave barrier
	s_waitcnt lgkmcnt(0)
	s_barrier
	ds_read2_b32 v[10:11], v13 offset0:16 offset1:17
	ds_read2_b32 v[8:9], v13 offset0:18 offset1:19
	ds_read_b32 v75, v13 offset:80
	v_cmp_lt_u32_e64 s[46:47], 31, v12
	s_waitcnt lgkmcnt(1)
	v_add3_u32 v76, v11, v10, v8
	s_waitcnt lgkmcnt(0)
	v_add3_u32 v75, v76, v9, v75
	v_and_b32_e32 v76, 15, v12
	v_cmp_eq_u32_e64 s[36:37], 0, v76
	v_mov_b32_dpp v77, v75 row_shr:1 row_mask:0xf bank_mask:0xf
	v_cmp_lt_u32_e64 s[38:39], 1, v76
	v_cndmask_b32_e64 v77, v77, 0, s[36:37]
	v_add_u32_e32 v75, v77, v75
	v_cmp_lt_u32_e64 s[40:41], 3, v76
	v_cmp_lt_u32_e64 s[42:43], 7, v76
	v_mov_b32_dpp v77, v75 row_shr:2 row_mask:0xf bank_mask:0xf
	v_cndmask_b32_e64 v77, 0, v77, s[38:39]
	v_add_u32_e32 v75, v75, v77
	s_nop 1
	v_mov_b32_dpp v77, v75 row_shr:4 row_mask:0xf bank_mask:0xf
	v_cndmask_b32_e64 v77, 0, v77, s[40:41]
	v_add_u32_e32 v75, v75, v77
	s_nop 1
	v_mov_b32_dpp v77, v75 row_shr:8 row_mask:0xf bank_mask:0xf
	v_cndmask_b32_e64 v76, 0, v77, s[42:43]
	v_add_u32_e32 v75, v75, v76
	v_bfe_i32 v77, v12, 4, 1
	s_nop 0
	v_mov_b32_dpp v76, v75 row_bcast:15 row_mask:0xf bank_mask:0xf
	v_and_b32_e32 v76, v77, v76
	v_add_u32_e32 v75, v75, v76
	v_and_b32_e32 v77, 63, v2
	s_nop 0
	v_mov_b32_dpp v76, v75 row_bcast:31 row_mask:0xf bank_mask:0xf
	v_cndmask_b32_e64 v76, 0, v76, s[46:47]
	v_add_u32_e32 v75, v75, v76
	v_lshrrev_b32_e32 v76, 6, v2
	v_cmp_eq_u32_e64 s[46:47], 63, v77
	s_and_saveexec_b64 s[48:49], s[46:47]
; %bb.70:
	v_lshlrev_b32_e32 v77, 2, v76
	ds_write_b32 v77, v75
; %bb.71:
	s_or_b64 exec, exec, s[48:49]
	v_cmp_gt_u32_e64 s[46:47], 16, v2
	s_waitcnt lgkmcnt(0)
	s_barrier
	s_and_saveexec_b64 s[48:49], s[46:47]
	s_cbranch_execz .LBB1000_73
; %bb.72:
	v_lshlrev_b32_e32 v77, 2, v2
	ds_read_b32 v78, v77
	s_waitcnt lgkmcnt(0)
	s_nop 0
	v_mov_b32_dpp v79, v78 row_shr:1 row_mask:0xf bank_mask:0xf
	v_cndmask_b32_e64 v79, v79, 0, s[36:37]
	v_add_u32_e32 v78, v79, v78
	s_nop 1
	v_mov_b32_dpp v79, v78 row_shr:2 row_mask:0xf bank_mask:0xf
	v_cndmask_b32_e64 v79, 0, v79, s[38:39]
	v_add_u32_e32 v78, v78, v79
	;; [unrolled: 4-line block ×4, first 2 shown]
	ds_write_b32 v77, v78
.LBB1000_73:
	s_or_b64 exec, exec, s[48:49]
	v_cmp_lt_u32_e64 s[36:37], 63, v2
	v_mov_b32_e32 v77, 0
	s_waitcnt lgkmcnt(0)
	s_barrier
	s_and_saveexec_b64 s[38:39], s[36:37]
; %bb.74:
	v_lshl_add_u32 v76, v76, 2, -4
	ds_read_b32 v77, v76
; %bb.75:
	s_or_b64 exec, exec, s[38:39]
	v_subrev_co_u32_e64 v76, s[36:37], 1, v12
	v_and_b32_e32 v78, 64, v12
	v_cmp_lt_i32_e64 s[38:39], v76, v78
	s_waitcnt lgkmcnt(0)
	v_add_u32_e32 v75, v77, v75
	s_movk_i32 s40, 0x100
	v_cndmask_b32_e64 v12, v76, v12, s[38:39]
	v_lshlrev_b32_e32 v12, 2, v12
	ds_bpermute_b32 v12, v12, v75
	v_cmp_gt_u32_e64 s[38:39], s40, v2
	s_waitcnt lgkmcnt(0)
	v_cndmask_b32_e64 v12, v12, v77, s[36:37]
	v_cndmask_b32_e64 v12, v12, 0, s[44:45]
	v_add_u32_e32 v10, v12, v10
	v_add_u32_e32 v11, v10, v11
	;; [unrolled: 1-line block ×4, first 2 shown]
	ds_write2_b32 v13, v12, v10 offset0:16 offset1:17
	ds_write2_b32 v13, v11, v8 offset0:18 offset1:19
	ds_write_b32 v13, v9 offset:80
	s_waitcnt lgkmcnt(0)
	s_barrier
	ds_read_b32 v84, v32 offset:64
	ds_read_b32 v75, v34 offset:64
	;; [unrolled: 1-line block ×16, first 2 shown]
	s_movk_i32 s36, 0xff
	v_cmp_lt_u32_e64 s[36:37], s36, v2
                                        ; implicit-def: $vgpr32
                                        ; implicit-def: $vgpr34
	s_and_saveexec_b64 s[42:43], s[38:39]
	s_cbranch_execz .LBB1000_79
; %bb.76:
	v_mul_u32_u24_e32 v8, 0x44, v2
	ds_read_b32 v32, v8 offset:64
	v_add_u32_e32 v9, 1, v2
	v_cmp_ne_u32_e64 s[40:41], s40, v9
	v_mov_b32_e32 v8, 0x4000
	s_and_saveexec_b64 s[46:47], s[40:41]
; %bb.77:
	v_mul_u32_u24_e32 v8, 0x44, v9
	ds_read_b32 v8, v8 offset:64
; %bb.78:
	s_or_b64 exec, exec, s[46:47]
	s_waitcnt lgkmcnt(0)
	v_sub_u32_e32 v34, v8, v32
.LBB1000_79:
	s_or_b64 exec, exec, s[42:43]
	v_mov_b32_e32 v9, 0
	v_lshlrev_b32_e32 v37, 2, v2
	s_waitcnt lgkmcnt(0)
	s_barrier
	s_and_saveexec_b64 s[40:41], s[38:39]
	s_cbranch_execz .LBB1000_89
; %bb.80:
	v_lshl_add_u32 v8, s33, 8, v2
	v_lshl_add_u64 v[10:11], v[8:9], 2, s[68:69]
	v_or_b32_e32 v8, 2.0, v34
	s_mov_b64 s[42:43], 0
	s_brev_b32 s50, -4
	s_mov_b32 s51, s33
	v_mov_b32_e32 v55, 0
	global_store_dword v[10:11], v8, off sc1
                                        ; implicit-def: $sgpr38_sgpr39
	s_branch .LBB1000_83
.LBB1000_81:                            ;   in Loop: Header=BB1000_83 Depth=1
	s_or_b64 exec, exec, s[48:49]
.LBB1000_82:                            ;   in Loop: Header=BB1000_83 Depth=1
	s_or_b64 exec, exec, s[46:47]
	v_and_b32_e32 v12, 0x3fffffff, v8
	v_add_u32_e32 v55, v12, v55
	v_cmp_gt_i32_e64 s[38:39], -2.0, v8
	s_and_b64 s[46:47], exec, s[38:39]
	s_or_b64 s[42:43], s[46:47], s[42:43]
	s_andn2_b64 exec, exec, s[42:43]
	s_cbranch_execz .LBB1000_88
.LBB1000_83:                            ; =>This Loop Header: Depth=1
                                        ;     Child Loop BB1000_86 Depth 2
	s_or_b64 s[38:39], s[38:39], exec
	s_cmp_eq_u32 s51, 0
	s_cbranch_scc1 .LBB1000_87
; %bb.84:                               ;   in Loop: Header=BB1000_83 Depth=1
	s_add_i32 s51, s51, -1
	v_lshl_or_b32 v8, s51, 8, v2
	v_lshl_add_u64 v[12:13], v[8:9], 2, s[68:69]
	global_load_dword v8, v[12:13], off sc1
	s_waitcnt vmcnt(0)
	v_cmp_gt_u32_e64 s[38:39], 2.0, v8
	s_and_saveexec_b64 s[46:47], s[38:39]
	s_cbranch_execz .LBB1000_82
; %bb.85:                               ;   in Loop: Header=BB1000_83 Depth=1
	s_mov_b64 s[48:49], 0
.LBB1000_86:                            ;   Parent Loop BB1000_83 Depth=1
                                        ; =>  This Inner Loop Header: Depth=2
	global_load_dword v8, v[12:13], off sc1
	s_waitcnt vmcnt(0)
	v_cmp_lt_u32_e64 s[38:39], s50, v8
	s_or_b64 s[48:49], s[38:39], s[48:49]
	s_andn2_b64 exec, exec, s[48:49]
	s_cbranch_execnz .LBB1000_86
	s_branch .LBB1000_81
.LBB1000_87:                            ;   in Loop: Header=BB1000_83 Depth=1
                                        ; implicit-def: $sgpr51
	s_and_b64 s[46:47], exec, s[38:39]
	s_or_b64 s[42:43], s[46:47], s[42:43]
	s_andn2_b64 exec, exec, s[42:43]
	s_cbranch_execnz .LBB1000_83
.LBB1000_88:
	s_or_b64 exec, exec, s[42:43]
	v_add_u32_e32 v8, v55, v34
	v_or_b32_e32 v8, 0x80000000, v8
	global_store_dword v[10:11], v8, off sc1
	global_load_dword v8, v37, s[60:61]
	v_sub_u32_e32 v9, v55, v32
	s_waitcnt vmcnt(0)
	v_add_u32_e32 v8, v9, v8
	ds_write_b32 v37, v8
.LBB1000_89:
	s_or_b64 exec, exec, s[40:41]
	v_add_u32_e32 v10, v84, v29
	v_add3_u32 v8, v30, v28, v75
	v_add3_u32 v9, v33, v31, v76
	;; [unrolled: 1-line block ×15, first 2 shown]
	v_mov_b32_e32 v88, 0x400
	s_movk_i32 s42, 0x400
	v_lshl_add_u32 v11, v11, 2, v88
	v_add3_u32 v12, v73, v49, v39
	v_lshl_add_u32 v13, v13, 2, v88
	v_add3_u32 v29, v71, v44, v69
	;; [unrolled: 2-line block ×15, first 2 shown]
	v_lshl_add_u32 v30, v10, 2, v88
	s_mov_b32 s43, 0
	s_mov_b32 s46, 0
	s_movk_i32 s47, 0x1000
	v_mov_b32_e32 v9, 0
	s_movk_i32 s48, 0x800
	s_movk_i32 s49, 0xc00
	v_mov_b32_e32 v59, v2
	s_mov_b32 s50, 0
	s_branch .LBB1000_91
.LBB1000_90:                            ;   in Loop: Header=BB1000_91 Depth=1
	s_or_b64 exec, exec, s[40:41]
	s_addk_i32 s50, 0xc000
	s_add_i32 s43, s43, 16
	s_addk_i32 s46, 0xf000
	s_cmp_eq_u32 s50, 0xffff0000
	v_add_u32_e32 v59, 0x1000, v59
	s_barrier
	s_cbranch_scc1 .LBB1000_131
.LBB1000_91:                            ; =>This Inner Loop Header: Depth=1
	v_add_u32_e32 v8, s46, v10
	v_cmp_gt_u32_e64 s[38:39], s47, v8
	s_and_saveexec_b64 s[40:41], s[38:39]
; %bb.92:                               ;   in Loop: Header=BB1000_91 Depth=1
	v_add_u32_e32 v8, s50, v30
	ds_write_b32 v8, v5
; %bb.93:                               ;   in Loop: Header=BB1000_91 Depth=1
	s_or_b64 exec, exec, s[40:41]
	v_add_u32_e32 v8, s46, v28
	v_cmp_gt_u32_e64 s[38:39], s47, v8
	s_and_saveexec_b64 s[40:41], s[38:39]
; %bb.94:                               ;   in Loop: Header=BB1000_91 Depth=1
	v_add_u32_e32 v8, s50, v33
	ds_write_b32 v8, v14
; %bb.95:                               ;   in Loop: Header=BB1000_91 Depth=1
	s_or_b64 exec, exec, s[40:41]
	;; [unrolled: 8-line block ×4, first 2 shown]
	v_add_u32_e32 v8, s46, v38
	v_cmp_gt_u32_e64 s[38:39], s47, v8
	s_and_saveexec_b64 s[40:41], s[38:39]
; %bb.100:                              ;   in Loop: Header=BB1000_91 Depth=1
	v_add_u32_e32 v8, s50, v43
	ds_write_b32 v8, v17
; %bb.101:                              ;   in Loop: Header=BB1000_91 Depth=1
	s_or_b64 exec, exec, s[40:41]
	v_add_u32_e32 v8, s46, v42
	v_cmp_gt_u32_e64 s[38:39], s47, v8
	s_and_saveexec_b64 s[40:41], s[38:39]
; %bb.102:                              ;   in Loop: Header=BB1000_91 Depth=1
	v_add_u32_e32 v8, s50, v47
	ds_write_b32 v8, v16
; %bb.103:                              ;   in Loop: Header=BB1000_91 Depth=1
	s_or_b64 exec, exec, s[40:41]
	v_add_u32_e32 v8, s46, v45
	v_cmp_gt_u32_e64 s[38:39], s47, v8
	s_and_saveexec_b64 s[40:41], s[38:39]
; %bb.104:                              ;   in Loop: Header=BB1000_91 Depth=1
	v_add_u32_e32 v8, s50, v50
	ds_write_b32 v8, v19
; %bb.105:                              ;   in Loop: Header=BB1000_91 Depth=1
	s_or_b64 exec, exec, s[40:41]
	v_add_u32_e32 v8, s46, v48
	v_cmp_gt_u32_e64 s[38:39], s47, v8
	s_and_saveexec_b64 s[40:41], s[38:39]
; %bb.106:                              ;   in Loop: Header=BB1000_91 Depth=1
	v_add_u32_e32 v8, s50, v53
	ds_write_b32 v8, v18
; %bb.107:                              ;   in Loop: Header=BB1000_91 Depth=1
	s_or_b64 exec, exec, s[40:41]
	v_add_u32_e32 v8, s46, v51
	v_cmp_gt_u32_e64 s[38:39], s47, v8
	s_and_saveexec_b64 s[40:41], s[38:39]
; %bb.108:                              ;   in Loop: Header=BB1000_91 Depth=1
	v_add_u32_e32 v8, s50, v56
	ds_write_b32 v8, v21
; %bb.109:                              ;   in Loop: Header=BB1000_91 Depth=1
	s_or_b64 exec, exec, s[40:41]
	v_add_u32_e32 v8, s46, v54
	v_cmp_gt_u32_e64 s[38:39], s47, v8
	s_and_saveexec_b64 s[40:41], s[38:39]
; %bb.110:                              ;   in Loop: Header=BB1000_91 Depth=1
	v_add_u32_e32 v8, s50, v58
	ds_write_b32 v8, v20
; %bb.111:                              ;   in Loop: Header=BB1000_91 Depth=1
	s_or_b64 exec, exec, s[40:41]
	v_add_u32_e32 v8, s46, v57
	v_cmp_gt_u32_e64 s[38:39], s47, v8
	s_and_saveexec_b64 s[40:41], s[38:39]
; %bb.112:                              ;   in Loop: Header=BB1000_91 Depth=1
	v_add_u32_e32 v8, s50, v55
	ds_write_b32 v8, v23
; %bb.113:                              ;   in Loop: Header=BB1000_91 Depth=1
	s_or_b64 exec, exec, s[40:41]
	v_add_u32_e32 v8, s46, v52
	v_cmp_gt_u32_e64 s[38:39], s47, v8
	s_and_saveexec_b64 s[40:41], s[38:39]
; %bb.114:                              ;   in Loop: Header=BB1000_91 Depth=1
	v_add_u32_e32 v8, s50, v49
	ds_write_b32 v8, v22
; %bb.115:                              ;   in Loop: Header=BB1000_91 Depth=1
	s_or_b64 exec, exec, s[40:41]
	v_add_u32_e32 v8, s46, v46
	v_cmp_gt_u32_e64 s[38:39], s47, v8
	s_and_saveexec_b64 s[40:41], s[38:39]
; %bb.116:                              ;   in Loop: Header=BB1000_91 Depth=1
	v_add_u32_e32 v8, s50, v44
	ds_write_b32 v8, v25
; %bb.117:                              ;   in Loop: Header=BB1000_91 Depth=1
	s_or_b64 exec, exec, s[40:41]
	v_add_u32_e32 v8, s46, v41
	v_cmp_gt_u32_e64 s[38:39], s47, v8
	s_and_saveexec_b64 s[40:41], s[38:39]
; %bb.118:                              ;   in Loop: Header=BB1000_91 Depth=1
	v_add_u32_e32 v8, s50, v39
	ds_write_b32 v8, v24
; %bb.119:                              ;   in Loop: Header=BB1000_91 Depth=1
	s_or_b64 exec, exec, s[40:41]
	v_add_u32_e32 v8, s46, v29
	v_cmp_gt_u32_e64 s[38:39], s47, v8
	s_and_saveexec_b64 s[40:41], s[38:39]
; %bb.120:                              ;   in Loop: Header=BB1000_91 Depth=1
	v_add_u32_e32 v8, s50, v13
	ds_write_b32 v8, v27
; %bb.121:                              ;   in Loop: Header=BB1000_91 Depth=1
	s_or_b64 exec, exec, s[40:41]
	v_add_u32_e32 v8, s46, v12
	v_cmp_gt_u32_e64 s[38:39], s47, v8
	s_and_saveexec_b64 s[40:41], s[38:39]
; %bb.122:                              ;   in Loop: Header=BB1000_91 Depth=1
	v_add_u32_e32 v8, s50, v11
	ds_write_b32 v8, v26
; %bb.123:                              ;   in Loop: Header=BB1000_91 Depth=1
	s_or_b64 exec, exec, s[40:41]
	v_cmp_gt_u32_e64 s[38:39], s3, v59
	s_waitcnt lgkmcnt(0)
	s_barrier
	s_and_saveexec_b64 s[40:41], s[38:39]
	s_cbranch_execz .LBB1000_125
; %bb.124:                              ;   in Loop: Header=BB1000_91 Depth=1
	ds_read_b32 v8, v37 offset:1024
	s_waitcnt lgkmcnt(0)
	v_lshrrev_b32_e32 v60, s64, v8
	v_and_b32_e32 v62, s71, v60
	v_lshlrev_b32_e32 v60, 2, v62
	ds_read_b32 v60, v60
	v_xor_b32_e32 v63, 0x7fffffff, v8
	s_waitcnt lgkmcnt(0)
	v_add_u32_e32 v8, v59, v60
	v_lshl_add_u64 v[60:61], v[8:9], 2, s[54:55]
	global_store_dword v[60:61], v63, off
	scratch_store_dword off, v62, s43
.LBB1000_125:                           ;   in Loop: Header=BB1000_91 Depth=1
	s_or_b64 exec, exec, s[40:41]
	v_add_u32_e32 v8, 0x400, v59
	v_cmp_gt_u32_e64 s[38:39], s3, v8
	s_and_saveexec_b64 s[40:41], s[38:39]
	s_cbranch_execz .LBB1000_127
; %bb.126:                              ;   in Loop: Header=BB1000_91 Depth=1
	ds_read_b32 v8, v37 offset:5120
	s_add_i32 s38, s43, 4
	s_waitcnt lgkmcnt(0)
	v_lshrrev_b32_e32 v60, s64, v8
	v_and_b32_e32 v62, s71, v60
	v_lshlrev_b32_e32 v60, 2, v62
	ds_read_b32 v60, v60
	v_xor_b32_e32 v63, 0x7fffffff, v8
	s_waitcnt lgkmcnt(0)
	v_add3_u32 v8, v59, v60, s42
	v_lshl_add_u64 v[60:61], v[8:9], 2, s[54:55]
	global_store_dword v[60:61], v63, off
	scratch_store_dword off, v62, s38
.LBB1000_127:                           ;   in Loop: Header=BB1000_91 Depth=1
	s_or_b64 exec, exec, s[40:41]
	v_add_u32_e32 v8, 0x800, v59
	v_cmp_gt_u32_e64 s[38:39], s3, v8
	s_and_saveexec_b64 s[40:41], s[38:39]
	s_cbranch_execz .LBB1000_129
; %bb.128:                              ;   in Loop: Header=BB1000_91 Depth=1
	ds_read_b32 v8, v37 offset:9216
	s_add_i32 s38, s43, 8
	s_waitcnt lgkmcnt(0)
	v_lshrrev_b32_e32 v60, s64, v8
	v_and_b32_e32 v62, s71, v60
	v_lshlrev_b32_e32 v60, 2, v62
	ds_read_b32 v60, v60
	v_xor_b32_e32 v63, 0x7fffffff, v8
	s_waitcnt lgkmcnt(0)
	v_add3_u32 v8, v59, v60, s48
	v_lshl_add_u64 v[60:61], v[8:9], 2, s[54:55]
	global_store_dword v[60:61], v63, off
	scratch_store_dword off, v62, s38
.LBB1000_129:                           ;   in Loop: Header=BB1000_91 Depth=1
	s_or_b64 exec, exec, s[40:41]
	v_add_u32_e32 v8, 0xc00, v59
	v_cmp_gt_u32_e64 s[38:39], s3, v8
	s_and_saveexec_b64 s[40:41], s[38:39]
	s_cbranch_execz .LBB1000_90
; %bb.130:                              ;   in Loop: Header=BB1000_91 Depth=1
	ds_read_b32 v8, v37 offset:13312
	s_add_i32 s38, s43, 12
	s_waitcnt lgkmcnt(0)
	v_lshrrev_b32_e32 v60, s64, v8
	v_and_b32_e32 v62, s71, v60
	v_lshlrev_b32_e32 v60, 2, v62
	ds_read_b32 v60, v60
	v_xor_b32_e32 v63, 0x7fffffff, v8
	s_waitcnt lgkmcnt(0)
	v_add3_u32 v8, v59, v60, s49
	v_lshl_add_u64 v[60:61], v[8:9], 2, s[54:55]
	global_store_dword v[60:61], v63, off
	scratch_store_dword off, v62, s38
	s_branch .LBB1000_90
.LBB1000_131:
	s_add_u32 s38, s56, s66
	s_addc_u32 s39, s57, s67
	v_mov_b32_e32 v5, 0
	v_lshl_add_u64 v[8:9], s[38:39], 0, v[4:5]
	v_mov_b32_e32 v7, v5
	v_lshl_add_u64 v[4:5], v[8:9], 0, v[6:7]
                                        ; implicit-def: $vgpr6
	s_and_saveexec_b64 s[38:39], vcc
	s_cbranch_execz .LBB1000_147
; %bb.132:
	global_load_dword v6, v[4:5], off
	s_or_b64 exec, exec, s[38:39]
                                        ; implicit-def: $vgpr7
	s_and_saveexec_b64 s[38:39], s[4:5]
	s_cbranch_execnz .LBB1000_148
.LBB1000_133:
	s_or_b64 exec, exec, s[38:39]
                                        ; implicit-def: $vgpr8
	s_and_saveexec_b64 s[4:5], s[6:7]
	s_cbranch_execz .LBB1000_149
.LBB1000_134:
	global_load_dword v8, v[4:5], off offset:512
	s_or_b64 exec, exec, s[4:5]
                                        ; implicit-def: $vgpr9
	s_and_saveexec_b64 s[4:5], s[8:9]
	s_cbranch_execnz .LBB1000_150
.LBB1000_135:
	s_or_b64 exec, exec, s[4:5]
                                        ; implicit-def: $vgpr14
	s_and_saveexec_b64 s[4:5], s[10:11]
	s_cbranch_execz .LBB1000_151
.LBB1000_136:
	global_load_dword v14, v[4:5], off offset:1024
	s_or_b64 exec, exec, s[4:5]
                                        ; implicit-def: $vgpr15
	s_and_saveexec_b64 s[4:5], s[12:13]
	s_cbranch_execnz .LBB1000_152
.LBB1000_137:
	s_or_b64 exec, exec, s[4:5]
                                        ; implicit-def: $vgpr16
	s_and_saveexec_b64 s[4:5], s[14:15]
	s_cbranch_execz .LBB1000_153
.LBB1000_138:
	global_load_dword v16, v[4:5], off offset:1536
	s_or_b64 exec, exec, s[4:5]
                                        ; implicit-def: $vgpr17
	s_and_saveexec_b64 s[4:5], s[16:17]
	s_cbranch_execnz .LBB1000_154
.LBB1000_139:
	s_or_b64 exec, exec, s[4:5]
                                        ; implicit-def: $vgpr18
	s_and_saveexec_b64 s[4:5], s[18:19]
	s_cbranch_execz .LBB1000_155
.LBB1000_140:
	global_load_dword v18, v[4:5], off offset:2048
	s_or_b64 exec, exec, s[4:5]
                                        ; implicit-def: $vgpr19
	s_and_saveexec_b64 s[4:5], s[20:21]
	s_cbranch_execnz .LBB1000_156
.LBB1000_141:
	s_or_b64 exec, exec, s[4:5]
                                        ; implicit-def: $vgpr20
	s_and_saveexec_b64 s[4:5], s[22:23]
	s_cbranch_execz .LBB1000_157
.LBB1000_142:
	global_load_dword v20, v[4:5], off offset:2560
	s_or_b64 exec, exec, s[4:5]
                                        ; implicit-def: $vgpr21
	s_and_saveexec_b64 s[4:5], s[24:25]
	s_cbranch_execnz .LBB1000_158
.LBB1000_143:
	s_or_b64 exec, exec, s[4:5]
                                        ; implicit-def: $vgpr22
	s_and_saveexec_b64 s[4:5], s[26:27]
	s_cbranch_execz .LBB1000_159
.LBB1000_144:
	global_load_dword v22, v[4:5], off offset:3072
	s_or_b64 exec, exec, s[4:5]
                                        ; implicit-def: $vgpr23
	s_and_saveexec_b64 s[4:5], s[28:29]
	s_cbranch_execnz .LBB1000_160
.LBB1000_145:
	s_or_b64 exec, exec, s[4:5]
                                        ; implicit-def: $vgpr24
	s_and_saveexec_b64 s[4:5], s[30:31]
	s_cbranch_execz .LBB1000_161
.LBB1000_146:
	global_load_dword v24, v[4:5], off offset:3584
	s_or_b64 exec, exec, s[4:5]
                                        ; implicit-def: $vgpr25
	s_and_saveexec_b64 s[4:5], s[34:35]
	s_cbranch_execnz .LBB1000_162
	s_branch .LBB1000_163
.LBB1000_147:
	s_or_b64 exec, exec, s[38:39]
                                        ; implicit-def: $vgpr7
	s_and_saveexec_b64 s[38:39], s[4:5]
	s_cbranch_execz .LBB1000_133
.LBB1000_148:
	global_load_dword v7, v[4:5], off offset:256
	s_or_b64 exec, exec, s[38:39]
                                        ; implicit-def: $vgpr8
	s_and_saveexec_b64 s[4:5], s[6:7]
	s_cbranch_execnz .LBB1000_134
.LBB1000_149:
	s_or_b64 exec, exec, s[4:5]
                                        ; implicit-def: $vgpr9
	s_and_saveexec_b64 s[4:5], s[8:9]
	s_cbranch_execz .LBB1000_135
.LBB1000_150:
	global_load_dword v9, v[4:5], off offset:768
	s_or_b64 exec, exec, s[4:5]
                                        ; implicit-def: $vgpr14
	s_and_saveexec_b64 s[4:5], s[10:11]
	s_cbranch_execnz .LBB1000_136
.LBB1000_151:
	s_or_b64 exec, exec, s[4:5]
                                        ; implicit-def: $vgpr15
	s_and_saveexec_b64 s[4:5], s[12:13]
	s_cbranch_execz .LBB1000_137
.LBB1000_152:
	global_load_dword v15, v[4:5], off offset:1280
	s_or_b64 exec, exec, s[4:5]
                                        ; implicit-def: $vgpr16
	s_and_saveexec_b64 s[4:5], s[14:15]
	s_cbranch_execnz .LBB1000_138
.LBB1000_153:
	s_or_b64 exec, exec, s[4:5]
                                        ; implicit-def: $vgpr17
	s_and_saveexec_b64 s[4:5], s[16:17]
	s_cbranch_execz .LBB1000_139
.LBB1000_154:
	global_load_dword v17, v[4:5], off offset:1792
	s_or_b64 exec, exec, s[4:5]
                                        ; implicit-def: $vgpr18
	s_and_saveexec_b64 s[4:5], s[18:19]
	s_cbranch_execnz .LBB1000_140
.LBB1000_155:
	s_or_b64 exec, exec, s[4:5]
                                        ; implicit-def: $vgpr19
	s_and_saveexec_b64 s[4:5], s[20:21]
	s_cbranch_execz .LBB1000_141
.LBB1000_156:
	global_load_dword v19, v[4:5], off offset:2304
	s_or_b64 exec, exec, s[4:5]
                                        ; implicit-def: $vgpr20
	s_and_saveexec_b64 s[4:5], s[22:23]
	s_cbranch_execnz .LBB1000_142
.LBB1000_157:
	s_or_b64 exec, exec, s[4:5]
                                        ; implicit-def: $vgpr21
	s_and_saveexec_b64 s[4:5], s[24:25]
	s_cbranch_execz .LBB1000_143
.LBB1000_158:
	global_load_dword v21, v[4:5], off offset:2816
	s_or_b64 exec, exec, s[4:5]
                                        ; implicit-def: $vgpr22
	s_and_saveexec_b64 s[4:5], s[26:27]
	s_cbranch_execnz .LBB1000_144
.LBB1000_159:
	s_or_b64 exec, exec, s[4:5]
                                        ; implicit-def: $vgpr23
	s_and_saveexec_b64 s[4:5], s[28:29]
	s_cbranch_execz .LBB1000_145
.LBB1000_160:
	global_load_dword v23, v[4:5], off offset:3328
	s_or_b64 exec, exec, s[4:5]
                                        ; implicit-def: $vgpr24
	s_and_saveexec_b64 s[4:5], s[30:31]
	s_cbranch_execnz .LBB1000_146
.LBB1000_161:
	s_or_b64 exec, exec, s[4:5]
                                        ; implicit-def: $vgpr25
	s_and_saveexec_b64 s[4:5], s[34:35]
	s_cbranch_execz .LBB1000_163
.LBB1000_162:
	global_load_dword v25, v[4:5], off offset:3840
.LBB1000_163:
	s_or_b64 exec, exec, s[4:5]
	s_mov_b32 s6, 0
	s_mov_b32 s7, 0
	s_movk_i32 s8, 0x1000
	v_mov_b32_e32 v5, 0
	s_movk_i32 s9, 0x400
	s_movk_i32 s10, 0x800
	;; [unrolled: 1-line block ×3, first 2 shown]
	s_mov_b32 s12, 0
	v_mov_b32_e32 v26, v2
	s_branch .LBB1000_165
.LBB1000_164:                           ;   in Loop: Header=BB1000_165 Depth=1
	s_or_b64 exec, exec, s[4:5]
	s_addk_i32 s12, 0xc000
	s_addk_i32 s7, 0xf000
	s_add_i32 s6, s6, 16
	s_cmp_eq_u32 s12, 0xffff0000
	v_add_u32_e32 v26, 0x1000, v26
	s_barrier
	s_cbranch_scc1 .LBB1000_205
.LBB1000_165:                           ; =>This Inner Loop Header: Depth=1
	v_add_u32_e32 v4, s7, v10
	v_cmp_gt_u32_e32 vcc, s8, v4
	s_and_saveexec_b64 s[4:5], vcc
	s_cbranch_execz .LBB1000_167
; %bb.166:                              ;   in Loop: Header=BB1000_165 Depth=1
	v_add_u32_e32 v4, s12, v30
	s_waitcnt vmcnt(0)
	ds_write_b32 v4, v6
.LBB1000_167:                           ;   in Loop: Header=BB1000_165 Depth=1
	s_or_b64 exec, exec, s[4:5]
	v_add_u32_e32 v4, s7, v28
	v_cmp_gt_u32_e32 vcc, s8, v4
	s_and_saveexec_b64 s[4:5], vcc
	s_cbranch_execz .LBB1000_169
; %bb.168:                              ;   in Loop: Header=BB1000_165 Depth=1
	v_add_u32_e32 v4, s12, v33
	s_waitcnt vmcnt(0)
	ds_write_b32 v4, v7
.LBB1000_169:                           ;   in Loop: Header=BB1000_165 Depth=1
	s_or_b64 exec, exec, s[4:5]
	v_add_u32_e32 v4, s7, v31
	v_cmp_gt_u32_e32 vcc, s8, v4
	s_and_saveexec_b64 s[4:5], vcc
	s_cbranch_execz .LBB1000_171
; %bb.170:                              ;   in Loop: Header=BB1000_165 Depth=1
	v_add_u32_e32 v4, s12, v36
	s_waitcnt vmcnt(0)
	ds_write_b32 v4, v8
.LBB1000_171:                           ;   in Loop: Header=BB1000_165 Depth=1
	s_or_b64 exec, exec, s[4:5]
	v_add_u32_e32 v4, s7, v35
	v_cmp_gt_u32_e32 vcc, s8, v4
	s_and_saveexec_b64 s[4:5], vcc
	s_cbranch_execz .LBB1000_173
; %bb.172:                              ;   in Loop: Header=BB1000_165 Depth=1
	v_add_u32_e32 v4, s12, v40
	s_waitcnt vmcnt(0)
	ds_write_b32 v4, v9
.LBB1000_173:                           ;   in Loop: Header=BB1000_165 Depth=1
	s_or_b64 exec, exec, s[4:5]
	v_add_u32_e32 v4, s7, v38
	v_cmp_gt_u32_e32 vcc, s8, v4
	s_and_saveexec_b64 s[4:5], vcc
	s_cbranch_execz .LBB1000_175
; %bb.174:                              ;   in Loop: Header=BB1000_165 Depth=1
	v_add_u32_e32 v4, s12, v43
	s_waitcnt vmcnt(0)
	ds_write_b32 v4, v14
.LBB1000_175:                           ;   in Loop: Header=BB1000_165 Depth=1
	s_or_b64 exec, exec, s[4:5]
	v_add_u32_e32 v4, s7, v42
	v_cmp_gt_u32_e32 vcc, s8, v4
	s_and_saveexec_b64 s[4:5], vcc
	s_cbranch_execz .LBB1000_177
; %bb.176:                              ;   in Loop: Header=BB1000_165 Depth=1
	v_add_u32_e32 v4, s12, v47
	s_waitcnt vmcnt(0)
	ds_write_b32 v4, v15
.LBB1000_177:                           ;   in Loop: Header=BB1000_165 Depth=1
	s_or_b64 exec, exec, s[4:5]
	v_add_u32_e32 v4, s7, v45
	v_cmp_gt_u32_e32 vcc, s8, v4
	s_and_saveexec_b64 s[4:5], vcc
	s_cbranch_execz .LBB1000_179
; %bb.178:                              ;   in Loop: Header=BB1000_165 Depth=1
	v_add_u32_e32 v4, s12, v50
	s_waitcnt vmcnt(0)
	ds_write_b32 v4, v16
.LBB1000_179:                           ;   in Loop: Header=BB1000_165 Depth=1
	s_or_b64 exec, exec, s[4:5]
	v_add_u32_e32 v4, s7, v48
	v_cmp_gt_u32_e32 vcc, s8, v4
	s_and_saveexec_b64 s[4:5], vcc
	s_cbranch_execz .LBB1000_181
; %bb.180:                              ;   in Loop: Header=BB1000_165 Depth=1
	v_add_u32_e32 v4, s12, v53
	s_waitcnt vmcnt(0)
	ds_write_b32 v4, v17
.LBB1000_181:                           ;   in Loop: Header=BB1000_165 Depth=1
	s_or_b64 exec, exec, s[4:5]
	v_add_u32_e32 v4, s7, v51
	v_cmp_gt_u32_e32 vcc, s8, v4
	s_and_saveexec_b64 s[4:5], vcc
	s_cbranch_execz .LBB1000_183
; %bb.182:                              ;   in Loop: Header=BB1000_165 Depth=1
	v_add_u32_e32 v4, s12, v56
	s_waitcnt vmcnt(0)
	ds_write_b32 v4, v18
.LBB1000_183:                           ;   in Loop: Header=BB1000_165 Depth=1
	s_or_b64 exec, exec, s[4:5]
	v_add_u32_e32 v4, s7, v54
	v_cmp_gt_u32_e32 vcc, s8, v4
	s_and_saveexec_b64 s[4:5], vcc
	s_cbranch_execz .LBB1000_185
; %bb.184:                              ;   in Loop: Header=BB1000_165 Depth=1
	v_add_u32_e32 v4, s12, v58
	s_waitcnt vmcnt(0)
	ds_write_b32 v4, v19
.LBB1000_185:                           ;   in Loop: Header=BB1000_165 Depth=1
	s_or_b64 exec, exec, s[4:5]
	v_add_u32_e32 v4, s7, v57
	v_cmp_gt_u32_e32 vcc, s8, v4
	s_and_saveexec_b64 s[4:5], vcc
	s_cbranch_execz .LBB1000_187
; %bb.186:                              ;   in Loop: Header=BB1000_165 Depth=1
	v_add_u32_e32 v4, s12, v55
	s_waitcnt vmcnt(0)
	ds_write_b32 v4, v20
.LBB1000_187:                           ;   in Loop: Header=BB1000_165 Depth=1
	s_or_b64 exec, exec, s[4:5]
	v_add_u32_e32 v4, s7, v52
	v_cmp_gt_u32_e32 vcc, s8, v4
	s_and_saveexec_b64 s[4:5], vcc
	s_cbranch_execz .LBB1000_189
; %bb.188:                              ;   in Loop: Header=BB1000_165 Depth=1
	v_add_u32_e32 v4, s12, v49
	s_waitcnt vmcnt(0)
	ds_write_b32 v4, v21
.LBB1000_189:                           ;   in Loop: Header=BB1000_165 Depth=1
	s_or_b64 exec, exec, s[4:5]
	v_add_u32_e32 v4, s7, v46
	v_cmp_gt_u32_e32 vcc, s8, v4
	s_and_saveexec_b64 s[4:5], vcc
	s_cbranch_execz .LBB1000_191
; %bb.190:                              ;   in Loop: Header=BB1000_165 Depth=1
	v_add_u32_e32 v4, s12, v44
	s_waitcnt vmcnt(0)
	ds_write_b32 v4, v22
.LBB1000_191:                           ;   in Loop: Header=BB1000_165 Depth=1
	s_or_b64 exec, exec, s[4:5]
	v_add_u32_e32 v4, s7, v41
	v_cmp_gt_u32_e32 vcc, s8, v4
	s_and_saveexec_b64 s[4:5], vcc
	s_cbranch_execz .LBB1000_193
; %bb.192:                              ;   in Loop: Header=BB1000_165 Depth=1
	v_add_u32_e32 v4, s12, v39
	s_waitcnt vmcnt(0)
	ds_write_b32 v4, v23
.LBB1000_193:                           ;   in Loop: Header=BB1000_165 Depth=1
	s_or_b64 exec, exec, s[4:5]
	v_add_u32_e32 v4, s7, v29
	v_cmp_gt_u32_e32 vcc, s8, v4
	s_and_saveexec_b64 s[4:5], vcc
	s_cbranch_execz .LBB1000_195
; %bb.194:                              ;   in Loop: Header=BB1000_165 Depth=1
	v_add_u32_e32 v4, s12, v13
	s_waitcnt vmcnt(0)
	ds_write_b32 v4, v24
.LBB1000_195:                           ;   in Loop: Header=BB1000_165 Depth=1
	s_or_b64 exec, exec, s[4:5]
	v_add_u32_e32 v4, s7, v12
	v_cmp_gt_u32_e32 vcc, s8, v4
	s_and_saveexec_b64 s[4:5], vcc
	s_cbranch_execz .LBB1000_197
; %bb.196:                              ;   in Loop: Header=BB1000_165 Depth=1
	v_add_u32_e32 v4, s12, v11
	s_waitcnt vmcnt(0)
	ds_write_b32 v4, v25
.LBB1000_197:                           ;   in Loop: Header=BB1000_165 Depth=1
	s_or_b64 exec, exec, s[4:5]
	v_cmp_gt_u32_e32 vcc, s3, v26
	s_waitcnt lgkmcnt(0)
	s_barrier
	s_and_saveexec_b64 s[4:5], vcc
	s_cbranch_execz .LBB1000_199
; %bb.198:                              ;   in Loop: Header=BB1000_165 Depth=1
	scratch_load_dword v4, off, s6
	s_waitcnt vmcnt(0)
	v_lshlrev_b32_e32 v4, 2, v4
	ds_read_b32 v4, v4
	ds_read_b32 v27, v37 offset:1024
	s_waitcnt lgkmcnt(1)
	v_add_u32_e32 v4, v26, v4
	v_lshl_add_u64 v[60:61], v[4:5], 2, s[58:59]
	s_waitcnt lgkmcnt(0)
	global_store_dword v[60:61], v27, off
.LBB1000_199:                           ;   in Loop: Header=BB1000_165 Depth=1
	s_or_b64 exec, exec, s[4:5]
	v_add_u32_e32 v4, 0x400, v26
	v_cmp_gt_u32_e32 vcc, s3, v4
	s_and_saveexec_b64 s[4:5], vcc
	s_cbranch_execz .LBB1000_201
; %bb.200:                              ;   in Loop: Header=BB1000_165 Depth=1
	s_add_i32 s13, s6, 4
	scratch_load_dword v4, off, s13
	s_waitcnt vmcnt(0)
	v_lshlrev_b32_e32 v4, 2, v4
	ds_read_b32 v4, v4
	ds_read_b32 v27, v37 offset:5120
	s_waitcnt lgkmcnt(1)
	v_add3_u32 v4, v26, v4, s9
	v_lshl_add_u64 v[60:61], v[4:5], 2, s[58:59]
	s_waitcnt lgkmcnt(0)
	global_store_dword v[60:61], v27, off
.LBB1000_201:                           ;   in Loop: Header=BB1000_165 Depth=1
	s_or_b64 exec, exec, s[4:5]
	v_add_u32_e32 v4, 0x800, v26
	v_cmp_gt_u32_e32 vcc, s3, v4
	s_and_saveexec_b64 s[4:5], vcc
	s_cbranch_execz .LBB1000_203
; %bb.202:                              ;   in Loop: Header=BB1000_165 Depth=1
	s_add_i32 s13, s6, 8
	scratch_load_dword v4, off, s13
	s_waitcnt vmcnt(0)
	v_lshlrev_b32_e32 v4, 2, v4
	ds_read_b32 v4, v4
	ds_read_b32 v27, v37 offset:9216
	s_waitcnt lgkmcnt(1)
	v_add3_u32 v4, v26, v4, s10
	v_lshl_add_u64 v[60:61], v[4:5], 2, s[58:59]
	s_waitcnt lgkmcnt(0)
	global_store_dword v[60:61], v27, off
.LBB1000_203:                           ;   in Loop: Header=BB1000_165 Depth=1
	s_or_b64 exec, exec, s[4:5]
	v_add_u32_e32 v4, 0xc00, v26
	v_cmp_gt_u32_e32 vcc, s3, v4
	s_and_saveexec_b64 s[4:5], vcc
	s_cbranch_execz .LBB1000_164
; %bb.204:                              ;   in Loop: Header=BB1000_165 Depth=1
	s_add_i32 s13, s6, 12
	scratch_load_dword v4, off, s13
	s_waitcnt vmcnt(0)
	v_lshlrev_b32_e32 v4, 2, v4
	ds_read_b32 v4, v4
	ds_read_b32 v27, v37 offset:13312
	s_waitcnt lgkmcnt(1)
	v_add3_u32 v4, v26, v4, s11
	v_lshl_add_u64 v[60:61], v[4:5], 2, s[58:59]
	s_waitcnt lgkmcnt(0)
	global_store_dword v[60:61], v27, off
	s_branch .LBB1000_164
.LBB1000_205:
	s_add_i32 s70, s70, -1
	s_cmp_eq_u32 s33, s70
	s_cselect_b64 s[4:5], -1, 0
	s_xor_b64 s[6:7], s[36:37], -1
	s_and_b64 s[6:7], s[6:7], s[4:5]
	s_and_saveexec_b64 s[4:5], s[6:7]
	s_cbranch_execz .LBB1000_207
; %bb.206:
	ds_read_b32 v4, v37
	s_waitcnt lgkmcnt(0)
	v_add3_u32 v4, v32, v34, v4
	global_store_dword v37, v4, s[62:63]
.LBB1000_207:
	s_or_b64 exec, exec, s[4:5]
	s_mov_b64 s[4:5], 0
.LBB1000_208:
	s_and_b64 vcc, exec, s[4:5]
	s_cbranch_vccz .LBB1000_331
; %bb.209:
	s_lshl_b32 s4, s33, 14
	s_mov_b32 s5, 0
	s_load_dword s12, s[0:1], 0x58
	s_load_dword s3, s[0:1], 0x64
	s_lshl_b64 s[8:9], s[4:5], 2
	v_mbcnt_hi_u32_b32 v10, -1, v3
	s_add_u32 s4, s52, s8
	v_and_b32_e32 v3, 63, v10
	s_waitcnt vmcnt(0)
	v_and_b32_e32 v6, 0x3c00, v1
	v_mov_b32_e32 v1, 0
	s_addc_u32 s5, s53, s9
	v_lshlrev_b32_e32 v4, 2, v3
	v_mov_b32_e32 v5, v1
	v_lshl_add_u64 v[8:9], s[4:5], 0, v[4:5]
	v_lshlrev_b32_e32 v6, 2, v6
	v_mov_b32_e32 v7, v1
	s_add_u32 s0, s0, 0x58
	v_lshl_add_u64 v[8:9], v[8:9], 0, v[6:7]
	s_addc_u32 s1, s1, 0
	s_waitcnt lgkmcnt(0)
	s_lshr_b32 s3, s3, 16
	global_load_dword v3, v[8:9], off
	s_cmp_lt_u32 s2, s12
	s_cselect_b32 s2, 12, 18
	s_add_u32 s0, s0, s2
	s_addc_u32 s1, s1, 0
	global_load_ushort v13, v1, s[0:1]
	v_mul_u32_u24_e32 v11, 20, v2
	ds_write2_b32 v11, v1, v1 offset0:16 offset1:17
	ds_write2_b32 v11, v1, v1 offset0:18 offset1:19
	ds_write_b32 v11, v1 offset:80
	global_load_dword v5, v[8:9], off offset:256
	global_load_dword v7, v[8:9], off offset:512
	;; [unrolled: 1-line block ×15, first 2 shown]
	v_bfe_u32 v14, v0, 10, 10
	v_bfe_u32 v0, v0, 20, 10
	v_mad_u32_u24 v8, v0, s3, v14
	s_lshl_b32 s0, -1, s65
	v_mov_b32_e32 v16, v1
	v_mov_b32_e32 v26, v1
	s_not_b32 s13, s0
	v_mov_b32_e32 v20, v1
	s_movk_i32 s6, 0x44
	s_waitcnt lgkmcnt(0)
	s_barrier
	s_waitcnt vmcnt(16)
	; wave barrier
	v_xor_b32_e32 v3, 0x7fffffff, v3
	v_lshrrev_b32_e32 v0, s64, v3
	v_bitop3_b32 v14, v0, s0, v0 bitop3:0x30
	v_and_b32_e32 v0, 1, v14
	v_lshlrev_b32_e32 v17, 30, v14
	v_lshlrev_b32_e32 v21, 29, v14
	;; [unrolled: 1-line block ×3, first 2 shown]
	s_waitcnt vmcnt(15)
	v_mad_u64_u32 v[8:9], s[0:1], v8, v13, v[2:3]
	v_lshl_add_u64 v[32:33], v[0:1], 0, -1
	v_cmp_ne_u32_e32 vcc, 0, v0
	v_not_b32_e32 v0, v17
	v_cmp_gt_i64_e64 s[0:1], 0, v[16:17]
	v_not_b32_e32 v9, v21
	v_cmp_gt_i64_e64 s[4:5], 0, v[26:27]
	v_not_b32_e32 v13, v27
	v_lshrrev_b32_e32 v27, 6, v8
	v_xor_b32_e32 v8, vcc_hi, v33
	v_ashrrev_i32_e32 v0, 31, v0
	v_cmp_gt_i64_e64 s[2:3], 0, v[20:21]
	v_xor_b32_e32 v16, vcc_lo, v32
	v_ashrrev_i32_e32 v9, 31, v9
	v_and_b32_e32 v8, exec_hi, v8
	v_xor_b32_e32 v17, s1, v0
	v_ashrrev_i32_e32 v13, 31, v13
	v_and_b32_e32 v16, exec_lo, v16
	v_xor_b32_e32 v0, s0, v0
	v_xor_b32_e32 v20, s3, v9
	v_and_b32_e32 v8, v8, v17
	v_xor_b32_e32 v9, s2, v9
	v_xor_b32_e32 v21, s5, v13
	v_and_b32_e32 v0, v16, v0
	v_and_b32_e32 v8, v8, v20
	;; [unrolled: 1-line block ×4, first 2 shown]
	v_lshlrev_b32_e32 v9, 27, v14
	v_mov_b32_e32 v8, v1
	v_cmp_gt_i64_e32 vcc, 0, v[8:9]
	v_not_b32_e32 v8, v9
	v_xor_b32_e32 v13, s4, v13
	v_ashrrev_i32_e32 v8, 31, v8
	v_and_b32_e32 v0, v0, v13
	v_xor_b32_e32 v9, vcc_hi, v8
	v_xor_b32_e32 v8, vcc_lo, v8
	v_and_b32_e32 v13, v16, v9
	v_and_b32_e32 v0, v0, v8
	v_lshlrev_b32_e32 v9, 26, v14
	v_mov_b32_e32 v8, v1
	v_cmp_gt_i64_e32 vcc, 0, v[8:9]
	v_not_b32_e32 v8, v9
	v_ashrrev_i32_e32 v8, 31, v8
	v_xor_b32_e32 v9, vcc_hi, v8
	v_xor_b32_e32 v8, vcc_lo, v8
	v_and_b32_e32 v13, v13, v9
	v_and_b32_e32 v0, v0, v8
	v_lshlrev_b32_e32 v9, 25, v14
	v_mov_b32_e32 v8, v1
	v_cmp_gt_i64_e32 vcc, 0, v[8:9]
	v_not_b32_e32 v8, v9
	v_ashrrev_i32_e32 v8, 31, v8
	;; [unrolled: 9-line block ×3, first 2 shown]
	v_xor_b32_e32 v9, vcc_hi, v8
	v_xor_b32_e32 v8, vcc_lo, v8
	v_and_b32_e32 v8, v0, v8
	v_and_b32_e32 v9, v13, v9
	v_mbcnt_lo_u32_b32 v0, v8, 0
	v_mul_lo_u32 v18, v14, s6
	v_mbcnt_hi_u32_b32 v14, v9, v0
	v_cmp_eq_u32_e32 vcc, 0, v14
	v_cmp_ne_u64_e64 s[0:1], 0, v[8:9]
	v_lshl_add_u32 v18, v27, 2, v18
	s_and_b64 s[2:3], s[0:1], vcc
	s_and_saveexec_b64 s[0:1], s[2:3]
; %bb.210:
	v_bcnt_u32_b32 v0, v8, 0
	v_bcnt_u32_b32 v0, v9, v0
	ds_write_b32 v18, v0 offset:64
; %bb.211:
	s_or_b64 exec, exec, s[0:1]
	s_waitcnt vmcnt(14)
	v_xor_b32_e32 v5, 0x7fffffff, v5
	v_lshrrev_b32_e32 v0, s64, v5
	v_and_b32_e32 v16, s13, v0
	v_mul_lo_u32 v0, v16, s6
	v_lshl_add_u32 v21, v27, 2, v0
	v_and_b32_e32 v0, 1, v16
	v_lshl_add_u64 v[8:9], v[0:1], 0, -1
	v_cmp_ne_u32_e32 vcc, 0, v0
	; wave barrier
	s_nop 1
	v_xor_b32_e32 v8, vcc_lo, v8
	v_xor_b32_e32 v0, vcc_hi, v9
	v_and_b32_e32 v17, exec_lo, v8
	v_lshlrev_b32_e32 v9, 30, v16
	v_mov_b32_e32 v8, v1
	v_cmp_gt_i64_e32 vcc, 0, v[8:9]
	v_not_b32_e32 v8, v9
	v_ashrrev_i32_e32 v8, 31, v8
	v_and_b32_e32 v0, exec_hi, v0
	v_xor_b32_e32 v9, vcc_hi, v8
	v_xor_b32_e32 v8, vcc_lo, v8
	v_and_b32_e32 v0, v0, v9
	v_and_b32_e32 v17, v17, v8
	v_lshlrev_b32_e32 v9, 29, v16
	v_mov_b32_e32 v8, v1
	v_cmp_gt_i64_e32 vcc, 0, v[8:9]
	v_not_b32_e32 v8, v9
	v_ashrrev_i32_e32 v8, 31, v8
	v_xor_b32_e32 v9, vcc_hi, v8
	v_xor_b32_e32 v8, vcc_lo, v8
	v_and_b32_e32 v0, v0, v9
	v_and_b32_e32 v17, v17, v8
	v_lshlrev_b32_e32 v9, 28, v16
	v_mov_b32_e32 v8, v1
	v_cmp_gt_i64_e32 vcc, 0, v[8:9]
	v_not_b32_e32 v8, v9
	v_ashrrev_i32_e32 v8, 31, v8
	;; [unrolled: 9-line block ×5, first 2 shown]
	v_xor_b32_e32 v9, vcc_hi, v8
	v_xor_b32_e32 v8, vcc_lo, v8
	v_and_b32_e32 v0, v0, v9
	v_lshlrev_b32_e32 v9, 24, v16
	v_and_b32_e32 v17, v17, v8
	v_mov_b32_e32 v8, v1
	v_not_b32_e32 v1, v9
	v_cmp_gt_i64_e32 vcc, 0, v[8:9]
	v_ashrrev_i32_e32 v1, 31, v1
	ds_read_b32 v13, v21 offset:64
	v_xor_b32_e32 v8, vcc_hi, v1
	v_xor_b32_e32 v9, vcc_lo, v1
	v_and_b32_e32 v1, v0, v8
	v_and_b32_e32 v0, v17, v9
	v_mbcnt_lo_u32_b32 v8, v0, 0
	v_mbcnt_hi_u32_b32 v16, v1, v8
	v_cmp_eq_u32_e32 vcc, 0, v16
	v_cmp_ne_u64_e64 s[0:1], 0, v[0:1]
	s_and_b64 s[2:3], s[0:1], vcc
	; wave barrier
	s_and_saveexec_b64 s[0:1], s[2:3]
	s_cbranch_execz .LBB1000_213
; %bb.212:
	v_bcnt_u32_b32 v0, v0, 0
	v_bcnt_u32_b32 v0, v1, v0
	s_waitcnt lgkmcnt(0)
	v_add_u32_e32 v0, v13, v0
	ds_write_b32 v21, v0 offset:64
.LBB1000_213:
	s_or_b64 exec, exec, s[0:1]
	s_waitcnt vmcnt(13)
	v_xor_b32_e32 v7, 0x7fffffff, v7
	v_lshrrev_b32_e32 v0, s64, v7
	v_and_b32_e32 v20, s13, v0
	s_movk_i32 s2, 0x44
	v_mul_lo_u32 v0, v20, s2
	v_lshl_add_u32 v26, v27, 2, v0
	v_and_b32_e32 v0, 1, v20
	v_mov_b32_e32 v1, 0
	v_lshl_add_u64 v[8:9], v[0:1], 0, -1
	v_cmp_ne_u32_e32 vcc, 0, v0
	; wave barrier
	s_nop 1
	v_xor_b32_e32 v8, vcc_lo, v8
	v_xor_b32_e32 v0, vcc_hi, v9
	v_and_b32_e32 v22, exec_lo, v8
	v_lshlrev_b32_e32 v9, 30, v20
	v_mov_b32_e32 v8, v1
	v_cmp_gt_i64_e32 vcc, 0, v[8:9]
	v_not_b32_e32 v8, v9
	v_ashrrev_i32_e32 v8, 31, v8
	v_and_b32_e32 v0, exec_hi, v0
	v_xor_b32_e32 v9, vcc_hi, v8
	v_xor_b32_e32 v8, vcc_lo, v8
	v_and_b32_e32 v0, v0, v9
	v_and_b32_e32 v22, v22, v8
	v_lshlrev_b32_e32 v9, 29, v20
	v_mov_b32_e32 v8, v1
	v_cmp_gt_i64_e32 vcc, 0, v[8:9]
	v_not_b32_e32 v8, v9
	v_ashrrev_i32_e32 v8, 31, v8
	v_xor_b32_e32 v9, vcc_hi, v8
	v_xor_b32_e32 v8, vcc_lo, v8
	v_and_b32_e32 v0, v0, v9
	v_and_b32_e32 v22, v22, v8
	v_lshlrev_b32_e32 v9, 28, v20
	v_mov_b32_e32 v8, v1
	v_cmp_gt_i64_e32 vcc, 0, v[8:9]
	v_not_b32_e32 v8, v9
	v_ashrrev_i32_e32 v8, 31, v8
	;; [unrolled: 9-line block ×6, first 2 shown]
	v_xor_b32_e32 v9, vcc_hi, v8
	v_xor_b32_e32 v8, vcc_lo, v8
	ds_read_b32 v17, v26 offset:64
	v_and_b32_e32 v8, v22, v8
	v_and_b32_e32 v9, v0, v9
	v_mbcnt_lo_u32_b32 v0, v8, 0
	v_mbcnt_hi_u32_b32 v20, v9, v0
	v_cmp_eq_u32_e32 vcc, 0, v20
	v_cmp_ne_u64_e64 s[0:1], 0, v[8:9]
	s_and_b64 s[4:5], s[0:1], vcc
	; wave barrier
	s_and_saveexec_b64 s[0:1], s[4:5]
	s_cbranch_execz .LBB1000_215
; %bb.214:
	v_bcnt_u32_b32 v0, v8, 0
	v_bcnt_u32_b32 v0, v9, v0
	s_waitcnt lgkmcnt(0)
	v_add_u32_e32 v0, v17, v0
	ds_write_b32 v26, v0 offset:64
.LBB1000_215:
	s_or_b64 exec, exec, s[0:1]
	s_waitcnt vmcnt(12)
	v_xor_b32_e32 v12, 0x7fffffff, v12
	v_lshrrev_b32_e32 v0, s64, v12
	v_and_b32_e32 v24, s13, v0
	v_mul_lo_u32 v0, v24, s2
	v_lshl_add_u32 v32, v27, 2, v0
	v_and_b32_e32 v0, 1, v24
	v_lshl_add_u64 v[8:9], v[0:1], 0, -1
	v_cmp_ne_u32_e32 vcc, 0, v0
	; wave barrier
	s_nop 1
	v_xor_b32_e32 v8, vcc_lo, v8
	v_xor_b32_e32 v0, vcc_hi, v9
	v_and_b32_e32 v28, exec_lo, v8
	v_lshlrev_b32_e32 v9, 30, v24
	v_mov_b32_e32 v8, v1
	v_cmp_gt_i64_e32 vcc, 0, v[8:9]
	v_not_b32_e32 v8, v9
	v_ashrrev_i32_e32 v8, 31, v8
	v_and_b32_e32 v0, exec_hi, v0
	v_xor_b32_e32 v9, vcc_hi, v8
	v_xor_b32_e32 v8, vcc_lo, v8
	v_and_b32_e32 v0, v0, v9
	v_and_b32_e32 v28, v28, v8
	v_lshlrev_b32_e32 v9, 29, v24
	v_mov_b32_e32 v8, v1
	v_cmp_gt_i64_e32 vcc, 0, v[8:9]
	v_not_b32_e32 v8, v9
	v_ashrrev_i32_e32 v8, 31, v8
	v_xor_b32_e32 v9, vcc_hi, v8
	v_xor_b32_e32 v8, vcc_lo, v8
	v_and_b32_e32 v0, v0, v9
	v_and_b32_e32 v28, v28, v8
	v_lshlrev_b32_e32 v9, 28, v24
	v_mov_b32_e32 v8, v1
	v_cmp_gt_i64_e32 vcc, 0, v[8:9]
	v_not_b32_e32 v8, v9
	v_ashrrev_i32_e32 v8, 31, v8
	;; [unrolled: 9-line block ×5, first 2 shown]
	v_xor_b32_e32 v9, vcc_hi, v8
	v_xor_b32_e32 v8, vcc_lo, v8
	v_and_b32_e32 v0, v0, v9
	v_lshlrev_b32_e32 v9, 24, v24
	v_and_b32_e32 v28, v28, v8
	v_mov_b32_e32 v8, v1
	v_not_b32_e32 v1, v9
	v_cmp_gt_i64_e32 vcc, 0, v[8:9]
	v_ashrrev_i32_e32 v1, 31, v1
	ds_read_b32 v22, v32 offset:64
	v_xor_b32_e32 v8, vcc_hi, v1
	v_xor_b32_e32 v9, vcc_lo, v1
	v_and_b32_e32 v1, v0, v8
	v_and_b32_e32 v0, v28, v9
	v_mbcnt_lo_u32_b32 v8, v0, 0
	v_mbcnt_hi_u32_b32 v24, v1, v8
	v_cmp_eq_u32_e32 vcc, 0, v24
	v_cmp_ne_u64_e64 s[0:1], 0, v[0:1]
	s_and_b64 s[2:3], s[0:1], vcc
	; wave barrier
	s_and_saveexec_b64 s[0:1], s[2:3]
	s_cbranch_execz .LBB1000_217
; %bb.216:
	v_bcnt_u32_b32 v0, v0, 0
	v_bcnt_u32_b32 v0, v1, v0
	s_waitcnt lgkmcnt(0)
	v_add_u32_e32 v0, v22, v0
	ds_write_b32 v32, v0 offset:64
.LBB1000_217:
	s_or_b64 exec, exec, s[0:1]
	s_waitcnt vmcnt(11)
	v_xor_b32_e32 v15, 0x7fffffff, v15
	v_lshrrev_b32_e32 v0, s64, v15
	v_and_b32_e32 v30, s13, v0
	s_movk_i32 s2, 0x44
	v_mul_lo_u32 v0, v30, s2
	v_lshl_add_u32 v37, v27, 2, v0
	v_and_b32_e32 v0, 1, v30
	v_mov_b32_e32 v1, 0
	v_lshl_add_u64 v[8:9], v[0:1], 0, -1
	v_cmp_ne_u32_e32 vcc, 0, v0
	; wave barrier
	s_nop 1
	v_xor_b32_e32 v8, vcc_lo, v8
	v_xor_b32_e32 v0, vcc_hi, v9
	v_and_b32_e32 v33, exec_lo, v8
	v_lshlrev_b32_e32 v9, 30, v30
	v_mov_b32_e32 v8, v1
	v_cmp_gt_i64_e32 vcc, 0, v[8:9]
	v_not_b32_e32 v8, v9
	v_ashrrev_i32_e32 v8, 31, v8
	v_and_b32_e32 v0, exec_hi, v0
	v_xor_b32_e32 v9, vcc_hi, v8
	v_xor_b32_e32 v8, vcc_lo, v8
	v_and_b32_e32 v0, v0, v9
	v_and_b32_e32 v33, v33, v8
	v_lshlrev_b32_e32 v9, 29, v30
	v_mov_b32_e32 v8, v1
	v_cmp_gt_i64_e32 vcc, 0, v[8:9]
	v_not_b32_e32 v8, v9
	v_ashrrev_i32_e32 v8, 31, v8
	v_xor_b32_e32 v9, vcc_hi, v8
	v_xor_b32_e32 v8, vcc_lo, v8
	v_and_b32_e32 v0, v0, v9
	v_and_b32_e32 v33, v33, v8
	v_lshlrev_b32_e32 v9, 28, v30
	v_mov_b32_e32 v8, v1
	v_cmp_gt_i64_e32 vcc, 0, v[8:9]
	v_not_b32_e32 v8, v9
	v_ashrrev_i32_e32 v8, 31, v8
	;; [unrolled: 9-line block ×6, first 2 shown]
	v_xor_b32_e32 v9, vcc_hi, v8
	v_xor_b32_e32 v8, vcc_lo, v8
	ds_read_b32 v28, v37 offset:64
	v_and_b32_e32 v8, v33, v8
	v_and_b32_e32 v9, v0, v9
	v_mbcnt_lo_u32_b32 v0, v8, 0
	v_mbcnt_hi_u32_b32 v30, v9, v0
	v_cmp_eq_u32_e32 vcc, 0, v30
	v_cmp_ne_u64_e64 s[0:1], 0, v[8:9]
	s_and_b64 s[4:5], s[0:1], vcc
	; wave barrier
	s_and_saveexec_b64 s[0:1], s[4:5]
	s_cbranch_execz .LBB1000_219
; %bb.218:
	v_bcnt_u32_b32 v0, v8, 0
	v_bcnt_u32_b32 v0, v9, v0
	s_waitcnt lgkmcnt(0)
	v_add_u32_e32 v0, v28, v0
	ds_write_b32 v37, v0 offset:64
.LBB1000_219:
	s_or_b64 exec, exec, s[0:1]
	s_waitcnt vmcnt(10)
	v_xor_b32_e32 v19, 0x7fffffff, v19
	v_lshrrev_b32_e32 v0, s64, v19
	v_and_b32_e32 v35, s13, v0
	v_mul_lo_u32 v0, v35, s2
	v_lshl_add_u32 v41, v27, 2, v0
	v_and_b32_e32 v0, 1, v35
	v_lshl_add_u64 v[8:9], v[0:1], 0, -1
	v_cmp_ne_u32_e32 vcc, 0, v0
	; wave barrier
	s_nop 1
	v_xor_b32_e32 v8, vcc_lo, v8
	v_xor_b32_e32 v0, vcc_hi, v9
	v_and_b32_e32 v38, exec_lo, v8
	v_lshlrev_b32_e32 v9, 30, v35
	v_mov_b32_e32 v8, v1
	v_cmp_gt_i64_e32 vcc, 0, v[8:9]
	v_not_b32_e32 v8, v9
	v_ashrrev_i32_e32 v8, 31, v8
	v_and_b32_e32 v0, exec_hi, v0
	v_xor_b32_e32 v9, vcc_hi, v8
	v_xor_b32_e32 v8, vcc_lo, v8
	v_and_b32_e32 v0, v0, v9
	v_and_b32_e32 v38, v38, v8
	v_lshlrev_b32_e32 v9, 29, v35
	v_mov_b32_e32 v8, v1
	v_cmp_gt_i64_e32 vcc, 0, v[8:9]
	v_not_b32_e32 v8, v9
	v_ashrrev_i32_e32 v8, 31, v8
	v_xor_b32_e32 v9, vcc_hi, v8
	v_xor_b32_e32 v8, vcc_lo, v8
	v_and_b32_e32 v0, v0, v9
	v_and_b32_e32 v38, v38, v8
	v_lshlrev_b32_e32 v9, 28, v35
	v_mov_b32_e32 v8, v1
	v_cmp_gt_i64_e32 vcc, 0, v[8:9]
	v_not_b32_e32 v8, v9
	v_ashrrev_i32_e32 v8, 31, v8
	;; [unrolled: 9-line block ×5, first 2 shown]
	v_xor_b32_e32 v9, vcc_hi, v8
	v_xor_b32_e32 v8, vcc_lo, v8
	v_and_b32_e32 v0, v0, v9
	v_lshlrev_b32_e32 v9, 24, v35
	v_and_b32_e32 v38, v38, v8
	v_mov_b32_e32 v8, v1
	v_not_b32_e32 v1, v9
	v_cmp_gt_i64_e32 vcc, 0, v[8:9]
	v_ashrrev_i32_e32 v1, 31, v1
	ds_read_b32 v33, v41 offset:64
	v_xor_b32_e32 v8, vcc_hi, v1
	v_xor_b32_e32 v9, vcc_lo, v1
	v_and_b32_e32 v1, v0, v8
	v_and_b32_e32 v0, v38, v9
	v_mbcnt_lo_u32_b32 v8, v0, 0
	v_mbcnt_hi_u32_b32 v35, v1, v8
	v_cmp_eq_u32_e32 vcc, 0, v35
	v_cmp_ne_u64_e64 s[0:1], 0, v[0:1]
	s_and_b64 s[2:3], s[0:1], vcc
	; wave barrier
	s_and_saveexec_b64 s[0:1], s[2:3]
	s_cbranch_execz .LBB1000_221
; %bb.220:
	v_bcnt_u32_b32 v0, v0, 0
	v_bcnt_u32_b32 v0, v1, v0
	s_waitcnt lgkmcnt(0)
	v_add_u32_e32 v0, v33, v0
	ds_write_b32 v41, v0 offset:64
.LBB1000_221:
	s_or_b64 exec, exec, s[0:1]
	s_waitcnt vmcnt(9)
	v_xor_b32_e32 v23, 0x7fffffff, v23
	v_lshrrev_b32_e32 v0, s64, v23
	v_and_b32_e32 v42, s13, v0
	s_movk_i32 s2, 0x44
	v_mul_lo_u32 v0, v42, s2
	v_lshl_add_u32 v46, v27, 2, v0
	v_and_b32_e32 v0, 1, v42
	v_mov_b32_e32 v1, 0
	v_lshl_add_u64 v[8:9], v[0:1], 0, -1
	v_cmp_ne_u32_e32 vcc, 0, v0
	; wave barrier
	s_nop 1
	v_xor_b32_e32 v8, vcc_lo, v8
	v_xor_b32_e32 v0, vcc_hi, v9
	v_and_b32_e32 v43, exec_lo, v8
	v_lshlrev_b32_e32 v9, 30, v42
	v_mov_b32_e32 v8, v1
	v_cmp_gt_i64_e32 vcc, 0, v[8:9]
	v_not_b32_e32 v8, v9
	v_ashrrev_i32_e32 v8, 31, v8
	v_and_b32_e32 v0, exec_hi, v0
	v_xor_b32_e32 v9, vcc_hi, v8
	v_xor_b32_e32 v8, vcc_lo, v8
	v_and_b32_e32 v0, v0, v9
	v_and_b32_e32 v43, v43, v8
	v_lshlrev_b32_e32 v9, 29, v42
	v_mov_b32_e32 v8, v1
	v_cmp_gt_i64_e32 vcc, 0, v[8:9]
	v_not_b32_e32 v8, v9
	v_ashrrev_i32_e32 v8, 31, v8
	v_xor_b32_e32 v9, vcc_hi, v8
	v_xor_b32_e32 v8, vcc_lo, v8
	v_and_b32_e32 v0, v0, v9
	v_and_b32_e32 v43, v43, v8
	v_lshlrev_b32_e32 v9, 28, v42
	v_mov_b32_e32 v8, v1
	v_cmp_gt_i64_e32 vcc, 0, v[8:9]
	v_not_b32_e32 v8, v9
	v_ashrrev_i32_e32 v8, 31, v8
	;; [unrolled: 9-line block ×6, first 2 shown]
	v_xor_b32_e32 v9, vcc_hi, v8
	v_xor_b32_e32 v8, vcc_lo, v8
	ds_read_b32 v38, v46 offset:64
	v_and_b32_e32 v8, v43, v8
	v_and_b32_e32 v9, v0, v9
	v_mbcnt_lo_u32_b32 v0, v8, 0
	v_mbcnt_hi_u32_b32 v42, v9, v0
	v_cmp_eq_u32_e32 vcc, 0, v42
	v_cmp_ne_u64_e64 s[0:1], 0, v[8:9]
	s_and_b64 s[4:5], s[0:1], vcc
	; wave barrier
	s_and_saveexec_b64 s[0:1], s[4:5]
	s_cbranch_execz .LBB1000_223
; %bb.222:
	v_bcnt_u32_b32 v0, v8, 0
	v_bcnt_u32_b32 v0, v9, v0
	s_waitcnt lgkmcnt(0)
	v_add_u32_e32 v0, v38, v0
	ds_write_b32 v46, v0 offset:64
.LBB1000_223:
	s_or_b64 exec, exec, s[0:1]
	s_waitcnt vmcnt(8)
	v_xor_b32_e32 v29, 0x7fffffff, v29
	v_lshrrev_b32_e32 v0, s64, v29
	v_and_b32_e32 v47, s13, v0
	v_mul_lo_u32 v0, v47, s2
	v_lshl_add_u32 v49, v27, 2, v0
	v_and_b32_e32 v0, 1, v47
	v_lshl_add_u64 v[8:9], v[0:1], 0, -1
	v_cmp_ne_u32_e32 vcc, 0, v0
	; wave barrier
	s_nop 1
	v_xor_b32_e32 v8, vcc_lo, v8
	v_xor_b32_e32 v0, vcc_hi, v9
	v_and_b32_e32 v48, exec_lo, v8
	v_lshlrev_b32_e32 v9, 30, v47
	v_mov_b32_e32 v8, v1
	v_cmp_gt_i64_e32 vcc, 0, v[8:9]
	v_not_b32_e32 v8, v9
	v_ashrrev_i32_e32 v8, 31, v8
	v_and_b32_e32 v0, exec_hi, v0
	v_xor_b32_e32 v9, vcc_hi, v8
	v_xor_b32_e32 v8, vcc_lo, v8
	v_and_b32_e32 v0, v0, v9
	v_and_b32_e32 v48, v48, v8
	v_lshlrev_b32_e32 v9, 29, v47
	v_mov_b32_e32 v8, v1
	v_cmp_gt_i64_e32 vcc, 0, v[8:9]
	v_not_b32_e32 v8, v9
	v_ashrrev_i32_e32 v8, 31, v8
	v_xor_b32_e32 v9, vcc_hi, v8
	v_xor_b32_e32 v8, vcc_lo, v8
	v_and_b32_e32 v0, v0, v9
	v_and_b32_e32 v48, v48, v8
	v_lshlrev_b32_e32 v9, 28, v47
	v_mov_b32_e32 v8, v1
	v_cmp_gt_i64_e32 vcc, 0, v[8:9]
	v_not_b32_e32 v8, v9
	v_ashrrev_i32_e32 v8, 31, v8
	;; [unrolled: 9-line block ×5, first 2 shown]
	v_xor_b32_e32 v9, vcc_hi, v8
	v_xor_b32_e32 v8, vcc_lo, v8
	v_and_b32_e32 v0, v0, v9
	v_lshlrev_b32_e32 v9, 24, v47
	v_and_b32_e32 v48, v48, v8
	v_mov_b32_e32 v8, v1
	v_not_b32_e32 v1, v9
	v_cmp_gt_i64_e32 vcc, 0, v[8:9]
	v_ashrrev_i32_e32 v1, 31, v1
	ds_read_b32 v43, v49 offset:64
	v_xor_b32_e32 v8, vcc_hi, v1
	v_xor_b32_e32 v9, vcc_lo, v1
	v_and_b32_e32 v1, v0, v8
	v_and_b32_e32 v0, v48, v9
	v_mbcnt_lo_u32_b32 v8, v0, 0
	v_mbcnt_hi_u32_b32 v47, v1, v8
	v_cmp_eq_u32_e32 vcc, 0, v47
	v_cmp_ne_u64_e64 s[0:1], 0, v[0:1]
	s_and_b64 s[2:3], s[0:1], vcc
	; wave barrier
	s_and_saveexec_b64 s[0:1], s[2:3]
	s_cbranch_execz .LBB1000_225
; %bb.224:
	v_bcnt_u32_b32 v0, v0, 0
	v_bcnt_u32_b32 v0, v1, v0
	s_waitcnt lgkmcnt(0)
	v_add_u32_e32 v0, v43, v0
	ds_write_b32 v49, v0 offset:64
.LBB1000_225:
	s_or_b64 exec, exec, s[0:1]
	s_waitcnt vmcnt(7)
	v_xor_b32_e32 v34, 0x7fffffff, v34
	v_lshrrev_b32_e32 v0, s64, v34
	v_and_b32_e32 v50, s13, v0
	s_movk_i32 s2, 0x44
	v_mul_lo_u32 v0, v50, s2
	v_lshl_add_u32 v52, v27, 2, v0
	v_and_b32_e32 v0, 1, v50
	v_mov_b32_e32 v1, 0
	v_lshl_add_u64 v[8:9], v[0:1], 0, -1
	v_cmp_ne_u32_e32 vcc, 0, v0
	; wave barrier
	s_nop 1
	v_xor_b32_e32 v8, vcc_lo, v8
	v_xor_b32_e32 v0, vcc_hi, v9
	v_and_b32_e32 v51, exec_lo, v8
	v_lshlrev_b32_e32 v9, 30, v50
	v_mov_b32_e32 v8, v1
	v_cmp_gt_i64_e32 vcc, 0, v[8:9]
	v_not_b32_e32 v8, v9
	v_ashrrev_i32_e32 v8, 31, v8
	v_and_b32_e32 v0, exec_hi, v0
	v_xor_b32_e32 v9, vcc_hi, v8
	v_xor_b32_e32 v8, vcc_lo, v8
	v_and_b32_e32 v0, v0, v9
	v_and_b32_e32 v51, v51, v8
	v_lshlrev_b32_e32 v9, 29, v50
	v_mov_b32_e32 v8, v1
	v_cmp_gt_i64_e32 vcc, 0, v[8:9]
	v_not_b32_e32 v8, v9
	v_ashrrev_i32_e32 v8, 31, v8
	v_xor_b32_e32 v9, vcc_hi, v8
	v_xor_b32_e32 v8, vcc_lo, v8
	v_and_b32_e32 v0, v0, v9
	v_and_b32_e32 v51, v51, v8
	v_lshlrev_b32_e32 v9, 28, v50
	v_mov_b32_e32 v8, v1
	v_cmp_gt_i64_e32 vcc, 0, v[8:9]
	v_not_b32_e32 v8, v9
	v_ashrrev_i32_e32 v8, 31, v8
	;; [unrolled: 9-line block ×6, first 2 shown]
	v_xor_b32_e32 v9, vcc_hi, v8
	v_xor_b32_e32 v8, vcc_lo, v8
	ds_read_b32 v48, v52 offset:64
	v_and_b32_e32 v8, v51, v8
	v_and_b32_e32 v9, v0, v9
	v_mbcnt_lo_u32_b32 v0, v8, 0
	v_mbcnt_hi_u32_b32 v50, v9, v0
	v_cmp_eq_u32_e32 vcc, 0, v50
	v_cmp_ne_u64_e64 s[0:1], 0, v[8:9]
	s_and_b64 s[4:5], s[0:1], vcc
	; wave barrier
	s_and_saveexec_b64 s[0:1], s[4:5]
	s_cbranch_execz .LBB1000_227
; %bb.226:
	v_bcnt_u32_b32 v0, v8, 0
	v_bcnt_u32_b32 v0, v9, v0
	s_waitcnt lgkmcnt(0)
	v_add_u32_e32 v0, v48, v0
	ds_write_b32 v52, v0 offset:64
.LBB1000_227:
	s_or_b64 exec, exec, s[0:1]
	s_waitcnt vmcnt(6)
	v_xor_b32_e32 v39, 0x7fffffff, v39
	v_lshrrev_b32_e32 v0, s64, v39
	v_and_b32_e32 v53, s13, v0
	v_mul_lo_u32 v0, v53, s2
	v_lshl_add_u32 v55, v27, 2, v0
	v_and_b32_e32 v0, 1, v53
	v_lshl_add_u64 v[8:9], v[0:1], 0, -1
	v_cmp_ne_u32_e32 vcc, 0, v0
	; wave barrier
	s_nop 1
	v_xor_b32_e32 v8, vcc_lo, v8
	v_xor_b32_e32 v0, vcc_hi, v9
	v_and_b32_e32 v54, exec_lo, v8
	v_lshlrev_b32_e32 v9, 30, v53
	v_mov_b32_e32 v8, v1
	v_cmp_gt_i64_e32 vcc, 0, v[8:9]
	v_not_b32_e32 v8, v9
	v_ashrrev_i32_e32 v8, 31, v8
	v_and_b32_e32 v0, exec_hi, v0
	v_xor_b32_e32 v9, vcc_hi, v8
	v_xor_b32_e32 v8, vcc_lo, v8
	v_and_b32_e32 v0, v0, v9
	v_and_b32_e32 v54, v54, v8
	v_lshlrev_b32_e32 v9, 29, v53
	v_mov_b32_e32 v8, v1
	v_cmp_gt_i64_e32 vcc, 0, v[8:9]
	v_not_b32_e32 v8, v9
	v_ashrrev_i32_e32 v8, 31, v8
	v_xor_b32_e32 v9, vcc_hi, v8
	v_xor_b32_e32 v8, vcc_lo, v8
	v_and_b32_e32 v0, v0, v9
	v_and_b32_e32 v54, v54, v8
	v_lshlrev_b32_e32 v9, 28, v53
	v_mov_b32_e32 v8, v1
	v_cmp_gt_i64_e32 vcc, 0, v[8:9]
	v_not_b32_e32 v8, v9
	v_ashrrev_i32_e32 v8, 31, v8
	;; [unrolled: 9-line block ×5, first 2 shown]
	v_xor_b32_e32 v9, vcc_hi, v8
	v_xor_b32_e32 v8, vcc_lo, v8
	v_and_b32_e32 v0, v0, v9
	v_lshlrev_b32_e32 v9, 24, v53
	v_and_b32_e32 v54, v54, v8
	v_mov_b32_e32 v8, v1
	v_not_b32_e32 v1, v9
	v_cmp_gt_i64_e32 vcc, 0, v[8:9]
	v_ashrrev_i32_e32 v1, 31, v1
	ds_read_b32 v51, v55 offset:64
	v_xor_b32_e32 v8, vcc_hi, v1
	v_xor_b32_e32 v9, vcc_lo, v1
	v_and_b32_e32 v1, v0, v8
	v_and_b32_e32 v0, v54, v9
	v_mbcnt_lo_u32_b32 v8, v0, 0
	v_mbcnt_hi_u32_b32 v53, v1, v8
	v_cmp_eq_u32_e32 vcc, 0, v53
	v_cmp_ne_u64_e64 s[0:1], 0, v[0:1]
	s_and_b64 s[2:3], s[0:1], vcc
	; wave barrier
	s_and_saveexec_b64 s[0:1], s[2:3]
	s_cbranch_execz .LBB1000_229
; %bb.228:
	v_bcnt_u32_b32 v0, v0, 0
	v_bcnt_u32_b32 v0, v1, v0
	s_waitcnt lgkmcnt(0)
	v_add_u32_e32 v0, v51, v0
	ds_write_b32 v55, v0 offset:64
.LBB1000_229:
	s_or_b64 exec, exec, s[0:1]
	s_waitcnt vmcnt(5)
	v_xor_b32_e32 v44, 0x7fffffff, v44
	v_lshrrev_b32_e32 v0, s64, v44
	v_and_b32_e32 v56, s13, v0
	s_movk_i32 s2, 0x44
	v_mul_lo_u32 v0, v56, s2
	v_lshl_add_u32 v58, v27, 2, v0
	v_and_b32_e32 v0, 1, v56
	v_mov_b32_e32 v1, 0
	v_lshl_add_u64 v[8:9], v[0:1], 0, -1
	v_cmp_ne_u32_e32 vcc, 0, v0
	; wave barrier
	s_nop 1
	v_xor_b32_e32 v8, vcc_lo, v8
	v_xor_b32_e32 v0, vcc_hi, v9
	v_and_b32_e32 v57, exec_lo, v8
	v_lshlrev_b32_e32 v9, 30, v56
	v_mov_b32_e32 v8, v1
	v_cmp_gt_i64_e32 vcc, 0, v[8:9]
	v_not_b32_e32 v8, v9
	v_ashrrev_i32_e32 v8, 31, v8
	v_and_b32_e32 v0, exec_hi, v0
	v_xor_b32_e32 v9, vcc_hi, v8
	v_xor_b32_e32 v8, vcc_lo, v8
	v_and_b32_e32 v0, v0, v9
	v_and_b32_e32 v57, v57, v8
	v_lshlrev_b32_e32 v9, 29, v56
	v_mov_b32_e32 v8, v1
	v_cmp_gt_i64_e32 vcc, 0, v[8:9]
	v_not_b32_e32 v8, v9
	v_ashrrev_i32_e32 v8, 31, v8
	v_xor_b32_e32 v9, vcc_hi, v8
	v_xor_b32_e32 v8, vcc_lo, v8
	v_and_b32_e32 v0, v0, v9
	v_and_b32_e32 v57, v57, v8
	v_lshlrev_b32_e32 v9, 28, v56
	v_mov_b32_e32 v8, v1
	v_cmp_gt_i64_e32 vcc, 0, v[8:9]
	v_not_b32_e32 v8, v9
	v_ashrrev_i32_e32 v8, 31, v8
	;; [unrolled: 9-line block ×6, first 2 shown]
	v_xor_b32_e32 v9, vcc_hi, v8
	v_xor_b32_e32 v8, vcc_lo, v8
	ds_read_b32 v54, v58 offset:64
	v_and_b32_e32 v8, v57, v8
	v_and_b32_e32 v9, v0, v9
	v_mbcnt_lo_u32_b32 v0, v8, 0
	v_mbcnt_hi_u32_b32 v56, v9, v0
	v_cmp_eq_u32_e32 vcc, 0, v56
	v_cmp_ne_u64_e64 s[0:1], 0, v[8:9]
	s_and_b64 s[4:5], s[0:1], vcc
	; wave barrier
	s_and_saveexec_b64 s[0:1], s[4:5]
	s_cbranch_execz .LBB1000_231
; %bb.230:
	v_bcnt_u32_b32 v0, v8, 0
	v_bcnt_u32_b32 v0, v9, v0
	s_waitcnt lgkmcnt(0)
	v_add_u32_e32 v0, v54, v0
	ds_write_b32 v58, v0 offset:64
.LBB1000_231:
	s_or_b64 exec, exec, s[0:1]
	s_waitcnt vmcnt(4)
	v_xor_b32_e32 v45, 0x7fffffff, v45
	v_lshrrev_b32_e32 v0, s64, v45
	v_and_b32_e32 v59, s13, v0
	v_mul_lo_u32 v0, v59, s2
	v_lshl_add_u32 v62, v27, 2, v0
	v_and_b32_e32 v0, 1, v59
	v_lshl_add_u64 v[8:9], v[0:1], 0, -1
	v_cmp_ne_u32_e32 vcc, 0, v0
	; wave barrier
	s_nop 1
	v_xor_b32_e32 v8, vcc_lo, v8
	v_xor_b32_e32 v0, vcc_hi, v9
	v_and_b32_e32 v60, exec_lo, v8
	v_lshlrev_b32_e32 v9, 30, v59
	v_mov_b32_e32 v8, v1
	v_cmp_gt_i64_e32 vcc, 0, v[8:9]
	v_not_b32_e32 v8, v9
	v_ashrrev_i32_e32 v8, 31, v8
	v_and_b32_e32 v0, exec_hi, v0
	v_xor_b32_e32 v9, vcc_hi, v8
	v_xor_b32_e32 v8, vcc_lo, v8
	v_and_b32_e32 v0, v0, v9
	v_and_b32_e32 v60, v60, v8
	v_lshlrev_b32_e32 v9, 29, v59
	v_mov_b32_e32 v8, v1
	v_cmp_gt_i64_e32 vcc, 0, v[8:9]
	v_not_b32_e32 v8, v9
	v_ashrrev_i32_e32 v8, 31, v8
	v_xor_b32_e32 v9, vcc_hi, v8
	v_xor_b32_e32 v8, vcc_lo, v8
	v_and_b32_e32 v0, v0, v9
	v_and_b32_e32 v60, v60, v8
	v_lshlrev_b32_e32 v9, 28, v59
	v_mov_b32_e32 v8, v1
	v_cmp_gt_i64_e32 vcc, 0, v[8:9]
	v_not_b32_e32 v8, v9
	v_ashrrev_i32_e32 v8, 31, v8
	;; [unrolled: 9-line block ×5, first 2 shown]
	v_xor_b32_e32 v9, vcc_hi, v8
	v_xor_b32_e32 v8, vcc_lo, v8
	v_and_b32_e32 v0, v0, v9
	v_lshlrev_b32_e32 v9, 24, v59
	v_and_b32_e32 v60, v60, v8
	v_mov_b32_e32 v8, v1
	v_not_b32_e32 v1, v9
	v_cmp_gt_i64_e32 vcc, 0, v[8:9]
	v_ashrrev_i32_e32 v1, 31, v1
	ds_read_b32 v57, v62 offset:64
	v_xor_b32_e32 v8, vcc_hi, v1
	v_xor_b32_e32 v9, vcc_lo, v1
	v_and_b32_e32 v1, v0, v8
	v_and_b32_e32 v0, v60, v9
	v_mbcnt_lo_u32_b32 v8, v0, 0
	v_mbcnt_hi_u32_b32 v59, v1, v8
	v_cmp_eq_u32_e32 vcc, 0, v59
	v_cmp_ne_u64_e64 s[0:1], 0, v[0:1]
	s_and_b64 s[2:3], s[0:1], vcc
	; wave barrier
	s_and_saveexec_b64 s[0:1], s[2:3]
	s_cbranch_execz .LBB1000_233
; %bb.232:
	v_bcnt_u32_b32 v0, v0, 0
	v_bcnt_u32_b32 v0, v1, v0
	s_waitcnt lgkmcnt(0)
	v_add_u32_e32 v0, v57, v0
	ds_write_b32 v62, v0 offset:64
.LBB1000_233:
	s_or_b64 exec, exec, s[0:1]
	s_waitcnt vmcnt(3)
	v_xor_b32_e32 v40, 0x7fffffff, v40
	v_lshrrev_b32_e32 v0, s64, v40
	v_and_b32_e32 v61, s13, v0
	s_movk_i32 s2, 0x44
	v_mul_lo_u32 v0, v61, s2
	v_lshl_add_u32 v65, v27, 2, v0
	v_and_b32_e32 v0, 1, v61
	v_mov_b32_e32 v1, 0
	v_lshl_add_u64 v[8:9], v[0:1], 0, -1
	v_cmp_ne_u32_e32 vcc, 0, v0
	; wave barrier
	s_nop 1
	v_xor_b32_e32 v8, vcc_lo, v8
	v_xor_b32_e32 v0, vcc_hi, v9
	v_and_b32_e32 v63, exec_lo, v8
	v_lshlrev_b32_e32 v9, 30, v61
	v_mov_b32_e32 v8, v1
	v_cmp_gt_i64_e32 vcc, 0, v[8:9]
	v_not_b32_e32 v8, v9
	v_ashrrev_i32_e32 v8, 31, v8
	v_and_b32_e32 v0, exec_hi, v0
	v_xor_b32_e32 v9, vcc_hi, v8
	v_xor_b32_e32 v8, vcc_lo, v8
	v_and_b32_e32 v0, v0, v9
	v_and_b32_e32 v63, v63, v8
	v_lshlrev_b32_e32 v9, 29, v61
	v_mov_b32_e32 v8, v1
	v_cmp_gt_i64_e32 vcc, 0, v[8:9]
	v_not_b32_e32 v8, v9
	v_ashrrev_i32_e32 v8, 31, v8
	v_xor_b32_e32 v9, vcc_hi, v8
	v_xor_b32_e32 v8, vcc_lo, v8
	v_and_b32_e32 v0, v0, v9
	v_and_b32_e32 v63, v63, v8
	v_lshlrev_b32_e32 v9, 28, v61
	v_mov_b32_e32 v8, v1
	v_cmp_gt_i64_e32 vcc, 0, v[8:9]
	v_not_b32_e32 v8, v9
	v_ashrrev_i32_e32 v8, 31, v8
	;; [unrolled: 9-line block ×6, first 2 shown]
	v_xor_b32_e32 v9, vcc_hi, v8
	v_xor_b32_e32 v8, vcc_lo, v8
	ds_read_b32 v60, v65 offset:64
	v_and_b32_e32 v8, v63, v8
	v_and_b32_e32 v9, v0, v9
	v_mbcnt_lo_u32_b32 v0, v8, 0
	v_mbcnt_hi_u32_b32 v63, v9, v0
	v_cmp_eq_u32_e32 vcc, 0, v63
	v_cmp_ne_u64_e64 s[0:1], 0, v[8:9]
	s_and_b64 s[4:5], s[0:1], vcc
	; wave barrier
	s_and_saveexec_b64 s[0:1], s[4:5]
	s_cbranch_execz .LBB1000_235
; %bb.234:
	v_bcnt_u32_b32 v0, v8, 0
	v_bcnt_u32_b32 v0, v9, v0
	s_waitcnt lgkmcnt(0)
	v_add_u32_e32 v0, v60, v0
	ds_write_b32 v65, v0 offset:64
.LBB1000_235:
	s_or_b64 exec, exec, s[0:1]
	s_waitcnt vmcnt(2)
	v_xor_b32_e32 v36, 0x7fffffff, v36
	v_lshrrev_b32_e32 v0, s64, v36
	v_and_b32_e32 v61, s13, v0
	v_mul_lo_u32 v0, v61, s2
	v_lshl_add_u32 v68, v27, 2, v0
	v_and_b32_e32 v0, 1, v61
	v_lshl_add_u64 v[8:9], v[0:1], 0, -1
	v_cmp_ne_u32_e32 vcc, 0, v0
	; wave barrier
	s_nop 1
	v_xor_b32_e32 v8, vcc_lo, v8
	v_xor_b32_e32 v0, vcc_hi, v9
	v_and_b32_e32 v66, exec_lo, v8
	v_lshlrev_b32_e32 v9, 30, v61
	v_mov_b32_e32 v8, v1
	v_cmp_gt_i64_e32 vcc, 0, v[8:9]
	v_not_b32_e32 v8, v9
	v_ashrrev_i32_e32 v8, 31, v8
	v_and_b32_e32 v0, exec_hi, v0
	v_xor_b32_e32 v9, vcc_hi, v8
	v_xor_b32_e32 v8, vcc_lo, v8
	v_and_b32_e32 v0, v0, v9
	v_and_b32_e32 v66, v66, v8
	v_lshlrev_b32_e32 v9, 29, v61
	v_mov_b32_e32 v8, v1
	v_cmp_gt_i64_e32 vcc, 0, v[8:9]
	v_not_b32_e32 v8, v9
	v_ashrrev_i32_e32 v8, 31, v8
	v_xor_b32_e32 v9, vcc_hi, v8
	v_xor_b32_e32 v8, vcc_lo, v8
	v_and_b32_e32 v0, v0, v9
	v_and_b32_e32 v66, v66, v8
	v_lshlrev_b32_e32 v9, 28, v61
	v_mov_b32_e32 v8, v1
	v_cmp_gt_i64_e32 vcc, 0, v[8:9]
	v_not_b32_e32 v8, v9
	v_ashrrev_i32_e32 v8, 31, v8
	;; [unrolled: 9-line block ×5, first 2 shown]
	v_xor_b32_e32 v9, vcc_hi, v8
	v_xor_b32_e32 v8, vcc_lo, v8
	v_and_b32_e32 v0, v0, v9
	v_lshlrev_b32_e32 v9, 24, v61
	v_and_b32_e32 v66, v66, v8
	v_mov_b32_e32 v8, v1
	v_not_b32_e32 v1, v9
	v_cmp_gt_i64_e32 vcc, 0, v[8:9]
	v_ashrrev_i32_e32 v1, 31, v1
	ds_read_b32 v64, v68 offset:64
	v_xor_b32_e32 v8, vcc_hi, v1
	v_xor_b32_e32 v9, vcc_lo, v1
	v_and_b32_e32 v1, v0, v8
	v_and_b32_e32 v0, v66, v9
	v_mbcnt_lo_u32_b32 v8, v0, 0
	v_mbcnt_hi_u32_b32 v66, v1, v8
	v_cmp_eq_u32_e32 vcc, 0, v66
	v_cmp_ne_u64_e64 s[0:1], 0, v[0:1]
	s_and_b64 s[2:3], s[0:1], vcc
	; wave barrier
	s_and_saveexec_b64 s[0:1], s[2:3]
	s_cbranch_execz .LBB1000_237
; %bb.236:
	v_bcnt_u32_b32 v0, v0, 0
	v_bcnt_u32_b32 v0, v1, v0
	s_waitcnt lgkmcnt(0)
	v_add_u32_e32 v0, v64, v0
	ds_write_b32 v68, v0 offset:64
.LBB1000_237:
	s_or_b64 exec, exec, s[0:1]
	s_waitcnt vmcnt(1)
	v_xor_b32_e32 v31, 0x7fffffff, v31
	v_lshrrev_b32_e32 v0, s64, v31
	v_and_b32_e32 v61, s13, v0
	s_movk_i32 s2, 0x44
	v_mul_lo_u32 v0, v61, s2
	v_lshl_add_u32 v70, v27, 2, v0
	v_and_b32_e32 v0, 1, v61
	v_mov_b32_e32 v1, 0
	v_lshl_add_u64 v[8:9], v[0:1], 0, -1
	v_cmp_ne_u32_e32 vcc, 0, v0
	; wave barrier
	s_nop 1
	v_xor_b32_e32 v8, vcc_lo, v8
	v_xor_b32_e32 v0, vcc_hi, v9
	v_and_b32_e32 v69, exec_lo, v8
	v_lshlrev_b32_e32 v9, 30, v61
	v_mov_b32_e32 v8, v1
	v_cmp_gt_i64_e32 vcc, 0, v[8:9]
	v_not_b32_e32 v8, v9
	v_ashrrev_i32_e32 v8, 31, v8
	v_and_b32_e32 v0, exec_hi, v0
	v_xor_b32_e32 v9, vcc_hi, v8
	v_xor_b32_e32 v8, vcc_lo, v8
	v_and_b32_e32 v0, v0, v9
	v_and_b32_e32 v69, v69, v8
	v_lshlrev_b32_e32 v9, 29, v61
	v_mov_b32_e32 v8, v1
	v_cmp_gt_i64_e32 vcc, 0, v[8:9]
	v_not_b32_e32 v8, v9
	v_ashrrev_i32_e32 v8, 31, v8
	v_xor_b32_e32 v9, vcc_hi, v8
	v_xor_b32_e32 v8, vcc_lo, v8
	v_and_b32_e32 v0, v0, v9
	v_and_b32_e32 v69, v69, v8
	v_lshlrev_b32_e32 v9, 28, v61
	v_mov_b32_e32 v8, v1
	v_cmp_gt_i64_e32 vcc, 0, v[8:9]
	v_not_b32_e32 v8, v9
	v_ashrrev_i32_e32 v8, 31, v8
	;; [unrolled: 9-line block ×6, first 2 shown]
	v_xor_b32_e32 v9, vcc_hi, v8
	v_xor_b32_e32 v8, vcc_lo, v8
	ds_read_b32 v67, v70 offset:64
	v_and_b32_e32 v8, v69, v8
	v_and_b32_e32 v9, v0, v9
	v_mbcnt_lo_u32_b32 v0, v8, 0
	v_mbcnt_hi_u32_b32 v69, v9, v0
	v_cmp_eq_u32_e32 vcc, 0, v69
	v_cmp_ne_u64_e64 s[0:1], 0, v[8:9]
	s_and_b64 s[4:5], s[0:1], vcc
	; wave barrier
	s_and_saveexec_b64 s[0:1], s[4:5]
	s_cbranch_execz .LBB1000_239
; %bb.238:
	v_bcnt_u32_b32 v0, v8, 0
	v_bcnt_u32_b32 v0, v9, v0
	s_waitcnt lgkmcnt(0)
	v_add_u32_e32 v0, v67, v0
	ds_write_b32 v70, v0 offset:64
.LBB1000_239:
	s_or_b64 exec, exec, s[0:1]
	s_waitcnt vmcnt(0)
	v_xor_b32_e32 v61, 0x7fffffff, v25
	v_lshrrev_b32_e32 v0, s64, v61
	v_and_b32_e32 v25, s13, v0
	v_mul_lo_u32 v0, v25, s2
	v_lshl_add_u32 v72, v27, 2, v0
	v_and_b32_e32 v0, 1, v25
	v_lshl_add_u64 v[8:9], v[0:1], 0, -1
	v_cmp_ne_u32_e32 vcc, 0, v0
	; wave barrier
	s_nop 1
	v_xor_b32_e32 v8, vcc_lo, v8
	v_xor_b32_e32 v0, vcc_hi, v9
	v_and_b32_e32 v71, exec_lo, v8
	v_lshlrev_b32_e32 v9, 30, v25
	v_mov_b32_e32 v8, v1
	v_cmp_gt_i64_e32 vcc, 0, v[8:9]
	v_not_b32_e32 v8, v9
	v_ashrrev_i32_e32 v8, 31, v8
	v_and_b32_e32 v0, exec_hi, v0
	v_xor_b32_e32 v9, vcc_hi, v8
	v_xor_b32_e32 v8, vcc_lo, v8
	v_and_b32_e32 v0, v0, v9
	v_and_b32_e32 v71, v71, v8
	v_lshlrev_b32_e32 v9, 29, v25
	v_mov_b32_e32 v8, v1
	v_cmp_gt_i64_e32 vcc, 0, v[8:9]
	v_not_b32_e32 v8, v9
	v_ashrrev_i32_e32 v8, 31, v8
	v_xor_b32_e32 v9, vcc_hi, v8
	v_xor_b32_e32 v8, vcc_lo, v8
	v_and_b32_e32 v0, v0, v9
	v_and_b32_e32 v71, v71, v8
	v_lshlrev_b32_e32 v9, 28, v25
	v_mov_b32_e32 v8, v1
	v_cmp_gt_i64_e32 vcc, 0, v[8:9]
	v_not_b32_e32 v8, v9
	v_ashrrev_i32_e32 v8, 31, v8
	;; [unrolled: 9-line block ×5, first 2 shown]
	v_xor_b32_e32 v9, vcc_hi, v8
	v_xor_b32_e32 v8, vcc_lo, v8
	v_and_b32_e32 v0, v0, v9
	v_lshlrev_b32_e32 v9, 24, v25
	v_and_b32_e32 v71, v71, v8
	v_mov_b32_e32 v8, v1
	v_not_b32_e32 v1, v9
	v_cmp_gt_i64_e32 vcc, 0, v[8:9]
	v_ashrrev_i32_e32 v1, 31, v1
	ds_read_b32 v27, v72 offset:64
	v_xor_b32_e32 v8, vcc_hi, v1
	v_xor_b32_e32 v9, vcc_lo, v1
	v_and_b32_e32 v1, v0, v8
	v_and_b32_e32 v0, v71, v9
	v_mbcnt_lo_u32_b32 v8, v0, 0
	v_mbcnt_hi_u32_b32 v71, v1, v8
	v_cmp_eq_u32_e32 vcc, 0, v71
	v_cmp_ne_u64_e64 s[0:1], 0, v[0:1]
	s_and_b64 s[2:3], s[0:1], vcc
	; wave barrier
	s_and_saveexec_b64 s[0:1], s[2:3]
	s_cbranch_execz .LBB1000_241
; %bb.240:
	v_bcnt_u32_b32 v0, v0, 0
	v_bcnt_u32_b32 v0, v1, v0
	s_waitcnt lgkmcnt(0)
	v_add_u32_e32 v0, v27, v0
	ds_write_b32 v72, v0 offset:64
.LBB1000_241:
	s_or_b64 exec, exec, s[0:1]
	; wave barrier
	s_waitcnt lgkmcnt(0)
	s_barrier
	ds_read2_b32 v[8:9], v11 offset0:16 offset1:17
	ds_read2_b32 v[0:1], v11 offset0:18 offset1:19
	ds_read_b32 v25, v11 offset:80
	v_cmp_lt_u32_e64 s[2:3], 31, v10
	s_waitcnt lgkmcnt(1)
	v_add3_u32 v73, v9, v8, v0
	s_waitcnt lgkmcnt(0)
	v_add3_u32 v25, v73, v1, v25
	v_and_b32_e32 v73, 15, v10
	v_cmp_eq_u32_e32 vcc, 0, v73
	v_mov_b32_dpp v74, v25 row_shr:1 row_mask:0xf bank_mask:0xf
	v_cmp_lt_u32_e64 s[0:1], 1, v73
	v_cndmask_b32_e64 v74, v74, 0, vcc
	v_add_u32_e32 v25, v74, v25
	v_cmp_lt_u32_e64 s[4:5], 3, v73
	v_cmp_lt_u32_e64 s[6:7], 7, v73
	v_mov_b32_dpp v74, v25 row_shr:2 row_mask:0xf bank_mask:0xf
	v_cndmask_b32_e64 v74, 0, v74, s[0:1]
	v_add_u32_e32 v25, v25, v74
	s_nop 1
	v_mov_b32_dpp v74, v25 row_shr:4 row_mask:0xf bank_mask:0xf
	v_cndmask_b32_e64 v74, 0, v74, s[4:5]
	v_add_u32_e32 v25, v25, v74
	s_nop 1
	v_mov_b32_dpp v74, v25 row_shr:8 row_mask:0xf bank_mask:0xf
	v_cndmask_b32_e64 v73, 0, v74, s[6:7]
	v_add_u32_e32 v25, v25, v73
	v_bfe_i32 v74, v10, 4, 1
	s_nop 0
	v_mov_b32_dpp v73, v25 row_bcast:15 row_mask:0xf bank_mask:0xf
	v_and_b32_e32 v73, v74, v73
	v_add_u32_e32 v25, v25, v73
	v_lshrrev_b32_e32 v74, 6, v2
	s_nop 0
	v_mov_b32_dpp v73, v25 row_bcast:31 row_mask:0xf bank_mask:0xf
	v_cndmask_b32_e64 v73, 0, v73, s[2:3]
	v_add_u32_e32 v73, v25, v73
	v_and_b32_e32 v25, 63, v2
	v_cmp_eq_u32_e64 s[2:3], 63, v25
	s_and_saveexec_b64 s[10:11], s[2:3]
; %bb.242:
	v_lshlrev_b32_e32 v25, 2, v74
	ds_write_b32 v25, v73
; %bb.243:
	s_or_b64 exec, exec, s[10:11]
	v_cmp_gt_u32_e64 s[2:3], 16, v2
	v_lshlrev_b32_e32 v25, 2, v2
	s_waitcnt lgkmcnt(0)
	s_barrier
	s_and_saveexec_b64 s[10:11], s[2:3]
	s_cbranch_execz .LBB1000_245
; %bb.244:
	ds_read_b32 v75, v25
	s_waitcnt lgkmcnt(0)
	s_nop 0
	v_mov_b32_dpp v76, v75 row_shr:1 row_mask:0xf bank_mask:0xf
	v_cndmask_b32_e64 v76, v76, 0, vcc
	v_add_u32_e32 v75, v76, v75
	s_nop 1
	v_mov_b32_dpp v76, v75 row_shr:2 row_mask:0xf bank_mask:0xf
	v_cndmask_b32_e64 v76, 0, v76, s[0:1]
	v_add_u32_e32 v75, v75, v76
	s_nop 1
	v_mov_b32_dpp v76, v75 row_shr:4 row_mask:0xf bank_mask:0xf
	v_cndmask_b32_e64 v76, 0, v76, s[4:5]
	;; [unrolled: 4-line block ×3, first 2 shown]
	v_add_u32_e32 v75, v75, v76
	ds_write_b32 v25, v75
.LBB1000_245:
	s_or_b64 exec, exec, s[10:11]
	v_cmp_lt_u32_e32 vcc, 63, v2
	v_mov_b32_e32 v75, 0
	s_waitcnt lgkmcnt(0)
	s_barrier
	s_and_saveexec_b64 s[0:1], vcc
; %bb.246:
	v_lshl_add_u32 v74, v74, 2, -4
	ds_read_b32 v75, v74
; %bb.247:
	s_or_b64 exec, exec, s[0:1]
	v_subrev_co_u32_e32 v74, vcc, 1, v10
	v_and_b32_e32 v76, 64, v10
	v_cmp_lt_i32_e64 s[0:1], v74, v76
	s_waitcnt lgkmcnt(0)
	v_add_u32_e32 v73, v75, v73
	s_movk_i32 s2, 0x100
	v_cndmask_b32_e64 v10, v74, v10, s[0:1]
	v_lshlrev_b32_e32 v10, 2, v10
	ds_bpermute_b32 v10, v10, v73
	s_movk_i32 s0, 0xff
	s_waitcnt lgkmcnt(0)
	v_cndmask_b32_e32 v10, v10, v75, vcc
	v_cndmask_b32_e64 v10, v10, 0, s[44:45]
	v_add_u32_e32 v8, v10, v8
	v_add_u32_e32 v9, v8, v9
	;; [unrolled: 1-line block ×4, first 2 shown]
	ds_write2_b32 v11, v10, v8 offset0:16 offset1:17
	ds_write2_b32 v11, v9, v0 offset0:18 offset1:19
	ds_write_b32 v11, v1 offset:80
	s_waitcnt lgkmcnt(0)
	s_barrier
	ds_read_b32 v81, v18 offset:64
	ds_read_b32 v73, v21 offset:64
	;; [unrolled: 1-line block ×16, first 2 shown]
	v_cmp_lt_u32_e32 vcc, s0, v2
	v_cmp_gt_u32_e64 s[0:1], s2, v2
                                        ; implicit-def: $vgpr18
                                        ; implicit-def: $vgpr21
	s_and_saveexec_b64 s[4:5], s[0:1]
	s_cbranch_execz .LBB1000_251
; %bb.248:
	v_mul_u32_u24_e32 v0, 0x44, v2
	ds_read_b32 v18, v0 offset:64
	v_add_u32_e32 v1, 1, v2
	v_cmp_ne_u32_e64 s[2:3], s2, v1
	v_mov_b32_e32 v0, 0x4000
	s_and_saveexec_b64 s[6:7], s[2:3]
; %bb.249:
	v_mul_u32_u24_e32 v0, 0x44, v1
	ds_read_b32 v0, v0 offset:64
; %bb.250:
	s_or_b64 exec, exec, s[6:7]
	s_waitcnt lgkmcnt(0)
	v_sub_u32_e32 v21, v0, v18
.LBB1000_251:
	s_or_b64 exec, exec, s[4:5]
	v_mov_b32_e32 v1, 0
	s_waitcnt lgkmcnt(0)
	s_barrier
	s_and_saveexec_b64 s[2:3], s[0:1]
	s_cbranch_execz .LBB1000_261
; %bb.252:
	v_lshl_add_u32 v0, s33, 8, v2
	v_lshl_add_u64 v[8:9], v[0:1], 2, s[68:69]
	v_or_b32_e32 v0, 2.0, v21
	s_mov_b64 s[4:5], 0
	s_brev_b32 s14, -4
	s_mov_b32 s15, s33
	v_mov_b32_e32 v49, 0
	global_store_dword v[8:9], v0, off sc1
                                        ; implicit-def: $sgpr0_sgpr1
	s_branch .LBB1000_255
.LBB1000_253:                           ;   in Loop: Header=BB1000_255 Depth=1
	s_or_b64 exec, exec, s[10:11]
.LBB1000_254:                           ;   in Loop: Header=BB1000_255 Depth=1
	s_or_b64 exec, exec, s[6:7]
	v_and_b32_e32 v10, 0x3fffffff, v0
	v_add_u32_e32 v49, v10, v49
	v_cmp_gt_i32_e64 s[0:1], -2.0, v0
	s_and_b64 s[6:7], exec, s[0:1]
	s_or_b64 s[4:5], s[6:7], s[4:5]
	s_andn2_b64 exec, exec, s[4:5]
	s_cbranch_execz .LBB1000_260
.LBB1000_255:                           ; =>This Loop Header: Depth=1
                                        ;     Child Loop BB1000_258 Depth 2
	s_or_b64 s[0:1], s[0:1], exec
	s_cmp_eq_u32 s15, 0
	s_cbranch_scc1 .LBB1000_259
; %bb.256:                              ;   in Loop: Header=BB1000_255 Depth=1
	s_add_i32 s15, s15, -1
	v_lshl_or_b32 v0, s15, 8, v2
	v_lshl_add_u64 v[10:11], v[0:1], 2, s[68:69]
	global_load_dword v0, v[10:11], off sc1
	s_waitcnt vmcnt(0)
	v_cmp_gt_u32_e64 s[0:1], 2.0, v0
	s_and_saveexec_b64 s[6:7], s[0:1]
	s_cbranch_execz .LBB1000_254
; %bb.257:                              ;   in Loop: Header=BB1000_255 Depth=1
	s_mov_b64 s[10:11], 0
.LBB1000_258:                           ;   Parent Loop BB1000_255 Depth=1
                                        ; =>  This Inner Loop Header: Depth=2
	global_load_dword v0, v[10:11], off sc1
	s_waitcnt vmcnt(0)
	v_cmp_lt_u32_e64 s[0:1], s14, v0
	s_or_b64 s[10:11], s[0:1], s[10:11]
	s_andn2_b64 exec, exec, s[10:11]
	s_cbranch_execnz .LBB1000_258
	s_branch .LBB1000_253
.LBB1000_259:                           ;   in Loop: Header=BB1000_255 Depth=1
                                        ; implicit-def: $sgpr15
	s_and_b64 s[6:7], exec, s[0:1]
	s_or_b64 s[4:5], s[6:7], s[4:5]
	s_andn2_b64 exec, exec, s[4:5]
	s_cbranch_execnz .LBB1000_255
.LBB1000_260:
	s_or_b64 exec, exec, s[4:5]
	v_add_u32_e32 v0, v49, v21
	v_or_b32_e32 v0, 0x80000000, v0
	global_store_dword v[8:9], v0, off sc1
	global_load_dword v0, v25, s[60:61]
	v_sub_u32_e32 v1, v49, v18
	s_waitcnt vmcnt(0)
	v_add_u32_e32 v0, v1, v0
	ds_write_b32 v25, v0
.LBB1000_261:
	s_or_b64 exec, exec, s[2:3]
	v_add_u32_e32 v8, v81, v14
	v_add3_u32 v0, v16, v13, v73
	v_add3_u32 v1, v20, v17, v74
	;; [unrolled: 1-line block ×15, first 2 shown]
	v_mov_b32_e32 v85, 0x400
	s_mov_b32 s4, s64
	s_mov_b32 s5, s13
	s_movk_i32 s6, 0x400
	v_lshl_add_u32 v9, v9, 2, v85
	v_add3_u32 v10, v71, v41, v27
	v_lshl_add_u32 v11, v11, 2, v85
	v_add3_u32 v14, v69, v26, v67
	;; [unrolled: 2-line block ×15, first 2 shown]
	v_lshl_add_u32 v16, v8, 2, v85
	s_mov_b32 s7, 0
	s_mov_b32 s10, 0
	s_movk_i32 s11, 0x1000
	v_mov_b32_e32 v1, 0
	s_movk_i32 s14, 0x800
	s_movk_i32 s15, 0xc00
	v_mov_b32_e32 v55, v2
	s_mov_b32 s16, 0
	s_branch .LBB1000_263
.LBB1000_262:                           ;   in Loop: Header=BB1000_263 Depth=1
	s_or_b64 exec, exec, s[2:3]
	s_waitcnt lgkmcnt(0)
	s_barrier
	ds_read2st64_b32 v[56:57], v25 offset0:4 offset1:20
	ds_read2st64_b32 v[62:63], v25 offset0:36 offset1:52
	s_addk_i32 s16, 0xc000
	s_addk_i32 s10, 0xf000
	s_waitcnt lgkmcnt(1)
	v_xor_b32_e32 v60, 0x7fffffff, v56
	v_lshrrev_b32_e32 v56, s64, v56
	v_lshrrev_b32_e32 v0, s4, v57
	v_and_b32_e32 v56, s13, v56
	v_xor_b32_e32 v66, 0x7fffffff, v57
	v_and_b32_e32 v57, s5, v0
	v_lshlrev_b32_e32 v0, 2, v56
	ds_read_b32 v0, v0
	s_waitcnt lgkmcnt(1)
	v_lshrrev_b32_e32 v58, s4, v63
	v_lshrrev_b32_e32 v65, s64, v62
	v_and_b32_e32 v59, s5, v58
	v_lshlrev_b32_e32 v64, 2, v57
	v_and_b32_e32 v58, s13, v65
	v_lshlrev_b32_e32 v67, 2, v59
	v_lshlrev_b32_e32 v65, 2, v58
	ds_read_b32 v68, v64
	ds_read_b32 v69, v65
	ds_read_b32 v67, v67
	s_waitcnt lgkmcnt(3)
	v_add_u32_e32 v0, v55, v0
	v_lshl_add_u64 v[64:65], v[0:1], 2, s[54:55]
	s_waitcnt lgkmcnt(2)
	v_add3_u32 v0, v55, v68, s6
	global_store_dword v[64:65], v60, off
	v_lshl_add_u64 v[64:65], v[0:1], 2, s[54:55]
	s_waitcnt lgkmcnt(1)
	v_add3_u32 v0, v55, v69, s14
	global_store_dword v[64:65], v66, off
	v_xor_b32_e32 v60, 0x7fffffff, v62
	v_xor_b32_e32 v64, 0x7fffffff, v63
	v_lshl_add_u64 v[62:63], v[0:1], 2, s[54:55]
	s_waitcnt lgkmcnt(0)
	v_add3_u32 v0, v55, v67, s15
	global_store_dword v[62:63], v60, off
	v_lshl_add_u64 v[62:63], v[0:1], 2, s[54:55]
	global_store_dword v[62:63], v64, off
	scratch_store_dwordx4 off, v[56:59], s7
	s_add_i32 s7, s7, 16
	s_cmp_eq_u32 s16, 0xffff0000
	v_add_u32_e32 v55, 0x1000, v55
	s_barrier
	s_cbranch_scc1 .LBB1000_295
.LBB1000_263:                           ; =>This Inner Loop Header: Depth=1
	v_add_u32_e32 v0, s10, v8
	v_cmp_gt_u32_e64 s[0:1], s11, v0
	s_and_saveexec_b64 s[2:3], s[0:1]
; %bb.264:                              ;   in Loop: Header=BB1000_263 Depth=1
	v_add_u32_e32 v0, s16, v16
	ds_write_b32 v0, v3
; %bb.265:                              ;   in Loop: Header=BB1000_263 Depth=1
	s_or_b64 exec, exec, s[2:3]
	v_add_u32_e32 v0, s10, v13
	v_cmp_gt_u32_e64 s[0:1], s11, v0
	s_and_saveexec_b64 s[2:3], s[0:1]
; %bb.266:                              ;   in Loop: Header=BB1000_263 Depth=1
	v_add_u32_e32 v0, s16, v20
	ds_write_b32 v0, v5
; %bb.267:                              ;   in Loop: Header=BB1000_263 Depth=1
	s_or_b64 exec, exec, s[2:3]
	;; [unrolled: 8-line block ×15, first 2 shown]
	v_add_u32_e32 v0, s10, v10
	v_cmp_gt_u32_e64 s[0:1], s11, v0
	s_and_saveexec_b64 s[2:3], s[0:1]
	s_cbranch_execz .LBB1000_262
; %bb.294:                              ;   in Loop: Header=BB1000_263 Depth=1
	v_add_u32_e32 v0, s16, v9
	ds_write_b32 v0, v61
	s_branch .LBB1000_262
.LBB1000_295:
	s_add_u32 s0, s56, s8
	s_addc_u32 s1, s57, s9
	v_mov_b32_e32 v5, 0
	v_lshl_add_u64 v[0:1], s[0:1], 0, v[4:5]
	v_mov_b32_e32 v7, v5
	v_lshl_add_u64 v[44:45], v[0:1], 0, v[6:7]
	global_load_dword v0, v[44:45], off
	global_load_dword v1, v[44:45], off offset:256
	global_load_dword v3, v[44:45], off offset:512
	;; [unrolled: 1-line block ×14, first 2 shown]
	s_nop 0
	global_load_dword v44, v[44:45], off offset:3840
	s_mov_b32 s4, 0
	s_mov_b32 s5, 0
	s_movk_i32 s6, 0x1000
	s_movk_i32 s7, 0x400
	;; [unrolled: 1-line block ×4, first 2 shown]
	s_mov_b32 s10, 0
	s_branch .LBB1000_297
.LBB1000_296:                           ;   in Loop: Header=BB1000_297 Depth=1
	s_or_b64 exec, exec, s[2:3]
	s_waitcnt lgkmcnt(0)
	s_barrier
	scratch_load_dwordx4 v[56:59], off, s4
	ds_read2st64_b32 v[60:61], v25 offset0:4 offset1:20
	ds_read2st64_b32 v[62:63], v25 offset0:36 offset1:52
	s_addk_i32 s10, 0xc000
	s_addk_i32 s5, 0xf000
	s_add_i32 s4, s4, 16
	s_cmp_eq_u32 s10, 0xffff0000
	s_waitcnt vmcnt(0)
	v_lshlrev_b32_e32 v4, 2, v56
	ds_read_b32 v4, v4
	v_lshlrev_b32_e32 v45, 2, v57
	v_lshlrev_b32_e32 v55, 2, v58
	;; [unrolled: 1-line block ×3, first 2 shown]
	ds_read_b32 v45, v45
	ds_read_b32 v55, v55
	ds_read_b32 v58, v56
	s_waitcnt lgkmcnt(3)
	v_add_u32_e32 v4, v2, v4
	v_lshl_add_u64 v[56:57], v[4:5], 2, s[58:59]
	s_waitcnt lgkmcnt(2)
	v_add3_u32 v4, v2, v45, s7
	global_store_dword v[56:57], v60, off
	v_lshl_add_u64 v[56:57], v[4:5], 2, s[58:59]
	s_waitcnt lgkmcnt(1)
	v_add3_u32 v4, v2, v55, s8
	global_store_dword v[56:57], v61, off
	;; [unrolled: 4-line block ×3, first 2 shown]
	v_lshl_add_u64 v[56:57], v[4:5], 2, s[58:59]
	v_add_u32_e32 v2, 0x1000, v2
	global_store_dword v[56:57], v63, off
	s_barrier
	s_cbranch_scc1 .LBB1000_329
.LBB1000_297:                           ; =>This Inner Loop Header: Depth=1
	v_add_u32_e32 v4, s5, v8
	v_cmp_gt_u32_e64 s[0:1], s6, v4
	s_and_saveexec_b64 s[2:3], s[0:1]
	s_cbranch_execz .LBB1000_299
; %bb.298:                              ;   in Loop: Header=BB1000_297 Depth=1
	v_add_u32_e32 v4, s10, v16
	s_waitcnt vmcnt(15)
	ds_write_b32 v4, v0
.LBB1000_299:                           ;   in Loop: Header=BB1000_297 Depth=1
	s_or_b64 exec, exec, s[2:3]
	v_add_u32_e32 v4, s5, v13
	v_cmp_gt_u32_e64 s[0:1], s6, v4
	s_and_saveexec_b64 s[2:3], s[0:1]
	s_cbranch_execz .LBB1000_301
; %bb.300:                              ;   in Loop: Header=BB1000_297 Depth=1
	v_add_u32_e32 v4, s10, v20
	s_waitcnt vmcnt(14)
	ds_write_b32 v4, v1
.LBB1000_301:                           ;   in Loop: Header=BB1000_297 Depth=1
	s_or_b64 exec, exec, s[2:3]
	v_add_u32_e32 v4, s5, v17
	v_cmp_gt_u32_e64 s[0:1], s6, v4
	s_and_saveexec_b64 s[2:3], s[0:1]
	s_cbranch_execz .LBB1000_303
; %bb.302:                              ;   in Loop: Header=BB1000_297 Depth=1
	v_add_u32_e32 v4, s10, v24
	s_waitcnt vmcnt(13)
	ds_write_b32 v4, v3
.LBB1000_303:                           ;   in Loop: Header=BB1000_297 Depth=1
	s_or_b64 exec, exec, s[2:3]
	v_add_u32_e32 v4, s5, v22
	v_cmp_gt_u32_e64 s[0:1], s6, v4
	s_and_saveexec_b64 s[2:3], s[0:1]
	s_cbranch_execz .LBB1000_305
; %bb.304:                              ;   in Loop: Header=BB1000_297 Depth=1
	v_add_u32_e32 v4, s10, v30
	s_waitcnt vmcnt(12)
	ds_write_b32 v4, v6
.LBB1000_305:                           ;   in Loop: Header=BB1000_297 Depth=1
	s_or_b64 exec, exec, s[2:3]
	v_add_u32_e32 v4, s5, v28
	v_cmp_gt_u32_e64 s[0:1], s6, v4
	s_and_saveexec_b64 s[2:3], s[0:1]
	s_cbranch_execz .LBB1000_307
; %bb.306:                              ;   in Loop: Header=BB1000_297 Depth=1
	v_add_u32_e32 v4, s10, v35
	s_waitcnt vmcnt(11)
	ds_write_b32 v4, v7
.LBB1000_307:                           ;   in Loop: Header=BB1000_297 Depth=1
	s_or_b64 exec, exec, s[2:3]
	v_add_u32_e32 v4, s5, v33
	v_cmp_gt_u32_e64 s[0:1], s6, v4
	s_and_saveexec_b64 s[2:3], s[0:1]
	s_cbranch_execz .LBB1000_309
; %bb.308:                              ;   in Loop: Header=BB1000_297 Depth=1
	v_add_u32_e32 v4, s10, v42
	s_waitcnt vmcnt(10)
	ds_write_b32 v4, v12
.LBB1000_309:                           ;   in Loop: Header=BB1000_297 Depth=1
	s_or_b64 exec, exec, s[2:3]
	v_add_u32_e32 v4, s5, v38
	v_cmp_gt_u32_e64 s[0:1], s6, v4
	s_and_saveexec_b64 s[2:3], s[0:1]
	s_cbranch_execz .LBB1000_311
; %bb.310:                              ;   in Loop: Header=BB1000_297 Depth=1
	v_add_u32_e32 v4, s10, v47
	s_waitcnt vmcnt(9)
	ds_write_b32 v4, v15
.LBB1000_311:                           ;   in Loop: Header=BB1000_297 Depth=1
	s_or_b64 exec, exec, s[2:3]
	v_add_u32_e32 v4, s5, v43
	v_cmp_gt_u32_e64 s[0:1], s6, v4
	s_and_saveexec_b64 s[2:3], s[0:1]
	s_cbranch_execz .LBB1000_313
; %bb.312:                              ;   in Loop: Header=BB1000_297 Depth=1
	v_add_u32_e32 v4, s10, v50
	s_waitcnt vmcnt(8)
	ds_write_b32 v4, v19
.LBB1000_313:                           ;   in Loop: Header=BB1000_297 Depth=1
	s_or_b64 exec, exec, s[2:3]
	v_add_u32_e32 v4, s5, v48
	v_cmp_gt_u32_e64 s[0:1], s6, v4
	s_and_saveexec_b64 s[2:3], s[0:1]
	s_cbranch_execz .LBB1000_315
; %bb.314:                              ;   in Loop: Header=BB1000_297 Depth=1
	v_add_u32_e32 v4, s10, v53
	s_waitcnt vmcnt(7)
	ds_write_b32 v4, v23
.LBB1000_315:                           ;   in Loop: Header=BB1000_297 Depth=1
	s_or_b64 exec, exec, s[2:3]
	v_add_u32_e32 v4, s5, v51
	v_cmp_gt_u32_e64 s[0:1], s6, v4
	s_and_saveexec_b64 s[2:3], s[0:1]
	s_cbranch_execz .LBB1000_317
; %bb.316:                              ;   in Loop: Header=BB1000_297 Depth=1
	v_add_u32_e32 v4, s10, v54
	s_waitcnt vmcnt(6)
	ds_write_b32 v4, v29
.LBB1000_317:                           ;   in Loop: Header=BB1000_297 Depth=1
	s_or_b64 exec, exec, s[2:3]
	v_add_u32_e32 v4, s5, v52
	v_cmp_gt_u32_e64 s[0:1], s6, v4
	s_and_saveexec_b64 s[2:3], s[0:1]
	s_cbranch_execz .LBB1000_319
; %bb.318:                              ;   in Loop: Header=BB1000_297 Depth=1
	v_add_u32_e32 v4, s10, v49
	s_waitcnt vmcnt(5)
	ds_write_b32 v4, v31
.LBB1000_319:                           ;   in Loop: Header=BB1000_297 Depth=1
	s_or_b64 exec, exec, s[2:3]
	v_add_u32_e32 v4, s5, v46
	v_cmp_gt_u32_e64 s[0:1], s6, v4
	s_and_saveexec_b64 s[2:3], s[0:1]
	s_cbranch_execz .LBB1000_321
; %bb.320:                              ;   in Loop: Header=BB1000_297 Depth=1
	v_add_u32_e32 v4, s10, v41
	s_waitcnt vmcnt(4)
	ds_write_b32 v4, v34
.LBB1000_321:                           ;   in Loop: Header=BB1000_297 Depth=1
	s_or_b64 exec, exec, s[2:3]
	v_add_u32_e32 v4, s5, v37
	v_cmp_gt_u32_e64 s[0:1], s6, v4
	s_and_saveexec_b64 s[2:3], s[0:1]
	s_cbranch_execz .LBB1000_323
; %bb.322:                              ;   in Loop: Header=BB1000_297 Depth=1
	v_add_u32_e32 v4, s10, v32
	s_waitcnt vmcnt(3)
	ds_write_b32 v4, v36
.LBB1000_323:                           ;   in Loop: Header=BB1000_297 Depth=1
	s_or_b64 exec, exec, s[2:3]
	v_add_u32_e32 v4, s5, v27
	v_cmp_gt_u32_e64 s[0:1], s6, v4
	s_and_saveexec_b64 s[2:3], s[0:1]
	s_cbranch_execz .LBB1000_325
; %bb.324:                              ;   in Loop: Header=BB1000_297 Depth=1
	v_add_u32_e32 v4, s10, v26
	s_waitcnt vmcnt(2)
	ds_write_b32 v4, v39
.LBB1000_325:                           ;   in Loop: Header=BB1000_297 Depth=1
	s_or_b64 exec, exec, s[2:3]
	v_add_u32_e32 v4, s5, v14
	v_cmp_gt_u32_e64 s[0:1], s6, v4
	s_and_saveexec_b64 s[2:3], s[0:1]
	s_cbranch_execz .LBB1000_327
; %bb.326:                              ;   in Loop: Header=BB1000_297 Depth=1
	v_add_u32_e32 v4, s10, v11
	s_waitcnt vmcnt(1)
	ds_write_b32 v4, v40
.LBB1000_327:                           ;   in Loop: Header=BB1000_297 Depth=1
	s_or_b64 exec, exec, s[2:3]
	v_add_u32_e32 v4, s5, v10
	v_cmp_gt_u32_e64 s[0:1], s6, v4
	s_and_saveexec_b64 s[2:3], s[0:1]
	s_cbranch_execz .LBB1000_296
; %bb.328:                              ;   in Loop: Header=BB1000_297 Depth=1
	v_add_u32_e32 v4, s10, v9
	s_waitcnt vmcnt(0)
	ds_write_b32 v4, v44
	s_branch .LBB1000_296
.LBB1000_329:
	s_add_i32 s12, s12, -1
	s_cmp_eq_u32 s33, s12
	s_cselect_b64 s[0:1], -1, 0
	s_xor_b64 s[2:3], vcc, -1
	s_and_b64 s[0:1], s[2:3], s[0:1]
	s_and_saveexec_b64 s[2:3], s[0:1]
	s_cbranch_execz .LBB1000_331
; %bb.330:
	ds_read_b32 v0, v25
	s_waitcnt lgkmcnt(0)
	v_add3_u32 v0, v18, v21, v0
	global_store_dword v25, v0, s[62:63]
.LBB1000_331:
	s_endpgm
	.section	.rodata,"a",@progbits
	.p2align	6, 0x0
	.amdhsa_kernel _ZN7rocprim17ROCPRIM_400000_NS6detail17trampoline_kernelINS0_14default_configENS1_35radix_sort_onesweep_config_selectorIiiEEZZNS1_29radix_sort_onesweep_iterationIS3_Lb1EN6thrust23THRUST_200600_302600_NS6detail15normal_iteratorINS8_10device_ptrIiEEEESD_SD_SD_jNS0_19identity_decomposerENS1_16block_id_wrapperIjLb1EEEEE10hipError_tT1_PNSt15iterator_traitsISI_E10value_typeET2_T3_PNSJ_ISO_E10value_typeET4_T5_PST_SU_PNS1_23onesweep_lookback_stateEbbT6_jjT7_P12ihipStream_tbENKUlT_T0_SI_SN_E_clISD_SD_SD_SD_EEDaS11_S12_SI_SN_EUlS11_E_NS1_11comp_targetILNS1_3genE6ELNS1_11target_archE950ELNS1_3gpuE13ELNS1_3repE0EEENS1_47radix_sort_onesweep_sort_config_static_selectorELNS0_4arch9wavefront6targetE1EEEvSI_
		.amdhsa_group_segment_fixed_size 20552
		.amdhsa_private_segment_fixed_size 80
		.amdhsa_kernarg_size 344
		.amdhsa_user_sgpr_count 2
		.amdhsa_user_sgpr_dispatch_ptr 0
		.amdhsa_user_sgpr_queue_ptr 0
		.amdhsa_user_sgpr_kernarg_segment_ptr 1
		.amdhsa_user_sgpr_dispatch_id 0
		.amdhsa_user_sgpr_kernarg_preload_length 0
		.amdhsa_user_sgpr_kernarg_preload_offset 0
		.amdhsa_user_sgpr_private_segment_size 0
		.amdhsa_uses_dynamic_stack 0
		.amdhsa_enable_private_segment 1
		.amdhsa_system_sgpr_workgroup_id_x 1
		.amdhsa_system_sgpr_workgroup_id_y 0
		.amdhsa_system_sgpr_workgroup_id_z 0
		.amdhsa_system_sgpr_workgroup_info 0
		.amdhsa_system_vgpr_workitem_id 2
		.amdhsa_next_free_vgpr 89
		.amdhsa_next_free_sgpr 73
		.amdhsa_accum_offset 92
		.amdhsa_reserve_vcc 1
		.amdhsa_float_round_mode_32 0
		.amdhsa_float_round_mode_16_64 0
		.amdhsa_float_denorm_mode_32 3
		.amdhsa_float_denorm_mode_16_64 3
		.amdhsa_dx10_clamp 1
		.amdhsa_ieee_mode 1
		.amdhsa_fp16_overflow 0
		.amdhsa_tg_split 0
		.amdhsa_exception_fp_ieee_invalid_op 0
		.amdhsa_exception_fp_denorm_src 0
		.amdhsa_exception_fp_ieee_div_zero 0
		.amdhsa_exception_fp_ieee_overflow 0
		.amdhsa_exception_fp_ieee_underflow 0
		.amdhsa_exception_fp_ieee_inexact 0
		.amdhsa_exception_int_div_zero 0
	.end_amdhsa_kernel
	.section	.text._ZN7rocprim17ROCPRIM_400000_NS6detail17trampoline_kernelINS0_14default_configENS1_35radix_sort_onesweep_config_selectorIiiEEZZNS1_29radix_sort_onesweep_iterationIS3_Lb1EN6thrust23THRUST_200600_302600_NS6detail15normal_iteratorINS8_10device_ptrIiEEEESD_SD_SD_jNS0_19identity_decomposerENS1_16block_id_wrapperIjLb1EEEEE10hipError_tT1_PNSt15iterator_traitsISI_E10value_typeET2_T3_PNSJ_ISO_E10value_typeET4_T5_PST_SU_PNS1_23onesweep_lookback_stateEbbT6_jjT7_P12ihipStream_tbENKUlT_T0_SI_SN_E_clISD_SD_SD_SD_EEDaS11_S12_SI_SN_EUlS11_E_NS1_11comp_targetILNS1_3genE6ELNS1_11target_archE950ELNS1_3gpuE13ELNS1_3repE0EEENS1_47radix_sort_onesweep_sort_config_static_selectorELNS0_4arch9wavefront6targetE1EEEvSI_,"axG",@progbits,_ZN7rocprim17ROCPRIM_400000_NS6detail17trampoline_kernelINS0_14default_configENS1_35radix_sort_onesweep_config_selectorIiiEEZZNS1_29radix_sort_onesweep_iterationIS3_Lb1EN6thrust23THRUST_200600_302600_NS6detail15normal_iteratorINS8_10device_ptrIiEEEESD_SD_SD_jNS0_19identity_decomposerENS1_16block_id_wrapperIjLb1EEEEE10hipError_tT1_PNSt15iterator_traitsISI_E10value_typeET2_T3_PNSJ_ISO_E10value_typeET4_T5_PST_SU_PNS1_23onesweep_lookback_stateEbbT6_jjT7_P12ihipStream_tbENKUlT_T0_SI_SN_E_clISD_SD_SD_SD_EEDaS11_S12_SI_SN_EUlS11_E_NS1_11comp_targetILNS1_3genE6ELNS1_11target_archE950ELNS1_3gpuE13ELNS1_3repE0EEENS1_47radix_sort_onesweep_sort_config_static_selectorELNS0_4arch9wavefront6targetE1EEEvSI_,comdat
.Lfunc_end1000:
	.size	_ZN7rocprim17ROCPRIM_400000_NS6detail17trampoline_kernelINS0_14default_configENS1_35radix_sort_onesweep_config_selectorIiiEEZZNS1_29radix_sort_onesweep_iterationIS3_Lb1EN6thrust23THRUST_200600_302600_NS6detail15normal_iteratorINS8_10device_ptrIiEEEESD_SD_SD_jNS0_19identity_decomposerENS1_16block_id_wrapperIjLb1EEEEE10hipError_tT1_PNSt15iterator_traitsISI_E10value_typeET2_T3_PNSJ_ISO_E10value_typeET4_T5_PST_SU_PNS1_23onesweep_lookback_stateEbbT6_jjT7_P12ihipStream_tbENKUlT_T0_SI_SN_E_clISD_SD_SD_SD_EEDaS11_S12_SI_SN_EUlS11_E_NS1_11comp_targetILNS1_3genE6ELNS1_11target_archE950ELNS1_3gpuE13ELNS1_3repE0EEENS1_47radix_sort_onesweep_sort_config_static_selectorELNS0_4arch9wavefront6targetE1EEEvSI_, .Lfunc_end1000-_ZN7rocprim17ROCPRIM_400000_NS6detail17trampoline_kernelINS0_14default_configENS1_35radix_sort_onesweep_config_selectorIiiEEZZNS1_29radix_sort_onesweep_iterationIS3_Lb1EN6thrust23THRUST_200600_302600_NS6detail15normal_iteratorINS8_10device_ptrIiEEEESD_SD_SD_jNS0_19identity_decomposerENS1_16block_id_wrapperIjLb1EEEEE10hipError_tT1_PNSt15iterator_traitsISI_E10value_typeET2_T3_PNSJ_ISO_E10value_typeET4_T5_PST_SU_PNS1_23onesweep_lookback_stateEbbT6_jjT7_P12ihipStream_tbENKUlT_T0_SI_SN_E_clISD_SD_SD_SD_EEDaS11_S12_SI_SN_EUlS11_E_NS1_11comp_targetILNS1_3genE6ELNS1_11target_archE950ELNS1_3gpuE13ELNS1_3repE0EEENS1_47radix_sort_onesweep_sort_config_static_selectorELNS0_4arch9wavefront6targetE1EEEvSI_
                                        ; -- End function
	.set _ZN7rocprim17ROCPRIM_400000_NS6detail17trampoline_kernelINS0_14default_configENS1_35radix_sort_onesweep_config_selectorIiiEEZZNS1_29radix_sort_onesweep_iterationIS3_Lb1EN6thrust23THRUST_200600_302600_NS6detail15normal_iteratorINS8_10device_ptrIiEEEESD_SD_SD_jNS0_19identity_decomposerENS1_16block_id_wrapperIjLb1EEEEE10hipError_tT1_PNSt15iterator_traitsISI_E10value_typeET2_T3_PNSJ_ISO_E10value_typeET4_T5_PST_SU_PNS1_23onesweep_lookback_stateEbbT6_jjT7_P12ihipStream_tbENKUlT_T0_SI_SN_E_clISD_SD_SD_SD_EEDaS11_S12_SI_SN_EUlS11_E_NS1_11comp_targetILNS1_3genE6ELNS1_11target_archE950ELNS1_3gpuE13ELNS1_3repE0EEENS1_47radix_sort_onesweep_sort_config_static_selectorELNS0_4arch9wavefront6targetE1EEEvSI_.num_vgpr, 89
	.set _ZN7rocprim17ROCPRIM_400000_NS6detail17trampoline_kernelINS0_14default_configENS1_35radix_sort_onesweep_config_selectorIiiEEZZNS1_29radix_sort_onesweep_iterationIS3_Lb1EN6thrust23THRUST_200600_302600_NS6detail15normal_iteratorINS8_10device_ptrIiEEEESD_SD_SD_jNS0_19identity_decomposerENS1_16block_id_wrapperIjLb1EEEEE10hipError_tT1_PNSt15iterator_traitsISI_E10value_typeET2_T3_PNSJ_ISO_E10value_typeET4_T5_PST_SU_PNS1_23onesweep_lookback_stateEbbT6_jjT7_P12ihipStream_tbENKUlT_T0_SI_SN_E_clISD_SD_SD_SD_EEDaS11_S12_SI_SN_EUlS11_E_NS1_11comp_targetILNS1_3genE6ELNS1_11target_archE950ELNS1_3gpuE13ELNS1_3repE0EEENS1_47radix_sort_onesweep_sort_config_static_selectorELNS0_4arch9wavefront6targetE1EEEvSI_.num_agpr, 0
	.set _ZN7rocprim17ROCPRIM_400000_NS6detail17trampoline_kernelINS0_14default_configENS1_35radix_sort_onesweep_config_selectorIiiEEZZNS1_29radix_sort_onesweep_iterationIS3_Lb1EN6thrust23THRUST_200600_302600_NS6detail15normal_iteratorINS8_10device_ptrIiEEEESD_SD_SD_jNS0_19identity_decomposerENS1_16block_id_wrapperIjLb1EEEEE10hipError_tT1_PNSt15iterator_traitsISI_E10value_typeET2_T3_PNSJ_ISO_E10value_typeET4_T5_PST_SU_PNS1_23onesweep_lookback_stateEbbT6_jjT7_P12ihipStream_tbENKUlT_T0_SI_SN_E_clISD_SD_SD_SD_EEDaS11_S12_SI_SN_EUlS11_E_NS1_11comp_targetILNS1_3genE6ELNS1_11target_archE950ELNS1_3gpuE13ELNS1_3repE0EEENS1_47radix_sort_onesweep_sort_config_static_selectorELNS0_4arch9wavefront6targetE1EEEvSI_.numbered_sgpr, 73
	.set _ZN7rocprim17ROCPRIM_400000_NS6detail17trampoline_kernelINS0_14default_configENS1_35radix_sort_onesweep_config_selectorIiiEEZZNS1_29radix_sort_onesweep_iterationIS3_Lb1EN6thrust23THRUST_200600_302600_NS6detail15normal_iteratorINS8_10device_ptrIiEEEESD_SD_SD_jNS0_19identity_decomposerENS1_16block_id_wrapperIjLb1EEEEE10hipError_tT1_PNSt15iterator_traitsISI_E10value_typeET2_T3_PNSJ_ISO_E10value_typeET4_T5_PST_SU_PNS1_23onesweep_lookback_stateEbbT6_jjT7_P12ihipStream_tbENKUlT_T0_SI_SN_E_clISD_SD_SD_SD_EEDaS11_S12_SI_SN_EUlS11_E_NS1_11comp_targetILNS1_3genE6ELNS1_11target_archE950ELNS1_3gpuE13ELNS1_3repE0EEENS1_47radix_sort_onesweep_sort_config_static_selectorELNS0_4arch9wavefront6targetE1EEEvSI_.num_named_barrier, 0
	.set _ZN7rocprim17ROCPRIM_400000_NS6detail17trampoline_kernelINS0_14default_configENS1_35radix_sort_onesweep_config_selectorIiiEEZZNS1_29radix_sort_onesweep_iterationIS3_Lb1EN6thrust23THRUST_200600_302600_NS6detail15normal_iteratorINS8_10device_ptrIiEEEESD_SD_SD_jNS0_19identity_decomposerENS1_16block_id_wrapperIjLb1EEEEE10hipError_tT1_PNSt15iterator_traitsISI_E10value_typeET2_T3_PNSJ_ISO_E10value_typeET4_T5_PST_SU_PNS1_23onesweep_lookback_stateEbbT6_jjT7_P12ihipStream_tbENKUlT_T0_SI_SN_E_clISD_SD_SD_SD_EEDaS11_S12_SI_SN_EUlS11_E_NS1_11comp_targetILNS1_3genE6ELNS1_11target_archE950ELNS1_3gpuE13ELNS1_3repE0EEENS1_47radix_sort_onesweep_sort_config_static_selectorELNS0_4arch9wavefront6targetE1EEEvSI_.private_seg_size, 80
	.set _ZN7rocprim17ROCPRIM_400000_NS6detail17trampoline_kernelINS0_14default_configENS1_35radix_sort_onesweep_config_selectorIiiEEZZNS1_29radix_sort_onesweep_iterationIS3_Lb1EN6thrust23THRUST_200600_302600_NS6detail15normal_iteratorINS8_10device_ptrIiEEEESD_SD_SD_jNS0_19identity_decomposerENS1_16block_id_wrapperIjLb1EEEEE10hipError_tT1_PNSt15iterator_traitsISI_E10value_typeET2_T3_PNSJ_ISO_E10value_typeET4_T5_PST_SU_PNS1_23onesweep_lookback_stateEbbT6_jjT7_P12ihipStream_tbENKUlT_T0_SI_SN_E_clISD_SD_SD_SD_EEDaS11_S12_SI_SN_EUlS11_E_NS1_11comp_targetILNS1_3genE6ELNS1_11target_archE950ELNS1_3gpuE13ELNS1_3repE0EEENS1_47radix_sort_onesweep_sort_config_static_selectorELNS0_4arch9wavefront6targetE1EEEvSI_.uses_vcc, 1
	.set _ZN7rocprim17ROCPRIM_400000_NS6detail17trampoline_kernelINS0_14default_configENS1_35radix_sort_onesweep_config_selectorIiiEEZZNS1_29radix_sort_onesweep_iterationIS3_Lb1EN6thrust23THRUST_200600_302600_NS6detail15normal_iteratorINS8_10device_ptrIiEEEESD_SD_SD_jNS0_19identity_decomposerENS1_16block_id_wrapperIjLb1EEEEE10hipError_tT1_PNSt15iterator_traitsISI_E10value_typeET2_T3_PNSJ_ISO_E10value_typeET4_T5_PST_SU_PNS1_23onesweep_lookback_stateEbbT6_jjT7_P12ihipStream_tbENKUlT_T0_SI_SN_E_clISD_SD_SD_SD_EEDaS11_S12_SI_SN_EUlS11_E_NS1_11comp_targetILNS1_3genE6ELNS1_11target_archE950ELNS1_3gpuE13ELNS1_3repE0EEENS1_47radix_sort_onesweep_sort_config_static_selectorELNS0_4arch9wavefront6targetE1EEEvSI_.uses_flat_scratch, 0
	.set _ZN7rocprim17ROCPRIM_400000_NS6detail17trampoline_kernelINS0_14default_configENS1_35radix_sort_onesweep_config_selectorIiiEEZZNS1_29radix_sort_onesweep_iterationIS3_Lb1EN6thrust23THRUST_200600_302600_NS6detail15normal_iteratorINS8_10device_ptrIiEEEESD_SD_SD_jNS0_19identity_decomposerENS1_16block_id_wrapperIjLb1EEEEE10hipError_tT1_PNSt15iterator_traitsISI_E10value_typeET2_T3_PNSJ_ISO_E10value_typeET4_T5_PST_SU_PNS1_23onesweep_lookback_stateEbbT6_jjT7_P12ihipStream_tbENKUlT_T0_SI_SN_E_clISD_SD_SD_SD_EEDaS11_S12_SI_SN_EUlS11_E_NS1_11comp_targetILNS1_3genE6ELNS1_11target_archE950ELNS1_3gpuE13ELNS1_3repE0EEENS1_47radix_sort_onesweep_sort_config_static_selectorELNS0_4arch9wavefront6targetE1EEEvSI_.has_dyn_sized_stack, 0
	.set _ZN7rocprim17ROCPRIM_400000_NS6detail17trampoline_kernelINS0_14default_configENS1_35radix_sort_onesweep_config_selectorIiiEEZZNS1_29radix_sort_onesweep_iterationIS3_Lb1EN6thrust23THRUST_200600_302600_NS6detail15normal_iteratorINS8_10device_ptrIiEEEESD_SD_SD_jNS0_19identity_decomposerENS1_16block_id_wrapperIjLb1EEEEE10hipError_tT1_PNSt15iterator_traitsISI_E10value_typeET2_T3_PNSJ_ISO_E10value_typeET4_T5_PST_SU_PNS1_23onesweep_lookback_stateEbbT6_jjT7_P12ihipStream_tbENKUlT_T0_SI_SN_E_clISD_SD_SD_SD_EEDaS11_S12_SI_SN_EUlS11_E_NS1_11comp_targetILNS1_3genE6ELNS1_11target_archE950ELNS1_3gpuE13ELNS1_3repE0EEENS1_47radix_sort_onesweep_sort_config_static_selectorELNS0_4arch9wavefront6targetE1EEEvSI_.has_recursion, 0
	.set _ZN7rocprim17ROCPRIM_400000_NS6detail17trampoline_kernelINS0_14default_configENS1_35radix_sort_onesweep_config_selectorIiiEEZZNS1_29radix_sort_onesweep_iterationIS3_Lb1EN6thrust23THRUST_200600_302600_NS6detail15normal_iteratorINS8_10device_ptrIiEEEESD_SD_SD_jNS0_19identity_decomposerENS1_16block_id_wrapperIjLb1EEEEE10hipError_tT1_PNSt15iterator_traitsISI_E10value_typeET2_T3_PNSJ_ISO_E10value_typeET4_T5_PST_SU_PNS1_23onesweep_lookback_stateEbbT6_jjT7_P12ihipStream_tbENKUlT_T0_SI_SN_E_clISD_SD_SD_SD_EEDaS11_S12_SI_SN_EUlS11_E_NS1_11comp_targetILNS1_3genE6ELNS1_11target_archE950ELNS1_3gpuE13ELNS1_3repE0EEENS1_47radix_sort_onesweep_sort_config_static_selectorELNS0_4arch9wavefront6targetE1EEEvSI_.has_indirect_call, 0
	.section	.AMDGPU.csdata,"",@progbits
; Kernel info:
; codeLenInByte = 22700
; TotalNumSgprs: 79
; NumVgprs: 89
; NumAgprs: 0
; TotalNumVgprs: 89
; ScratchSize: 80
; MemoryBound: 0
; FloatMode: 240
; IeeeMode: 1
; LDSByteSize: 20552 bytes/workgroup (compile time only)
; SGPRBlocks: 9
; VGPRBlocks: 11
; NumSGPRsForWavesPerEU: 79
; NumVGPRsForWavesPerEU: 89
; AccumOffset: 92
; Occupancy: 5
; WaveLimiterHint : 1
; COMPUTE_PGM_RSRC2:SCRATCH_EN: 1
; COMPUTE_PGM_RSRC2:USER_SGPR: 2
; COMPUTE_PGM_RSRC2:TRAP_HANDLER: 0
; COMPUTE_PGM_RSRC2:TGID_X_EN: 1
; COMPUTE_PGM_RSRC2:TGID_Y_EN: 0
; COMPUTE_PGM_RSRC2:TGID_Z_EN: 0
; COMPUTE_PGM_RSRC2:TIDIG_COMP_CNT: 2
; COMPUTE_PGM_RSRC3_GFX90A:ACCUM_OFFSET: 22
; COMPUTE_PGM_RSRC3_GFX90A:TG_SPLIT: 0
	.section	.text._ZN7rocprim17ROCPRIM_400000_NS6detail17trampoline_kernelINS0_14default_configENS1_35radix_sort_onesweep_config_selectorIiiEEZZNS1_29radix_sort_onesweep_iterationIS3_Lb1EN6thrust23THRUST_200600_302600_NS6detail15normal_iteratorINS8_10device_ptrIiEEEESD_SD_SD_jNS0_19identity_decomposerENS1_16block_id_wrapperIjLb1EEEEE10hipError_tT1_PNSt15iterator_traitsISI_E10value_typeET2_T3_PNSJ_ISO_E10value_typeET4_T5_PST_SU_PNS1_23onesweep_lookback_stateEbbT6_jjT7_P12ihipStream_tbENKUlT_T0_SI_SN_E_clISD_SD_SD_SD_EEDaS11_S12_SI_SN_EUlS11_E_NS1_11comp_targetILNS1_3genE5ELNS1_11target_archE942ELNS1_3gpuE9ELNS1_3repE0EEENS1_47radix_sort_onesweep_sort_config_static_selectorELNS0_4arch9wavefront6targetE1EEEvSI_,"axG",@progbits,_ZN7rocprim17ROCPRIM_400000_NS6detail17trampoline_kernelINS0_14default_configENS1_35radix_sort_onesweep_config_selectorIiiEEZZNS1_29radix_sort_onesweep_iterationIS3_Lb1EN6thrust23THRUST_200600_302600_NS6detail15normal_iteratorINS8_10device_ptrIiEEEESD_SD_SD_jNS0_19identity_decomposerENS1_16block_id_wrapperIjLb1EEEEE10hipError_tT1_PNSt15iterator_traitsISI_E10value_typeET2_T3_PNSJ_ISO_E10value_typeET4_T5_PST_SU_PNS1_23onesweep_lookback_stateEbbT6_jjT7_P12ihipStream_tbENKUlT_T0_SI_SN_E_clISD_SD_SD_SD_EEDaS11_S12_SI_SN_EUlS11_E_NS1_11comp_targetILNS1_3genE5ELNS1_11target_archE942ELNS1_3gpuE9ELNS1_3repE0EEENS1_47radix_sort_onesweep_sort_config_static_selectorELNS0_4arch9wavefront6targetE1EEEvSI_,comdat
	.protected	_ZN7rocprim17ROCPRIM_400000_NS6detail17trampoline_kernelINS0_14default_configENS1_35radix_sort_onesweep_config_selectorIiiEEZZNS1_29radix_sort_onesweep_iterationIS3_Lb1EN6thrust23THRUST_200600_302600_NS6detail15normal_iteratorINS8_10device_ptrIiEEEESD_SD_SD_jNS0_19identity_decomposerENS1_16block_id_wrapperIjLb1EEEEE10hipError_tT1_PNSt15iterator_traitsISI_E10value_typeET2_T3_PNSJ_ISO_E10value_typeET4_T5_PST_SU_PNS1_23onesweep_lookback_stateEbbT6_jjT7_P12ihipStream_tbENKUlT_T0_SI_SN_E_clISD_SD_SD_SD_EEDaS11_S12_SI_SN_EUlS11_E_NS1_11comp_targetILNS1_3genE5ELNS1_11target_archE942ELNS1_3gpuE9ELNS1_3repE0EEENS1_47radix_sort_onesweep_sort_config_static_selectorELNS0_4arch9wavefront6targetE1EEEvSI_ ; -- Begin function _ZN7rocprim17ROCPRIM_400000_NS6detail17trampoline_kernelINS0_14default_configENS1_35radix_sort_onesweep_config_selectorIiiEEZZNS1_29radix_sort_onesweep_iterationIS3_Lb1EN6thrust23THRUST_200600_302600_NS6detail15normal_iteratorINS8_10device_ptrIiEEEESD_SD_SD_jNS0_19identity_decomposerENS1_16block_id_wrapperIjLb1EEEEE10hipError_tT1_PNSt15iterator_traitsISI_E10value_typeET2_T3_PNSJ_ISO_E10value_typeET4_T5_PST_SU_PNS1_23onesweep_lookback_stateEbbT6_jjT7_P12ihipStream_tbENKUlT_T0_SI_SN_E_clISD_SD_SD_SD_EEDaS11_S12_SI_SN_EUlS11_E_NS1_11comp_targetILNS1_3genE5ELNS1_11target_archE942ELNS1_3gpuE9ELNS1_3repE0EEENS1_47radix_sort_onesweep_sort_config_static_selectorELNS0_4arch9wavefront6targetE1EEEvSI_
	.globl	_ZN7rocprim17ROCPRIM_400000_NS6detail17trampoline_kernelINS0_14default_configENS1_35radix_sort_onesweep_config_selectorIiiEEZZNS1_29radix_sort_onesweep_iterationIS3_Lb1EN6thrust23THRUST_200600_302600_NS6detail15normal_iteratorINS8_10device_ptrIiEEEESD_SD_SD_jNS0_19identity_decomposerENS1_16block_id_wrapperIjLb1EEEEE10hipError_tT1_PNSt15iterator_traitsISI_E10value_typeET2_T3_PNSJ_ISO_E10value_typeET4_T5_PST_SU_PNS1_23onesweep_lookback_stateEbbT6_jjT7_P12ihipStream_tbENKUlT_T0_SI_SN_E_clISD_SD_SD_SD_EEDaS11_S12_SI_SN_EUlS11_E_NS1_11comp_targetILNS1_3genE5ELNS1_11target_archE942ELNS1_3gpuE9ELNS1_3repE0EEENS1_47radix_sort_onesweep_sort_config_static_selectorELNS0_4arch9wavefront6targetE1EEEvSI_
	.p2align	8
	.type	_ZN7rocprim17ROCPRIM_400000_NS6detail17trampoline_kernelINS0_14default_configENS1_35radix_sort_onesweep_config_selectorIiiEEZZNS1_29radix_sort_onesweep_iterationIS3_Lb1EN6thrust23THRUST_200600_302600_NS6detail15normal_iteratorINS8_10device_ptrIiEEEESD_SD_SD_jNS0_19identity_decomposerENS1_16block_id_wrapperIjLb1EEEEE10hipError_tT1_PNSt15iterator_traitsISI_E10value_typeET2_T3_PNSJ_ISO_E10value_typeET4_T5_PST_SU_PNS1_23onesweep_lookback_stateEbbT6_jjT7_P12ihipStream_tbENKUlT_T0_SI_SN_E_clISD_SD_SD_SD_EEDaS11_S12_SI_SN_EUlS11_E_NS1_11comp_targetILNS1_3genE5ELNS1_11target_archE942ELNS1_3gpuE9ELNS1_3repE0EEENS1_47radix_sort_onesweep_sort_config_static_selectorELNS0_4arch9wavefront6targetE1EEEvSI_,@function
_ZN7rocprim17ROCPRIM_400000_NS6detail17trampoline_kernelINS0_14default_configENS1_35radix_sort_onesweep_config_selectorIiiEEZZNS1_29radix_sort_onesweep_iterationIS3_Lb1EN6thrust23THRUST_200600_302600_NS6detail15normal_iteratorINS8_10device_ptrIiEEEESD_SD_SD_jNS0_19identity_decomposerENS1_16block_id_wrapperIjLb1EEEEE10hipError_tT1_PNSt15iterator_traitsISI_E10value_typeET2_T3_PNSJ_ISO_E10value_typeET4_T5_PST_SU_PNS1_23onesweep_lookback_stateEbbT6_jjT7_P12ihipStream_tbENKUlT_T0_SI_SN_E_clISD_SD_SD_SD_EEDaS11_S12_SI_SN_EUlS11_E_NS1_11comp_targetILNS1_3genE5ELNS1_11target_archE942ELNS1_3gpuE9ELNS1_3repE0EEENS1_47radix_sort_onesweep_sort_config_static_selectorELNS0_4arch9wavefront6targetE1EEEvSI_: ; @_ZN7rocprim17ROCPRIM_400000_NS6detail17trampoline_kernelINS0_14default_configENS1_35radix_sort_onesweep_config_selectorIiiEEZZNS1_29radix_sort_onesweep_iterationIS3_Lb1EN6thrust23THRUST_200600_302600_NS6detail15normal_iteratorINS8_10device_ptrIiEEEESD_SD_SD_jNS0_19identity_decomposerENS1_16block_id_wrapperIjLb1EEEEE10hipError_tT1_PNSt15iterator_traitsISI_E10value_typeET2_T3_PNSJ_ISO_E10value_typeET4_T5_PST_SU_PNS1_23onesweep_lookback_stateEbbT6_jjT7_P12ihipStream_tbENKUlT_T0_SI_SN_E_clISD_SD_SD_SD_EEDaS11_S12_SI_SN_EUlS11_E_NS1_11comp_targetILNS1_3genE5ELNS1_11target_archE942ELNS1_3gpuE9ELNS1_3repE0EEENS1_47radix_sort_onesweep_sort_config_static_selectorELNS0_4arch9wavefront6targetE1EEEvSI_
; %bb.0:
	.section	.rodata,"a",@progbits
	.p2align	6, 0x0
	.amdhsa_kernel _ZN7rocprim17ROCPRIM_400000_NS6detail17trampoline_kernelINS0_14default_configENS1_35radix_sort_onesweep_config_selectorIiiEEZZNS1_29radix_sort_onesweep_iterationIS3_Lb1EN6thrust23THRUST_200600_302600_NS6detail15normal_iteratorINS8_10device_ptrIiEEEESD_SD_SD_jNS0_19identity_decomposerENS1_16block_id_wrapperIjLb1EEEEE10hipError_tT1_PNSt15iterator_traitsISI_E10value_typeET2_T3_PNSJ_ISO_E10value_typeET4_T5_PST_SU_PNS1_23onesweep_lookback_stateEbbT6_jjT7_P12ihipStream_tbENKUlT_T0_SI_SN_E_clISD_SD_SD_SD_EEDaS11_S12_SI_SN_EUlS11_E_NS1_11comp_targetILNS1_3genE5ELNS1_11target_archE942ELNS1_3gpuE9ELNS1_3repE0EEENS1_47radix_sort_onesweep_sort_config_static_selectorELNS0_4arch9wavefront6targetE1EEEvSI_
		.amdhsa_group_segment_fixed_size 0
		.amdhsa_private_segment_fixed_size 0
		.amdhsa_kernarg_size 88
		.amdhsa_user_sgpr_count 2
		.amdhsa_user_sgpr_dispatch_ptr 0
		.amdhsa_user_sgpr_queue_ptr 0
		.amdhsa_user_sgpr_kernarg_segment_ptr 1
		.amdhsa_user_sgpr_dispatch_id 0
		.amdhsa_user_sgpr_kernarg_preload_length 0
		.amdhsa_user_sgpr_kernarg_preload_offset 0
		.amdhsa_user_sgpr_private_segment_size 0
		.amdhsa_uses_dynamic_stack 0
		.amdhsa_enable_private_segment 0
		.amdhsa_system_sgpr_workgroup_id_x 1
		.amdhsa_system_sgpr_workgroup_id_y 0
		.amdhsa_system_sgpr_workgroup_id_z 0
		.amdhsa_system_sgpr_workgroup_info 0
		.amdhsa_system_vgpr_workitem_id 0
		.amdhsa_next_free_vgpr 1
		.amdhsa_next_free_sgpr 0
		.amdhsa_accum_offset 4
		.amdhsa_reserve_vcc 0
		.amdhsa_float_round_mode_32 0
		.amdhsa_float_round_mode_16_64 0
		.amdhsa_float_denorm_mode_32 3
		.amdhsa_float_denorm_mode_16_64 3
		.amdhsa_dx10_clamp 1
		.amdhsa_ieee_mode 1
		.amdhsa_fp16_overflow 0
		.amdhsa_tg_split 0
		.amdhsa_exception_fp_ieee_invalid_op 0
		.amdhsa_exception_fp_denorm_src 0
		.amdhsa_exception_fp_ieee_div_zero 0
		.amdhsa_exception_fp_ieee_overflow 0
		.amdhsa_exception_fp_ieee_underflow 0
		.amdhsa_exception_fp_ieee_inexact 0
		.amdhsa_exception_int_div_zero 0
	.end_amdhsa_kernel
	.section	.text._ZN7rocprim17ROCPRIM_400000_NS6detail17trampoline_kernelINS0_14default_configENS1_35radix_sort_onesweep_config_selectorIiiEEZZNS1_29radix_sort_onesweep_iterationIS3_Lb1EN6thrust23THRUST_200600_302600_NS6detail15normal_iteratorINS8_10device_ptrIiEEEESD_SD_SD_jNS0_19identity_decomposerENS1_16block_id_wrapperIjLb1EEEEE10hipError_tT1_PNSt15iterator_traitsISI_E10value_typeET2_T3_PNSJ_ISO_E10value_typeET4_T5_PST_SU_PNS1_23onesweep_lookback_stateEbbT6_jjT7_P12ihipStream_tbENKUlT_T0_SI_SN_E_clISD_SD_SD_SD_EEDaS11_S12_SI_SN_EUlS11_E_NS1_11comp_targetILNS1_3genE5ELNS1_11target_archE942ELNS1_3gpuE9ELNS1_3repE0EEENS1_47radix_sort_onesweep_sort_config_static_selectorELNS0_4arch9wavefront6targetE1EEEvSI_,"axG",@progbits,_ZN7rocprim17ROCPRIM_400000_NS6detail17trampoline_kernelINS0_14default_configENS1_35radix_sort_onesweep_config_selectorIiiEEZZNS1_29radix_sort_onesweep_iterationIS3_Lb1EN6thrust23THRUST_200600_302600_NS6detail15normal_iteratorINS8_10device_ptrIiEEEESD_SD_SD_jNS0_19identity_decomposerENS1_16block_id_wrapperIjLb1EEEEE10hipError_tT1_PNSt15iterator_traitsISI_E10value_typeET2_T3_PNSJ_ISO_E10value_typeET4_T5_PST_SU_PNS1_23onesweep_lookback_stateEbbT6_jjT7_P12ihipStream_tbENKUlT_T0_SI_SN_E_clISD_SD_SD_SD_EEDaS11_S12_SI_SN_EUlS11_E_NS1_11comp_targetILNS1_3genE5ELNS1_11target_archE942ELNS1_3gpuE9ELNS1_3repE0EEENS1_47radix_sort_onesweep_sort_config_static_selectorELNS0_4arch9wavefront6targetE1EEEvSI_,comdat
.Lfunc_end1001:
	.size	_ZN7rocprim17ROCPRIM_400000_NS6detail17trampoline_kernelINS0_14default_configENS1_35radix_sort_onesweep_config_selectorIiiEEZZNS1_29radix_sort_onesweep_iterationIS3_Lb1EN6thrust23THRUST_200600_302600_NS6detail15normal_iteratorINS8_10device_ptrIiEEEESD_SD_SD_jNS0_19identity_decomposerENS1_16block_id_wrapperIjLb1EEEEE10hipError_tT1_PNSt15iterator_traitsISI_E10value_typeET2_T3_PNSJ_ISO_E10value_typeET4_T5_PST_SU_PNS1_23onesweep_lookback_stateEbbT6_jjT7_P12ihipStream_tbENKUlT_T0_SI_SN_E_clISD_SD_SD_SD_EEDaS11_S12_SI_SN_EUlS11_E_NS1_11comp_targetILNS1_3genE5ELNS1_11target_archE942ELNS1_3gpuE9ELNS1_3repE0EEENS1_47radix_sort_onesweep_sort_config_static_selectorELNS0_4arch9wavefront6targetE1EEEvSI_, .Lfunc_end1001-_ZN7rocprim17ROCPRIM_400000_NS6detail17trampoline_kernelINS0_14default_configENS1_35radix_sort_onesweep_config_selectorIiiEEZZNS1_29radix_sort_onesweep_iterationIS3_Lb1EN6thrust23THRUST_200600_302600_NS6detail15normal_iteratorINS8_10device_ptrIiEEEESD_SD_SD_jNS0_19identity_decomposerENS1_16block_id_wrapperIjLb1EEEEE10hipError_tT1_PNSt15iterator_traitsISI_E10value_typeET2_T3_PNSJ_ISO_E10value_typeET4_T5_PST_SU_PNS1_23onesweep_lookback_stateEbbT6_jjT7_P12ihipStream_tbENKUlT_T0_SI_SN_E_clISD_SD_SD_SD_EEDaS11_S12_SI_SN_EUlS11_E_NS1_11comp_targetILNS1_3genE5ELNS1_11target_archE942ELNS1_3gpuE9ELNS1_3repE0EEENS1_47radix_sort_onesweep_sort_config_static_selectorELNS0_4arch9wavefront6targetE1EEEvSI_
                                        ; -- End function
	.set _ZN7rocprim17ROCPRIM_400000_NS6detail17trampoline_kernelINS0_14default_configENS1_35radix_sort_onesweep_config_selectorIiiEEZZNS1_29radix_sort_onesweep_iterationIS3_Lb1EN6thrust23THRUST_200600_302600_NS6detail15normal_iteratorINS8_10device_ptrIiEEEESD_SD_SD_jNS0_19identity_decomposerENS1_16block_id_wrapperIjLb1EEEEE10hipError_tT1_PNSt15iterator_traitsISI_E10value_typeET2_T3_PNSJ_ISO_E10value_typeET4_T5_PST_SU_PNS1_23onesweep_lookback_stateEbbT6_jjT7_P12ihipStream_tbENKUlT_T0_SI_SN_E_clISD_SD_SD_SD_EEDaS11_S12_SI_SN_EUlS11_E_NS1_11comp_targetILNS1_3genE5ELNS1_11target_archE942ELNS1_3gpuE9ELNS1_3repE0EEENS1_47radix_sort_onesweep_sort_config_static_selectorELNS0_4arch9wavefront6targetE1EEEvSI_.num_vgpr, 0
	.set _ZN7rocprim17ROCPRIM_400000_NS6detail17trampoline_kernelINS0_14default_configENS1_35radix_sort_onesweep_config_selectorIiiEEZZNS1_29radix_sort_onesweep_iterationIS3_Lb1EN6thrust23THRUST_200600_302600_NS6detail15normal_iteratorINS8_10device_ptrIiEEEESD_SD_SD_jNS0_19identity_decomposerENS1_16block_id_wrapperIjLb1EEEEE10hipError_tT1_PNSt15iterator_traitsISI_E10value_typeET2_T3_PNSJ_ISO_E10value_typeET4_T5_PST_SU_PNS1_23onesweep_lookback_stateEbbT6_jjT7_P12ihipStream_tbENKUlT_T0_SI_SN_E_clISD_SD_SD_SD_EEDaS11_S12_SI_SN_EUlS11_E_NS1_11comp_targetILNS1_3genE5ELNS1_11target_archE942ELNS1_3gpuE9ELNS1_3repE0EEENS1_47radix_sort_onesweep_sort_config_static_selectorELNS0_4arch9wavefront6targetE1EEEvSI_.num_agpr, 0
	.set _ZN7rocprim17ROCPRIM_400000_NS6detail17trampoline_kernelINS0_14default_configENS1_35radix_sort_onesweep_config_selectorIiiEEZZNS1_29radix_sort_onesweep_iterationIS3_Lb1EN6thrust23THRUST_200600_302600_NS6detail15normal_iteratorINS8_10device_ptrIiEEEESD_SD_SD_jNS0_19identity_decomposerENS1_16block_id_wrapperIjLb1EEEEE10hipError_tT1_PNSt15iterator_traitsISI_E10value_typeET2_T3_PNSJ_ISO_E10value_typeET4_T5_PST_SU_PNS1_23onesweep_lookback_stateEbbT6_jjT7_P12ihipStream_tbENKUlT_T0_SI_SN_E_clISD_SD_SD_SD_EEDaS11_S12_SI_SN_EUlS11_E_NS1_11comp_targetILNS1_3genE5ELNS1_11target_archE942ELNS1_3gpuE9ELNS1_3repE0EEENS1_47radix_sort_onesweep_sort_config_static_selectorELNS0_4arch9wavefront6targetE1EEEvSI_.numbered_sgpr, 0
	.set _ZN7rocprim17ROCPRIM_400000_NS6detail17trampoline_kernelINS0_14default_configENS1_35radix_sort_onesweep_config_selectorIiiEEZZNS1_29radix_sort_onesweep_iterationIS3_Lb1EN6thrust23THRUST_200600_302600_NS6detail15normal_iteratorINS8_10device_ptrIiEEEESD_SD_SD_jNS0_19identity_decomposerENS1_16block_id_wrapperIjLb1EEEEE10hipError_tT1_PNSt15iterator_traitsISI_E10value_typeET2_T3_PNSJ_ISO_E10value_typeET4_T5_PST_SU_PNS1_23onesweep_lookback_stateEbbT6_jjT7_P12ihipStream_tbENKUlT_T0_SI_SN_E_clISD_SD_SD_SD_EEDaS11_S12_SI_SN_EUlS11_E_NS1_11comp_targetILNS1_3genE5ELNS1_11target_archE942ELNS1_3gpuE9ELNS1_3repE0EEENS1_47radix_sort_onesweep_sort_config_static_selectorELNS0_4arch9wavefront6targetE1EEEvSI_.num_named_barrier, 0
	.set _ZN7rocprim17ROCPRIM_400000_NS6detail17trampoline_kernelINS0_14default_configENS1_35radix_sort_onesweep_config_selectorIiiEEZZNS1_29radix_sort_onesweep_iterationIS3_Lb1EN6thrust23THRUST_200600_302600_NS6detail15normal_iteratorINS8_10device_ptrIiEEEESD_SD_SD_jNS0_19identity_decomposerENS1_16block_id_wrapperIjLb1EEEEE10hipError_tT1_PNSt15iterator_traitsISI_E10value_typeET2_T3_PNSJ_ISO_E10value_typeET4_T5_PST_SU_PNS1_23onesweep_lookback_stateEbbT6_jjT7_P12ihipStream_tbENKUlT_T0_SI_SN_E_clISD_SD_SD_SD_EEDaS11_S12_SI_SN_EUlS11_E_NS1_11comp_targetILNS1_3genE5ELNS1_11target_archE942ELNS1_3gpuE9ELNS1_3repE0EEENS1_47radix_sort_onesweep_sort_config_static_selectorELNS0_4arch9wavefront6targetE1EEEvSI_.private_seg_size, 0
	.set _ZN7rocprim17ROCPRIM_400000_NS6detail17trampoline_kernelINS0_14default_configENS1_35radix_sort_onesweep_config_selectorIiiEEZZNS1_29radix_sort_onesweep_iterationIS3_Lb1EN6thrust23THRUST_200600_302600_NS6detail15normal_iteratorINS8_10device_ptrIiEEEESD_SD_SD_jNS0_19identity_decomposerENS1_16block_id_wrapperIjLb1EEEEE10hipError_tT1_PNSt15iterator_traitsISI_E10value_typeET2_T3_PNSJ_ISO_E10value_typeET4_T5_PST_SU_PNS1_23onesweep_lookback_stateEbbT6_jjT7_P12ihipStream_tbENKUlT_T0_SI_SN_E_clISD_SD_SD_SD_EEDaS11_S12_SI_SN_EUlS11_E_NS1_11comp_targetILNS1_3genE5ELNS1_11target_archE942ELNS1_3gpuE9ELNS1_3repE0EEENS1_47radix_sort_onesweep_sort_config_static_selectorELNS0_4arch9wavefront6targetE1EEEvSI_.uses_vcc, 0
	.set _ZN7rocprim17ROCPRIM_400000_NS6detail17trampoline_kernelINS0_14default_configENS1_35radix_sort_onesweep_config_selectorIiiEEZZNS1_29radix_sort_onesweep_iterationIS3_Lb1EN6thrust23THRUST_200600_302600_NS6detail15normal_iteratorINS8_10device_ptrIiEEEESD_SD_SD_jNS0_19identity_decomposerENS1_16block_id_wrapperIjLb1EEEEE10hipError_tT1_PNSt15iterator_traitsISI_E10value_typeET2_T3_PNSJ_ISO_E10value_typeET4_T5_PST_SU_PNS1_23onesweep_lookback_stateEbbT6_jjT7_P12ihipStream_tbENKUlT_T0_SI_SN_E_clISD_SD_SD_SD_EEDaS11_S12_SI_SN_EUlS11_E_NS1_11comp_targetILNS1_3genE5ELNS1_11target_archE942ELNS1_3gpuE9ELNS1_3repE0EEENS1_47radix_sort_onesweep_sort_config_static_selectorELNS0_4arch9wavefront6targetE1EEEvSI_.uses_flat_scratch, 0
	.set _ZN7rocprim17ROCPRIM_400000_NS6detail17trampoline_kernelINS0_14default_configENS1_35radix_sort_onesweep_config_selectorIiiEEZZNS1_29radix_sort_onesweep_iterationIS3_Lb1EN6thrust23THRUST_200600_302600_NS6detail15normal_iteratorINS8_10device_ptrIiEEEESD_SD_SD_jNS0_19identity_decomposerENS1_16block_id_wrapperIjLb1EEEEE10hipError_tT1_PNSt15iterator_traitsISI_E10value_typeET2_T3_PNSJ_ISO_E10value_typeET4_T5_PST_SU_PNS1_23onesweep_lookback_stateEbbT6_jjT7_P12ihipStream_tbENKUlT_T0_SI_SN_E_clISD_SD_SD_SD_EEDaS11_S12_SI_SN_EUlS11_E_NS1_11comp_targetILNS1_3genE5ELNS1_11target_archE942ELNS1_3gpuE9ELNS1_3repE0EEENS1_47radix_sort_onesweep_sort_config_static_selectorELNS0_4arch9wavefront6targetE1EEEvSI_.has_dyn_sized_stack, 0
	.set _ZN7rocprim17ROCPRIM_400000_NS6detail17trampoline_kernelINS0_14default_configENS1_35radix_sort_onesweep_config_selectorIiiEEZZNS1_29radix_sort_onesweep_iterationIS3_Lb1EN6thrust23THRUST_200600_302600_NS6detail15normal_iteratorINS8_10device_ptrIiEEEESD_SD_SD_jNS0_19identity_decomposerENS1_16block_id_wrapperIjLb1EEEEE10hipError_tT1_PNSt15iterator_traitsISI_E10value_typeET2_T3_PNSJ_ISO_E10value_typeET4_T5_PST_SU_PNS1_23onesweep_lookback_stateEbbT6_jjT7_P12ihipStream_tbENKUlT_T0_SI_SN_E_clISD_SD_SD_SD_EEDaS11_S12_SI_SN_EUlS11_E_NS1_11comp_targetILNS1_3genE5ELNS1_11target_archE942ELNS1_3gpuE9ELNS1_3repE0EEENS1_47radix_sort_onesweep_sort_config_static_selectorELNS0_4arch9wavefront6targetE1EEEvSI_.has_recursion, 0
	.set _ZN7rocprim17ROCPRIM_400000_NS6detail17trampoline_kernelINS0_14default_configENS1_35radix_sort_onesweep_config_selectorIiiEEZZNS1_29radix_sort_onesweep_iterationIS3_Lb1EN6thrust23THRUST_200600_302600_NS6detail15normal_iteratorINS8_10device_ptrIiEEEESD_SD_SD_jNS0_19identity_decomposerENS1_16block_id_wrapperIjLb1EEEEE10hipError_tT1_PNSt15iterator_traitsISI_E10value_typeET2_T3_PNSJ_ISO_E10value_typeET4_T5_PST_SU_PNS1_23onesweep_lookback_stateEbbT6_jjT7_P12ihipStream_tbENKUlT_T0_SI_SN_E_clISD_SD_SD_SD_EEDaS11_S12_SI_SN_EUlS11_E_NS1_11comp_targetILNS1_3genE5ELNS1_11target_archE942ELNS1_3gpuE9ELNS1_3repE0EEENS1_47radix_sort_onesweep_sort_config_static_selectorELNS0_4arch9wavefront6targetE1EEEvSI_.has_indirect_call, 0
	.section	.AMDGPU.csdata,"",@progbits
; Kernel info:
; codeLenInByte = 0
; TotalNumSgprs: 6
; NumVgprs: 0
; NumAgprs: 0
; TotalNumVgprs: 0
; ScratchSize: 0
; MemoryBound: 0
; FloatMode: 240
; IeeeMode: 1
; LDSByteSize: 0 bytes/workgroup (compile time only)
; SGPRBlocks: 0
; VGPRBlocks: 0
; NumSGPRsForWavesPerEU: 6
; NumVGPRsForWavesPerEU: 1
; AccumOffset: 4
; Occupancy: 8
; WaveLimiterHint : 0
; COMPUTE_PGM_RSRC2:SCRATCH_EN: 0
; COMPUTE_PGM_RSRC2:USER_SGPR: 2
; COMPUTE_PGM_RSRC2:TRAP_HANDLER: 0
; COMPUTE_PGM_RSRC2:TGID_X_EN: 1
; COMPUTE_PGM_RSRC2:TGID_Y_EN: 0
; COMPUTE_PGM_RSRC2:TGID_Z_EN: 0
; COMPUTE_PGM_RSRC2:TIDIG_COMP_CNT: 0
; COMPUTE_PGM_RSRC3_GFX90A:ACCUM_OFFSET: 0
; COMPUTE_PGM_RSRC3_GFX90A:TG_SPLIT: 0
	.section	.text._ZN7rocprim17ROCPRIM_400000_NS6detail17trampoline_kernelINS0_14default_configENS1_35radix_sort_onesweep_config_selectorIiiEEZZNS1_29radix_sort_onesweep_iterationIS3_Lb1EN6thrust23THRUST_200600_302600_NS6detail15normal_iteratorINS8_10device_ptrIiEEEESD_SD_SD_jNS0_19identity_decomposerENS1_16block_id_wrapperIjLb1EEEEE10hipError_tT1_PNSt15iterator_traitsISI_E10value_typeET2_T3_PNSJ_ISO_E10value_typeET4_T5_PST_SU_PNS1_23onesweep_lookback_stateEbbT6_jjT7_P12ihipStream_tbENKUlT_T0_SI_SN_E_clISD_SD_SD_SD_EEDaS11_S12_SI_SN_EUlS11_E_NS1_11comp_targetILNS1_3genE2ELNS1_11target_archE906ELNS1_3gpuE6ELNS1_3repE0EEENS1_47radix_sort_onesweep_sort_config_static_selectorELNS0_4arch9wavefront6targetE1EEEvSI_,"axG",@progbits,_ZN7rocprim17ROCPRIM_400000_NS6detail17trampoline_kernelINS0_14default_configENS1_35radix_sort_onesweep_config_selectorIiiEEZZNS1_29radix_sort_onesweep_iterationIS3_Lb1EN6thrust23THRUST_200600_302600_NS6detail15normal_iteratorINS8_10device_ptrIiEEEESD_SD_SD_jNS0_19identity_decomposerENS1_16block_id_wrapperIjLb1EEEEE10hipError_tT1_PNSt15iterator_traitsISI_E10value_typeET2_T3_PNSJ_ISO_E10value_typeET4_T5_PST_SU_PNS1_23onesweep_lookback_stateEbbT6_jjT7_P12ihipStream_tbENKUlT_T0_SI_SN_E_clISD_SD_SD_SD_EEDaS11_S12_SI_SN_EUlS11_E_NS1_11comp_targetILNS1_3genE2ELNS1_11target_archE906ELNS1_3gpuE6ELNS1_3repE0EEENS1_47radix_sort_onesweep_sort_config_static_selectorELNS0_4arch9wavefront6targetE1EEEvSI_,comdat
	.protected	_ZN7rocprim17ROCPRIM_400000_NS6detail17trampoline_kernelINS0_14default_configENS1_35radix_sort_onesweep_config_selectorIiiEEZZNS1_29radix_sort_onesweep_iterationIS3_Lb1EN6thrust23THRUST_200600_302600_NS6detail15normal_iteratorINS8_10device_ptrIiEEEESD_SD_SD_jNS0_19identity_decomposerENS1_16block_id_wrapperIjLb1EEEEE10hipError_tT1_PNSt15iterator_traitsISI_E10value_typeET2_T3_PNSJ_ISO_E10value_typeET4_T5_PST_SU_PNS1_23onesweep_lookback_stateEbbT6_jjT7_P12ihipStream_tbENKUlT_T0_SI_SN_E_clISD_SD_SD_SD_EEDaS11_S12_SI_SN_EUlS11_E_NS1_11comp_targetILNS1_3genE2ELNS1_11target_archE906ELNS1_3gpuE6ELNS1_3repE0EEENS1_47radix_sort_onesweep_sort_config_static_selectorELNS0_4arch9wavefront6targetE1EEEvSI_ ; -- Begin function _ZN7rocprim17ROCPRIM_400000_NS6detail17trampoline_kernelINS0_14default_configENS1_35radix_sort_onesweep_config_selectorIiiEEZZNS1_29radix_sort_onesweep_iterationIS3_Lb1EN6thrust23THRUST_200600_302600_NS6detail15normal_iteratorINS8_10device_ptrIiEEEESD_SD_SD_jNS0_19identity_decomposerENS1_16block_id_wrapperIjLb1EEEEE10hipError_tT1_PNSt15iterator_traitsISI_E10value_typeET2_T3_PNSJ_ISO_E10value_typeET4_T5_PST_SU_PNS1_23onesweep_lookback_stateEbbT6_jjT7_P12ihipStream_tbENKUlT_T0_SI_SN_E_clISD_SD_SD_SD_EEDaS11_S12_SI_SN_EUlS11_E_NS1_11comp_targetILNS1_3genE2ELNS1_11target_archE906ELNS1_3gpuE6ELNS1_3repE0EEENS1_47radix_sort_onesweep_sort_config_static_selectorELNS0_4arch9wavefront6targetE1EEEvSI_
	.globl	_ZN7rocprim17ROCPRIM_400000_NS6detail17trampoline_kernelINS0_14default_configENS1_35radix_sort_onesweep_config_selectorIiiEEZZNS1_29radix_sort_onesweep_iterationIS3_Lb1EN6thrust23THRUST_200600_302600_NS6detail15normal_iteratorINS8_10device_ptrIiEEEESD_SD_SD_jNS0_19identity_decomposerENS1_16block_id_wrapperIjLb1EEEEE10hipError_tT1_PNSt15iterator_traitsISI_E10value_typeET2_T3_PNSJ_ISO_E10value_typeET4_T5_PST_SU_PNS1_23onesweep_lookback_stateEbbT6_jjT7_P12ihipStream_tbENKUlT_T0_SI_SN_E_clISD_SD_SD_SD_EEDaS11_S12_SI_SN_EUlS11_E_NS1_11comp_targetILNS1_3genE2ELNS1_11target_archE906ELNS1_3gpuE6ELNS1_3repE0EEENS1_47radix_sort_onesweep_sort_config_static_selectorELNS0_4arch9wavefront6targetE1EEEvSI_
	.p2align	8
	.type	_ZN7rocprim17ROCPRIM_400000_NS6detail17trampoline_kernelINS0_14default_configENS1_35radix_sort_onesweep_config_selectorIiiEEZZNS1_29radix_sort_onesweep_iterationIS3_Lb1EN6thrust23THRUST_200600_302600_NS6detail15normal_iteratorINS8_10device_ptrIiEEEESD_SD_SD_jNS0_19identity_decomposerENS1_16block_id_wrapperIjLb1EEEEE10hipError_tT1_PNSt15iterator_traitsISI_E10value_typeET2_T3_PNSJ_ISO_E10value_typeET4_T5_PST_SU_PNS1_23onesweep_lookback_stateEbbT6_jjT7_P12ihipStream_tbENKUlT_T0_SI_SN_E_clISD_SD_SD_SD_EEDaS11_S12_SI_SN_EUlS11_E_NS1_11comp_targetILNS1_3genE2ELNS1_11target_archE906ELNS1_3gpuE6ELNS1_3repE0EEENS1_47radix_sort_onesweep_sort_config_static_selectorELNS0_4arch9wavefront6targetE1EEEvSI_,@function
_ZN7rocprim17ROCPRIM_400000_NS6detail17trampoline_kernelINS0_14default_configENS1_35radix_sort_onesweep_config_selectorIiiEEZZNS1_29radix_sort_onesweep_iterationIS3_Lb1EN6thrust23THRUST_200600_302600_NS6detail15normal_iteratorINS8_10device_ptrIiEEEESD_SD_SD_jNS0_19identity_decomposerENS1_16block_id_wrapperIjLb1EEEEE10hipError_tT1_PNSt15iterator_traitsISI_E10value_typeET2_T3_PNSJ_ISO_E10value_typeET4_T5_PST_SU_PNS1_23onesweep_lookback_stateEbbT6_jjT7_P12ihipStream_tbENKUlT_T0_SI_SN_E_clISD_SD_SD_SD_EEDaS11_S12_SI_SN_EUlS11_E_NS1_11comp_targetILNS1_3genE2ELNS1_11target_archE906ELNS1_3gpuE6ELNS1_3repE0EEENS1_47radix_sort_onesweep_sort_config_static_selectorELNS0_4arch9wavefront6targetE1EEEvSI_: ; @_ZN7rocprim17ROCPRIM_400000_NS6detail17trampoline_kernelINS0_14default_configENS1_35radix_sort_onesweep_config_selectorIiiEEZZNS1_29radix_sort_onesweep_iterationIS3_Lb1EN6thrust23THRUST_200600_302600_NS6detail15normal_iteratorINS8_10device_ptrIiEEEESD_SD_SD_jNS0_19identity_decomposerENS1_16block_id_wrapperIjLb1EEEEE10hipError_tT1_PNSt15iterator_traitsISI_E10value_typeET2_T3_PNSJ_ISO_E10value_typeET4_T5_PST_SU_PNS1_23onesweep_lookback_stateEbbT6_jjT7_P12ihipStream_tbENKUlT_T0_SI_SN_E_clISD_SD_SD_SD_EEDaS11_S12_SI_SN_EUlS11_E_NS1_11comp_targetILNS1_3genE2ELNS1_11target_archE906ELNS1_3gpuE6ELNS1_3repE0EEENS1_47radix_sort_onesweep_sort_config_static_selectorELNS0_4arch9wavefront6targetE1EEEvSI_
; %bb.0:
	.section	.rodata,"a",@progbits
	.p2align	6, 0x0
	.amdhsa_kernel _ZN7rocprim17ROCPRIM_400000_NS6detail17trampoline_kernelINS0_14default_configENS1_35radix_sort_onesweep_config_selectorIiiEEZZNS1_29radix_sort_onesweep_iterationIS3_Lb1EN6thrust23THRUST_200600_302600_NS6detail15normal_iteratorINS8_10device_ptrIiEEEESD_SD_SD_jNS0_19identity_decomposerENS1_16block_id_wrapperIjLb1EEEEE10hipError_tT1_PNSt15iterator_traitsISI_E10value_typeET2_T3_PNSJ_ISO_E10value_typeET4_T5_PST_SU_PNS1_23onesweep_lookback_stateEbbT6_jjT7_P12ihipStream_tbENKUlT_T0_SI_SN_E_clISD_SD_SD_SD_EEDaS11_S12_SI_SN_EUlS11_E_NS1_11comp_targetILNS1_3genE2ELNS1_11target_archE906ELNS1_3gpuE6ELNS1_3repE0EEENS1_47radix_sort_onesweep_sort_config_static_selectorELNS0_4arch9wavefront6targetE1EEEvSI_
		.amdhsa_group_segment_fixed_size 0
		.amdhsa_private_segment_fixed_size 0
		.amdhsa_kernarg_size 88
		.amdhsa_user_sgpr_count 2
		.amdhsa_user_sgpr_dispatch_ptr 0
		.amdhsa_user_sgpr_queue_ptr 0
		.amdhsa_user_sgpr_kernarg_segment_ptr 1
		.amdhsa_user_sgpr_dispatch_id 0
		.amdhsa_user_sgpr_kernarg_preload_length 0
		.amdhsa_user_sgpr_kernarg_preload_offset 0
		.amdhsa_user_sgpr_private_segment_size 0
		.amdhsa_uses_dynamic_stack 0
		.amdhsa_enable_private_segment 0
		.amdhsa_system_sgpr_workgroup_id_x 1
		.amdhsa_system_sgpr_workgroup_id_y 0
		.amdhsa_system_sgpr_workgroup_id_z 0
		.amdhsa_system_sgpr_workgroup_info 0
		.amdhsa_system_vgpr_workitem_id 0
		.amdhsa_next_free_vgpr 1
		.amdhsa_next_free_sgpr 0
		.amdhsa_accum_offset 4
		.amdhsa_reserve_vcc 0
		.amdhsa_float_round_mode_32 0
		.amdhsa_float_round_mode_16_64 0
		.amdhsa_float_denorm_mode_32 3
		.amdhsa_float_denorm_mode_16_64 3
		.amdhsa_dx10_clamp 1
		.amdhsa_ieee_mode 1
		.amdhsa_fp16_overflow 0
		.amdhsa_tg_split 0
		.amdhsa_exception_fp_ieee_invalid_op 0
		.amdhsa_exception_fp_denorm_src 0
		.amdhsa_exception_fp_ieee_div_zero 0
		.amdhsa_exception_fp_ieee_overflow 0
		.amdhsa_exception_fp_ieee_underflow 0
		.amdhsa_exception_fp_ieee_inexact 0
		.amdhsa_exception_int_div_zero 0
	.end_amdhsa_kernel
	.section	.text._ZN7rocprim17ROCPRIM_400000_NS6detail17trampoline_kernelINS0_14default_configENS1_35radix_sort_onesweep_config_selectorIiiEEZZNS1_29radix_sort_onesweep_iterationIS3_Lb1EN6thrust23THRUST_200600_302600_NS6detail15normal_iteratorINS8_10device_ptrIiEEEESD_SD_SD_jNS0_19identity_decomposerENS1_16block_id_wrapperIjLb1EEEEE10hipError_tT1_PNSt15iterator_traitsISI_E10value_typeET2_T3_PNSJ_ISO_E10value_typeET4_T5_PST_SU_PNS1_23onesweep_lookback_stateEbbT6_jjT7_P12ihipStream_tbENKUlT_T0_SI_SN_E_clISD_SD_SD_SD_EEDaS11_S12_SI_SN_EUlS11_E_NS1_11comp_targetILNS1_3genE2ELNS1_11target_archE906ELNS1_3gpuE6ELNS1_3repE0EEENS1_47radix_sort_onesweep_sort_config_static_selectorELNS0_4arch9wavefront6targetE1EEEvSI_,"axG",@progbits,_ZN7rocprim17ROCPRIM_400000_NS6detail17trampoline_kernelINS0_14default_configENS1_35radix_sort_onesweep_config_selectorIiiEEZZNS1_29radix_sort_onesweep_iterationIS3_Lb1EN6thrust23THRUST_200600_302600_NS6detail15normal_iteratorINS8_10device_ptrIiEEEESD_SD_SD_jNS0_19identity_decomposerENS1_16block_id_wrapperIjLb1EEEEE10hipError_tT1_PNSt15iterator_traitsISI_E10value_typeET2_T3_PNSJ_ISO_E10value_typeET4_T5_PST_SU_PNS1_23onesweep_lookback_stateEbbT6_jjT7_P12ihipStream_tbENKUlT_T0_SI_SN_E_clISD_SD_SD_SD_EEDaS11_S12_SI_SN_EUlS11_E_NS1_11comp_targetILNS1_3genE2ELNS1_11target_archE906ELNS1_3gpuE6ELNS1_3repE0EEENS1_47radix_sort_onesweep_sort_config_static_selectorELNS0_4arch9wavefront6targetE1EEEvSI_,comdat
.Lfunc_end1002:
	.size	_ZN7rocprim17ROCPRIM_400000_NS6detail17trampoline_kernelINS0_14default_configENS1_35radix_sort_onesweep_config_selectorIiiEEZZNS1_29radix_sort_onesweep_iterationIS3_Lb1EN6thrust23THRUST_200600_302600_NS6detail15normal_iteratorINS8_10device_ptrIiEEEESD_SD_SD_jNS0_19identity_decomposerENS1_16block_id_wrapperIjLb1EEEEE10hipError_tT1_PNSt15iterator_traitsISI_E10value_typeET2_T3_PNSJ_ISO_E10value_typeET4_T5_PST_SU_PNS1_23onesweep_lookback_stateEbbT6_jjT7_P12ihipStream_tbENKUlT_T0_SI_SN_E_clISD_SD_SD_SD_EEDaS11_S12_SI_SN_EUlS11_E_NS1_11comp_targetILNS1_3genE2ELNS1_11target_archE906ELNS1_3gpuE6ELNS1_3repE0EEENS1_47radix_sort_onesweep_sort_config_static_selectorELNS0_4arch9wavefront6targetE1EEEvSI_, .Lfunc_end1002-_ZN7rocprim17ROCPRIM_400000_NS6detail17trampoline_kernelINS0_14default_configENS1_35radix_sort_onesweep_config_selectorIiiEEZZNS1_29radix_sort_onesweep_iterationIS3_Lb1EN6thrust23THRUST_200600_302600_NS6detail15normal_iteratorINS8_10device_ptrIiEEEESD_SD_SD_jNS0_19identity_decomposerENS1_16block_id_wrapperIjLb1EEEEE10hipError_tT1_PNSt15iterator_traitsISI_E10value_typeET2_T3_PNSJ_ISO_E10value_typeET4_T5_PST_SU_PNS1_23onesweep_lookback_stateEbbT6_jjT7_P12ihipStream_tbENKUlT_T0_SI_SN_E_clISD_SD_SD_SD_EEDaS11_S12_SI_SN_EUlS11_E_NS1_11comp_targetILNS1_3genE2ELNS1_11target_archE906ELNS1_3gpuE6ELNS1_3repE0EEENS1_47radix_sort_onesweep_sort_config_static_selectorELNS0_4arch9wavefront6targetE1EEEvSI_
                                        ; -- End function
	.set _ZN7rocprim17ROCPRIM_400000_NS6detail17trampoline_kernelINS0_14default_configENS1_35radix_sort_onesweep_config_selectorIiiEEZZNS1_29radix_sort_onesweep_iterationIS3_Lb1EN6thrust23THRUST_200600_302600_NS6detail15normal_iteratorINS8_10device_ptrIiEEEESD_SD_SD_jNS0_19identity_decomposerENS1_16block_id_wrapperIjLb1EEEEE10hipError_tT1_PNSt15iterator_traitsISI_E10value_typeET2_T3_PNSJ_ISO_E10value_typeET4_T5_PST_SU_PNS1_23onesweep_lookback_stateEbbT6_jjT7_P12ihipStream_tbENKUlT_T0_SI_SN_E_clISD_SD_SD_SD_EEDaS11_S12_SI_SN_EUlS11_E_NS1_11comp_targetILNS1_3genE2ELNS1_11target_archE906ELNS1_3gpuE6ELNS1_3repE0EEENS1_47radix_sort_onesweep_sort_config_static_selectorELNS0_4arch9wavefront6targetE1EEEvSI_.num_vgpr, 0
	.set _ZN7rocprim17ROCPRIM_400000_NS6detail17trampoline_kernelINS0_14default_configENS1_35radix_sort_onesweep_config_selectorIiiEEZZNS1_29radix_sort_onesweep_iterationIS3_Lb1EN6thrust23THRUST_200600_302600_NS6detail15normal_iteratorINS8_10device_ptrIiEEEESD_SD_SD_jNS0_19identity_decomposerENS1_16block_id_wrapperIjLb1EEEEE10hipError_tT1_PNSt15iterator_traitsISI_E10value_typeET2_T3_PNSJ_ISO_E10value_typeET4_T5_PST_SU_PNS1_23onesweep_lookback_stateEbbT6_jjT7_P12ihipStream_tbENKUlT_T0_SI_SN_E_clISD_SD_SD_SD_EEDaS11_S12_SI_SN_EUlS11_E_NS1_11comp_targetILNS1_3genE2ELNS1_11target_archE906ELNS1_3gpuE6ELNS1_3repE0EEENS1_47radix_sort_onesweep_sort_config_static_selectorELNS0_4arch9wavefront6targetE1EEEvSI_.num_agpr, 0
	.set _ZN7rocprim17ROCPRIM_400000_NS6detail17trampoline_kernelINS0_14default_configENS1_35radix_sort_onesweep_config_selectorIiiEEZZNS1_29radix_sort_onesweep_iterationIS3_Lb1EN6thrust23THRUST_200600_302600_NS6detail15normal_iteratorINS8_10device_ptrIiEEEESD_SD_SD_jNS0_19identity_decomposerENS1_16block_id_wrapperIjLb1EEEEE10hipError_tT1_PNSt15iterator_traitsISI_E10value_typeET2_T3_PNSJ_ISO_E10value_typeET4_T5_PST_SU_PNS1_23onesweep_lookback_stateEbbT6_jjT7_P12ihipStream_tbENKUlT_T0_SI_SN_E_clISD_SD_SD_SD_EEDaS11_S12_SI_SN_EUlS11_E_NS1_11comp_targetILNS1_3genE2ELNS1_11target_archE906ELNS1_3gpuE6ELNS1_3repE0EEENS1_47radix_sort_onesweep_sort_config_static_selectorELNS0_4arch9wavefront6targetE1EEEvSI_.numbered_sgpr, 0
	.set _ZN7rocprim17ROCPRIM_400000_NS6detail17trampoline_kernelINS0_14default_configENS1_35radix_sort_onesweep_config_selectorIiiEEZZNS1_29radix_sort_onesweep_iterationIS3_Lb1EN6thrust23THRUST_200600_302600_NS6detail15normal_iteratorINS8_10device_ptrIiEEEESD_SD_SD_jNS0_19identity_decomposerENS1_16block_id_wrapperIjLb1EEEEE10hipError_tT1_PNSt15iterator_traitsISI_E10value_typeET2_T3_PNSJ_ISO_E10value_typeET4_T5_PST_SU_PNS1_23onesweep_lookback_stateEbbT6_jjT7_P12ihipStream_tbENKUlT_T0_SI_SN_E_clISD_SD_SD_SD_EEDaS11_S12_SI_SN_EUlS11_E_NS1_11comp_targetILNS1_3genE2ELNS1_11target_archE906ELNS1_3gpuE6ELNS1_3repE0EEENS1_47radix_sort_onesweep_sort_config_static_selectorELNS0_4arch9wavefront6targetE1EEEvSI_.num_named_barrier, 0
	.set _ZN7rocprim17ROCPRIM_400000_NS6detail17trampoline_kernelINS0_14default_configENS1_35radix_sort_onesweep_config_selectorIiiEEZZNS1_29radix_sort_onesweep_iterationIS3_Lb1EN6thrust23THRUST_200600_302600_NS6detail15normal_iteratorINS8_10device_ptrIiEEEESD_SD_SD_jNS0_19identity_decomposerENS1_16block_id_wrapperIjLb1EEEEE10hipError_tT1_PNSt15iterator_traitsISI_E10value_typeET2_T3_PNSJ_ISO_E10value_typeET4_T5_PST_SU_PNS1_23onesweep_lookback_stateEbbT6_jjT7_P12ihipStream_tbENKUlT_T0_SI_SN_E_clISD_SD_SD_SD_EEDaS11_S12_SI_SN_EUlS11_E_NS1_11comp_targetILNS1_3genE2ELNS1_11target_archE906ELNS1_3gpuE6ELNS1_3repE0EEENS1_47radix_sort_onesweep_sort_config_static_selectorELNS0_4arch9wavefront6targetE1EEEvSI_.private_seg_size, 0
	.set _ZN7rocprim17ROCPRIM_400000_NS6detail17trampoline_kernelINS0_14default_configENS1_35radix_sort_onesweep_config_selectorIiiEEZZNS1_29radix_sort_onesweep_iterationIS3_Lb1EN6thrust23THRUST_200600_302600_NS6detail15normal_iteratorINS8_10device_ptrIiEEEESD_SD_SD_jNS0_19identity_decomposerENS1_16block_id_wrapperIjLb1EEEEE10hipError_tT1_PNSt15iterator_traitsISI_E10value_typeET2_T3_PNSJ_ISO_E10value_typeET4_T5_PST_SU_PNS1_23onesweep_lookback_stateEbbT6_jjT7_P12ihipStream_tbENKUlT_T0_SI_SN_E_clISD_SD_SD_SD_EEDaS11_S12_SI_SN_EUlS11_E_NS1_11comp_targetILNS1_3genE2ELNS1_11target_archE906ELNS1_3gpuE6ELNS1_3repE0EEENS1_47radix_sort_onesweep_sort_config_static_selectorELNS0_4arch9wavefront6targetE1EEEvSI_.uses_vcc, 0
	.set _ZN7rocprim17ROCPRIM_400000_NS6detail17trampoline_kernelINS0_14default_configENS1_35radix_sort_onesweep_config_selectorIiiEEZZNS1_29radix_sort_onesweep_iterationIS3_Lb1EN6thrust23THRUST_200600_302600_NS6detail15normal_iteratorINS8_10device_ptrIiEEEESD_SD_SD_jNS0_19identity_decomposerENS1_16block_id_wrapperIjLb1EEEEE10hipError_tT1_PNSt15iterator_traitsISI_E10value_typeET2_T3_PNSJ_ISO_E10value_typeET4_T5_PST_SU_PNS1_23onesweep_lookback_stateEbbT6_jjT7_P12ihipStream_tbENKUlT_T0_SI_SN_E_clISD_SD_SD_SD_EEDaS11_S12_SI_SN_EUlS11_E_NS1_11comp_targetILNS1_3genE2ELNS1_11target_archE906ELNS1_3gpuE6ELNS1_3repE0EEENS1_47radix_sort_onesweep_sort_config_static_selectorELNS0_4arch9wavefront6targetE1EEEvSI_.uses_flat_scratch, 0
	.set _ZN7rocprim17ROCPRIM_400000_NS6detail17trampoline_kernelINS0_14default_configENS1_35radix_sort_onesweep_config_selectorIiiEEZZNS1_29radix_sort_onesweep_iterationIS3_Lb1EN6thrust23THRUST_200600_302600_NS6detail15normal_iteratorINS8_10device_ptrIiEEEESD_SD_SD_jNS0_19identity_decomposerENS1_16block_id_wrapperIjLb1EEEEE10hipError_tT1_PNSt15iterator_traitsISI_E10value_typeET2_T3_PNSJ_ISO_E10value_typeET4_T5_PST_SU_PNS1_23onesweep_lookback_stateEbbT6_jjT7_P12ihipStream_tbENKUlT_T0_SI_SN_E_clISD_SD_SD_SD_EEDaS11_S12_SI_SN_EUlS11_E_NS1_11comp_targetILNS1_3genE2ELNS1_11target_archE906ELNS1_3gpuE6ELNS1_3repE0EEENS1_47radix_sort_onesweep_sort_config_static_selectorELNS0_4arch9wavefront6targetE1EEEvSI_.has_dyn_sized_stack, 0
	.set _ZN7rocprim17ROCPRIM_400000_NS6detail17trampoline_kernelINS0_14default_configENS1_35radix_sort_onesweep_config_selectorIiiEEZZNS1_29radix_sort_onesweep_iterationIS3_Lb1EN6thrust23THRUST_200600_302600_NS6detail15normal_iteratorINS8_10device_ptrIiEEEESD_SD_SD_jNS0_19identity_decomposerENS1_16block_id_wrapperIjLb1EEEEE10hipError_tT1_PNSt15iterator_traitsISI_E10value_typeET2_T3_PNSJ_ISO_E10value_typeET4_T5_PST_SU_PNS1_23onesweep_lookback_stateEbbT6_jjT7_P12ihipStream_tbENKUlT_T0_SI_SN_E_clISD_SD_SD_SD_EEDaS11_S12_SI_SN_EUlS11_E_NS1_11comp_targetILNS1_3genE2ELNS1_11target_archE906ELNS1_3gpuE6ELNS1_3repE0EEENS1_47radix_sort_onesweep_sort_config_static_selectorELNS0_4arch9wavefront6targetE1EEEvSI_.has_recursion, 0
	.set _ZN7rocprim17ROCPRIM_400000_NS6detail17trampoline_kernelINS0_14default_configENS1_35radix_sort_onesweep_config_selectorIiiEEZZNS1_29radix_sort_onesweep_iterationIS3_Lb1EN6thrust23THRUST_200600_302600_NS6detail15normal_iteratorINS8_10device_ptrIiEEEESD_SD_SD_jNS0_19identity_decomposerENS1_16block_id_wrapperIjLb1EEEEE10hipError_tT1_PNSt15iterator_traitsISI_E10value_typeET2_T3_PNSJ_ISO_E10value_typeET4_T5_PST_SU_PNS1_23onesweep_lookback_stateEbbT6_jjT7_P12ihipStream_tbENKUlT_T0_SI_SN_E_clISD_SD_SD_SD_EEDaS11_S12_SI_SN_EUlS11_E_NS1_11comp_targetILNS1_3genE2ELNS1_11target_archE906ELNS1_3gpuE6ELNS1_3repE0EEENS1_47radix_sort_onesweep_sort_config_static_selectorELNS0_4arch9wavefront6targetE1EEEvSI_.has_indirect_call, 0
	.section	.AMDGPU.csdata,"",@progbits
; Kernel info:
; codeLenInByte = 0
; TotalNumSgprs: 6
; NumVgprs: 0
; NumAgprs: 0
; TotalNumVgprs: 0
; ScratchSize: 0
; MemoryBound: 0
; FloatMode: 240
; IeeeMode: 1
; LDSByteSize: 0 bytes/workgroup (compile time only)
; SGPRBlocks: 0
; VGPRBlocks: 0
; NumSGPRsForWavesPerEU: 6
; NumVGPRsForWavesPerEU: 1
; AccumOffset: 4
; Occupancy: 8
; WaveLimiterHint : 0
; COMPUTE_PGM_RSRC2:SCRATCH_EN: 0
; COMPUTE_PGM_RSRC2:USER_SGPR: 2
; COMPUTE_PGM_RSRC2:TRAP_HANDLER: 0
; COMPUTE_PGM_RSRC2:TGID_X_EN: 1
; COMPUTE_PGM_RSRC2:TGID_Y_EN: 0
; COMPUTE_PGM_RSRC2:TGID_Z_EN: 0
; COMPUTE_PGM_RSRC2:TIDIG_COMP_CNT: 0
; COMPUTE_PGM_RSRC3_GFX90A:ACCUM_OFFSET: 0
; COMPUTE_PGM_RSRC3_GFX90A:TG_SPLIT: 0
	.section	.text._ZN7rocprim17ROCPRIM_400000_NS6detail17trampoline_kernelINS0_14default_configENS1_35radix_sort_onesweep_config_selectorIiiEEZZNS1_29radix_sort_onesweep_iterationIS3_Lb1EN6thrust23THRUST_200600_302600_NS6detail15normal_iteratorINS8_10device_ptrIiEEEESD_SD_SD_jNS0_19identity_decomposerENS1_16block_id_wrapperIjLb1EEEEE10hipError_tT1_PNSt15iterator_traitsISI_E10value_typeET2_T3_PNSJ_ISO_E10value_typeET4_T5_PST_SU_PNS1_23onesweep_lookback_stateEbbT6_jjT7_P12ihipStream_tbENKUlT_T0_SI_SN_E_clISD_SD_SD_SD_EEDaS11_S12_SI_SN_EUlS11_E_NS1_11comp_targetILNS1_3genE4ELNS1_11target_archE910ELNS1_3gpuE8ELNS1_3repE0EEENS1_47radix_sort_onesweep_sort_config_static_selectorELNS0_4arch9wavefront6targetE1EEEvSI_,"axG",@progbits,_ZN7rocprim17ROCPRIM_400000_NS6detail17trampoline_kernelINS0_14default_configENS1_35radix_sort_onesweep_config_selectorIiiEEZZNS1_29radix_sort_onesweep_iterationIS3_Lb1EN6thrust23THRUST_200600_302600_NS6detail15normal_iteratorINS8_10device_ptrIiEEEESD_SD_SD_jNS0_19identity_decomposerENS1_16block_id_wrapperIjLb1EEEEE10hipError_tT1_PNSt15iterator_traitsISI_E10value_typeET2_T3_PNSJ_ISO_E10value_typeET4_T5_PST_SU_PNS1_23onesweep_lookback_stateEbbT6_jjT7_P12ihipStream_tbENKUlT_T0_SI_SN_E_clISD_SD_SD_SD_EEDaS11_S12_SI_SN_EUlS11_E_NS1_11comp_targetILNS1_3genE4ELNS1_11target_archE910ELNS1_3gpuE8ELNS1_3repE0EEENS1_47radix_sort_onesweep_sort_config_static_selectorELNS0_4arch9wavefront6targetE1EEEvSI_,comdat
	.protected	_ZN7rocprim17ROCPRIM_400000_NS6detail17trampoline_kernelINS0_14default_configENS1_35radix_sort_onesweep_config_selectorIiiEEZZNS1_29radix_sort_onesweep_iterationIS3_Lb1EN6thrust23THRUST_200600_302600_NS6detail15normal_iteratorINS8_10device_ptrIiEEEESD_SD_SD_jNS0_19identity_decomposerENS1_16block_id_wrapperIjLb1EEEEE10hipError_tT1_PNSt15iterator_traitsISI_E10value_typeET2_T3_PNSJ_ISO_E10value_typeET4_T5_PST_SU_PNS1_23onesweep_lookback_stateEbbT6_jjT7_P12ihipStream_tbENKUlT_T0_SI_SN_E_clISD_SD_SD_SD_EEDaS11_S12_SI_SN_EUlS11_E_NS1_11comp_targetILNS1_3genE4ELNS1_11target_archE910ELNS1_3gpuE8ELNS1_3repE0EEENS1_47radix_sort_onesweep_sort_config_static_selectorELNS0_4arch9wavefront6targetE1EEEvSI_ ; -- Begin function _ZN7rocprim17ROCPRIM_400000_NS6detail17trampoline_kernelINS0_14default_configENS1_35radix_sort_onesweep_config_selectorIiiEEZZNS1_29radix_sort_onesweep_iterationIS3_Lb1EN6thrust23THRUST_200600_302600_NS6detail15normal_iteratorINS8_10device_ptrIiEEEESD_SD_SD_jNS0_19identity_decomposerENS1_16block_id_wrapperIjLb1EEEEE10hipError_tT1_PNSt15iterator_traitsISI_E10value_typeET2_T3_PNSJ_ISO_E10value_typeET4_T5_PST_SU_PNS1_23onesweep_lookback_stateEbbT6_jjT7_P12ihipStream_tbENKUlT_T0_SI_SN_E_clISD_SD_SD_SD_EEDaS11_S12_SI_SN_EUlS11_E_NS1_11comp_targetILNS1_3genE4ELNS1_11target_archE910ELNS1_3gpuE8ELNS1_3repE0EEENS1_47radix_sort_onesweep_sort_config_static_selectorELNS0_4arch9wavefront6targetE1EEEvSI_
	.globl	_ZN7rocprim17ROCPRIM_400000_NS6detail17trampoline_kernelINS0_14default_configENS1_35radix_sort_onesweep_config_selectorIiiEEZZNS1_29radix_sort_onesweep_iterationIS3_Lb1EN6thrust23THRUST_200600_302600_NS6detail15normal_iteratorINS8_10device_ptrIiEEEESD_SD_SD_jNS0_19identity_decomposerENS1_16block_id_wrapperIjLb1EEEEE10hipError_tT1_PNSt15iterator_traitsISI_E10value_typeET2_T3_PNSJ_ISO_E10value_typeET4_T5_PST_SU_PNS1_23onesweep_lookback_stateEbbT6_jjT7_P12ihipStream_tbENKUlT_T0_SI_SN_E_clISD_SD_SD_SD_EEDaS11_S12_SI_SN_EUlS11_E_NS1_11comp_targetILNS1_3genE4ELNS1_11target_archE910ELNS1_3gpuE8ELNS1_3repE0EEENS1_47radix_sort_onesweep_sort_config_static_selectorELNS0_4arch9wavefront6targetE1EEEvSI_
	.p2align	8
	.type	_ZN7rocprim17ROCPRIM_400000_NS6detail17trampoline_kernelINS0_14default_configENS1_35radix_sort_onesweep_config_selectorIiiEEZZNS1_29radix_sort_onesweep_iterationIS3_Lb1EN6thrust23THRUST_200600_302600_NS6detail15normal_iteratorINS8_10device_ptrIiEEEESD_SD_SD_jNS0_19identity_decomposerENS1_16block_id_wrapperIjLb1EEEEE10hipError_tT1_PNSt15iterator_traitsISI_E10value_typeET2_T3_PNSJ_ISO_E10value_typeET4_T5_PST_SU_PNS1_23onesweep_lookback_stateEbbT6_jjT7_P12ihipStream_tbENKUlT_T0_SI_SN_E_clISD_SD_SD_SD_EEDaS11_S12_SI_SN_EUlS11_E_NS1_11comp_targetILNS1_3genE4ELNS1_11target_archE910ELNS1_3gpuE8ELNS1_3repE0EEENS1_47radix_sort_onesweep_sort_config_static_selectorELNS0_4arch9wavefront6targetE1EEEvSI_,@function
_ZN7rocprim17ROCPRIM_400000_NS6detail17trampoline_kernelINS0_14default_configENS1_35radix_sort_onesweep_config_selectorIiiEEZZNS1_29radix_sort_onesweep_iterationIS3_Lb1EN6thrust23THRUST_200600_302600_NS6detail15normal_iteratorINS8_10device_ptrIiEEEESD_SD_SD_jNS0_19identity_decomposerENS1_16block_id_wrapperIjLb1EEEEE10hipError_tT1_PNSt15iterator_traitsISI_E10value_typeET2_T3_PNSJ_ISO_E10value_typeET4_T5_PST_SU_PNS1_23onesweep_lookback_stateEbbT6_jjT7_P12ihipStream_tbENKUlT_T0_SI_SN_E_clISD_SD_SD_SD_EEDaS11_S12_SI_SN_EUlS11_E_NS1_11comp_targetILNS1_3genE4ELNS1_11target_archE910ELNS1_3gpuE8ELNS1_3repE0EEENS1_47radix_sort_onesweep_sort_config_static_selectorELNS0_4arch9wavefront6targetE1EEEvSI_: ; @_ZN7rocprim17ROCPRIM_400000_NS6detail17trampoline_kernelINS0_14default_configENS1_35radix_sort_onesweep_config_selectorIiiEEZZNS1_29radix_sort_onesweep_iterationIS3_Lb1EN6thrust23THRUST_200600_302600_NS6detail15normal_iteratorINS8_10device_ptrIiEEEESD_SD_SD_jNS0_19identity_decomposerENS1_16block_id_wrapperIjLb1EEEEE10hipError_tT1_PNSt15iterator_traitsISI_E10value_typeET2_T3_PNSJ_ISO_E10value_typeET4_T5_PST_SU_PNS1_23onesweep_lookback_stateEbbT6_jjT7_P12ihipStream_tbENKUlT_T0_SI_SN_E_clISD_SD_SD_SD_EEDaS11_S12_SI_SN_EUlS11_E_NS1_11comp_targetILNS1_3genE4ELNS1_11target_archE910ELNS1_3gpuE8ELNS1_3repE0EEENS1_47radix_sort_onesweep_sort_config_static_selectorELNS0_4arch9wavefront6targetE1EEEvSI_
; %bb.0:
	.section	.rodata,"a",@progbits
	.p2align	6, 0x0
	.amdhsa_kernel _ZN7rocprim17ROCPRIM_400000_NS6detail17trampoline_kernelINS0_14default_configENS1_35radix_sort_onesweep_config_selectorIiiEEZZNS1_29radix_sort_onesweep_iterationIS3_Lb1EN6thrust23THRUST_200600_302600_NS6detail15normal_iteratorINS8_10device_ptrIiEEEESD_SD_SD_jNS0_19identity_decomposerENS1_16block_id_wrapperIjLb1EEEEE10hipError_tT1_PNSt15iterator_traitsISI_E10value_typeET2_T3_PNSJ_ISO_E10value_typeET4_T5_PST_SU_PNS1_23onesweep_lookback_stateEbbT6_jjT7_P12ihipStream_tbENKUlT_T0_SI_SN_E_clISD_SD_SD_SD_EEDaS11_S12_SI_SN_EUlS11_E_NS1_11comp_targetILNS1_3genE4ELNS1_11target_archE910ELNS1_3gpuE8ELNS1_3repE0EEENS1_47radix_sort_onesweep_sort_config_static_selectorELNS0_4arch9wavefront6targetE1EEEvSI_
		.amdhsa_group_segment_fixed_size 0
		.amdhsa_private_segment_fixed_size 0
		.amdhsa_kernarg_size 88
		.amdhsa_user_sgpr_count 2
		.amdhsa_user_sgpr_dispatch_ptr 0
		.amdhsa_user_sgpr_queue_ptr 0
		.amdhsa_user_sgpr_kernarg_segment_ptr 1
		.amdhsa_user_sgpr_dispatch_id 0
		.amdhsa_user_sgpr_kernarg_preload_length 0
		.amdhsa_user_sgpr_kernarg_preload_offset 0
		.amdhsa_user_sgpr_private_segment_size 0
		.amdhsa_uses_dynamic_stack 0
		.amdhsa_enable_private_segment 0
		.amdhsa_system_sgpr_workgroup_id_x 1
		.amdhsa_system_sgpr_workgroup_id_y 0
		.amdhsa_system_sgpr_workgroup_id_z 0
		.amdhsa_system_sgpr_workgroup_info 0
		.amdhsa_system_vgpr_workitem_id 0
		.amdhsa_next_free_vgpr 1
		.amdhsa_next_free_sgpr 0
		.amdhsa_accum_offset 4
		.amdhsa_reserve_vcc 0
		.amdhsa_float_round_mode_32 0
		.amdhsa_float_round_mode_16_64 0
		.amdhsa_float_denorm_mode_32 3
		.amdhsa_float_denorm_mode_16_64 3
		.amdhsa_dx10_clamp 1
		.amdhsa_ieee_mode 1
		.amdhsa_fp16_overflow 0
		.amdhsa_tg_split 0
		.amdhsa_exception_fp_ieee_invalid_op 0
		.amdhsa_exception_fp_denorm_src 0
		.amdhsa_exception_fp_ieee_div_zero 0
		.amdhsa_exception_fp_ieee_overflow 0
		.amdhsa_exception_fp_ieee_underflow 0
		.amdhsa_exception_fp_ieee_inexact 0
		.amdhsa_exception_int_div_zero 0
	.end_amdhsa_kernel
	.section	.text._ZN7rocprim17ROCPRIM_400000_NS6detail17trampoline_kernelINS0_14default_configENS1_35radix_sort_onesweep_config_selectorIiiEEZZNS1_29radix_sort_onesweep_iterationIS3_Lb1EN6thrust23THRUST_200600_302600_NS6detail15normal_iteratorINS8_10device_ptrIiEEEESD_SD_SD_jNS0_19identity_decomposerENS1_16block_id_wrapperIjLb1EEEEE10hipError_tT1_PNSt15iterator_traitsISI_E10value_typeET2_T3_PNSJ_ISO_E10value_typeET4_T5_PST_SU_PNS1_23onesweep_lookback_stateEbbT6_jjT7_P12ihipStream_tbENKUlT_T0_SI_SN_E_clISD_SD_SD_SD_EEDaS11_S12_SI_SN_EUlS11_E_NS1_11comp_targetILNS1_3genE4ELNS1_11target_archE910ELNS1_3gpuE8ELNS1_3repE0EEENS1_47radix_sort_onesweep_sort_config_static_selectorELNS0_4arch9wavefront6targetE1EEEvSI_,"axG",@progbits,_ZN7rocprim17ROCPRIM_400000_NS6detail17trampoline_kernelINS0_14default_configENS1_35radix_sort_onesweep_config_selectorIiiEEZZNS1_29radix_sort_onesweep_iterationIS3_Lb1EN6thrust23THRUST_200600_302600_NS6detail15normal_iteratorINS8_10device_ptrIiEEEESD_SD_SD_jNS0_19identity_decomposerENS1_16block_id_wrapperIjLb1EEEEE10hipError_tT1_PNSt15iterator_traitsISI_E10value_typeET2_T3_PNSJ_ISO_E10value_typeET4_T5_PST_SU_PNS1_23onesweep_lookback_stateEbbT6_jjT7_P12ihipStream_tbENKUlT_T0_SI_SN_E_clISD_SD_SD_SD_EEDaS11_S12_SI_SN_EUlS11_E_NS1_11comp_targetILNS1_3genE4ELNS1_11target_archE910ELNS1_3gpuE8ELNS1_3repE0EEENS1_47radix_sort_onesweep_sort_config_static_selectorELNS0_4arch9wavefront6targetE1EEEvSI_,comdat
.Lfunc_end1003:
	.size	_ZN7rocprim17ROCPRIM_400000_NS6detail17trampoline_kernelINS0_14default_configENS1_35radix_sort_onesweep_config_selectorIiiEEZZNS1_29radix_sort_onesweep_iterationIS3_Lb1EN6thrust23THRUST_200600_302600_NS6detail15normal_iteratorINS8_10device_ptrIiEEEESD_SD_SD_jNS0_19identity_decomposerENS1_16block_id_wrapperIjLb1EEEEE10hipError_tT1_PNSt15iterator_traitsISI_E10value_typeET2_T3_PNSJ_ISO_E10value_typeET4_T5_PST_SU_PNS1_23onesweep_lookback_stateEbbT6_jjT7_P12ihipStream_tbENKUlT_T0_SI_SN_E_clISD_SD_SD_SD_EEDaS11_S12_SI_SN_EUlS11_E_NS1_11comp_targetILNS1_3genE4ELNS1_11target_archE910ELNS1_3gpuE8ELNS1_3repE0EEENS1_47radix_sort_onesweep_sort_config_static_selectorELNS0_4arch9wavefront6targetE1EEEvSI_, .Lfunc_end1003-_ZN7rocprim17ROCPRIM_400000_NS6detail17trampoline_kernelINS0_14default_configENS1_35radix_sort_onesweep_config_selectorIiiEEZZNS1_29radix_sort_onesweep_iterationIS3_Lb1EN6thrust23THRUST_200600_302600_NS6detail15normal_iteratorINS8_10device_ptrIiEEEESD_SD_SD_jNS0_19identity_decomposerENS1_16block_id_wrapperIjLb1EEEEE10hipError_tT1_PNSt15iterator_traitsISI_E10value_typeET2_T3_PNSJ_ISO_E10value_typeET4_T5_PST_SU_PNS1_23onesweep_lookback_stateEbbT6_jjT7_P12ihipStream_tbENKUlT_T0_SI_SN_E_clISD_SD_SD_SD_EEDaS11_S12_SI_SN_EUlS11_E_NS1_11comp_targetILNS1_3genE4ELNS1_11target_archE910ELNS1_3gpuE8ELNS1_3repE0EEENS1_47radix_sort_onesweep_sort_config_static_selectorELNS0_4arch9wavefront6targetE1EEEvSI_
                                        ; -- End function
	.set _ZN7rocprim17ROCPRIM_400000_NS6detail17trampoline_kernelINS0_14default_configENS1_35radix_sort_onesweep_config_selectorIiiEEZZNS1_29radix_sort_onesweep_iterationIS3_Lb1EN6thrust23THRUST_200600_302600_NS6detail15normal_iteratorINS8_10device_ptrIiEEEESD_SD_SD_jNS0_19identity_decomposerENS1_16block_id_wrapperIjLb1EEEEE10hipError_tT1_PNSt15iterator_traitsISI_E10value_typeET2_T3_PNSJ_ISO_E10value_typeET4_T5_PST_SU_PNS1_23onesweep_lookback_stateEbbT6_jjT7_P12ihipStream_tbENKUlT_T0_SI_SN_E_clISD_SD_SD_SD_EEDaS11_S12_SI_SN_EUlS11_E_NS1_11comp_targetILNS1_3genE4ELNS1_11target_archE910ELNS1_3gpuE8ELNS1_3repE0EEENS1_47radix_sort_onesweep_sort_config_static_selectorELNS0_4arch9wavefront6targetE1EEEvSI_.num_vgpr, 0
	.set _ZN7rocprim17ROCPRIM_400000_NS6detail17trampoline_kernelINS0_14default_configENS1_35radix_sort_onesweep_config_selectorIiiEEZZNS1_29radix_sort_onesweep_iterationIS3_Lb1EN6thrust23THRUST_200600_302600_NS6detail15normal_iteratorINS8_10device_ptrIiEEEESD_SD_SD_jNS0_19identity_decomposerENS1_16block_id_wrapperIjLb1EEEEE10hipError_tT1_PNSt15iterator_traitsISI_E10value_typeET2_T3_PNSJ_ISO_E10value_typeET4_T5_PST_SU_PNS1_23onesweep_lookback_stateEbbT6_jjT7_P12ihipStream_tbENKUlT_T0_SI_SN_E_clISD_SD_SD_SD_EEDaS11_S12_SI_SN_EUlS11_E_NS1_11comp_targetILNS1_3genE4ELNS1_11target_archE910ELNS1_3gpuE8ELNS1_3repE0EEENS1_47radix_sort_onesweep_sort_config_static_selectorELNS0_4arch9wavefront6targetE1EEEvSI_.num_agpr, 0
	.set _ZN7rocprim17ROCPRIM_400000_NS6detail17trampoline_kernelINS0_14default_configENS1_35radix_sort_onesweep_config_selectorIiiEEZZNS1_29radix_sort_onesweep_iterationIS3_Lb1EN6thrust23THRUST_200600_302600_NS6detail15normal_iteratorINS8_10device_ptrIiEEEESD_SD_SD_jNS0_19identity_decomposerENS1_16block_id_wrapperIjLb1EEEEE10hipError_tT1_PNSt15iterator_traitsISI_E10value_typeET2_T3_PNSJ_ISO_E10value_typeET4_T5_PST_SU_PNS1_23onesweep_lookback_stateEbbT6_jjT7_P12ihipStream_tbENKUlT_T0_SI_SN_E_clISD_SD_SD_SD_EEDaS11_S12_SI_SN_EUlS11_E_NS1_11comp_targetILNS1_3genE4ELNS1_11target_archE910ELNS1_3gpuE8ELNS1_3repE0EEENS1_47radix_sort_onesweep_sort_config_static_selectorELNS0_4arch9wavefront6targetE1EEEvSI_.numbered_sgpr, 0
	.set _ZN7rocprim17ROCPRIM_400000_NS6detail17trampoline_kernelINS0_14default_configENS1_35radix_sort_onesweep_config_selectorIiiEEZZNS1_29radix_sort_onesweep_iterationIS3_Lb1EN6thrust23THRUST_200600_302600_NS6detail15normal_iteratorINS8_10device_ptrIiEEEESD_SD_SD_jNS0_19identity_decomposerENS1_16block_id_wrapperIjLb1EEEEE10hipError_tT1_PNSt15iterator_traitsISI_E10value_typeET2_T3_PNSJ_ISO_E10value_typeET4_T5_PST_SU_PNS1_23onesweep_lookback_stateEbbT6_jjT7_P12ihipStream_tbENKUlT_T0_SI_SN_E_clISD_SD_SD_SD_EEDaS11_S12_SI_SN_EUlS11_E_NS1_11comp_targetILNS1_3genE4ELNS1_11target_archE910ELNS1_3gpuE8ELNS1_3repE0EEENS1_47radix_sort_onesweep_sort_config_static_selectorELNS0_4arch9wavefront6targetE1EEEvSI_.num_named_barrier, 0
	.set _ZN7rocprim17ROCPRIM_400000_NS6detail17trampoline_kernelINS0_14default_configENS1_35radix_sort_onesweep_config_selectorIiiEEZZNS1_29radix_sort_onesweep_iterationIS3_Lb1EN6thrust23THRUST_200600_302600_NS6detail15normal_iteratorINS8_10device_ptrIiEEEESD_SD_SD_jNS0_19identity_decomposerENS1_16block_id_wrapperIjLb1EEEEE10hipError_tT1_PNSt15iterator_traitsISI_E10value_typeET2_T3_PNSJ_ISO_E10value_typeET4_T5_PST_SU_PNS1_23onesweep_lookback_stateEbbT6_jjT7_P12ihipStream_tbENKUlT_T0_SI_SN_E_clISD_SD_SD_SD_EEDaS11_S12_SI_SN_EUlS11_E_NS1_11comp_targetILNS1_3genE4ELNS1_11target_archE910ELNS1_3gpuE8ELNS1_3repE0EEENS1_47radix_sort_onesweep_sort_config_static_selectorELNS0_4arch9wavefront6targetE1EEEvSI_.private_seg_size, 0
	.set _ZN7rocprim17ROCPRIM_400000_NS6detail17trampoline_kernelINS0_14default_configENS1_35radix_sort_onesweep_config_selectorIiiEEZZNS1_29radix_sort_onesweep_iterationIS3_Lb1EN6thrust23THRUST_200600_302600_NS6detail15normal_iteratorINS8_10device_ptrIiEEEESD_SD_SD_jNS0_19identity_decomposerENS1_16block_id_wrapperIjLb1EEEEE10hipError_tT1_PNSt15iterator_traitsISI_E10value_typeET2_T3_PNSJ_ISO_E10value_typeET4_T5_PST_SU_PNS1_23onesweep_lookback_stateEbbT6_jjT7_P12ihipStream_tbENKUlT_T0_SI_SN_E_clISD_SD_SD_SD_EEDaS11_S12_SI_SN_EUlS11_E_NS1_11comp_targetILNS1_3genE4ELNS1_11target_archE910ELNS1_3gpuE8ELNS1_3repE0EEENS1_47radix_sort_onesweep_sort_config_static_selectorELNS0_4arch9wavefront6targetE1EEEvSI_.uses_vcc, 0
	.set _ZN7rocprim17ROCPRIM_400000_NS6detail17trampoline_kernelINS0_14default_configENS1_35radix_sort_onesweep_config_selectorIiiEEZZNS1_29radix_sort_onesweep_iterationIS3_Lb1EN6thrust23THRUST_200600_302600_NS6detail15normal_iteratorINS8_10device_ptrIiEEEESD_SD_SD_jNS0_19identity_decomposerENS1_16block_id_wrapperIjLb1EEEEE10hipError_tT1_PNSt15iterator_traitsISI_E10value_typeET2_T3_PNSJ_ISO_E10value_typeET4_T5_PST_SU_PNS1_23onesweep_lookback_stateEbbT6_jjT7_P12ihipStream_tbENKUlT_T0_SI_SN_E_clISD_SD_SD_SD_EEDaS11_S12_SI_SN_EUlS11_E_NS1_11comp_targetILNS1_3genE4ELNS1_11target_archE910ELNS1_3gpuE8ELNS1_3repE0EEENS1_47radix_sort_onesweep_sort_config_static_selectorELNS0_4arch9wavefront6targetE1EEEvSI_.uses_flat_scratch, 0
	.set _ZN7rocprim17ROCPRIM_400000_NS6detail17trampoline_kernelINS0_14default_configENS1_35radix_sort_onesweep_config_selectorIiiEEZZNS1_29radix_sort_onesweep_iterationIS3_Lb1EN6thrust23THRUST_200600_302600_NS6detail15normal_iteratorINS8_10device_ptrIiEEEESD_SD_SD_jNS0_19identity_decomposerENS1_16block_id_wrapperIjLb1EEEEE10hipError_tT1_PNSt15iterator_traitsISI_E10value_typeET2_T3_PNSJ_ISO_E10value_typeET4_T5_PST_SU_PNS1_23onesweep_lookback_stateEbbT6_jjT7_P12ihipStream_tbENKUlT_T0_SI_SN_E_clISD_SD_SD_SD_EEDaS11_S12_SI_SN_EUlS11_E_NS1_11comp_targetILNS1_3genE4ELNS1_11target_archE910ELNS1_3gpuE8ELNS1_3repE0EEENS1_47radix_sort_onesweep_sort_config_static_selectorELNS0_4arch9wavefront6targetE1EEEvSI_.has_dyn_sized_stack, 0
	.set _ZN7rocprim17ROCPRIM_400000_NS6detail17trampoline_kernelINS0_14default_configENS1_35radix_sort_onesweep_config_selectorIiiEEZZNS1_29radix_sort_onesweep_iterationIS3_Lb1EN6thrust23THRUST_200600_302600_NS6detail15normal_iteratorINS8_10device_ptrIiEEEESD_SD_SD_jNS0_19identity_decomposerENS1_16block_id_wrapperIjLb1EEEEE10hipError_tT1_PNSt15iterator_traitsISI_E10value_typeET2_T3_PNSJ_ISO_E10value_typeET4_T5_PST_SU_PNS1_23onesweep_lookback_stateEbbT6_jjT7_P12ihipStream_tbENKUlT_T0_SI_SN_E_clISD_SD_SD_SD_EEDaS11_S12_SI_SN_EUlS11_E_NS1_11comp_targetILNS1_3genE4ELNS1_11target_archE910ELNS1_3gpuE8ELNS1_3repE0EEENS1_47radix_sort_onesweep_sort_config_static_selectorELNS0_4arch9wavefront6targetE1EEEvSI_.has_recursion, 0
	.set _ZN7rocprim17ROCPRIM_400000_NS6detail17trampoline_kernelINS0_14default_configENS1_35radix_sort_onesweep_config_selectorIiiEEZZNS1_29radix_sort_onesweep_iterationIS3_Lb1EN6thrust23THRUST_200600_302600_NS6detail15normal_iteratorINS8_10device_ptrIiEEEESD_SD_SD_jNS0_19identity_decomposerENS1_16block_id_wrapperIjLb1EEEEE10hipError_tT1_PNSt15iterator_traitsISI_E10value_typeET2_T3_PNSJ_ISO_E10value_typeET4_T5_PST_SU_PNS1_23onesweep_lookback_stateEbbT6_jjT7_P12ihipStream_tbENKUlT_T0_SI_SN_E_clISD_SD_SD_SD_EEDaS11_S12_SI_SN_EUlS11_E_NS1_11comp_targetILNS1_3genE4ELNS1_11target_archE910ELNS1_3gpuE8ELNS1_3repE0EEENS1_47radix_sort_onesweep_sort_config_static_selectorELNS0_4arch9wavefront6targetE1EEEvSI_.has_indirect_call, 0
	.section	.AMDGPU.csdata,"",@progbits
; Kernel info:
; codeLenInByte = 0
; TotalNumSgprs: 6
; NumVgprs: 0
; NumAgprs: 0
; TotalNumVgprs: 0
; ScratchSize: 0
; MemoryBound: 0
; FloatMode: 240
; IeeeMode: 1
; LDSByteSize: 0 bytes/workgroup (compile time only)
; SGPRBlocks: 0
; VGPRBlocks: 0
; NumSGPRsForWavesPerEU: 6
; NumVGPRsForWavesPerEU: 1
; AccumOffset: 4
; Occupancy: 8
; WaveLimiterHint : 0
; COMPUTE_PGM_RSRC2:SCRATCH_EN: 0
; COMPUTE_PGM_RSRC2:USER_SGPR: 2
; COMPUTE_PGM_RSRC2:TRAP_HANDLER: 0
; COMPUTE_PGM_RSRC2:TGID_X_EN: 1
; COMPUTE_PGM_RSRC2:TGID_Y_EN: 0
; COMPUTE_PGM_RSRC2:TGID_Z_EN: 0
; COMPUTE_PGM_RSRC2:TIDIG_COMP_CNT: 0
; COMPUTE_PGM_RSRC3_GFX90A:ACCUM_OFFSET: 0
; COMPUTE_PGM_RSRC3_GFX90A:TG_SPLIT: 0
	.section	.text._ZN7rocprim17ROCPRIM_400000_NS6detail17trampoline_kernelINS0_14default_configENS1_35radix_sort_onesweep_config_selectorIiiEEZZNS1_29radix_sort_onesweep_iterationIS3_Lb1EN6thrust23THRUST_200600_302600_NS6detail15normal_iteratorINS8_10device_ptrIiEEEESD_SD_SD_jNS0_19identity_decomposerENS1_16block_id_wrapperIjLb1EEEEE10hipError_tT1_PNSt15iterator_traitsISI_E10value_typeET2_T3_PNSJ_ISO_E10value_typeET4_T5_PST_SU_PNS1_23onesweep_lookback_stateEbbT6_jjT7_P12ihipStream_tbENKUlT_T0_SI_SN_E_clISD_SD_SD_SD_EEDaS11_S12_SI_SN_EUlS11_E_NS1_11comp_targetILNS1_3genE3ELNS1_11target_archE908ELNS1_3gpuE7ELNS1_3repE0EEENS1_47radix_sort_onesweep_sort_config_static_selectorELNS0_4arch9wavefront6targetE1EEEvSI_,"axG",@progbits,_ZN7rocprim17ROCPRIM_400000_NS6detail17trampoline_kernelINS0_14default_configENS1_35radix_sort_onesweep_config_selectorIiiEEZZNS1_29radix_sort_onesweep_iterationIS3_Lb1EN6thrust23THRUST_200600_302600_NS6detail15normal_iteratorINS8_10device_ptrIiEEEESD_SD_SD_jNS0_19identity_decomposerENS1_16block_id_wrapperIjLb1EEEEE10hipError_tT1_PNSt15iterator_traitsISI_E10value_typeET2_T3_PNSJ_ISO_E10value_typeET4_T5_PST_SU_PNS1_23onesweep_lookback_stateEbbT6_jjT7_P12ihipStream_tbENKUlT_T0_SI_SN_E_clISD_SD_SD_SD_EEDaS11_S12_SI_SN_EUlS11_E_NS1_11comp_targetILNS1_3genE3ELNS1_11target_archE908ELNS1_3gpuE7ELNS1_3repE0EEENS1_47radix_sort_onesweep_sort_config_static_selectorELNS0_4arch9wavefront6targetE1EEEvSI_,comdat
	.protected	_ZN7rocprim17ROCPRIM_400000_NS6detail17trampoline_kernelINS0_14default_configENS1_35radix_sort_onesweep_config_selectorIiiEEZZNS1_29radix_sort_onesweep_iterationIS3_Lb1EN6thrust23THRUST_200600_302600_NS6detail15normal_iteratorINS8_10device_ptrIiEEEESD_SD_SD_jNS0_19identity_decomposerENS1_16block_id_wrapperIjLb1EEEEE10hipError_tT1_PNSt15iterator_traitsISI_E10value_typeET2_T3_PNSJ_ISO_E10value_typeET4_T5_PST_SU_PNS1_23onesweep_lookback_stateEbbT6_jjT7_P12ihipStream_tbENKUlT_T0_SI_SN_E_clISD_SD_SD_SD_EEDaS11_S12_SI_SN_EUlS11_E_NS1_11comp_targetILNS1_3genE3ELNS1_11target_archE908ELNS1_3gpuE7ELNS1_3repE0EEENS1_47radix_sort_onesweep_sort_config_static_selectorELNS0_4arch9wavefront6targetE1EEEvSI_ ; -- Begin function _ZN7rocprim17ROCPRIM_400000_NS6detail17trampoline_kernelINS0_14default_configENS1_35radix_sort_onesweep_config_selectorIiiEEZZNS1_29radix_sort_onesweep_iterationIS3_Lb1EN6thrust23THRUST_200600_302600_NS6detail15normal_iteratorINS8_10device_ptrIiEEEESD_SD_SD_jNS0_19identity_decomposerENS1_16block_id_wrapperIjLb1EEEEE10hipError_tT1_PNSt15iterator_traitsISI_E10value_typeET2_T3_PNSJ_ISO_E10value_typeET4_T5_PST_SU_PNS1_23onesweep_lookback_stateEbbT6_jjT7_P12ihipStream_tbENKUlT_T0_SI_SN_E_clISD_SD_SD_SD_EEDaS11_S12_SI_SN_EUlS11_E_NS1_11comp_targetILNS1_3genE3ELNS1_11target_archE908ELNS1_3gpuE7ELNS1_3repE0EEENS1_47radix_sort_onesweep_sort_config_static_selectorELNS0_4arch9wavefront6targetE1EEEvSI_
	.globl	_ZN7rocprim17ROCPRIM_400000_NS6detail17trampoline_kernelINS0_14default_configENS1_35radix_sort_onesweep_config_selectorIiiEEZZNS1_29radix_sort_onesweep_iterationIS3_Lb1EN6thrust23THRUST_200600_302600_NS6detail15normal_iteratorINS8_10device_ptrIiEEEESD_SD_SD_jNS0_19identity_decomposerENS1_16block_id_wrapperIjLb1EEEEE10hipError_tT1_PNSt15iterator_traitsISI_E10value_typeET2_T3_PNSJ_ISO_E10value_typeET4_T5_PST_SU_PNS1_23onesweep_lookback_stateEbbT6_jjT7_P12ihipStream_tbENKUlT_T0_SI_SN_E_clISD_SD_SD_SD_EEDaS11_S12_SI_SN_EUlS11_E_NS1_11comp_targetILNS1_3genE3ELNS1_11target_archE908ELNS1_3gpuE7ELNS1_3repE0EEENS1_47radix_sort_onesweep_sort_config_static_selectorELNS0_4arch9wavefront6targetE1EEEvSI_
	.p2align	8
	.type	_ZN7rocprim17ROCPRIM_400000_NS6detail17trampoline_kernelINS0_14default_configENS1_35radix_sort_onesweep_config_selectorIiiEEZZNS1_29radix_sort_onesweep_iterationIS3_Lb1EN6thrust23THRUST_200600_302600_NS6detail15normal_iteratorINS8_10device_ptrIiEEEESD_SD_SD_jNS0_19identity_decomposerENS1_16block_id_wrapperIjLb1EEEEE10hipError_tT1_PNSt15iterator_traitsISI_E10value_typeET2_T3_PNSJ_ISO_E10value_typeET4_T5_PST_SU_PNS1_23onesweep_lookback_stateEbbT6_jjT7_P12ihipStream_tbENKUlT_T0_SI_SN_E_clISD_SD_SD_SD_EEDaS11_S12_SI_SN_EUlS11_E_NS1_11comp_targetILNS1_3genE3ELNS1_11target_archE908ELNS1_3gpuE7ELNS1_3repE0EEENS1_47radix_sort_onesweep_sort_config_static_selectorELNS0_4arch9wavefront6targetE1EEEvSI_,@function
_ZN7rocprim17ROCPRIM_400000_NS6detail17trampoline_kernelINS0_14default_configENS1_35radix_sort_onesweep_config_selectorIiiEEZZNS1_29radix_sort_onesweep_iterationIS3_Lb1EN6thrust23THRUST_200600_302600_NS6detail15normal_iteratorINS8_10device_ptrIiEEEESD_SD_SD_jNS0_19identity_decomposerENS1_16block_id_wrapperIjLb1EEEEE10hipError_tT1_PNSt15iterator_traitsISI_E10value_typeET2_T3_PNSJ_ISO_E10value_typeET4_T5_PST_SU_PNS1_23onesweep_lookback_stateEbbT6_jjT7_P12ihipStream_tbENKUlT_T0_SI_SN_E_clISD_SD_SD_SD_EEDaS11_S12_SI_SN_EUlS11_E_NS1_11comp_targetILNS1_3genE3ELNS1_11target_archE908ELNS1_3gpuE7ELNS1_3repE0EEENS1_47radix_sort_onesweep_sort_config_static_selectorELNS0_4arch9wavefront6targetE1EEEvSI_: ; @_ZN7rocprim17ROCPRIM_400000_NS6detail17trampoline_kernelINS0_14default_configENS1_35radix_sort_onesweep_config_selectorIiiEEZZNS1_29radix_sort_onesweep_iterationIS3_Lb1EN6thrust23THRUST_200600_302600_NS6detail15normal_iteratorINS8_10device_ptrIiEEEESD_SD_SD_jNS0_19identity_decomposerENS1_16block_id_wrapperIjLb1EEEEE10hipError_tT1_PNSt15iterator_traitsISI_E10value_typeET2_T3_PNSJ_ISO_E10value_typeET4_T5_PST_SU_PNS1_23onesweep_lookback_stateEbbT6_jjT7_P12ihipStream_tbENKUlT_T0_SI_SN_E_clISD_SD_SD_SD_EEDaS11_S12_SI_SN_EUlS11_E_NS1_11comp_targetILNS1_3genE3ELNS1_11target_archE908ELNS1_3gpuE7ELNS1_3repE0EEENS1_47radix_sort_onesweep_sort_config_static_selectorELNS0_4arch9wavefront6targetE1EEEvSI_
; %bb.0:
	.section	.rodata,"a",@progbits
	.p2align	6, 0x0
	.amdhsa_kernel _ZN7rocprim17ROCPRIM_400000_NS6detail17trampoline_kernelINS0_14default_configENS1_35radix_sort_onesweep_config_selectorIiiEEZZNS1_29radix_sort_onesweep_iterationIS3_Lb1EN6thrust23THRUST_200600_302600_NS6detail15normal_iteratorINS8_10device_ptrIiEEEESD_SD_SD_jNS0_19identity_decomposerENS1_16block_id_wrapperIjLb1EEEEE10hipError_tT1_PNSt15iterator_traitsISI_E10value_typeET2_T3_PNSJ_ISO_E10value_typeET4_T5_PST_SU_PNS1_23onesweep_lookback_stateEbbT6_jjT7_P12ihipStream_tbENKUlT_T0_SI_SN_E_clISD_SD_SD_SD_EEDaS11_S12_SI_SN_EUlS11_E_NS1_11comp_targetILNS1_3genE3ELNS1_11target_archE908ELNS1_3gpuE7ELNS1_3repE0EEENS1_47radix_sort_onesweep_sort_config_static_selectorELNS0_4arch9wavefront6targetE1EEEvSI_
		.amdhsa_group_segment_fixed_size 0
		.amdhsa_private_segment_fixed_size 0
		.amdhsa_kernarg_size 88
		.amdhsa_user_sgpr_count 2
		.amdhsa_user_sgpr_dispatch_ptr 0
		.amdhsa_user_sgpr_queue_ptr 0
		.amdhsa_user_sgpr_kernarg_segment_ptr 1
		.amdhsa_user_sgpr_dispatch_id 0
		.amdhsa_user_sgpr_kernarg_preload_length 0
		.amdhsa_user_sgpr_kernarg_preload_offset 0
		.amdhsa_user_sgpr_private_segment_size 0
		.amdhsa_uses_dynamic_stack 0
		.amdhsa_enable_private_segment 0
		.amdhsa_system_sgpr_workgroup_id_x 1
		.amdhsa_system_sgpr_workgroup_id_y 0
		.amdhsa_system_sgpr_workgroup_id_z 0
		.amdhsa_system_sgpr_workgroup_info 0
		.amdhsa_system_vgpr_workitem_id 0
		.amdhsa_next_free_vgpr 1
		.amdhsa_next_free_sgpr 0
		.amdhsa_accum_offset 4
		.amdhsa_reserve_vcc 0
		.amdhsa_float_round_mode_32 0
		.amdhsa_float_round_mode_16_64 0
		.amdhsa_float_denorm_mode_32 3
		.amdhsa_float_denorm_mode_16_64 3
		.amdhsa_dx10_clamp 1
		.amdhsa_ieee_mode 1
		.amdhsa_fp16_overflow 0
		.amdhsa_tg_split 0
		.amdhsa_exception_fp_ieee_invalid_op 0
		.amdhsa_exception_fp_denorm_src 0
		.amdhsa_exception_fp_ieee_div_zero 0
		.amdhsa_exception_fp_ieee_overflow 0
		.amdhsa_exception_fp_ieee_underflow 0
		.amdhsa_exception_fp_ieee_inexact 0
		.amdhsa_exception_int_div_zero 0
	.end_amdhsa_kernel
	.section	.text._ZN7rocprim17ROCPRIM_400000_NS6detail17trampoline_kernelINS0_14default_configENS1_35radix_sort_onesweep_config_selectorIiiEEZZNS1_29radix_sort_onesweep_iterationIS3_Lb1EN6thrust23THRUST_200600_302600_NS6detail15normal_iteratorINS8_10device_ptrIiEEEESD_SD_SD_jNS0_19identity_decomposerENS1_16block_id_wrapperIjLb1EEEEE10hipError_tT1_PNSt15iterator_traitsISI_E10value_typeET2_T3_PNSJ_ISO_E10value_typeET4_T5_PST_SU_PNS1_23onesweep_lookback_stateEbbT6_jjT7_P12ihipStream_tbENKUlT_T0_SI_SN_E_clISD_SD_SD_SD_EEDaS11_S12_SI_SN_EUlS11_E_NS1_11comp_targetILNS1_3genE3ELNS1_11target_archE908ELNS1_3gpuE7ELNS1_3repE0EEENS1_47radix_sort_onesweep_sort_config_static_selectorELNS0_4arch9wavefront6targetE1EEEvSI_,"axG",@progbits,_ZN7rocprim17ROCPRIM_400000_NS6detail17trampoline_kernelINS0_14default_configENS1_35radix_sort_onesweep_config_selectorIiiEEZZNS1_29radix_sort_onesweep_iterationIS3_Lb1EN6thrust23THRUST_200600_302600_NS6detail15normal_iteratorINS8_10device_ptrIiEEEESD_SD_SD_jNS0_19identity_decomposerENS1_16block_id_wrapperIjLb1EEEEE10hipError_tT1_PNSt15iterator_traitsISI_E10value_typeET2_T3_PNSJ_ISO_E10value_typeET4_T5_PST_SU_PNS1_23onesweep_lookback_stateEbbT6_jjT7_P12ihipStream_tbENKUlT_T0_SI_SN_E_clISD_SD_SD_SD_EEDaS11_S12_SI_SN_EUlS11_E_NS1_11comp_targetILNS1_3genE3ELNS1_11target_archE908ELNS1_3gpuE7ELNS1_3repE0EEENS1_47radix_sort_onesweep_sort_config_static_selectorELNS0_4arch9wavefront6targetE1EEEvSI_,comdat
.Lfunc_end1004:
	.size	_ZN7rocprim17ROCPRIM_400000_NS6detail17trampoline_kernelINS0_14default_configENS1_35radix_sort_onesweep_config_selectorIiiEEZZNS1_29radix_sort_onesweep_iterationIS3_Lb1EN6thrust23THRUST_200600_302600_NS6detail15normal_iteratorINS8_10device_ptrIiEEEESD_SD_SD_jNS0_19identity_decomposerENS1_16block_id_wrapperIjLb1EEEEE10hipError_tT1_PNSt15iterator_traitsISI_E10value_typeET2_T3_PNSJ_ISO_E10value_typeET4_T5_PST_SU_PNS1_23onesweep_lookback_stateEbbT6_jjT7_P12ihipStream_tbENKUlT_T0_SI_SN_E_clISD_SD_SD_SD_EEDaS11_S12_SI_SN_EUlS11_E_NS1_11comp_targetILNS1_3genE3ELNS1_11target_archE908ELNS1_3gpuE7ELNS1_3repE0EEENS1_47radix_sort_onesweep_sort_config_static_selectorELNS0_4arch9wavefront6targetE1EEEvSI_, .Lfunc_end1004-_ZN7rocprim17ROCPRIM_400000_NS6detail17trampoline_kernelINS0_14default_configENS1_35radix_sort_onesweep_config_selectorIiiEEZZNS1_29radix_sort_onesweep_iterationIS3_Lb1EN6thrust23THRUST_200600_302600_NS6detail15normal_iteratorINS8_10device_ptrIiEEEESD_SD_SD_jNS0_19identity_decomposerENS1_16block_id_wrapperIjLb1EEEEE10hipError_tT1_PNSt15iterator_traitsISI_E10value_typeET2_T3_PNSJ_ISO_E10value_typeET4_T5_PST_SU_PNS1_23onesweep_lookback_stateEbbT6_jjT7_P12ihipStream_tbENKUlT_T0_SI_SN_E_clISD_SD_SD_SD_EEDaS11_S12_SI_SN_EUlS11_E_NS1_11comp_targetILNS1_3genE3ELNS1_11target_archE908ELNS1_3gpuE7ELNS1_3repE0EEENS1_47radix_sort_onesweep_sort_config_static_selectorELNS0_4arch9wavefront6targetE1EEEvSI_
                                        ; -- End function
	.set _ZN7rocprim17ROCPRIM_400000_NS6detail17trampoline_kernelINS0_14default_configENS1_35radix_sort_onesweep_config_selectorIiiEEZZNS1_29radix_sort_onesweep_iterationIS3_Lb1EN6thrust23THRUST_200600_302600_NS6detail15normal_iteratorINS8_10device_ptrIiEEEESD_SD_SD_jNS0_19identity_decomposerENS1_16block_id_wrapperIjLb1EEEEE10hipError_tT1_PNSt15iterator_traitsISI_E10value_typeET2_T3_PNSJ_ISO_E10value_typeET4_T5_PST_SU_PNS1_23onesweep_lookback_stateEbbT6_jjT7_P12ihipStream_tbENKUlT_T0_SI_SN_E_clISD_SD_SD_SD_EEDaS11_S12_SI_SN_EUlS11_E_NS1_11comp_targetILNS1_3genE3ELNS1_11target_archE908ELNS1_3gpuE7ELNS1_3repE0EEENS1_47radix_sort_onesweep_sort_config_static_selectorELNS0_4arch9wavefront6targetE1EEEvSI_.num_vgpr, 0
	.set _ZN7rocprim17ROCPRIM_400000_NS6detail17trampoline_kernelINS0_14default_configENS1_35radix_sort_onesweep_config_selectorIiiEEZZNS1_29radix_sort_onesweep_iterationIS3_Lb1EN6thrust23THRUST_200600_302600_NS6detail15normal_iteratorINS8_10device_ptrIiEEEESD_SD_SD_jNS0_19identity_decomposerENS1_16block_id_wrapperIjLb1EEEEE10hipError_tT1_PNSt15iterator_traitsISI_E10value_typeET2_T3_PNSJ_ISO_E10value_typeET4_T5_PST_SU_PNS1_23onesweep_lookback_stateEbbT6_jjT7_P12ihipStream_tbENKUlT_T0_SI_SN_E_clISD_SD_SD_SD_EEDaS11_S12_SI_SN_EUlS11_E_NS1_11comp_targetILNS1_3genE3ELNS1_11target_archE908ELNS1_3gpuE7ELNS1_3repE0EEENS1_47radix_sort_onesweep_sort_config_static_selectorELNS0_4arch9wavefront6targetE1EEEvSI_.num_agpr, 0
	.set _ZN7rocprim17ROCPRIM_400000_NS6detail17trampoline_kernelINS0_14default_configENS1_35radix_sort_onesweep_config_selectorIiiEEZZNS1_29radix_sort_onesweep_iterationIS3_Lb1EN6thrust23THRUST_200600_302600_NS6detail15normal_iteratorINS8_10device_ptrIiEEEESD_SD_SD_jNS0_19identity_decomposerENS1_16block_id_wrapperIjLb1EEEEE10hipError_tT1_PNSt15iterator_traitsISI_E10value_typeET2_T3_PNSJ_ISO_E10value_typeET4_T5_PST_SU_PNS1_23onesweep_lookback_stateEbbT6_jjT7_P12ihipStream_tbENKUlT_T0_SI_SN_E_clISD_SD_SD_SD_EEDaS11_S12_SI_SN_EUlS11_E_NS1_11comp_targetILNS1_3genE3ELNS1_11target_archE908ELNS1_3gpuE7ELNS1_3repE0EEENS1_47radix_sort_onesweep_sort_config_static_selectorELNS0_4arch9wavefront6targetE1EEEvSI_.numbered_sgpr, 0
	.set _ZN7rocprim17ROCPRIM_400000_NS6detail17trampoline_kernelINS0_14default_configENS1_35radix_sort_onesweep_config_selectorIiiEEZZNS1_29radix_sort_onesweep_iterationIS3_Lb1EN6thrust23THRUST_200600_302600_NS6detail15normal_iteratorINS8_10device_ptrIiEEEESD_SD_SD_jNS0_19identity_decomposerENS1_16block_id_wrapperIjLb1EEEEE10hipError_tT1_PNSt15iterator_traitsISI_E10value_typeET2_T3_PNSJ_ISO_E10value_typeET4_T5_PST_SU_PNS1_23onesweep_lookback_stateEbbT6_jjT7_P12ihipStream_tbENKUlT_T0_SI_SN_E_clISD_SD_SD_SD_EEDaS11_S12_SI_SN_EUlS11_E_NS1_11comp_targetILNS1_3genE3ELNS1_11target_archE908ELNS1_3gpuE7ELNS1_3repE0EEENS1_47radix_sort_onesweep_sort_config_static_selectorELNS0_4arch9wavefront6targetE1EEEvSI_.num_named_barrier, 0
	.set _ZN7rocprim17ROCPRIM_400000_NS6detail17trampoline_kernelINS0_14default_configENS1_35radix_sort_onesweep_config_selectorIiiEEZZNS1_29radix_sort_onesweep_iterationIS3_Lb1EN6thrust23THRUST_200600_302600_NS6detail15normal_iteratorINS8_10device_ptrIiEEEESD_SD_SD_jNS0_19identity_decomposerENS1_16block_id_wrapperIjLb1EEEEE10hipError_tT1_PNSt15iterator_traitsISI_E10value_typeET2_T3_PNSJ_ISO_E10value_typeET4_T5_PST_SU_PNS1_23onesweep_lookback_stateEbbT6_jjT7_P12ihipStream_tbENKUlT_T0_SI_SN_E_clISD_SD_SD_SD_EEDaS11_S12_SI_SN_EUlS11_E_NS1_11comp_targetILNS1_3genE3ELNS1_11target_archE908ELNS1_3gpuE7ELNS1_3repE0EEENS1_47radix_sort_onesweep_sort_config_static_selectorELNS0_4arch9wavefront6targetE1EEEvSI_.private_seg_size, 0
	.set _ZN7rocprim17ROCPRIM_400000_NS6detail17trampoline_kernelINS0_14default_configENS1_35radix_sort_onesweep_config_selectorIiiEEZZNS1_29radix_sort_onesweep_iterationIS3_Lb1EN6thrust23THRUST_200600_302600_NS6detail15normal_iteratorINS8_10device_ptrIiEEEESD_SD_SD_jNS0_19identity_decomposerENS1_16block_id_wrapperIjLb1EEEEE10hipError_tT1_PNSt15iterator_traitsISI_E10value_typeET2_T3_PNSJ_ISO_E10value_typeET4_T5_PST_SU_PNS1_23onesweep_lookback_stateEbbT6_jjT7_P12ihipStream_tbENKUlT_T0_SI_SN_E_clISD_SD_SD_SD_EEDaS11_S12_SI_SN_EUlS11_E_NS1_11comp_targetILNS1_3genE3ELNS1_11target_archE908ELNS1_3gpuE7ELNS1_3repE0EEENS1_47radix_sort_onesweep_sort_config_static_selectorELNS0_4arch9wavefront6targetE1EEEvSI_.uses_vcc, 0
	.set _ZN7rocprim17ROCPRIM_400000_NS6detail17trampoline_kernelINS0_14default_configENS1_35radix_sort_onesweep_config_selectorIiiEEZZNS1_29radix_sort_onesweep_iterationIS3_Lb1EN6thrust23THRUST_200600_302600_NS6detail15normal_iteratorINS8_10device_ptrIiEEEESD_SD_SD_jNS0_19identity_decomposerENS1_16block_id_wrapperIjLb1EEEEE10hipError_tT1_PNSt15iterator_traitsISI_E10value_typeET2_T3_PNSJ_ISO_E10value_typeET4_T5_PST_SU_PNS1_23onesweep_lookback_stateEbbT6_jjT7_P12ihipStream_tbENKUlT_T0_SI_SN_E_clISD_SD_SD_SD_EEDaS11_S12_SI_SN_EUlS11_E_NS1_11comp_targetILNS1_3genE3ELNS1_11target_archE908ELNS1_3gpuE7ELNS1_3repE0EEENS1_47radix_sort_onesweep_sort_config_static_selectorELNS0_4arch9wavefront6targetE1EEEvSI_.uses_flat_scratch, 0
	.set _ZN7rocprim17ROCPRIM_400000_NS6detail17trampoline_kernelINS0_14default_configENS1_35radix_sort_onesweep_config_selectorIiiEEZZNS1_29radix_sort_onesweep_iterationIS3_Lb1EN6thrust23THRUST_200600_302600_NS6detail15normal_iteratorINS8_10device_ptrIiEEEESD_SD_SD_jNS0_19identity_decomposerENS1_16block_id_wrapperIjLb1EEEEE10hipError_tT1_PNSt15iterator_traitsISI_E10value_typeET2_T3_PNSJ_ISO_E10value_typeET4_T5_PST_SU_PNS1_23onesweep_lookback_stateEbbT6_jjT7_P12ihipStream_tbENKUlT_T0_SI_SN_E_clISD_SD_SD_SD_EEDaS11_S12_SI_SN_EUlS11_E_NS1_11comp_targetILNS1_3genE3ELNS1_11target_archE908ELNS1_3gpuE7ELNS1_3repE0EEENS1_47radix_sort_onesweep_sort_config_static_selectorELNS0_4arch9wavefront6targetE1EEEvSI_.has_dyn_sized_stack, 0
	.set _ZN7rocprim17ROCPRIM_400000_NS6detail17trampoline_kernelINS0_14default_configENS1_35radix_sort_onesweep_config_selectorIiiEEZZNS1_29radix_sort_onesweep_iterationIS3_Lb1EN6thrust23THRUST_200600_302600_NS6detail15normal_iteratorINS8_10device_ptrIiEEEESD_SD_SD_jNS0_19identity_decomposerENS1_16block_id_wrapperIjLb1EEEEE10hipError_tT1_PNSt15iterator_traitsISI_E10value_typeET2_T3_PNSJ_ISO_E10value_typeET4_T5_PST_SU_PNS1_23onesweep_lookback_stateEbbT6_jjT7_P12ihipStream_tbENKUlT_T0_SI_SN_E_clISD_SD_SD_SD_EEDaS11_S12_SI_SN_EUlS11_E_NS1_11comp_targetILNS1_3genE3ELNS1_11target_archE908ELNS1_3gpuE7ELNS1_3repE0EEENS1_47radix_sort_onesweep_sort_config_static_selectorELNS0_4arch9wavefront6targetE1EEEvSI_.has_recursion, 0
	.set _ZN7rocprim17ROCPRIM_400000_NS6detail17trampoline_kernelINS0_14default_configENS1_35radix_sort_onesweep_config_selectorIiiEEZZNS1_29radix_sort_onesweep_iterationIS3_Lb1EN6thrust23THRUST_200600_302600_NS6detail15normal_iteratorINS8_10device_ptrIiEEEESD_SD_SD_jNS0_19identity_decomposerENS1_16block_id_wrapperIjLb1EEEEE10hipError_tT1_PNSt15iterator_traitsISI_E10value_typeET2_T3_PNSJ_ISO_E10value_typeET4_T5_PST_SU_PNS1_23onesweep_lookback_stateEbbT6_jjT7_P12ihipStream_tbENKUlT_T0_SI_SN_E_clISD_SD_SD_SD_EEDaS11_S12_SI_SN_EUlS11_E_NS1_11comp_targetILNS1_3genE3ELNS1_11target_archE908ELNS1_3gpuE7ELNS1_3repE0EEENS1_47radix_sort_onesweep_sort_config_static_selectorELNS0_4arch9wavefront6targetE1EEEvSI_.has_indirect_call, 0
	.section	.AMDGPU.csdata,"",@progbits
; Kernel info:
; codeLenInByte = 0
; TotalNumSgprs: 6
; NumVgprs: 0
; NumAgprs: 0
; TotalNumVgprs: 0
; ScratchSize: 0
; MemoryBound: 0
; FloatMode: 240
; IeeeMode: 1
; LDSByteSize: 0 bytes/workgroup (compile time only)
; SGPRBlocks: 0
; VGPRBlocks: 0
; NumSGPRsForWavesPerEU: 6
; NumVGPRsForWavesPerEU: 1
; AccumOffset: 4
; Occupancy: 8
; WaveLimiterHint : 0
; COMPUTE_PGM_RSRC2:SCRATCH_EN: 0
; COMPUTE_PGM_RSRC2:USER_SGPR: 2
; COMPUTE_PGM_RSRC2:TRAP_HANDLER: 0
; COMPUTE_PGM_RSRC2:TGID_X_EN: 1
; COMPUTE_PGM_RSRC2:TGID_Y_EN: 0
; COMPUTE_PGM_RSRC2:TGID_Z_EN: 0
; COMPUTE_PGM_RSRC2:TIDIG_COMP_CNT: 0
; COMPUTE_PGM_RSRC3_GFX90A:ACCUM_OFFSET: 0
; COMPUTE_PGM_RSRC3_GFX90A:TG_SPLIT: 0
	.section	.text._ZN7rocprim17ROCPRIM_400000_NS6detail17trampoline_kernelINS0_14default_configENS1_35radix_sort_onesweep_config_selectorIiiEEZZNS1_29radix_sort_onesweep_iterationIS3_Lb1EN6thrust23THRUST_200600_302600_NS6detail15normal_iteratorINS8_10device_ptrIiEEEESD_SD_SD_jNS0_19identity_decomposerENS1_16block_id_wrapperIjLb1EEEEE10hipError_tT1_PNSt15iterator_traitsISI_E10value_typeET2_T3_PNSJ_ISO_E10value_typeET4_T5_PST_SU_PNS1_23onesweep_lookback_stateEbbT6_jjT7_P12ihipStream_tbENKUlT_T0_SI_SN_E_clISD_SD_SD_SD_EEDaS11_S12_SI_SN_EUlS11_E_NS1_11comp_targetILNS1_3genE10ELNS1_11target_archE1201ELNS1_3gpuE5ELNS1_3repE0EEENS1_47radix_sort_onesweep_sort_config_static_selectorELNS0_4arch9wavefront6targetE1EEEvSI_,"axG",@progbits,_ZN7rocprim17ROCPRIM_400000_NS6detail17trampoline_kernelINS0_14default_configENS1_35radix_sort_onesweep_config_selectorIiiEEZZNS1_29radix_sort_onesweep_iterationIS3_Lb1EN6thrust23THRUST_200600_302600_NS6detail15normal_iteratorINS8_10device_ptrIiEEEESD_SD_SD_jNS0_19identity_decomposerENS1_16block_id_wrapperIjLb1EEEEE10hipError_tT1_PNSt15iterator_traitsISI_E10value_typeET2_T3_PNSJ_ISO_E10value_typeET4_T5_PST_SU_PNS1_23onesweep_lookback_stateEbbT6_jjT7_P12ihipStream_tbENKUlT_T0_SI_SN_E_clISD_SD_SD_SD_EEDaS11_S12_SI_SN_EUlS11_E_NS1_11comp_targetILNS1_3genE10ELNS1_11target_archE1201ELNS1_3gpuE5ELNS1_3repE0EEENS1_47radix_sort_onesweep_sort_config_static_selectorELNS0_4arch9wavefront6targetE1EEEvSI_,comdat
	.protected	_ZN7rocprim17ROCPRIM_400000_NS6detail17trampoline_kernelINS0_14default_configENS1_35radix_sort_onesweep_config_selectorIiiEEZZNS1_29radix_sort_onesweep_iterationIS3_Lb1EN6thrust23THRUST_200600_302600_NS6detail15normal_iteratorINS8_10device_ptrIiEEEESD_SD_SD_jNS0_19identity_decomposerENS1_16block_id_wrapperIjLb1EEEEE10hipError_tT1_PNSt15iterator_traitsISI_E10value_typeET2_T3_PNSJ_ISO_E10value_typeET4_T5_PST_SU_PNS1_23onesweep_lookback_stateEbbT6_jjT7_P12ihipStream_tbENKUlT_T0_SI_SN_E_clISD_SD_SD_SD_EEDaS11_S12_SI_SN_EUlS11_E_NS1_11comp_targetILNS1_3genE10ELNS1_11target_archE1201ELNS1_3gpuE5ELNS1_3repE0EEENS1_47radix_sort_onesweep_sort_config_static_selectorELNS0_4arch9wavefront6targetE1EEEvSI_ ; -- Begin function _ZN7rocprim17ROCPRIM_400000_NS6detail17trampoline_kernelINS0_14default_configENS1_35radix_sort_onesweep_config_selectorIiiEEZZNS1_29radix_sort_onesweep_iterationIS3_Lb1EN6thrust23THRUST_200600_302600_NS6detail15normal_iteratorINS8_10device_ptrIiEEEESD_SD_SD_jNS0_19identity_decomposerENS1_16block_id_wrapperIjLb1EEEEE10hipError_tT1_PNSt15iterator_traitsISI_E10value_typeET2_T3_PNSJ_ISO_E10value_typeET4_T5_PST_SU_PNS1_23onesweep_lookback_stateEbbT6_jjT7_P12ihipStream_tbENKUlT_T0_SI_SN_E_clISD_SD_SD_SD_EEDaS11_S12_SI_SN_EUlS11_E_NS1_11comp_targetILNS1_3genE10ELNS1_11target_archE1201ELNS1_3gpuE5ELNS1_3repE0EEENS1_47radix_sort_onesweep_sort_config_static_selectorELNS0_4arch9wavefront6targetE1EEEvSI_
	.globl	_ZN7rocprim17ROCPRIM_400000_NS6detail17trampoline_kernelINS0_14default_configENS1_35radix_sort_onesweep_config_selectorIiiEEZZNS1_29radix_sort_onesweep_iterationIS3_Lb1EN6thrust23THRUST_200600_302600_NS6detail15normal_iteratorINS8_10device_ptrIiEEEESD_SD_SD_jNS0_19identity_decomposerENS1_16block_id_wrapperIjLb1EEEEE10hipError_tT1_PNSt15iterator_traitsISI_E10value_typeET2_T3_PNSJ_ISO_E10value_typeET4_T5_PST_SU_PNS1_23onesweep_lookback_stateEbbT6_jjT7_P12ihipStream_tbENKUlT_T0_SI_SN_E_clISD_SD_SD_SD_EEDaS11_S12_SI_SN_EUlS11_E_NS1_11comp_targetILNS1_3genE10ELNS1_11target_archE1201ELNS1_3gpuE5ELNS1_3repE0EEENS1_47radix_sort_onesweep_sort_config_static_selectorELNS0_4arch9wavefront6targetE1EEEvSI_
	.p2align	8
	.type	_ZN7rocprim17ROCPRIM_400000_NS6detail17trampoline_kernelINS0_14default_configENS1_35radix_sort_onesweep_config_selectorIiiEEZZNS1_29radix_sort_onesweep_iterationIS3_Lb1EN6thrust23THRUST_200600_302600_NS6detail15normal_iteratorINS8_10device_ptrIiEEEESD_SD_SD_jNS0_19identity_decomposerENS1_16block_id_wrapperIjLb1EEEEE10hipError_tT1_PNSt15iterator_traitsISI_E10value_typeET2_T3_PNSJ_ISO_E10value_typeET4_T5_PST_SU_PNS1_23onesweep_lookback_stateEbbT6_jjT7_P12ihipStream_tbENKUlT_T0_SI_SN_E_clISD_SD_SD_SD_EEDaS11_S12_SI_SN_EUlS11_E_NS1_11comp_targetILNS1_3genE10ELNS1_11target_archE1201ELNS1_3gpuE5ELNS1_3repE0EEENS1_47radix_sort_onesweep_sort_config_static_selectorELNS0_4arch9wavefront6targetE1EEEvSI_,@function
_ZN7rocprim17ROCPRIM_400000_NS6detail17trampoline_kernelINS0_14default_configENS1_35radix_sort_onesweep_config_selectorIiiEEZZNS1_29radix_sort_onesweep_iterationIS3_Lb1EN6thrust23THRUST_200600_302600_NS6detail15normal_iteratorINS8_10device_ptrIiEEEESD_SD_SD_jNS0_19identity_decomposerENS1_16block_id_wrapperIjLb1EEEEE10hipError_tT1_PNSt15iterator_traitsISI_E10value_typeET2_T3_PNSJ_ISO_E10value_typeET4_T5_PST_SU_PNS1_23onesweep_lookback_stateEbbT6_jjT7_P12ihipStream_tbENKUlT_T0_SI_SN_E_clISD_SD_SD_SD_EEDaS11_S12_SI_SN_EUlS11_E_NS1_11comp_targetILNS1_3genE10ELNS1_11target_archE1201ELNS1_3gpuE5ELNS1_3repE0EEENS1_47radix_sort_onesweep_sort_config_static_selectorELNS0_4arch9wavefront6targetE1EEEvSI_: ; @_ZN7rocprim17ROCPRIM_400000_NS6detail17trampoline_kernelINS0_14default_configENS1_35radix_sort_onesweep_config_selectorIiiEEZZNS1_29radix_sort_onesweep_iterationIS3_Lb1EN6thrust23THRUST_200600_302600_NS6detail15normal_iteratorINS8_10device_ptrIiEEEESD_SD_SD_jNS0_19identity_decomposerENS1_16block_id_wrapperIjLb1EEEEE10hipError_tT1_PNSt15iterator_traitsISI_E10value_typeET2_T3_PNSJ_ISO_E10value_typeET4_T5_PST_SU_PNS1_23onesweep_lookback_stateEbbT6_jjT7_P12ihipStream_tbENKUlT_T0_SI_SN_E_clISD_SD_SD_SD_EEDaS11_S12_SI_SN_EUlS11_E_NS1_11comp_targetILNS1_3genE10ELNS1_11target_archE1201ELNS1_3gpuE5ELNS1_3repE0EEENS1_47radix_sort_onesweep_sort_config_static_selectorELNS0_4arch9wavefront6targetE1EEEvSI_
; %bb.0:
	.section	.rodata,"a",@progbits
	.p2align	6, 0x0
	.amdhsa_kernel _ZN7rocprim17ROCPRIM_400000_NS6detail17trampoline_kernelINS0_14default_configENS1_35radix_sort_onesweep_config_selectorIiiEEZZNS1_29radix_sort_onesweep_iterationIS3_Lb1EN6thrust23THRUST_200600_302600_NS6detail15normal_iteratorINS8_10device_ptrIiEEEESD_SD_SD_jNS0_19identity_decomposerENS1_16block_id_wrapperIjLb1EEEEE10hipError_tT1_PNSt15iterator_traitsISI_E10value_typeET2_T3_PNSJ_ISO_E10value_typeET4_T5_PST_SU_PNS1_23onesweep_lookback_stateEbbT6_jjT7_P12ihipStream_tbENKUlT_T0_SI_SN_E_clISD_SD_SD_SD_EEDaS11_S12_SI_SN_EUlS11_E_NS1_11comp_targetILNS1_3genE10ELNS1_11target_archE1201ELNS1_3gpuE5ELNS1_3repE0EEENS1_47radix_sort_onesweep_sort_config_static_selectorELNS0_4arch9wavefront6targetE1EEEvSI_
		.amdhsa_group_segment_fixed_size 0
		.amdhsa_private_segment_fixed_size 0
		.amdhsa_kernarg_size 88
		.amdhsa_user_sgpr_count 2
		.amdhsa_user_sgpr_dispatch_ptr 0
		.amdhsa_user_sgpr_queue_ptr 0
		.amdhsa_user_sgpr_kernarg_segment_ptr 1
		.amdhsa_user_sgpr_dispatch_id 0
		.amdhsa_user_sgpr_kernarg_preload_length 0
		.amdhsa_user_sgpr_kernarg_preload_offset 0
		.amdhsa_user_sgpr_private_segment_size 0
		.amdhsa_uses_dynamic_stack 0
		.amdhsa_enable_private_segment 0
		.amdhsa_system_sgpr_workgroup_id_x 1
		.amdhsa_system_sgpr_workgroup_id_y 0
		.amdhsa_system_sgpr_workgroup_id_z 0
		.amdhsa_system_sgpr_workgroup_info 0
		.amdhsa_system_vgpr_workitem_id 0
		.amdhsa_next_free_vgpr 1
		.amdhsa_next_free_sgpr 0
		.amdhsa_accum_offset 4
		.amdhsa_reserve_vcc 0
		.amdhsa_float_round_mode_32 0
		.amdhsa_float_round_mode_16_64 0
		.amdhsa_float_denorm_mode_32 3
		.amdhsa_float_denorm_mode_16_64 3
		.amdhsa_dx10_clamp 1
		.amdhsa_ieee_mode 1
		.amdhsa_fp16_overflow 0
		.amdhsa_tg_split 0
		.amdhsa_exception_fp_ieee_invalid_op 0
		.amdhsa_exception_fp_denorm_src 0
		.amdhsa_exception_fp_ieee_div_zero 0
		.amdhsa_exception_fp_ieee_overflow 0
		.amdhsa_exception_fp_ieee_underflow 0
		.amdhsa_exception_fp_ieee_inexact 0
		.amdhsa_exception_int_div_zero 0
	.end_amdhsa_kernel
	.section	.text._ZN7rocprim17ROCPRIM_400000_NS6detail17trampoline_kernelINS0_14default_configENS1_35radix_sort_onesweep_config_selectorIiiEEZZNS1_29radix_sort_onesweep_iterationIS3_Lb1EN6thrust23THRUST_200600_302600_NS6detail15normal_iteratorINS8_10device_ptrIiEEEESD_SD_SD_jNS0_19identity_decomposerENS1_16block_id_wrapperIjLb1EEEEE10hipError_tT1_PNSt15iterator_traitsISI_E10value_typeET2_T3_PNSJ_ISO_E10value_typeET4_T5_PST_SU_PNS1_23onesweep_lookback_stateEbbT6_jjT7_P12ihipStream_tbENKUlT_T0_SI_SN_E_clISD_SD_SD_SD_EEDaS11_S12_SI_SN_EUlS11_E_NS1_11comp_targetILNS1_3genE10ELNS1_11target_archE1201ELNS1_3gpuE5ELNS1_3repE0EEENS1_47radix_sort_onesweep_sort_config_static_selectorELNS0_4arch9wavefront6targetE1EEEvSI_,"axG",@progbits,_ZN7rocprim17ROCPRIM_400000_NS6detail17trampoline_kernelINS0_14default_configENS1_35radix_sort_onesweep_config_selectorIiiEEZZNS1_29radix_sort_onesweep_iterationIS3_Lb1EN6thrust23THRUST_200600_302600_NS6detail15normal_iteratorINS8_10device_ptrIiEEEESD_SD_SD_jNS0_19identity_decomposerENS1_16block_id_wrapperIjLb1EEEEE10hipError_tT1_PNSt15iterator_traitsISI_E10value_typeET2_T3_PNSJ_ISO_E10value_typeET4_T5_PST_SU_PNS1_23onesweep_lookback_stateEbbT6_jjT7_P12ihipStream_tbENKUlT_T0_SI_SN_E_clISD_SD_SD_SD_EEDaS11_S12_SI_SN_EUlS11_E_NS1_11comp_targetILNS1_3genE10ELNS1_11target_archE1201ELNS1_3gpuE5ELNS1_3repE0EEENS1_47radix_sort_onesweep_sort_config_static_selectorELNS0_4arch9wavefront6targetE1EEEvSI_,comdat
.Lfunc_end1005:
	.size	_ZN7rocprim17ROCPRIM_400000_NS6detail17trampoline_kernelINS0_14default_configENS1_35radix_sort_onesweep_config_selectorIiiEEZZNS1_29radix_sort_onesweep_iterationIS3_Lb1EN6thrust23THRUST_200600_302600_NS6detail15normal_iteratorINS8_10device_ptrIiEEEESD_SD_SD_jNS0_19identity_decomposerENS1_16block_id_wrapperIjLb1EEEEE10hipError_tT1_PNSt15iterator_traitsISI_E10value_typeET2_T3_PNSJ_ISO_E10value_typeET4_T5_PST_SU_PNS1_23onesweep_lookback_stateEbbT6_jjT7_P12ihipStream_tbENKUlT_T0_SI_SN_E_clISD_SD_SD_SD_EEDaS11_S12_SI_SN_EUlS11_E_NS1_11comp_targetILNS1_3genE10ELNS1_11target_archE1201ELNS1_3gpuE5ELNS1_3repE0EEENS1_47radix_sort_onesweep_sort_config_static_selectorELNS0_4arch9wavefront6targetE1EEEvSI_, .Lfunc_end1005-_ZN7rocprim17ROCPRIM_400000_NS6detail17trampoline_kernelINS0_14default_configENS1_35radix_sort_onesweep_config_selectorIiiEEZZNS1_29radix_sort_onesweep_iterationIS3_Lb1EN6thrust23THRUST_200600_302600_NS6detail15normal_iteratorINS8_10device_ptrIiEEEESD_SD_SD_jNS0_19identity_decomposerENS1_16block_id_wrapperIjLb1EEEEE10hipError_tT1_PNSt15iterator_traitsISI_E10value_typeET2_T3_PNSJ_ISO_E10value_typeET4_T5_PST_SU_PNS1_23onesweep_lookback_stateEbbT6_jjT7_P12ihipStream_tbENKUlT_T0_SI_SN_E_clISD_SD_SD_SD_EEDaS11_S12_SI_SN_EUlS11_E_NS1_11comp_targetILNS1_3genE10ELNS1_11target_archE1201ELNS1_3gpuE5ELNS1_3repE0EEENS1_47radix_sort_onesweep_sort_config_static_selectorELNS0_4arch9wavefront6targetE1EEEvSI_
                                        ; -- End function
	.set _ZN7rocprim17ROCPRIM_400000_NS6detail17trampoline_kernelINS0_14default_configENS1_35radix_sort_onesweep_config_selectorIiiEEZZNS1_29radix_sort_onesweep_iterationIS3_Lb1EN6thrust23THRUST_200600_302600_NS6detail15normal_iteratorINS8_10device_ptrIiEEEESD_SD_SD_jNS0_19identity_decomposerENS1_16block_id_wrapperIjLb1EEEEE10hipError_tT1_PNSt15iterator_traitsISI_E10value_typeET2_T3_PNSJ_ISO_E10value_typeET4_T5_PST_SU_PNS1_23onesweep_lookback_stateEbbT6_jjT7_P12ihipStream_tbENKUlT_T0_SI_SN_E_clISD_SD_SD_SD_EEDaS11_S12_SI_SN_EUlS11_E_NS1_11comp_targetILNS1_3genE10ELNS1_11target_archE1201ELNS1_3gpuE5ELNS1_3repE0EEENS1_47radix_sort_onesweep_sort_config_static_selectorELNS0_4arch9wavefront6targetE1EEEvSI_.num_vgpr, 0
	.set _ZN7rocprim17ROCPRIM_400000_NS6detail17trampoline_kernelINS0_14default_configENS1_35radix_sort_onesweep_config_selectorIiiEEZZNS1_29radix_sort_onesweep_iterationIS3_Lb1EN6thrust23THRUST_200600_302600_NS6detail15normal_iteratorINS8_10device_ptrIiEEEESD_SD_SD_jNS0_19identity_decomposerENS1_16block_id_wrapperIjLb1EEEEE10hipError_tT1_PNSt15iterator_traitsISI_E10value_typeET2_T3_PNSJ_ISO_E10value_typeET4_T5_PST_SU_PNS1_23onesweep_lookback_stateEbbT6_jjT7_P12ihipStream_tbENKUlT_T0_SI_SN_E_clISD_SD_SD_SD_EEDaS11_S12_SI_SN_EUlS11_E_NS1_11comp_targetILNS1_3genE10ELNS1_11target_archE1201ELNS1_3gpuE5ELNS1_3repE0EEENS1_47radix_sort_onesweep_sort_config_static_selectorELNS0_4arch9wavefront6targetE1EEEvSI_.num_agpr, 0
	.set _ZN7rocprim17ROCPRIM_400000_NS6detail17trampoline_kernelINS0_14default_configENS1_35radix_sort_onesweep_config_selectorIiiEEZZNS1_29radix_sort_onesweep_iterationIS3_Lb1EN6thrust23THRUST_200600_302600_NS6detail15normal_iteratorINS8_10device_ptrIiEEEESD_SD_SD_jNS0_19identity_decomposerENS1_16block_id_wrapperIjLb1EEEEE10hipError_tT1_PNSt15iterator_traitsISI_E10value_typeET2_T3_PNSJ_ISO_E10value_typeET4_T5_PST_SU_PNS1_23onesweep_lookback_stateEbbT6_jjT7_P12ihipStream_tbENKUlT_T0_SI_SN_E_clISD_SD_SD_SD_EEDaS11_S12_SI_SN_EUlS11_E_NS1_11comp_targetILNS1_3genE10ELNS1_11target_archE1201ELNS1_3gpuE5ELNS1_3repE0EEENS1_47radix_sort_onesweep_sort_config_static_selectorELNS0_4arch9wavefront6targetE1EEEvSI_.numbered_sgpr, 0
	.set _ZN7rocprim17ROCPRIM_400000_NS6detail17trampoline_kernelINS0_14default_configENS1_35radix_sort_onesweep_config_selectorIiiEEZZNS1_29radix_sort_onesweep_iterationIS3_Lb1EN6thrust23THRUST_200600_302600_NS6detail15normal_iteratorINS8_10device_ptrIiEEEESD_SD_SD_jNS0_19identity_decomposerENS1_16block_id_wrapperIjLb1EEEEE10hipError_tT1_PNSt15iterator_traitsISI_E10value_typeET2_T3_PNSJ_ISO_E10value_typeET4_T5_PST_SU_PNS1_23onesweep_lookback_stateEbbT6_jjT7_P12ihipStream_tbENKUlT_T0_SI_SN_E_clISD_SD_SD_SD_EEDaS11_S12_SI_SN_EUlS11_E_NS1_11comp_targetILNS1_3genE10ELNS1_11target_archE1201ELNS1_3gpuE5ELNS1_3repE0EEENS1_47radix_sort_onesweep_sort_config_static_selectorELNS0_4arch9wavefront6targetE1EEEvSI_.num_named_barrier, 0
	.set _ZN7rocprim17ROCPRIM_400000_NS6detail17trampoline_kernelINS0_14default_configENS1_35radix_sort_onesweep_config_selectorIiiEEZZNS1_29radix_sort_onesweep_iterationIS3_Lb1EN6thrust23THRUST_200600_302600_NS6detail15normal_iteratorINS8_10device_ptrIiEEEESD_SD_SD_jNS0_19identity_decomposerENS1_16block_id_wrapperIjLb1EEEEE10hipError_tT1_PNSt15iterator_traitsISI_E10value_typeET2_T3_PNSJ_ISO_E10value_typeET4_T5_PST_SU_PNS1_23onesweep_lookback_stateEbbT6_jjT7_P12ihipStream_tbENKUlT_T0_SI_SN_E_clISD_SD_SD_SD_EEDaS11_S12_SI_SN_EUlS11_E_NS1_11comp_targetILNS1_3genE10ELNS1_11target_archE1201ELNS1_3gpuE5ELNS1_3repE0EEENS1_47radix_sort_onesweep_sort_config_static_selectorELNS0_4arch9wavefront6targetE1EEEvSI_.private_seg_size, 0
	.set _ZN7rocprim17ROCPRIM_400000_NS6detail17trampoline_kernelINS0_14default_configENS1_35radix_sort_onesweep_config_selectorIiiEEZZNS1_29radix_sort_onesweep_iterationIS3_Lb1EN6thrust23THRUST_200600_302600_NS6detail15normal_iteratorINS8_10device_ptrIiEEEESD_SD_SD_jNS0_19identity_decomposerENS1_16block_id_wrapperIjLb1EEEEE10hipError_tT1_PNSt15iterator_traitsISI_E10value_typeET2_T3_PNSJ_ISO_E10value_typeET4_T5_PST_SU_PNS1_23onesweep_lookback_stateEbbT6_jjT7_P12ihipStream_tbENKUlT_T0_SI_SN_E_clISD_SD_SD_SD_EEDaS11_S12_SI_SN_EUlS11_E_NS1_11comp_targetILNS1_3genE10ELNS1_11target_archE1201ELNS1_3gpuE5ELNS1_3repE0EEENS1_47radix_sort_onesweep_sort_config_static_selectorELNS0_4arch9wavefront6targetE1EEEvSI_.uses_vcc, 0
	.set _ZN7rocprim17ROCPRIM_400000_NS6detail17trampoline_kernelINS0_14default_configENS1_35radix_sort_onesweep_config_selectorIiiEEZZNS1_29radix_sort_onesweep_iterationIS3_Lb1EN6thrust23THRUST_200600_302600_NS6detail15normal_iteratorINS8_10device_ptrIiEEEESD_SD_SD_jNS0_19identity_decomposerENS1_16block_id_wrapperIjLb1EEEEE10hipError_tT1_PNSt15iterator_traitsISI_E10value_typeET2_T3_PNSJ_ISO_E10value_typeET4_T5_PST_SU_PNS1_23onesweep_lookback_stateEbbT6_jjT7_P12ihipStream_tbENKUlT_T0_SI_SN_E_clISD_SD_SD_SD_EEDaS11_S12_SI_SN_EUlS11_E_NS1_11comp_targetILNS1_3genE10ELNS1_11target_archE1201ELNS1_3gpuE5ELNS1_3repE0EEENS1_47radix_sort_onesweep_sort_config_static_selectorELNS0_4arch9wavefront6targetE1EEEvSI_.uses_flat_scratch, 0
	.set _ZN7rocprim17ROCPRIM_400000_NS6detail17trampoline_kernelINS0_14default_configENS1_35radix_sort_onesweep_config_selectorIiiEEZZNS1_29radix_sort_onesweep_iterationIS3_Lb1EN6thrust23THRUST_200600_302600_NS6detail15normal_iteratorINS8_10device_ptrIiEEEESD_SD_SD_jNS0_19identity_decomposerENS1_16block_id_wrapperIjLb1EEEEE10hipError_tT1_PNSt15iterator_traitsISI_E10value_typeET2_T3_PNSJ_ISO_E10value_typeET4_T5_PST_SU_PNS1_23onesweep_lookback_stateEbbT6_jjT7_P12ihipStream_tbENKUlT_T0_SI_SN_E_clISD_SD_SD_SD_EEDaS11_S12_SI_SN_EUlS11_E_NS1_11comp_targetILNS1_3genE10ELNS1_11target_archE1201ELNS1_3gpuE5ELNS1_3repE0EEENS1_47radix_sort_onesweep_sort_config_static_selectorELNS0_4arch9wavefront6targetE1EEEvSI_.has_dyn_sized_stack, 0
	.set _ZN7rocprim17ROCPRIM_400000_NS6detail17trampoline_kernelINS0_14default_configENS1_35radix_sort_onesweep_config_selectorIiiEEZZNS1_29radix_sort_onesweep_iterationIS3_Lb1EN6thrust23THRUST_200600_302600_NS6detail15normal_iteratorINS8_10device_ptrIiEEEESD_SD_SD_jNS0_19identity_decomposerENS1_16block_id_wrapperIjLb1EEEEE10hipError_tT1_PNSt15iterator_traitsISI_E10value_typeET2_T3_PNSJ_ISO_E10value_typeET4_T5_PST_SU_PNS1_23onesweep_lookback_stateEbbT6_jjT7_P12ihipStream_tbENKUlT_T0_SI_SN_E_clISD_SD_SD_SD_EEDaS11_S12_SI_SN_EUlS11_E_NS1_11comp_targetILNS1_3genE10ELNS1_11target_archE1201ELNS1_3gpuE5ELNS1_3repE0EEENS1_47radix_sort_onesweep_sort_config_static_selectorELNS0_4arch9wavefront6targetE1EEEvSI_.has_recursion, 0
	.set _ZN7rocprim17ROCPRIM_400000_NS6detail17trampoline_kernelINS0_14default_configENS1_35radix_sort_onesweep_config_selectorIiiEEZZNS1_29radix_sort_onesweep_iterationIS3_Lb1EN6thrust23THRUST_200600_302600_NS6detail15normal_iteratorINS8_10device_ptrIiEEEESD_SD_SD_jNS0_19identity_decomposerENS1_16block_id_wrapperIjLb1EEEEE10hipError_tT1_PNSt15iterator_traitsISI_E10value_typeET2_T3_PNSJ_ISO_E10value_typeET4_T5_PST_SU_PNS1_23onesweep_lookback_stateEbbT6_jjT7_P12ihipStream_tbENKUlT_T0_SI_SN_E_clISD_SD_SD_SD_EEDaS11_S12_SI_SN_EUlS11_E_NS1_11comp_targetILNS1_3genE10ELNS1_11target_archE1201ELNS1_3gpuE5ELNS1_3repE0EEENS1_47radix_sort_onesweep_sort_config_static_selectorELNS0_4arch9wavefront6targetE1EEEvSI_.has_indirect_call, 0
	.section	.AMDGPU.csdata,"",@progbits
; Kernel info:
; codeLenInByte = 0
; TotalNumSgprs: 6
; NumVgprs: 0
; NumAgprs: 0
; TotalNumVgprs: 0
; ScratchSize: 0
; MemoryBound: 0
; FloatMode: 240
; IeeeMode: 1
; LDSByteSize: 0 bytes/workgroup (compile time only)
; SGPRBlocks: 0
; VGPRBlocks: 0
; NumSGPRsForWavesPerEU: 6
; NumVGPRsForWavesPerEU: 1
; AccumOffset: 4
; Occupancy: 8
; WaveLimiterHint : 0
; COMPUTE_PGM_RSRC2:SCRATCH_EN: 0
; COMPUTE_PGM_RSRC2:USER_SGPR: 2
; COMPUTE_PGM_RSRC2:TRAP_HANDLER: 0
; COMPUTE_PGM_RSRC2:TGID_X_EN: 1
; COMPUTE_PGM_RSRC2:TGID_Y_EN: 0
; COMPUTE_PGM_RSRC2:TGID_Z_EN: 0
; COMPUTE_PGM_RSRC2:TIDIG_COMP_CNT: 0
; COMPUTE_PGM_RSRC3_GFX90A:ACCUM_OFFSET: 0
; COMPUTE_PGM_RSRC3_GFX90A:TG_SPLIT: 0
	.section	.text._ZN7rocprim17ROCPRIM_400000_NS6detail17trampoline_kernelINS0_14default_configENS1_35radix_sort_onesweep_config_selectorIiiEEZZNS1_29radix_sort_onesweep_iterationIS3_Lb1EN6thrust23THRUST_200600_302600_NS6detail15normal_iteratorINS8_10device_ptrIiEEEESD_SD_SD_jNS0_19identity_decomposerENS1_16block_id_wrapperIjLb1EEEEE10hipError_tT1_PNSt15iterator_traitsISI_E10value_typeET2_T3_PNSJ_ISO_E10value_typeET4_T5_PST_SU_PNS1_23onesweep_lookback_stateEbbT6_jjT7_P12ihipStream_tbENKUlT_T0_SI_SN_E_clISD_SD_SD_SD_EEDaS11_S12_SI_SN_EUlS11_E_NS1_11comp_targetILNS1_3genE9ELNS1_11target_archE1100ELNS1_3gpuE3ELNS1_3repE0EEENS1_47radix_sort_onesweep_sort_config_static_selectorELNS0_4arch9wavefront6targetE1EEEvSI_,"axG",@progbits,_ZN7rocprim17ROCPRIM_400000_NS6detail17trampoline_kernelINS0_14default_configENS1_35radix_sort_onesweep_config_selectorIiiEEZZNS1_29radix_sort_onesweep_iterationIS3_Lb1EN6thrust23THRUST_200600_302600_NS6detail15normal_iteratorINS8_10device_ptrIiEEEESD_SD_SD_jNS0_19identity_decomposerENS1_16block_id_wrapperIjLb1EEEEE10hipError_tT1_PNSt15iterator_traitsISI_E10value_typeET2_T3_PNSJ_ISO_E10value_typeET4_T5_PST_SU_PNS1_23onesweep_lookback_stateEbbT6_jjT7_P12ihipStream_tbENKUlT_T0_SI_SN_E_clISD_SD_SD_SD_EEDaS11_S12_SI_SN_EUlS11_E_NS1_11comp_targetILNS1_3genE9ELNS1_11target_archE1100ELNS1_3gpuE3ELNS1_3repE0EEENS1_47radix_sort_onesweep_sort_config_static_selectorELNS0_4arch9wavefront6targetE1EEEvSI_,comdat
	.protected	_ZN7rocprim17ROCPRIM_400000_NS6detail17trampoline_kernelINS0_14default_configENS1_35radix_sort_onesweep_config_selectorIiiEEZZNS1_29radix_sort_onesweep_iterationIS3_Lb1EN6thrust23THRUST_200600_302600_NS6detail15normal_iteratorINS8_10device_ptrIiEEEESD_SD_SD_jNS0_19identity_decomposerENS1_16block_id_wrapperIjLb1EEEEE10hipError_tT1_PNSt15iterator_traitsISI_E10value_typeET2_T3_PNSJ_ISO_E10value_typeET4_T5_PST_SU_PNS1_23onesweep_lookback_stateEbbT6_jjT7_P12ihipStream_tbENKUlT_T0_SI_SN_E_clISD_SD_SD_SD_EEDaS11_S12_SI_SN_EUlS11_E_NS1_11comp_targetILNS1_3genE9ELNS1_11target_archE1100ELNS1_3gpuE3ELNS1_3repE0EEENS1_47radix_sort_onesweep_sort_config_static_selectorELNS0_4arch9wavefront6targetE1EEEvSI_ ; -- Begin function _ZN7rocprim17ROCPRIM_400000_NS6detail17trampoline_kernelINS0_14default_configENS1_35radix_sort_onesweep_config_selectorIiiEEZZNS1_29radix_sort_onesweep_iterationIS3_Lb1EN6thrust23THRUST_200600_302600_NS6detail15normal_iteratorINS8_10device_ptrIiEEEESD_SD_SD_jNS0_19identity_decomposerENS1_16block_id_wrapperIjLb1EEEEE10hipError_tT1_PNSt15iterator_traitsISI_E10value_typeET2_T3_PNSJ_ISO_E10value_typeET4_T5_PST_SU_PNS1_23onesweep_lookback_stateEbbT6_jjT7_P12ihipStream_tbENKUlT_T0_SI_SN_E_clISD_SD_SD_SD_EEDaS11_S12_SI_SN_EUlS11_E_NS1_11comp_targetILNS1_3genE9ELNS1_11target_archE1100ELNS1_3gpuE3ELNS1_3repE0EEENS1_47radix_sort_onesweep_sort_config_static_selectorELNS0_4arch9wavefront6targetE1EEEvSI_
	.globl	_ZN7rocprim17ROCPRIM_400000_NS6detail17trampoline_kernelINS0_14default_configENS1_35radix_sort_onesweep_config_selectorIiiEEZZNS1_29radix_sort_onesweep_iterationIS3_Lb1EN6thrust23THRUST_200600_302600_NS6detail15normal_iteratorINS8_10device_ptrIiEEEESD_SD_SD_jNS0_19identity_decomposerENS1_16block_id_wrapperIjLb1EEEEE10hipError_tT1_PNSt15iterator_traitsISI_E10value_typeET2_T3_PNSJ_ISO_E10value_typeET4_T5_PST_SU_PNS1_23onesweep_lookback_stateEbbT6_jjT7_P12ihipStream_tbENKUlT_T0_SI_SN_E_clISD_SD_SD_SD_EEDaS11_S12_SI_SN_EUlS11_E_NS1_11comp_targetILNS1_3genE9ELNS1_11target_archE1100ELNS1_3gpuE3ELNS1_3repE0EEENS1_47radix_sort_onesweep_sort_config_static_selectorELNS0_4arch9wavefront6targetE1EEEvSI_
	.p2align	8
	.type	_ZN7rocprim17ROCPRIM_400000_NS6detail17trampoline_kernelINS0_14default_configENS1_35radix_sort_onesweep_config_selectorIiiEEZZNS1_29radix_sort_onesweep_iterationIS3_Lb1EN6thrust23THRUST_200600_302600_NS6detail15normal_iteratorINS8_10device_ptrIiEEEESD_SD_SD_jNS0_19identity_decomposerENS1_16block_id_wrapperIjLb1EEEEE10hipError_tT1_PNSt15iterator_traitsISI_E10value_typeET2_T3_PNSJ_ISO_E10value_typeET4_T5_PST_SU_PNS1_23onesweep_lookback_stateEbbT6_jjT7_P12ihipStream_tbENKUlT_T0_SI_SN_E_clISD_SD_SD_SD_EEDaS11_S12_SI_SN_EUlS11_E_NS1_11comp_targetILNS1_3genE9ELNS1_11target_archE1100ELNS1_3gpuE3ELNS1_3repE0EEENS1_47radix_sort_onesweep_sort_config_static_selectorELNS0_4arch9wavefront6targetE1EEEvSI_,@function
_ZN7rocprim17ROCPRIM_400000_NS6detail17trampoline_kernelINS0_14default_configENS1_35radix_sort_onesweep_config_selectorIiiEEZZNS1_29radix_sort_onesweep_iterationIS3_Lb1EN6thrust23THRUST_200600_302600_NS6detail15normal_iteratorINS8_10device_ptrIiEEEESD_SD_SD_jNS0_19identity_decomposerENS1_16block_id_wrapperIjLb1EEEEE10hipError_tT1_PNSt15iterator_traitsISI_E10value_typeET2_T3_PNSJ_ISO_E10value_typeET4_T5_PST_SU_PNS1_23onesweep_lookback_stateEbbT6_jjT7_P12ihipStream_tbENKUlT_T0_SI_SN_E_clISD_SD_SD_SD_EEDaS11_S12_SI_SN_EUlS11_E_NS1_11comp_targetILNS1_3genE9ELNS1_11target_archE1100ELNS1_3gpuE3ELNS1_3repE0EEENS1_47radix_sort_onesweep_sort_config_static_selectorELNS0_4arch9wavefront6targetE1EEEvSI_: ; @_ZN7rocprim17ROCPRIM_400000_NS6detail17trampoline_kernelINS0_14default_configENS1_35radix_sort_onesweep_config_selectorIiiEEZZNS1_29radix_sort_onesweep_iterationIS3_Lb1EN6thrust23THRUST_200600_302600_NS6detail15normal_iteratorINS8_10device_ptrIiEEEESD_SD_SD_jNS0_19identity_decomposerENS1_16block_id_wrapperIjLb1EEEEE10hipError_tT1_PNSt15iterator_traitsISI_E10value_typeET2_T3_PNSJ_ISO_E10value_typeET4_T5_PST_SU_PNS1_23onesweep_lookback_stateEbbT6_jjT7_P12ihipStream_tbENKUlT_T0_SI_SN_E_clISD_SD_SD_SD_EEDaS11_S12_SI_SN_EUlS11_E_NS1_11comp_targetILNS1_3genE9ELNS1_11target_archE1100ELNS1_3gpuE3ELNS1_3repE0EEENS1_47radix_sort_onesweep_sort_config_static_selectorELNS0_4arch9wavefront6targetE1EEEvSI_
; %bb.0:
	.section	.rodata,"a",@progbits
	.p2align	6, 0x0
	.amdhsa_kernel _ZN7rocprim17ROCPRIM_400000_NS6detail17trampoline_kernelINS0_14default_configENS1_35radix_sort_onesweep_config_selectorIiiEEZZNS1_29radix_sort_onesweep_iterationIS3_Lb1EN6thrust23THRUST_200600_302600_NS6detail15normal_iteratorINS8_10device_ptrIiEEEESD_SD_SD_jNS0_19identity_decomposerENS1_16block_id_wrapperIjLb1EEEEE10hipError_tT1_PNSt15iterator_traitsISI_E10value_typeET2_T3_PNSJ_ISO_E10value_typeET4_T5_PST_SU_PNS1_23onesweep_lookback_stateEbbT6_jjT7_P12ihipStream_tbENKUlT_T0_SI_SN_E_clISD_SD_SD_SD_EEDaS11_S12_SI_SN_EUlS11_E_NS1_11comp_targetILNS1_3genE9ELNS1_11target_archE1100ELNS1_3gpuE3ELNS1_3repE0EEENS1_47radix_sort_onesweep_sort_config_static_selectorELNS0_4arch9wavefront6targetE1EEEvSI_
		.amdhsa_group_segment_fixed_size 0
		.amdhsa_private_segment_fixed_size 0
		.amdhsa_kernarg_size 88
		.amdhsa_user_sgpr_count 2
		.amdhsa_user_sgpr_dispatch_ptr 0
		.amdhsa_user_sgpr_queue_ptr 0
		.amdhsa_user_sgpr_kernarg_segment_ptr 1
		.amdhsa_user_sgpr_dispatch_id 0
		.amdhsa_user_sgpr_kernarg_preload_length 0
		.amdhsa_user_sgpr_kernarg_preload_offset 0
		.amdhsa_user_sgpr_private_segment_size 0
		.amdhsa_uses_dynamic_stack 0
		.amdhsa_enable_private_segment 0
		.amdhsa_system_sgpr_workgroup_id_x 1
		.amdhsa_system_sgpr_workgroup_id_y 0
		.amdhsa_system_sgpr_workgroup_id_z 0
		.amdhsa_system_sgpr_workgroup_info 0
		.amdhsa_system_vgpr_workitem_id 0
		.amdhsa_next_free_vgpr 1
		.amdhsa_next_free_sgpr 0
		.amdhsa_accum_offset 4
		.amdhsa_reserve_vcc 0
		.amdhsa_float_round_mode_32 0
		.amdhsa_float_round_mode_16_64 0
		.amdhsa_float_denorm_mode_32 3
		.amdhsa_float_denorm_mode_16_64 3
		.amdhsa_dx10_clamp 1
		.amdhsa_ieee_mode 1
		.amdhsa_fp16_overflow 0
		.amdhsa_tg_split 0
		.amdhsa_exception_fp_ieee_invalid_op 0
		.amdhsa_exception_fp_denorm_src 0
		.amdhsa_exception_fp_ieee_div_zero 0
		.amdhsa_exception_fp_ieee_overflow 0
		.amdhsa_exception_fp_ieee_underflow 0
		.amdhsa_exception_fp_ieee_inexact 0
		.amdhsa_exception_int_div_zero 0
	.end_amdhsa_kernel
	.section	.text._ZN7rocprim17ROCPRIM_400000_NS6detail17trampoline_kernelINS0_14default_configENS1_35radix_sort_onesweep_config_selectorIiiEEZZNS1_29radix_sort_onesweep_iterationIS3_Lb1EN6thrust23THRUST_200600_302600_NS6detail15normal_iteratorINS8_10device_ptrIiEEEESD_SD_SD_jNS0_19identity_decomposerENS1_16block_id_wrapperIjLb1EEEEE10hipError_tT1_PNSt15iterator_traitsISI_E10value_typeET2_T3_PNSJ_ISO_E10value_typeET4_T5_PST_SU_PNS1_23onesweep_lookback_stateEbbT6_jjT7_P12ihipStream_tbENKUlT_T0_SI_SN_E_clISD_SD_SD_SD_EEDaS11_S12_SI_SN_EUlS11_E_NS1_11comp_targetILNS1_3genE9ELNS1_11target_archE1100ELNS1_3gpuE3ELNS1_3repE0EEENS1_47radix_sort_onesweep_sort_config_static_selectorELNS0_4arch9wavefront6targetE1EEEvSI_,"axG",@progbits,_ZN7rocprim17ROCPRIM_400000_NS6detail17trampoline_kernelINS0_14default_configENS1_35radix_sort_onesweep_config_selectorIiiEEZZNS1_29radix_sort_onesweep_iterationIS3_Lb1EN6thrust23THRUST_200600_302600_NS6detail15normal_iteratorINS8_10device_ptrIiEEEESD_SD_SD_jNS0_19identity_decomposerENS1_16block_id_wrapperIjLb1EEEEE10hipError_tT1_PNSt15iterator_traitsISI_E10value_typeET2_T3_PNSJ_ISO_E10value_typeET4_T5_PST_SU_PNS1_23onesweep_lookback_stateEbbT6_jjT7_P12ihipStream_tbENKUlT_T0_SI_SN_E_clISD_SD_SD_SD_EEDaS11_S12_SI_SN_EUlS11_E_NS1_11comp_targetILNS1_3genE9ELNS1_11target_archE1100ELNS1_3gpuE3ELNS1_3repE0EEENS1_47radix_sort_onesweep_sort_config_static_selectorELNS0_4arch9wavefront6targetE1EEEvSI_,comdat
.Lfunc_end1006:
	.size	_ZN7rocprim17ROCPRIM_400000_NS6detail17trampoline_kernelINS0_14default_configENS1_35radix_sort_onesweep_config_selectorIiiEEZZNS1_29radix_sort_onesweep_iterationIS3_Lb1EN6thrust23THRUST_200600_302600_NS6detail15normal_iteratorINS8_10device_ptrIiEEEESD_SD_SD_jNS0_19identity_decomposerENS1_16block_id_wrapperIjLb1EEEEE10hipError_tT1_PNSt15iterator_traitsISI_E10value_typeET2_T3_PNSJ_ISO_E10value_typeET4_T5_PST_SU_PNS1_23onesweep_lookback_stateEbbT6_jjT7_P12ihipStream_tbENKUlT_T0_SI_SN_E_clISD_SD_SD_SD_EEDaS11_S12_SI_SN_EUlS11_E_NS1_11comp_targetILNS1_3genE9ELNS1_11target_archE1100ELNS1_3gpuE3ELNS1_3repE0EEENS1_47radix_sort_onesweep_sort_config_static_selectorELNS0_4arch9wavefront6targetE1EEEvSI_, .Lfunc_end1006-_ZN7rocprim17ROCPRIM_400000_NS6detail17trampoline_kernelINS0_14default_configENS1_35radix_sort_onesweep_config_selectorIiiEEZZNS1_29radix_sort_onesweep_iterationIS3_Lb1EN6thrust23THRUST_200600_302600_NS6detail15normal_iteratorINS8_10device_ptrIiEEEESD_SD_SD_jNS0_19identity_decomposerENS1_16block_id_wrapperIjLb1EEEEE10hipError_tT1_PNSt15iterator_traitsISI_E10value_typeET2_T3_PNSJ_ISO_E10value_typeET4_T5_PST_SU_PNS1_23onesweep_lookback_stateEbbT6_jjT7_P12ihipStream_tbENKUlT_T0_SI_SN_E_clISD_SD_SD_SD_EEDaS11_S12_SI_SN_EUlS11_E_NS1_11comp_targetILNS1_3genE9ELNS1_11target_archE1100ELNS1_3gpuE3ELNS1_3repE0EEENS1_47radix_sort_onesweep_sort_config_static_selectorELNS0_4arch9wavefront6targetE1EEEvSI_
                                        ; -- End function
	.set _ZN7rocprim17ROCPRIM_400000_NS6detail17trampoline_kernelINS0_14default_configENS1_35radix_sort_onesweep_config_selectorIiiEEZZNS1_29radix_sort_onesweep_iterationIS3_Lb1EN6thrust23THRUST_200600_302600_NS6detail15normal_iteratorINS8_10device_ptrIiEEEESD_SD_SD_jNS0_19identity_decomposerENS1_16block_id_wrapperIjLb1EEEEE10hipError_tT1_PNSt15iterator_traitsISI_E10value_typeET2_T3_PNSJ_ISO_E10value_typeET4_T5_PST_SU_PNS1_23onesweep_lookback_stateEbbT6_jjT7_P12ihipStream_tbENKUlT_T0_SI_SN_E_clISD_SD_SD_SD_EEDaS11_S12_SI_SN_EUlS11_E_NS1_11comp_targetILNS1_3genE9ELNS1_11target_archE1100ELNS1_3gpuE3ELNS1_3repE0EEENS1_47radix_sort_onesweep_sort_config_static_selectorELNS0_4arch9wavefront6targetE1EEEvSI_.num_vgpr, 0
	.set _ZN7rocprim17ROCPRIM_400000_NS6detail17trampoline_kernelINS0_14default_configENS1_35radix_sort_onesweep_config_selectorIiiEEZZNS1_29radix_sort_onesweep_iterationIS3_Lb1EN6thrust23THRUST_200600_302600_NS6detail15normal_iteratorINS8_10device_ptrIiEEEESD_SD_SD_jNS0_19identity_decomposerENS1_16block_id_wrapperIjLb1EEEEE10hipError_tT1_PNSt15iterator_traitsISI_E10value_typeET2_T3_PNSJ_ISO_E10value_typeET4_T5_PST_SU_PNS1_23onesweep_lookback_stateEbbT6_jjT7_P12ihipStream_tbENKUlT_T0_SI_SN_E_clISD_SD_SD_SD_EEDaS11_S12_SI_SN_EUlS11_E_NS1_11comp_targetILNS1_3genE9ELNS1_11target_archE1100ELNS1_3gpuE3ELNS1_3repE0EEENS1_47radix_sort_onesweep_sort_config_static_selectorELNS0_4arch9wavefront6targetE1EEEvSI_.num_agpr, 0
	.set _ZN7rocprim17ROCPRIM_400000_NS6detail17trampoline_kernelINS0_14default_configENS1_35radix_sort_onesweep_config_selectorIiiEEZZNS1_29radix_sort_onesweep_iterationIS3_Lb1EN6thrust23THRUST_200600_302600_NS6detail15normal_iteratorINS8_10device_ptrIiEEEESD_SD_SD_jNS0_19identity_decomposerENS1_16block_id_wrapperIjLb1EEEEE10hipError_tT1_PNSt15iterator_traitsISI_E10value_typeET2_T3_PNSJ_ISO_E10value_typeET4_T5_PST_SU_PNS1_23onesweep_lookback_stateEbbT6_jjT7_P12ihipStream_tbENKUlT_T0_SI_SN_E_clISD_SD_SD_SD_EEDaS11_S12_SI_SN_EUlS11_E_NS1_11comp_targetILNS1_3genE9ELNS1_11target_archE1100ELNS1_3gpuE3ELNS1_3repE0EEENS1_47radix_sort_onesweep_sort_config_static_selectorELNS0_4arch9wavefront6targetE1EEEvSI_.numbered_sgpr, 0
	.set _ZN7rocprim17ROCPRIM_400000_NS6detail17trampoline_kernelINS0_14default_configENS1_35radix_sort_onesweep_config_selectorIiiEEZZNS1_29radix_sort_onesweep_iterationIS3_Lb1EN6thrust23THRUST_200600_302600_NS6detail15normal_iteratorINS8_10device_ptrIiEEEESD_SD_SD_jNS0_19identity_decomposerENS1_16block_id_wrapperIjLb1EEEEE10hipError_tT1_PNSt15iterator_traitsISI_E10value_typeET2_T3_PNSJ_ISO_E10value_typeET4_T5_PST_SU_PNS1_23onesweep_lookback_stateEbbT6_jjT7_P12ihipStream_tbENKUlT_T0_SI_SN_E_clISD_SD_SD_SD_EEDaS11_S12_SI_SN_EUlS11_E_NS1_11comp_targetILNS1_3genE9ELNS1_11target_archE1100ELNS1_3gpuE3ELNS1_3repE0EEENS1_47radix_sort_onesweep_sort_config_static_selectorELNS0_4arch9wavefront6targetE1EEEvSI_.num_named_barrier, 0
	.set _ZN7rocprim17ROCPRIM_400000_NS6detail17trampoline_kernelINS0_14default_configENS1_35radix_sort_onesweep_config_selectorIiiEEZZNS1_29radix_sort_onesweep_iterationIS3_Lb1EN6thrust23THRUST_200600_302600_NS6detail15normal_iteratorINS8_10device_ptrIiEEEESD_SD_SD_jNS0_19identity_decomposerENS1_16block_id_wrapperIjLb1EEEEE10hipError_tT1_PNSt15iterator_traitsISI_E10value_typeET2_T3_PNSJ_ISO_E10value_typeET4_T5_PST_SU_PNS1_23onesweep_lookback_stateEbbT6_jjT7_P12ihipStream_tbENKUlT_T0_SI_SN_E_clISD_SD_SD_SD_EEDaS11_S12_SI_SN_EUlS11_E_NS1_11comp_targetILNS1_3genE9ELNS1_11target_archE1100ELNS1_3gpuE3ELNS1_3repE0EEENS1_47radix_sort_onesweep_sort_config_static_selectorELNS0_4arch9wavefront6targetE1EEEvSI_.private_seg_size, 0
	.set _ZN7rocprim17ROCPRIM_400000_NS6detail17trampoline_kernelINS0_14default_configENS1_35radix_sort_onesweep_config_selectorIiiEEZZNS1_29radix_sort_onesweep_iterationIS3_Lb1EN6thrust23THRUST_200600_302600_NS6detail15normal_iteratorINS8_10device_ptrIiEEEESD_SD_SD_jNS0_19identity_decomposerENS1_16block_id_wrapperIjLb1EEEEE10hipError_tT1_PNSt15iterator_traitsISI_E10value_typeET2_T3_PNSJ_ISO_E10value_typeET4_T5_PST_SU_PNS1_23onesweep_lookback_stateEbbT6_jjT7_P12ihipStream_tbENKUlT_T0_SI_SN_E_clISD_SD_SD_SD_EEDaS11_S12_SI_SN_EUlS11_E_NS1_11comp_targetILNS1_3genE9ELNS1_11target_archE1100ELNS1_3gpuE3ELNS1_3repE0EEENS1_47radix_sort_onesweep_sort_config_static_selectorELNS0_4arch9wavefront6targetE1EEEvSI_.uses_vcc, 0
	.set _ZN7rocprim17ROCPRIM_400000_NS6detail17trampoline_kernelINS0_14default_configENS1_35radix_sort_onesweep_config_selectorIiiEEZZNS1_29radix_sort_onesweep_iterationIS3_Lb1EN6thrust23THRUST_200600_302600_NS6detail15normal_iteratorINS8_10device_ptrIiEEEESD_SD_SD_jNS0_19identity_decomposerENS1_16block_id_wrapperIjLb1EEEEE10hipError_tT1_PNSt15iterator_traitsISI_E10value_typeET2_T3_PNSJ_ISO_E10value_typeET4_T5_PST_SU_PNS1_23onesweep_lookback_stateEbbT6_jjT7_P12ihipStream_tbENKUlT_T0_SI_SN_E_clISD_SD_SD_SD_EEDaS11_S12_SI_SN_EUlS11_E_NS1_11comp_targetILNS1_3genE9ELNS1_11target_archE1100ELNS1_3gpuE3ELNS1_3repE0EEENS1_47radix_sort_onesweep_sort_config_static_selectorELNS0_4arch9wavefront6targetE1EEEvSI_.uses_flat_scratch, 0
	.set _ZN7rocprim17ROCPRIM_400000_NS6detail17trampoline_kernelINS0_14default_configENS1_35radix_sort_onesweep_config_selectorIiiEEZZNS1_29radix_sort_onesweep_iterationIS3_Lb1EN6thrust23THRUST_200600_302600_NS6detail15normal_iteratorINS8_10device_ptrIiEEEESD_SD_SD_jNS0_19identity_decomposerENS1_16block_id_wrapperIjLb1EEEEE10hipError_tT1_PNSt15iterator_traitsISI_E10value_typeET2_T3_PNSJ_ISO_E10value_typeET4_T5_PST_SU_PNS1_23onesweep_lookback_stateEbbT6_jjT7_P12ihipStream_tbENKUlT_T0_SI_SN_E_clISD_SD_SD_SD_EEDaS11_S12_SI_SN_EUlS11_E_NS1_11comp_targetILNS1_3genE9ELNS1_11target_archE1100ELNS1_3gpuE3ELNS1_3repE0EEENS1_47radix_sort_onesweep_sort_config_static_selectorELNS0_4arch9wavefront6targetE1EEEvSI_.has_dyn_sized_stack, 0
	.set _ZN7rocprim17ROCPRIM_400000_NS6detail17trampoline_kernelINS0_14default_configENS1_35radix_sort_onesweep_config_selectorIiiEEZZNS1_29radix_sort_onesweep_iterationIS3_Lb1EN6thrust23THRUST_200600_302600_NS6detail15normal_iteratorINS8_10device_ptrIiEEEESD_SD_SD_jNS0_19identity_decomposerENS1_16block_id_wrapperIjLb1EEEEE10hipError_tT1_PNSt15iterator_traitsISI_E10value_typeET2_T3_PNSJ_ISO_E10value_typeET4_T5_PST_SU_PNS1_23onesweep_lookback_stateEbbT6_jjT7_P12ihipStream_tbENKUlT_T0_SI_SN_E_clISD_SD_SD_SD_EEDaS11_S12_SI_SN_EUlS11_E_NS1_11comp_targetILNS1_3genE9ELNS1_11target_archE1100ELNS1_3gpuE3ELNS1_3repE0EEENS1_47radix_sort_onesweep_sort_config_static_selectorELNS0_4arch9wavefront6targetE1EEEvSI_.has_recursion, 0
	.set _ZN7rocprim17ROCPRIM_400000_NS6detail17trampoline_kernelINS0_14default_configENS1_35radix_sort_onesweep_config_selectorIiiEEZZNS1_29radix_sort_onesweep_iterationIS3_Lb1EN6thrust23THRUST_200600_302600_NS6detail15normal_iteratorINS8_10device_ptrIiEEEESD_SD_SD_jNS0_19identity_decomposerENS1_16block_id_wrapperIjLb1EEEEE10hipError_tT1_PNSt15iterator_traitsISI_E10value_typeET2_T3_PNSJ_ISO_E10value_typeET4_T5_PST_SU_PNS1_23onesweep_lookback_stateEbbT6_jjT7_P12ihipStream_tbENKUlT_T0_SI_SN_E_clISD_SD_SD_SD_EEDaS11_S12_SI_SN_EUlS11_E_NS1_11comp_targetILNS1_3genE9ELNS1_11target_archE1100ELNS1_3gpuE3ELNS1_3repE0EEENS1_47radix_sort_onesweep_sort_config_static_selectorELNS0_4arch9wavefront6targetE1EEEvSI_.has_indirect_call, 0
	.section	.AMDGPU.csdata,"",@progbits
; Kernel info:
; codeLenInByte = 0
; TotalNumSgprs: 6
; NumVgprs: 0
; NumAgprs: 0
; TotalNumVgprs: 0
; ScratchSize: 0
; MemoryBound: 0
; FloatMode: 240
; IeeeMode: 1
; LDSByteSize: 0 bytes/workgroup (compile time only)
; SGPRBlocks: 0
; VGPRBlocks: 0
; NumSGPRsForWavesPerEU: 6
; NumVGPRsForWavesPerEU: 1
; AccumOffset: 4
; Occupancy: 8
; WaveLimiterHint : 0
; COMPUTE_PGM_RSRC2:SCRATCH_EN: 0
; COMPUTE_PGM_RSRC2:USER_SGPR: 2
; COMPUTE_PGM_RSRC2:TRAP_HANDLER: 0
; COMPUTE_PGM_RSRC2:TGID_X_EN: 1
; COMPUTE_PGM_RSRC2:TGID_Y_EN: 0
; COMPUTE_PGM_RSRC2:TGID_Z_EN: 0
; COMPUTE_PGM_RSRC2:TIDIG_COMP_CNT: 0
; COMPUTE_PGM_RSRC3_GFX90A:ACCUM_OFFSET: 0
; COMPUTE_PGM_RSRC3_GFX90A:TG_SPLIT: 0
	.section	.text._ZN7rocprim17ROCPRIM_400000_NS6detail17trampoline_kernelINS0_14default_configENS1_35radix_sort_onesweep_config_selectorIiiEEZZNS1_29radix_sort_onesweep_iterationIS3_Lb1EN6thrust23THRUST_200600_302600_NS6detail15normal_iteratorINS8_10device_ptrIiEEEESD_SD_SD_jNS0_19identity_decomposerENS1_16block_id_wrapperIjLb1EEEEE10hipError_tT1_PNSt15iterator_traitsISI_E10value_typeET2_T3_PNSJ_ISO_E10value_typeET4_T5_PST_SU_PNS1_23onesweep_lookback_stateEbbT6_jjT7_P12ihipStream_tbENKUlT_T0_SI_SN_E_clISD_SD_SD_SD_EEDaS11_S12_SI_SN_EUlS11_E_NS1_11comp_targetILNS1_3genE8ELNS1_11target_archE1030ELNS1_3gpuE2ELNS1_3repE0EEENS1_47radix_sort_onesweep_sort_config_static_selectorELNS0_4arch9wavefront6targetE1EEEvSI_,"axG",@progbits,_ZN7rocprim17ROCPRIM_400000_NS6detail17trampoline_kernelINS0_14default_configENS1_35radix_sort_onesweep_config_selectorIiiEEZZNS1_29radix_sort_onesweep_iterationIS3_Lb1EN6thrust23THRUST_200600_302600_NS6detail15normal_iteratorINS8_10device_ptrIiEEEESD_SD_SD_jNS0_19identity_decomposerENS1_16block_id_wrapperIjLb1EEEEE10hipError_tT1_PNSt15iterator_traitsISI_E10value_typeET2_T3_PNSJ_ISO_E10value_typeET4_T5_PST_SU_PNS1_23onesweep_lookback_stateEbbT6_jjT7_P12ihipStream_tbENKUlT_T0_SI_SN_E_clISD_SD_SD_SD_EEDaS11_S12_SI_SN_EUlS11_E_NS1_11comp_targetILNS1_3genE8ELNS1_11target_archE1030ELNS1_3gpuE2ELNS1_3repE0EEENS1_47radix_sort_onesweep_sort_config_static_selectorELNS0_4arch9wavefront6targetE1EEEvSI_,comdat
	.protected	_ZN7rocprim17ROCPRIM_400000_NS6detail17trampoline_kernelINS0_14default_configENS1_35radix_sort_onesweep_config_selectorIiiEEZZNS1_29radix_sort_onesweep_iterationIS3_Lb1EN6thrust23THRUST_200600_302600_NS6detail15normal_iteratorINS8_10device_ptrIiEEEESD_SD_SD_jNS0_19identity_decomposerENS1_16block_id_wrapperIjLb1EEEEE10hipError_tT1_PNSt15iterator_traitsISI_E10value_typeET2_T3_PNSJ_ISO_E10value_typeET4_T5_PST_SU_PNS1_23onesweep_lookback_stateEbbT6_jjT7_P12ihipStream_tbENKUlT_T0_SI_SN_E_clISD_SD_SD_SD_EEDaS11_S12_SI_SN_EUlS11_E_NS1_11comp_targetILNS1_3genE8ELNS1_11target_archE1030ELNS1_3gpuE2ELNS1_3repE0EEENS1_47radix_sort_onesweep_sort_config_static_selectorELNS0_4arch9wavefront6targetE1EEEvSI_ ; -- Begin function _ZN7rocprim17ROCPRIM_400000_NS6detail17trampoline_kernelINS0_14default_configENS1_35radix_sort_onesweep_config_selectorIiiEEZZNS1_29radix_sort_onesweep_iterationIS3_Lb1EN6thrust23THRUST_200600_302600_NS6detail15normal_iteratorINS8_10device_ptrIiEEEESD_SD_SD_jNS0_19identity_decomposerENS1_16block_id_wrapperIjLb1EEEEE10hipError_tT1_PNSt15iterator_traitsISI_E10value_typeET2_T3_PNSJ_ISO_E10value_typeET4_T5_PST_SU_PNS1_23onesweep_lookback_stateEbbT6_jjT7_P12ihipStream_tbENKUlT_T0_SI_SN_E_clISD_SD_SD_SD_EEDaS11_S12_SI_SN_EUlS11_E_NS1_11comp_targetILNS1_3genE8ELNS1_11target_archE1030ELNS1_3gpuE2ELNS1_3repE0EEENS1_47radix_sort_onesweep_sort_config_static_selectorELNS0_4arch9wavefront6targetE1EEEvSI_
	.globl	_ZN7rocprim17ROCPRIM_400000_NS6detail17trampoline_kernelINS0_14default_configENS1_35radix_sort_onesweep_config_selectorIiiEEZZNS1_29radix_sort_onesweep_iterationIS3_Lb1EN6thrust23THRUST_200600_302600_NS6detail15normal_iteratorINS8_10device_ptrIiEEEESD_SD_SD_jNS0_19identity_decomposerENS1_16block_id_wrapperIjLb1EEEEE10hipError_tT1_PNSt15iterator_traitsISI_E10value_typeET2_T3_PNSJ_ISO_E10value_typeET4_T5_PST_SU_PNS1_23onesweep_lookback_stateEbbT6_jjT7_P12ihipStream_tbENKUlT_T0_SI_SN_E_clISD_SD_SD_SD_EEDaS11_S12_SI_SN_EUlS11_E_NS1_11comp_targetILNS1_3genE8ELNS1_11target_archE1030ELNS1_3gpuE2ELNS1_3repE0EEENS1_47radix_sort_onesweep_sort_config_static_selectorELNS0_4arch9wavefront6targetE1EEEvSI_
	.p2align	8
	.type	_ZN7rocprim17ROCPRIM_400000_NS6detail17trampoline_kernelINS0_14default_configENS1_35radix_sort_onesweep_config_selectorIiiEEZZNS1_29radix_sort_onesweep_iterationIS3_Lb1EN6thrust23THRUST_200600_302600_NS6detail15normal_iteratorINS8_10device_ptrIiEEEESD_SD_SD_jNS0_19identity_decomposerENS1_16block_id_wrapperIjLb1EEEEE10hipError_tT1_PNSt15iterator_traitsISI_E10value_typeET2_T3_PNSJ_ISO_E10value_typeET4_T5_PST_SU_PNS1_23onesweep_lookback_stateEbbT6_jjT7_P12ihipStream_tbENKUlT_T0_SI_SN_E_clISD_SD_SD_SD_EEDaS11_S12_SI_SN_EUlS11_E_NS1_11comp_targetILNS1_3genE8ELNS1_11target_archE1030ELNS1_3gpuE2ELNS1_3repE0EEENS1_47radix_sort_onesweep_sort_config_static_selectorELNS0_4arch9wavefront6targetE1EEEvSI_,@function
_ZN7rocprim17ROCPRIM_400000_NS6detail17trampoline_kernelINS0_14default_configENS1_35radix_sort_onesweep_config_selectorIiiEEZZNS1_29radix_sort_onesweep_iterationIS3_Lb1EN6thrust23THRUST_200600_302600_NS6detail15normal_iteratorINS8_10device_ptrIiEEEESD_SD_SD_jNS0_19identity_decomposerENS1_16block_id_wrapperIjLb1EEEEE10hipError_tT1_PNSt15iterator_traitsISI_E10value_typeET2_T3_PNSJ_ISO_E10value_typeET4_T5_PST_SU_PNS1_23onesweep_lookback_stateEbbT6_jjT7_P12ihipStream_tbENKUlT_T0_SI_SN_E_clISD_SD_SD_SD_EEDaS11_S12_SI_SN_EUlS11_E_NS1_11comp_targetILNS1_3genE8ELNS1_11target_archE1030ELNS1_3gpuE2ELNS1_3repE0EEENS1_47radix_sort_onesweep_sort_config_static_selectorELNS0_4arch9wavefront6targetE1EEEvSI_: ; @_ZN7rocprim17ROCPRIM_400000_NS6detail17trampoline_kernelINS0_14default_configENS1_35radix_sort_onesweep_config_selectorIiiEEZZNS1_29radix_sort_onesweep_iterationIS3_Lb1EN6thrust23THRUST_200600_302600_NS6detail15normal_iteratorINS8_10device_ptrIiEEEESD_SD_SD_jNS0_19identity_decomposerENS1_16block_id_wrapperIjLb1EEEEE10hipError_tT1_PNSt15iterator_traitsISI_E10value_typeET2_T3_PNSJ_ISO_E10value_typeET4_T5_PST_SU_PNS1_23onesweep_lookback_stateEbbT6_jjT7_P12ihipStream_tbENKUlT_T0_SI_SN_E_clISD_SD_SD_SD_EEDaS11_S12_SI_SN_EUlS11_E_NS1_11comp_targetILNS1_3genE8ELNS1_11target_archE1030ELNS1_3gpuE2ELNS1_3repE0EEENS1_47radix_sort_onesweep_sort_config_static_selectorELNS0_4arch9wavefront6targetE1EEEvSI_
; %bb.0:
	.section	.rodata,"a",@progbits
	.p2align	6, 0x0
	.amdhsa_kernel _ZN7rocprim17ROCPRIM_400000_NS6detail17trampoline_kernelINS0_14default_configENS1_35radix_sort_onesweep_config_selectorIiiEEZZNS1_29radix_sort_onesweep_iterationIS3_Lb1EN6thrust23THRUST_200600_302600_NS6detail15normal_iteratorINS8_10device_ptrIiEEEESD_SD_SD_jNS0_19identity_decomposerENS1_16block_id_wrapperIjLb1EEEEE10hipError_tT1_PNSt15iterator_traitsISI_E10value_typeET2_T3_PNSJ_ISO_E10value_typeET4_T5_PST_SU_PNS1_23onesweep_lookback_stateEbbT6_jjT7_P12ihipStream_tbENKUlT_T0_SI_SN_E_clISD_SD_SD_SD_EEDaS11_S12_SI_SN_EUlS11_E_NS1_11comp_targetILNS1_3genE8ELNS1_11target_archE1030ELNS1_3gpuE2ELNS1_3repE0EEENS1_47radix_sort_onesweep_sort_config_static_selectorELNS0_4arch9wavefront6targetE1EEEvSI_
		.amdhsa_group_segment_fixed_size 0
		.amdhsa_private_segment_fixed_size 0
		.amdhsa_kernarg_size 88
		.amdhsa_user_sgpr_count 2
		.amdhsa_user_sgpr_dispatch_ptr 0
		.amdhsa_user_sgpr_queue_ptr 0
		.amdhsa_user_sgpr_kernarg_segment_ptr 1
		.amdhsa_user_sgpr_dispatch_id 0
		.amdhsa_user_sgpr_kernarg_preload_length 0
		.amdhsa_user_sgpr_kernarg_preload_offset 0
		.amdhsa_user_sgpr_private_segment_size 0
		.amdhsa_uses_dynamic_stack 0
		.amdhsa_enable_private_segment 0
		.amdhsa_system_sgpr_workgroup_id_x 1
		.amdhsa_system_sgpr_workgroup_id_y 0
		.amdhsa_system_sgpr_workgroup_id_z 0
		.amdhsa_system_sgpr_workgroup_info 0
		.amdhsa_system_vgpr_workitem_id 0
		.amdhsa_next_free_vgpr 1
		.amdhsa_next_free_sgpr 0
		.amdhsa_accum_offset 4
		.amdhsa_reserve_vcc 0
		.amdhsa_float_round_mode_32 0
		.amdhsa_float_round_mode_16_64 0
		.amdhsa_float_denorm_mode_32 3
		.amdhsa_float_denorm_mode_16_64 3
		.amdhsa_dx10_clamp 1
		.amdhsa_ieee_mode 1
		.amdhsa_fp16_overflow 0
		.amdhsa_tg_split 0
		.amdhsa_exception_fp_ieee_invalid_op 0
		.amdhsa_exception_fp_denorm_src 0
		.amdhsa_exception_fp_ieee_div_zero 0
		.amdhsa_exception_fp_ieee_overflow 0
		.amdhsa_exception_fp_ieee_underflow 0
		.amdhsa_exception_fp_ieee_inexact 0
		.amdhsa_exception_int_div_zero 0
	.end_amdhsa_kernel
	.section	.text._ZN7rocprim17ROCPRIM_400000_NS6detail17trampoline_kernelINS0_14default_configENS1_35radix_sort_onesweep_config_selectorIiiEEZZNS1_29radix_sort_onesweep_iterationIS3_Lb1EN6thrust23THRUST_200600_302600_NS6detail15normal_iteratorINS8_10device_ptrIiEEEESD_SD_SD_jNS0_19identity_decomposerENS1_16block_id_wrapperIjLb1EEEEE10hipError_tT1_PNSt15iterator_traitsISI_E10value_typeET2_T3_PNSJ_ISO_E10value_typeET4_T5_PST_SU_PNS1_23onesweep_lookback_stateEbbT6_jjT7_P12ihipStream_tbENKUlT_T0_SI_SN_E_clISD_SD_SD_SD_EEDaS11_S12_SI_SN_EUlS11_E_NS1_11comp_targetILNS1_3genE8ELNS1_11target_archE1030ELNS1_3gpuE2ELNS1_3repE0EEENS1_47radix_sort_onesweep_sort_config_static_selectorELNS0_4arch9wavefront6targetE1EEEvSI_,"axG",@progbits,_ZN7rocprim17ROCPRIM_400000_NS6detail17trampoline_kernelINS0_14default_configENS1_35radix_sort_onesweep_config_selectorIiiEEZZNS1_29radix_sort_onesweep_iterationIS3_Lb1EN6thrust23THRUST_200600_302600_NS6detail15normal_iteratorINS8_10device_ptrIiEEEESD_SD_SD_jNS0_19identity_decomposerENS1_16block_id_wrapperIjLb1EEEEE10hipError_tT1_PNSt15iterator_traitsISI_E10value_typeET2_T3_PNSJ_ISO_E10value_typeET4_T5_PST_SU_PNS1_23onesweep_lookback_stateEbbT6_jjT7_P12ihipStream_tbENKUlT_T0_SI_SN_E_clISD_SD_SD_SD_EEDaS11_S12_SI_SN_EUlS11_E_NS1_11comp_targetILNS1_3genE8ELNS1_11target_archE1030ELNS1_3gpuE2ELNS1_3repE0EEENS1_47radix_sort_onesweep_sort_config_static_selectorELNS0_4arch9wavefront6targetE1EEEvSI_,comdat
.Lfunc_end1007:
	.size	_ZN7rocprim17ROCPRIM_400000_NS6detail17trampoline_kernelINS0_14default_configENS1_35radix_sort_onesweep_config_selectorIiiEEZZNS1_29radix_sort_onesweep_iterationIS3_Lb1EN6thrust23THRUST_200600_302600_NS6detail15normal_iteratorINS8_10device_ptrIiEEEESD_SD_SD_jNS0_19identity_decomposerENS1_16block_id_wrapperIjLb1EEEEE10hipError_tT1_PNSt15iterator_traitsISI_E10value_typeET2_T3_PNSJ_ISO_E10value_typeET4_T5_PST_SU_PNS1_23onesweep_lookback_stateEbbT6_jjT7_P12ihipStream_tbENKUlT_T0_SI_SN_E_clISD_SD_SD_SD_EEDaS11_S12_SI_SN_EUlS11_E_NS1_11comp_targetILNS1_3genE8ELNS1_11target_archE1030ELNS1_3gpuE2ELNS1_3repE0EEENS1_47radix_sort_onesweep_sort_config_static_selectorELNS0_4arch9wavefront6targetE1EEEvSI_, .Lfunc_end1007-_ZN7rocprim17ROCPRIM_400000_NS6detail17trampoline_kernelINS0_14default_configENS1_35radix_sort_onesweep_config_selectorIiiEEZZNS1_29radix_sort_onesweep_iterationIS3_Lb1EN6thrust23THRUST_200600_302600_NS6detail15normal_iteratorINS8_10device_ptrIiEEEESD_SD_SD_jNS0_19identity_decomposerENS1_16block_id_wrapperIjLb1EEEEE10hipError_tT1_PNSt15iterator_traitsISI_E10value_typeET2_T3_PNSJ_ISO_E10value_typeET4_T5_PST_SU_PNS1_23onesweep_lookback_stateEbbT6_jjT7_P12ihipStream_tbENKUlT_T0_SI_SN_E_clISD_SD_SD_SD_EEDaS11_S12_SI_SN_EUlS11_E_NS1_11comp_targetILNS1_3genE8ELNS1_11target_archE1030ELNS1_3gpuE2ELNS1_3repE0EEENS1_47radix_sort_onesweep_sort_config_static_selectorELNS0_4arch9wavefront6targetE1EEEvSI_
                                        ; -- End function
	.set _ZN7rocprim17ROCPRIM_400000_NS6detail17trampoline_kernelINS0_14default_configENS1_35radix_sort_onesweep_config_selectorIiiEEZZNS1_29radix_sort_onesweep_iterationIS3_Lb1EN6thrust23THRUST_200600_302600_NS6detail15normal_iteratorINS8_10device_ptrIiEEEESD_SD_SD_jNS0_19identity_decomposerENS1_16block_id_wrapperIjLb1EEEEE10hipError_tT1_PNSt15iterator_traitsISI_E10value_typeET2_T3_PNSJ_ISO_E10value_typeET4_T5_PST_SU_PNS1_23onesweep_lookback_stateEbbT6_jjT7_P12ihipStream_tbENKUlT_T0_SI_SN_E_clISD_SD_SD_SD_EEDaS11_S12_SI_SN_EUlS11_E_NS1_11comp_targetILNS1_3genE8ELNS1_11target_archE1030ELNS1_3gpuE2ELNS1_3repE0EEENS1_47radix_sort_onesweep_sort_config_static_selectorELNS0_4arch9wavefront6targetE1EEEvSI_.num_vgpr, 0
	.set _ZN7rocprim17ROCPRIM_400000_NS6detail17trampoline_kernelINS0_14default_configENS1_35radix_sort_onesweep_config_selectorIiiEEZZNS1_29radix_sort_onesweep_iterationIS3_Lb1EN6thrust23THRUST_200600_302600_NS6detail15normal_iteratorINS8_10device_ptrIiEEEESD_SD_SD_jNS0_19identity_decomposerENS1_16block_id_wrapperIjLb1EEEEE10hipError_tT1_PNSt15iterator_traitsISI_E10value_typeET2_T3_PNSJ_ISO_E10value_typeET4_T5_PST_SU_PNS1_23onesweep_lookback_stateEbbT6_jjT7_P12ihipStream_tbENKUlT_T0_SI_SN_E_clISD_SD_SD_SD_EEDaS11_S12_SI_SN_EUlS11_E_NS1_11comp_targetILNS1_3genE8ELNS1_11target_archE1030ELNS1_3gpuE2ELNS1_3repE0EEENS1_47radix_sort_onesweep_sort_config_static_selectorELNS0_4arch9wavefront6targetE1EEEvSI_.num_agpr, 0
	.set _ZN7rocprim17ROCPRIM_400000_NS6detail17trampoline_kernelINS0_14default_configENS1_35radix_sort_onesweep_config_selectorIiiEEZZNS1_29radix_sort_onesweep_iterationIS3_Lb1EN6thrust23THRUST_200600_302600_NS6detail15normal_iteratorINS8_10device_ptrIiEEEESD_SD_SD_jNS0_19identity_decomposerENS1_16block_id_wrapperIjLb1EEEEE10hipError_tT1_PNSt15iterator_traitsISI_E10value_typeET2_T3_PNSJ_ISO_E10value_typeET4_T5_PST_SU_PNS1_23onesweep_lookback_stateEbbT6_jjT7_P12ihipStream_tbENKUlT_T0_SI_SN_E_clISD_SD_SD_SD_EEDaS11_S12_SI_SN_EUlS11_E_NS1_11comp_targetILNS1_3genE8ELNS1_11target_archE1030ELNS1_3gpuE2ELNS1_3repE0EEENS1_47radix_sort_onesweep_sort_config_static_selectorELNS0_4arch9wavefront6targetE1EEEvSI_.numbered_sgpr, 0
	.set _ZN7rocprim17ROCPRIM_400000_NS6detail17trampoline_kernelINS0_14default_configENS1_35radix_sort_onesweep_config_selectorIiiEEZZNS1_29radix_sort_onesweep_iterationIS3_Lb1EN6thrust23THRUST_200600_302600_NS6detail15normal_iteratorINS8_10device_ptrIiEEEESD_SD_SD_jNS0_19identity_decomposerENS1_16block_id_wrapperIjLb1EEEEE10hipError_tT1_PNSt15iterator_traitsISI_E10value_typeET2_T3_PNSJ_ISO_E10value_typeET4_T5_PST_SU_PNS1_23onesweep_lookback_stateEbbT6_jjT7_P12ihipStream_tbENKUlT_T0_SI_SN_E_clISD_SD_SD_SD_EEDaS11_S12_SI_SN_EUlS11_E_NS1_11comp_targetILNS1_3genE8ELNS1_11target_archE1030ELNS1_3gpuE2ELNS1_3repE0EEENS1_47radix_sort_onesweep_sort_config_static_selectorELNS0_4arch9wavefront6targetE1EEEvSI_.num_named_barrier, 0
	.set _ZN7rocprim17ROCPRIM_400000_NS6detail17trampoline_kernelINS0_14default_configENS1_35radix_sort_onesweep_config_selectorIiiEEZZNS1_29radix_sort_onesweep_iterationIS3_Lb1EN6thrust23THRUST_200600_302600_NS6detail15normal_iteratorINS8_10device_ptrIiEEEESD_SD_SD_jNS0_19identity_decomposerENS1_16block_id_wrapperIjLb1EEEEE10hipError_tT1_PNSt15iterator_traitsISI_E10value_typeET2_T3_PNSJ_ISO_E10value_typeET4_T5_PST_SU_PNS1_23onesweep_lookback_stateEbbT6_jjT7_P12ihipStream_tbENKUlT_T0_SI_SN_E_clISD_SD_SD_SD_EEDaS11_S12_SI_SN_EUlS11_E_NS1_11comp_targetILNS1_3genE8ELNS1_11target_archE1030ELNS1_3gpuE2ELNS1_3repE0EEENS1_47radix_sort_onesweep_sort_config_static_selectorELNS0_4arch9wavefront6targetE1EEEvSI_.private_seg_size, 0
	.set _ZN7rocprim17ROCPRIM_400000_NS6detail17trampoline_kernelINS0_14default_configENS1_35radix_sort_onesweep_config_selectorIiiEEZZNS1_29radix_sort_onesweep_iterationIS3_Lb1EN6thrust23THRUST_200600_302600_NS6detail15normal_iteratorINS8_10device_ptrIiEEEESD_SD_SD_jNS0_19identity_decomposerENS1_16block_id_wrapperIjLb1EEEEE10hipError_tT1_PNSt15iterator_traitsISI_E10value_typeET2_T3_PNSJ_ISO_E10value_typeET4_T5_PST_SU_PNS1_23onesweep_lookback_stateEbbT6_jjT7_P12ihipStream_tbENKUlT_T0_SI_SN_E_clISD_SD_SD_SD_EEDaS11_S12_SI_SN_EUlS11_E_NS1_11comp_targetILNS1_3genE8ELNS1_11target_archE1030ELNS1_3gpuE2ELNS1_3repE0EEENS1_47radix_sort_onesweep_sort_config_static_selectorELNS0_4arch9wavefront6targetE1EEEvSI_.uses_vcc, 0
	.set _ZN7rocprim17ROCPRIM_400000_NS6detail17trampoline_kernelINS0_14default_configENS1_35radix_sort_onesweep_config_selectorIiiEEZZNS1_29radix_sort_onesweep_iterationIS3_Lb1EN6thrust23THRUST_200600_302600_NS6detail15normal_iteratorINS8_10device_ptrIiEEEESD_SD_SD_jNS0_19identity_decomposerENS1_16block_id_wrapperIjLb1EEEEE10hipError_tT1_PNSt15iterator_traitsISI_E10value_typeET2_T3_PNSJ_ISO_E10value_typeET4_T5_PST_SU_PNS1_23onesweep_lookback_stateEbbT6_jjT7_P12ihipStream_tbENKUlT_T0_SI_SN_E_clISD_SD_SD_SD_EEDaS11_S12_SI_SN_EUlS11_E_NS1_11comp_targetILNS1_3genE8ELNS1_11target_archE1030ELNS1_3gpuE2ELNS1_3repE0EEENS1_47radix_sort_onesweep_sort_config_static_selectorELNS0_4arch9wavefront6targetE1EEEvSI_.uses_flat_scratch, 0
	.set _ZN7rocprim17ROCPRIM_400000_NS6detail17trampoline_kernelINS0_14default_configENS1_35radix_sort_onesweep_config_selectorIiiEEZZNS1_29radix_sort_onesweep_iterationIS3_Lb1EN6thrust23THRUST_200600_302600_NS6detail15normal_iteratorINS8_10device_ptrIiEEEESD_SD_SD_jNS0_19identity_decomposerENS1_16block_id_wrapperIjLb1EEEEE10hipError_tT1_PNSt15iterator_traitsISI_E10value_typeET2_T3_PNSJ_ISO_E10value_typeET4_T5_PST_SU_PNS1_23onesweep_lookback_stateEbbT6_jjT7_P12ihipStream_tbENKUlT_T0_SI_SN_E_clISD_SD_SD_SD_EEDaS11_S12_SI_SN_EUlS11_E_NS1_11comp_targetILNS1_3genE8ELNS1_11target_archE1030ELNS1_3gpuE2ELNS1_3repE0EEENS1_47radix_sort_onesweep_sort_config_static_selectorELNS0_4arch9wavefront6targetE1EEEvSI_.has_dyn_sized_stack, 0
	.set _ZN7rocprim17ROCPRIM_400000_NS6detail17trampoline_kernelINS0_14default_configENS1_35radix_sort_onesweep_config_selectorIiiEEZZNS1_29radix_sort_onesweep_iterationIS3_Lb1EN6thrust23THRUST_200600_302600_NS6detail15normal_iteratorINS8_10device_ptrIiEEEESD_SD_SD_jNS0_19identity_decomposerENS1_16block_id_wrapperIjLb1EEEEE10hipError_tT1_PNSt15iterator_traitsISI_E10value_typeET2_T3_PNSJ_ISO_E10value_typeET4_T5_PST_SU_PNS1_23onesweep_lookback_stateEbbT6_jjT7_P12ihipStream_tbENKUlT_T0_SI_SN_E_clISD_SD_SD_SD_EEDaS11_S12_SI_SN_EUlS11_E_NS1_11comp_targetILNS1_3genE8ELNS1_11target_archE1030ELNS1_3gpuE2ELNS1_3repE0EEENS1_47radix_sort_onesweep_sort_config_static_selectorELNS0_4arch9wavefront6targetE1EEEvSI_.has_recursion, 0
	.set _ZN7rocprim17ROCPRIM_400000_NS6detail17trampoline_kernelINS0_14default_configENS1_35radix_sort_onesweep_config_selectorIiiEEZZNS1_29radix_sort_onesweep_iterationIS3_Lb1EN6thrust23THRUST_200600_302600_NS6detail15normal_iteratorINS8_10device_ptrIiEEEESD_SD_SD_jNS0_19identity_decomposerENS1_16block_id_wrapperIjLb1EEEEE10hipError_tT1_PNSt15iterator_traitsISI_E10value_typeET2_T3_PNSJ_ISO_E10value_typeET4_T5_PST_SU_PNS1_23onesweep_lookback_stateEbbT6_jjT7_P12ihipStream_tbENKUlT_T0_SI_SN_E_clISD_SD_SD_SD_EEDaS11_S12_SI_SN_EUlS11_E_NS1_11comp_targetILNS1_3genE8ELNS1_11target_archE1030ELNS1_3gpuE2ELNS1_3repE0EEENS1_47radix_sort_onesweep_sort_config_static_selectorELNS0_4arch9wavefront6targetE1EEEvSI_.has_indirect_call, 0
	.section	.AMDGPU.csdata,"",@progbits
; Kernel info:
; codeLenInByte = 0
; TotalNumSgprs: 6
; NumVgprs: 0
; NumAgprs: 0
; TotalNumVgprs: 0
; ScratchSize: 0
; MemoryBound: 0
; FloatMode: 240
; IeeeMode: 1
; LDSByteSize: 0 bytes/workgroup (compile time only)
; SGPRBlocks: 0
; VGPRBlocks: 0
; NumSGPRsForWavesPerEU: 6
; NumVGPRsForWavesPerEU: 1
; AccumOffset: 4
; Occupancy: 8
; WaveLimiterHint : 0
; COMPUTE_PGM_RSRC2:SCRATCH_EN: 0
; COMPUTE_PGM_RSRC2:USER_SGPR: 2
; COMPUTE_PGM_RSRC2:TRAP_HANDLER: 0
; COMPUTE_PGM_RSRC2:TGID_X_EN: 1
; COMPUTE_PGM_RSRC2:TGID_Y_EN: 0
; COMPUTE_PGM_RSRC2:TGID_Z_EN: 0
; COMPUTE_PGM_RSRC2:TIDIG_COMP_CNT: 0
; COMPUTE_PGM_RSRC3_GFX90A:ACCUM_OFFSET: 0
; COMPUTE_PGM_RSRC3_GFX90A:TG_SPLIT: 0
	.section	.text._ZN7rocprim17ROCPRIM_400000_NS6detail17trampoline_kernelINS0_14default_configENS1_35radix_sort_onesweep_config_selectorIiiEEZZNS1_29radix_sort_onesweep_iterationIS3_Lb1EN6thrust23THRUST_200600_302600_NS6detail15normal_iteratorINS8_10device_ptrIiEEEESD_SD_SD_jNS0_19identity_decomposerENS1_16block_id_wrapperIjLb1EEEEE10hipError_tT1_PNSt15iterator_traitsISI_E10value_typeET2_T3_PNSJ_ISO_E10value_typeET4_T5_PST_SU_PNS1_23onesweep_lookback_stateEbbT6_jjT7_P12ihipStream_tbENKUlT_T0_SI_SN_E_clISD_PiSD_S15_EEDaS11_S12_SI_SN_EUlS11_E_NS1_11comp_targetILNS1_3genE0ELNS1_11target_archE4294967295ELNS1_3gpuE0ELNS1_3repE0EEENS1_47radix_sort_onesweep_sort_config_static_selectorELNS0_4arch9wavefront6targetE1EEEvSI_,"axG",@progbits,_ZN7rocprim17ROCPRIM_400000_NS6detail17trampoline_kernelINS0_14default_configENS1_35radix_sort_onesweep_config_selectorIiiEEZZNS1_29radix_sort_onesweep_iterationIS3_Lb1EN6thrust23THRUST_200600_302600_NS6detail15normal_iteratorINS8_10device_ptrIiEEEESD_SD_SD_jNS0_19identity_decomposerENS1_16block_id_wrapperIjLb1EEEEE10hipError_tT1_PNSt15iterator_traitsISI_E10value_typeET2_T3_PNSJ_ISO_E10value_typeET4_T5_PST_SU_PNS1_23onesweep_lookback_stateEbbT6_jjT7_P12ihipStream_tbENKUlT_T0_SI_SN_E_clISD_PiSD_S15_EEDaS11_S12_SI_SN_EUlS11_E_NS1_11comp_targetILNS1_3genE0ELNS1_11target_archE4294967295ELNS1_3gpuE0ELNS1_3repE0EEENS1_47radix_sort_onesweep_sort_config_static_selectorELNS0_4arch9wavefront6targetE1EEEvSI_,comdat
	.protected	_ZN7rocprim17ROCPRIM_400000_NS6detail17trampoline_kernelINS0_14default_configENS1_35radix_sort_onesweep_config_selectorIiiEEZZNS1_29radix_sort_onesweep_iterationIS3_Lb1EN6thrust23THRUST_200600_302600_NS6detail15normal_iteratorINS8_10device_ptrIiEEEESD_SD_SD_jNS0_19identity_decomposerENS1_16block_id_wrapperIjLb1EEEEE10hipError_tT1_PNSt15iterator_traitsISI_E10value_typeET2_T3_PNSJ_ISO_E10value_typeET4_T5_PST_SU_PNS1_23onesweep_lookback_stateEbbT6_jjT7_P12ihipStream_tbENKUlT_T0_SI_SN_E_clISD_PiSD_S15_EEDaS11_S12_SI_SN_EUlS11_E_NS1_11comp_targetILNS1_3genE0ELNS1_11target_archE4294967295ELNS1_3gpuE0ELNS1_3repE0EEENS1_47radix_sort_onesweep_sort_config_static_selectorELNS0_4arch9wavefront6targetE1EEEvSI_ ; -- Begin function _ZN7rocprim17ROCPRIM_400000_NS6detail17trampoline_kernelINS0_14default_configENS1_35radix_sort_onesweep_config_selectorIiiEEZZNS1_29radix_sort_onesweep_iterationIS3_Lb1EN6thrust23THRUST_200600_302600_NS6detail15normal_iteratorINS8_10device_ptrIiEEEESD_SD_SD_jNS0_19identity_decomposerENS1_16block_id_wrapperIjLb1EEEEE10hipError_tT1_PNSt15iterator_traitsISI_E10value_typeET2_T3_PNSJ_ISO_E10value_typeET4_T5_PST_SU_PNS1_23onesweep_lookback_stateEbbT6_jjT7_P12ihipStream_tbENKUlT_T0_SI_SN_E_clISD_PiSD_S15_EEDaS11_S12_SI_SN_EUlS11_E_NS1_11comp_targetILNS1_3genE0ELNS1_11target_archE4294967295ELNS1_3gpuE0ELNS1_3repE0EEENS1_47radix_sort_onesweep_sort_config_static_selectorELNS0_4arch9wavefront6targetE1EEEvSI_
	.globl	_ZN7rocprim17ROCPRIM_400000_NS6detail17trampoline_kernelINS0_14default_configENS1_35radix_sort_onesweep_config_selectorIiiEEZZNS1_29radix_sort_onesweep_iterationIS3_Lb1EN6thrust23THRUST_200600_302600_NS6detail15normal_iteratorINS8_10device_ptrIiEEEESD_SD_SD_jNS0_19identity_decomposerENS1_16block_id_wrapperIjLb1EEEEE10hipError_tT1_PNSt15iterator_traitsISI_E10value_typeET2_T3_PNSJ_ISO_E10value_typeET4_T5_PST_SU_PNS1_23onesweep_lookback_stateEbbT6_jjT7_P12ihipStream_tbENKUlT_T0_SI_SN_E_clISD_PiSD_S15_EEDaS11_S12_SI_SN_EUlS11_E_NS1_11comp_targetILNS1_3genE0ELNS1_11target_archE4294967295ELNS1_3gpuE0ELNS1_3repE0EEENS1_47radix_sort_onesweep_sort_config_static_selectorELNS0_4arch9wavefront6targetE1EEEvSI_
	.p2align	8
	.type	_ZN7rocprim17ROCPRIM_400000_NS6detail17trampoline_kernelINS0_14default_configENS1_35radix_sort_onesweep_config_selectorIiiEEZZNS1_29radix_sort_onesweep_iterationIS3_Lb1EN6thrust23THRUST_200600_302600_NS6detail15normal_iteratorINS8_10device_ptrIiEEEESD_SD_SD_jNS0_19identity_decomposerENS1_16block_id_wrapperIjLb1EEEEE10hipError_tT1_PNSt15iterator_traitsISI_E10value_typeET2_T3_PNSJ_ISO_E10value_typeET4_T5_PST_SU_PNS1_23onesweep_lookback_stateEbbT6_jjT7_P12ihipStream_tbENKUlT_T0_SI_SN_E_clISD_PiSD_S15_EEDaS11_S12_SI_SN_EUlS11_E_NS1_11comp_targetILNS1_3genE0ELNS1_11target_archE4294967295ELNS1_3gpuE0ELNS1_3repE0EEENS1_47radix_sort_onesweep_sort_config_static_selectorELNS0_4arch9wavefront6targetE1EEEvSI_,@function
_ZN7rocprim17ROCPRIM_400000_NS6detail17trampoline_kernelINS0_14default_configENS1_35radix_sort_onesweep_config_selectorIiiEEZZNS1_29radix_sort_onesweep_iterationIS3_Lb1EN6thrust23THRUST_200600_302600_NS6detail15normal_iteratorINS8_10device_ptrIiEEEESD_SD_SD_jNS0_19identity_decomposerENS1_16block_id_wrapperIjLb1EEEEE10hipError_tT1_PNSt15iterator_traitsISI_E10value_typeET2_T3_PNSJ_ISO_E10value_typeET4_T5_PST_SU_PNS1_23onesweep_lookback_stateEbbT6_jjT7_P12ihipStream_tbENKUlT_T0_SI_SN_E_clISD_PiSD_S15_EEDaS11_S12_SI_SN_EUlS11_E_NS1_11comp_targetILNS1_3genE0ELNS1_11target_archE4294967295ELNS1_3gpuE0ELNS1_3repE0EEENS1_47radix_sort_onesweep_sort_config_static_selectorELNS0_4arch9wavefront6targetE1EEEvSI_: ; @_ZN7rocprim17ROCPRIM_400000_NS6detail17trampoline_kernelINS0_14default_configENS1_35radix_sort_onesweep_config_selectorIiiEEZZNS1_29radix_sort_onesweep_iterationIS3_Lb1EN6thrust23THRUST_200600_302600_NS6detail15normal_iteratorINS8_10device_ptrIiEEEESD_SD_SD_jNS0_19identity_decomposerENS1_16block_id_wrapperIjLb1EEEEE10hipError_tT1_PNSt15iterator_traitsISI_E10value_typeET2_T3_PNSJ_ISO_E10value_typeET4_T5_PST_SU_PNS1_23onesweep_lookback_stateEbbT6_jjT7_P12ihipStream_tbENKUlT_T0_SI_SN_E_clISD_PiSD_S15_EEDaS11_S12_SI_SN_EUlS11_E_NS1_11comp_targetILNS1_3genE0ELNS1_11target_archE4294967295ELNS1_3gpuE0ELNS1_3repE0EEENS1_47radix_sort_onesweep_sort_config_static_selectorELNS0_4arch9wavefront6targetE1EEEvSI_
; %bb.0:
	.section	.rodata,"a",@progbits
	.p2align	6, 0x0
	.amdhsa_kernel _ZN7rocprim17ROCPRIM_400000_NS6detail17trampoline_kernelINS0_14default_configENS1_35radix_sort_onesweep_config_selectorIiiEEZZNS1_29radix_sort_onesweep_iterationIS3_Lb1EN6thrust23THRUST_200600_302600_NS6detail15normal_iteratorINS8_10device_ptrIiEEEESD_SD_SD_jNS0_19identity_decomposerENS1_16block_id_wrapperIjLb1EEEEE10hipError_tT1_PNSt15iterator_traitsISI_E10value_typeET2_T3_PNSJ_ISO_E10value_typeET4_T5_PST_SU_PNS1_23onesweep_lookback_stateEbbT6_jjT7_P12ihipStream_tbENKUlT_T0_SI_SN_E_clISD_PiSD_S15_EEDaS11_S12_SI_SN_EUlS11_E_NS1_11comp_targetILNS1_3genE0ELNS1_11target_archE4294967295ELNS1_3gpuE0ELNS1_3repE0EEENS1_47radix_sort_onesweep_sort_config_static_selectorELNS0_4arch9wavefront6targetE1EEEvSI_
		.amdhsa_group_segment_fixed_size 0
		.amdhsa_private_segment_fixed_size 0
		.amdhsa_kernarg_size 88
		.amdhsa_user_sgpr_count 2
		.amdhsa_user_sgpr_dispatch_ptr 0
		.amdhsa_user_sgpr_queue_ptr 0
		.amdhsa_user_sgpr_kernarg_segment_ptr 1
		.amdhsa_user_sgpr_dispatch_id 0
		.amdhsa_user_sgpr_kernarg_preload_length 0
		.amdhsa_user_sgpr_kernarg_preload_offset 0
		.amdhsa_user_sgpr_private_segment_size 0
		.amdhsa_uses_dynamic_stack 0
		.amdhsa_enable_private_segment 0
		.amdhsa_system_sgpr_workgroup_id_x 1
		.amdhsa_system_sgpr_workgroup_id_y 0
		.amdhsa_system_sgpr_workgroup_id_z 0
		.amdhsa_system_sgpr_workgroup_info 0
		.amdhsa_system_vgpr_workitem_id 0
		.amdhsa_next_free_vgpr 1
		.amdhsa_next_free_sgpr 0
		.amdhsa_accum_offset 4
		.amdhsa_reserve_vcc 0
		.amdhsa_float_round_mode_32 0
		.amdhsa_float_round_mode_16_64 0
		.amdhsa_float_denorm_mode_32 3
		.amdhsa_float_denorm_mode_16_64 3
		.amdhsa_dx10_clamp 1
		.amdhsa_ieee_mode 1
		.amdhsa_fp16_overflow 0
		.amdhsa_tg_split 0
		.amdhsa_exception_fp_ieee_invalid_op 0
		.amdhsa_exception_fp_denorm_src 0
		.amdhsa_exception_fp_ieee_div_zero 0
		.amdhsa_exception_fp_ieee_overflow 0
		.amdhsa_exception_fp_ieee_underflow 0
		.amdhsa_exception_fp_ieee_inexact 0
		.amdhsa_exception_int_div_zero 0
	.end_amdhsa_kernel
	.section	.text._ZN7rocprim17ROCPRIM_400000_NS6detail17trampoline_kernelINS0_14default_configENS1_35radix_sort_onesweep_config_selectorIiiEEZZNS1_29radix_sort_onesweep_iterationIS3_Lb1EN6thrust23THRUST_200600_302600_NS6detail15normal_iteratorINS8_10device_ptrIiEEEESD_SD_SD_jNS0_19identity_decomposerENS1_16block_id_wrapperIjLb1EEEEE10hipError_tT1_PNSt15iterator_traitsISI_E10value_typeET2_T3_PNSJ_ISO_E10value_typeET4_T5_PST_SU_PNS1_23onesweep_lookback_stateEbbT6_jjT7_P12ihipStream_tbENKUlT_T0_SI_SN_E_clISD_PiSD_S15_EEDaS11_S12_SI_SN_EUlS11_E_NS1_11comp_targetILNS1_3genE0ELNS1_11target_archE4294967295ELNS1_3gpuE0ELNS1_3repE0EEENS1_47radix_sort_onesweep_sort_config_static_selectorELNS0_4arch9wavefront6targetE1EEEvSI_,"axG",@progbits,_ZN7rocprim17ROCPRIM_400000_NS6detail17trampoline_kernelINS0_14default_configENS1_35radix_sort_onesweep_config_selectorIiiEEZZNS1_29radix_sort_onesweep_iterationIS3_Lb1EN6thrust23THRUST_200600_302600_NS6detail15normal_iteratorINS8_10device_ptrIiEEEESD_SD_SD_jNS0_19identity_decomposerENS1_16block_id_wrapperIjLb1EEEEE10hipError_tT1_PNSt15iterator_traitsISI_E10value_typeET2_T3_PNSJ_ISO_E10value_typeET4_T5_PST_SU_PNS1_23onesweep_lookback_stateEbbT6_jjT7_P12ihipStream_tbENKUlT_T0_SI_SN_E_clISD_PiSD_S15_EEDaS11_S12_SI_SN_EUlS11_E_NS1_11comp_targetILNS1_3genE0ELNS1_11target_archE4294967295ELNS1_3gpuE0ELNS1_3repE0EEENS1_47radix_sort_onesweep_sort_config_static_selectorELNS0_4arch9wavefront6targetE1EEEvSI_,comdat
.Lfunc_end1008:
	.size	_ZN7rocprim17ROCPRIM_400000_NS6detail17trampoline_kernelINS0_14default_configENS1_35radix_sort_onesweep_config_selectorIiiEEZZNS1_29radix_sort_onesweep_iterationIS3_Lb1EN6thrust23THRUST_200600_302600_NS6detail15normal_iteratorINS8_10device_ptrIiEEEESD_SD_SD_jNS0_19identity_decomposerENS1_16block_id_wrapperIjLb1EEEEE10hipError_tT1_PNSt15iterator_traitsISI_E10value_typeET2_T3_PNSJ_ISO_E10value_typeET4_T5_PST_SU_PNS1_23onesweep_lookback_stateEbbT6_jjT7_P12ihipStream_tbENKUlT_T0_SI_SN_E_clISD_PiSD_S15_EEDaS11_S12_SI_SN_EUlS11_E_NS1_11comp_targetILNS1_3genE0ELNS1_11target_archE4294967295ELNS1_3gpuE0ELNS1_3repE0EEENS1_47radix_sort_onesweep_sort_config_static_selectorELNS0_4arch9wavefront6targetE1EEEvSI_, .Lfunc_end1008-_ZN7rocprim17ROCPRIM_400000_NS6detail17trampoline_kernelINS0_14default_configENS1_35radix_sort_onesweep_config_selectorIiiEEZZNS1_29radix_sort_onesweep_iterationIS3_Lb1EN6thrust23THRUST_200600_302600_NS6detail15normal_iteratorINS8_10device_ptrIiEEEESD_SD_SD_jNS0_19identity_decomposerENS1_16block_id_wrapperIjLb1EEEEE10hipError_tT1_PNSt15iterator_traitsISI_E10value_typeET2_T3_PNSJ_ISO_E10value_typeET4_T5_PST_SU_PNS1_23onesweep_lookback_stateEbbT6_jjT7_P12ihipStream_tbENKUlT_T0_SI_SN_E_clISD_PiSD_S15_EEDaS11_S12_SI_SN_EUlS11_E_NS1_11comp_targetILNS1_3genE0ELNS1_11target_archE4294967295ELNS1_3gpuE0ELNS1_3repE0EEENS1_47radix_sort_onesweep_sort_config_static_selectorELNS0_4arch9wavefront6targetE1EEEvSI_
                                        ; -- End function
	.set _ZN7rocprim17ROCPRIM_400000_NS6detail17trampoline_kernelINS0_14default_configENS1_35radix_sort_onesweep_config_selectorIiiEEZZNS1_29radix_sort_onesweep_iterationIS3_Lb1EN6thrust23THRUST_200600_302600_NS6detail15normal_iteratorINS8_10device_ptrIiEEEESD_SD_SD_jNS0_19identity_decomposerENS1_16block_id_wrapperIjLb1EEEEE10hipError_tT1_PNSt15iterator_traitsISI_E10value_typeET2_T3_PNSJ_ISO_E10value_typeET4_T5_PST_SU_PNS1_23onesweep_lookback_stateEbbT6_jjT7_P12ihipStream_tbENKUlT_T0_SI_SN_E_clISD_PiSD_S15_EEDaS11_S12_SI_SN_EUlS11_E_NS1_11comp_targetILNS1_3genE0ELNS1_11target_archE4294967295ELNS1_3gpuE0ELNS1_3repE0EEENS1_47radix_sort_onesweep_sort_config_static_selectorELNS0_4arch9wavefront6targetE1EEEvSI_.num_vgpr, 0
	.set _ZN7rocprim17ROCPRIM_400000_NS6detail17trampoline_kernelINS0_14default_configENS1_35radix_sort_onesweep_config_selectorIiiEEZZNS1_29radix_sort_onesweep_iterationIS3_Lb1EN6thrust23THRUST_200600_302600_NS6detail15normal_iteratorINS8_10device_ptrIiEEEESD_SD_SD_jNS0_19identity_decomposerENS1_16block_id_wrapperIjLb1EEEEE10hipError_tT1_PNSt15iterator_traitsISI_E10value_typeET2_T3_PNSJ_ISO_E10value_typeET4_T5_PST_SU_PNS1_23onesweep_lookback_stateEbbT6_jjT7_P12ihipStream_tbENKUlT_T0_SI_SN_E_clISD_PiSD_S15_EEDaS11_S12_SI_SN_EUlS11_E_NS1_11comp_targetILNS1_3genE0ELNS1_11target_archE4294967295ELNS1_3gpuE0ELNS1_3repE0EEENS1_47radix_sort_onesweep_sort_config_static_selectorELNS0_4arch9wavefront6targetE1EEEvSI_.num_agpr, 0
	.set _ZN7rocprim17ROCPRIM_400000_NS6detail17trampoline_kernelINS0_14default_configENS1_35radix_sort_onesweep_config_selectorIiiEEZZNS1_29radix_sort_onesweep_iterationIS3_Lb1EN6thrust23THRUST_200600_302600_NS6detail15normal_iteratorINS8_10device_ptrIiEEEESD_SD_SD_jNS0_19identity_decomposerENS1_16block_id_wrapperIjLb1EEEEE10hipError_tT1_PNSt15iterator_traitsISI_E10value_typeET2_T3_PNSJ_ISO_E10value_typeET4_T5_PST_SU_PNS1_23onesweep_lookback_stateEbbT6_jjT7_P12ihipStream_tbENKUlT_T0_SI_SN_E_clISD_PiSD_S15_EEDaS11_S12_SI_SN_EUlS11_E_NS1_11comp_targetILNS1_3genE0ELNS1_11target_archE4294967295ELNS1_3gpuE0ELNS1_3repE0EEENS1_47radix_sort_onesweep_sort_config_static_selectorELNS0_4arch9wavefront6targetE1EEEvSI_.numbered_sgpr, 0
	.set _ZN7rocprim17ROCPRIM_400000_NS6detail17trampoline_kernelINS0_14default_configENS1_35radix_sort_onesweep_config_selectorIiiEEZZNS1_29radix_sort_onesweep_iterationIS3_Lb1EN6thrust23THRUST_200600_302600_NS6detail15normal_iteratorINS8_10device_ptrIiEEEESD_SD_SD_jNS0_19identity_decomposerENS1_16block_id_wrapperIjLb1EEEEE10hipError_tT1_PNSt15iterator_traitsISI_E10value_typeET2_T3_PNSJ_ISO_E10value_typeET4_T5_PST_SU_PNS1_23onesweep_lookback_stateEbbT6_jjT7_P12ihipStream_tbENKUlT_T0_SI_SN_E_clISD_PiSD_S15_EEDaS11_S12_SI_SN_EUlS11_E_NS1_11comp_targetILNS1_3genE0ELNS1_11target_archE4294967295ELNS1_3gpuE0ELNS1_3repE0EEENS1_47radix_sort_onesweep_sort_config_static_selectorELNS0_4arch9wavefront6targetE1EEEvSI_.num_named_barrier, 0
	.set _ZN7rocprim17ROCPRIM_400000_NS6detail17trampoline_kernelINS0_14default_configENS1_35radix_sort_onesweep_config_selectorIiiEEZZNS1_29radix_sort_onesweep_iterationIS3_Lb1EN6thrust23THRUST_200600_302600_NS6detail15normal_iteratorINS8_10device_ptrIiEEEESD_SD_SD_jNS0_19identity_decomposerENS1_16block_id_wrapperIjLb1EEEEE10hipError_tT1_PNSt15iterator_traitsISI_E10value_typeET2_T3_PNSJ_ISO_E10value_typeET4_T5_PST_SU_PNS1_23onesweep_lookback_stateEbbT6_jjT7_P12ihipStream_tbENKUlT_T0_SI_SN_E_clISD_PiSD_S15_EEDaS11_S12_SI_SN_EUlS11_E_NS1_11comp_targetILNS1_3genE0ELNS1_11target_archE4294967295ELNS1_3gpuE0ELNS1_3repE0EEENS1_47radix_sort_onesweep_sort_config_static_selectorELNS0_4arch9wavefront6targetE1EEEvSI_.private_seg_size, 0
	.set _ZN7rocprim17ROCPRIM_400000_NS6detail17trampoline_kernelINS0_14default_configENS1_35radix_sort_onesweep_config_selectorIiiEEZZNS1_29radix_sort_onesweep_iterationIS3_Lb1EN6thrust23THRUST_200600_302600_NS6detail15normal_iteratorINS8_10device_ptrIiEEEESD_SD_SD_jNS0_19identity_decomposerENS1_16block_id_wrapperIjLb1EEEEE10hipError_tT1_PNSt15iterator_traitsISI_E10value_typeET2_T3_PNSJ_ISO_E10value_typeET4_T5_PST_SU_PNS1_23onesweep_lookback_stateEbbT6_jjT7_P12ihipStream_tbENKUlT_T0_SI_SN_E_clISD_PiSD_S15_EEDaS11_S12_SI_SN_EUlS11_E_NS1_11comp_targetILNS1_3genE0ELNS1_11target_archE4294967295ELNS1_3gpuE0ELNS1_3repE0EEENS1_47radix_sort_onesweep_sort_config_static_selectorELNS0_4arch9wavefront6targetE1EEEvSI_.uses_vcc, 0
	.set _ZN7rocprim17ROCPRIM_400000_NS6detail17trampoline_kernelINS0_14default_configENS1_35radix_sort_onesweep_config_selectorIiiEEZZNS1_29radix_sort_onesweep_iterationIS3_Lb1EN6thrust23THRUST_200600_302600_NS6detail15normal_iteratorINS8_10device_ptrIiEEEESD_SD_SD_jNS0_19identity_decomposerENS1_16block_id_wrapperIjLb1EEEEE10hipError_tT1_PNSt15iterator_traitsISI_E10value_typeET2_T3_PNSJ_ISO_E10value_typeET4_T5_PST_SU_PNS1_23onesweep_lookback_stateEbbT6_jjT7_P12ihipStream_tbENKUlT_T0_SI_SN_E_clISD_PiSD_S15_EEDaS11_S12_SI_SN_EUlS11_E_NS1_11comp_targetILNS1_3genE0ELNS1_11target_archE4294967295ELNS1_3gpuE0ELNS1_3repE0EEENS1_47radix_sort_onesweep_sort_config_static_selectorELNS0_4arch9wavefront6targetE1EEEvSI_.uses_flat_scratch, 0
	.set _ZN7rocprim17ROCPRIM_400000_NS6detail17trampoline_kernelINS0_14default_configENS1_35radix_sort_onesweep_config_selectorIiiEEZZNS1_29radix_sort_onesweep_iterationIS3_Lb1EN6thrust23THRUST_200600_302600_NS6detail15normal_iteratorINS8_10device_ptrIiEEEESD_SD_SD_jNS0_19identity_decomposerENS1_16block_id_wrapperIjLb1EEEEE10hipError_tT1_PNSt15iterator_traitsISI_E10value_typeET2_T3_PNSJ_ISO_E10value_typeET4_T5_PST_SU_PNS1_23onesweep_lookback_stateEbbT6_jjT7_P12ihipStream_tbENKUlT_T0_SI_SN_E_clISD_PiSD_S15_EEDaS11_S12_SI_SN_EUlS11_E_NS1_11comp_targetILNS1_3genE0ELNS1_11target_archE4294967295ELNS1_3gpuE0ELNS1_3repE0EEENS1_47radix_sort_onesweep_sort_config_static_selectorELNS0_4arch9wavefront6targetE1EEEvSI_.has_dyn_sized_stack, 0
	.set _ZN7rocprim17ROCPRIM_400000_NS6detail17trampoline_kernelINS0_14default_configENS1_35radix_sort_onesweep_config_selectorIiiEEZZNS1_29radix_sort_onesweep_iterationIS3_Lb1EN6thrust23THRUST_200600_302600_NS6detail15normal_iteratorINS8_10device_ptrIiEEEESD_SD_SD_jNS0_19identity_decomposerENS1_16block_id_wrapperIjLb1EEEEE10hipError_tT1_PNSt15iterator_traitsISI_E10value_typeET2_T3_PNSJ_ISO_E10value_typeET4_T5_PST_SU_PNS1_23onesweep_lookback_stateEbbT6_jjT7_P12ihipStream_tbENKUlT_T0_SI_SN_E_clISD_PiSD_S15_EEDaS11_S12_SI_SN_EUlS11_E_NS1_11comp_targetILNS1_3genE0ELNS1_11target_archE4294967295ELNS1_3gpuE0ELNS1_3repE0EEENS1_47radix_sort_onesweep_sort_config_static_selectorELNS0_4arch9wavefront6targetE1EEEvSI_.has_recursion, 0
	.set _ZN7rocprim17ROCPRIM_400000_NS6detail17trampoline_kernelINS0_14default_configENS1_35radix_sort_onesweep_config_selectorIiiEEZZNS1_29radix_sort_onesweep_iterationIS3_Lb1EN6thrust23THRUST_200600_302600_NS6detail15normal_iteratorINS8_10device_ptrIiEEEESD_SD_SD_jNS0_19identity_decomposerENS1_16block_id_wrapperIjLb1EEEEE10hipError_tT1_PNSt15iterator_traitsISI_E10value_typeET2_T3_PNSJ_ISO_E10value_typeET4_T5_PST_SU_PNS1_23onesweep_lookback_stateEbbT6_jjT7_P12ihipStream_tbENKUlT_T0_SI_SN_E_clISD_PiSD_S15_EEDaS11_S12_SI_SN_EUlS11_E_NS1_11comp_targetILNS1_3genE0ELNS1_11target_archE4294967295ELNS1_3gpuE0ELNS1_3repE0EEENS1_47radix_sort_onesweep_sort_config_static_selectorELNS0_4arch9wavefront6targetE1EEEvSI_.has_indirect_call, 0
	.section	.AMDGPU.csdata,"",@progbits
; Kernel info:
; codeLenInByte = 0
; TotalNumSgprs: 6
; NumVgprs: 0
; NumAgprs: 0
; TotalNumVgprs: 0
; ScratchSize: 0
; MemoryBound: 0
; FloatMode: 240
; IeeeMode: 1
; LDSByteSize: 0 bytes/workgroup (compile time only)
; SGPRBlocks: 0
; VGPRBlocks: 0
; NumSGPRsForWavesPerEU: 6
; NumVGPRsForWavesPerEU: 1
; AccumOffset: 4
; Occupancy: 8
; WaveLimiterHint : 0
; COMPUTE_PGM_RSRC2:SCRATCH_EN: 0
; COMPUTE_PGM_RSRC2:USER_SGPR: 2
; COMPUTE_PGM_RSRC2:TRAP_HANDLER: 0
; COMPUTE_PGM_RSRC2:TGID_X_EN: 1
; COMPUTE_PGM_RSRC2:TGID_Y_EN: 0
; COMPUTE_PGM_RSRC2:TGID_Z_EN: 0
; COMPUTE_PGM_RSRC2:TIDIG_COMP_CNT: 0
; COMPUTE_PGM_RSRC3_GFX90A:ACCUM_OFFSET: 0
; COMPUTE_PGM_RSRC3_GFX90A:TG_SPLIT: 0
	.section	.text._ZN7rocprim17ROCPRIM_400000_NS6detail17trampoline_kernelINS0_14default_configENS1_35radix_sort_onesweep_config_selectorIiiEEZZNS1_29radix_sort_onesweep_iterationIS3_Lb1EN6thrust23THRUST_200600_302600_NS6detail15normal_iteratorINS8_10device_ptrIiEEEESD_SD_SD_jNS0_19identity_decomposerENS1_16block_id_wrapperIjLb1EEEEE10hipError_tT1_PNSt15iterator_traitsISI_E10value_typeET2_T3_PNSJ_ISO_E10value_typeET4_T5_PST_SU_PNS1_23onesweep_lookback_stateEbbT6_jjT7_P12ihipStream_tbENKUlT_T0_SI_SN_E_clISD_PiSD_S15_EEDaS11_S12_SI_SN_EUlS11_E_NS1_11comp_targetILNS1_3genE6ELNS1_11target_archE950ELNS1_3gpuE13ELNS1_3repE0EEENS1_47radix_sort_onesweep_sort_config_static_selectorELNS0_4arch9wavefront6targetE1EEEvSI_,"axG",@progbits,_ZN7rocprim17ROCPRIM_400000_NS6detail17trampoline_kernelINS0_14default_configENS1_35radix_sort_onesweep_config_selectorIiiEEZZNS1_29radix_sort_onesweep_iterationIS3_Lb1EN6thrust23THRUST_200600_302600_NS6detail15normal_iteratorINS8_10device_ptrIiEEEESD_SD_SD_jNS0_19identity_decomposerENS1_16block_id_wrapperIjLb1EEEEE10hipError_tT1_PNSt15iterator_traitsISI_E10value_typeET2_T3_PNSJ_ISO_E10value_typeET4_T5_PST_SU_PNS1_23onesweep_lookback_stateEbbT6_jjT7_P12ihipStream_tbENKUlT_T0_SI_SN_E_clISD_PiSD_S15_EEDaS11_S12_SI_SN_EUlS11_E_NS1_11comp_targetILNS1_3genE6ELNS1_11target_archE950ELNS1_3gpuE13ELNS1_3repE0EEENS1_47radix_sort_onesweep_sort_config_static_selectorELNS0_4arch9wavefront6targetE1EEEvSI_,comdat
	.protected	_ZN7rocprim17ROCPRIM_400000_NS6detail17trampoline_kernelINS0_14default_configENS1_35radix_sort_onesweep_config_selectorIiiEEZZNS1_29radix_sort_onesweep_iterationIS3_Lb1EN6thrust23THRUST_200600_302600_NS6detail15normal_iteratorINS8_10device_ptrIiEEEESD_SD_SD_jNS0_19identity_decomposerENS1_16block_id_wrapperIjLb1EEEEE10hipError_tT1_PNSt15iterator_traitsISI_E10value_typeET2_T3_PNSJ_ISO_E10value_typeET4_T5_PST_SU_PNS1_23onesweep_lookback_stateEbbT6_jjT7_P12ihipStream_tbENKUlT_T0_SI_SN_E_clISD_PiSD_S15_EEDaS11_S12_SI_SN_EUlS11_E_NS1_11comp_targetILNS1_3genE6ELNS1_11target_archE950ELNS1_3gpuE13ELNS1_3repE0EEENS1_47radix_sort_onesweep_sort_config_static_selectorELNS0_4arch9wavefront6targetE1EEEvSI_ ; -- Begin function _ZN7rocprim17ROCPRIM_400000_NS6detail17trampoline_kernelINS0_14default_configENS1_35radix_sort_onesweep_config_selectorIiiEEZZNS1_29radix_sort_onesweep_iterationIS3_Lb1EN6thrust23THRUST_200600_302600_NS6detail15normal_iteratorINS8_10device_ptrIiEEEESD_SD_SD_jNS0_19identity_decomposerENS1_16block_id_wrapperIjLb1EEEEE10hipError_tT1_PNSt15iterator_traitsISI_E10value_typeET2_T3_PNSJ_ISO_E10value_typeET4_T5_PST_SU_PNS1_23onesweep_lookback_stateEbbT6_jjT7_P12ihipStream_tbENKUlT_T0_SI_SN_E_clISD_PiSD_S15_EEDaS11_S12_SI_SN_EUlS11_E_NS1_11comp_targetILNS1_3genE6ELNS1_11target_archE950ELNS1_3gpuE13ELNS1_3repE0EEENS1_47radix_sort_onesweep_sort_config_static_selectorELNS0_4arch9wavefront6targetE1EEEvSI_
	.globl	_ZN7rocprim17ROCPRIM_400000_NS6detail17trampoline_kernelINS0_14default_configENS1_35radix_sort_onesweep_config_selectorIiiEEZZNS1_29radix_sort_onesweep_iterationIS3_Lb1EN6thrust23THRUST_200600_302600_NS6detail15normal_iteratorINS8_10device_ptrIiEEEESD_SD_SD_jNS0_19identity_decomposerENS1_16block_id_wrapperIjLb1EEEEE10hipError_tT1_PNSt15iterator_traitsISI_E10value_typeET2_T3_PNSJ_ISO_E10value_typeET4_T5_PST_SU_PNS1_23onesweep_lookback_stateEbbT6_jjT7_P12ihipStream_tbENKUlT_T0_SI_SN_E_clISD_PiSD_S15_EEDaS11_S12_SI_SN_EUlS11_E_NS1_11comp_targetILNS1_3genE6ELNS1_11target_archE950ELNS1_3gpuE13ELNS1_3repE0EEENS1_47radix_sort_onesweep_sort_config_static_selectorELNS0_4arch9wavefront6targetE1EEEvSI_
	.p2align	8
	.type	_ZN7rocprim17ROCPRIM_400000_NS6detail17trampoline_kernelINS0_14default_configENS1_35radix_sort_onesweep_config_selectorIiiEEZZNS1_29radix_sort_onesweep_iterationIS3_Lb1EN6thrust23THRUST_200600_302600_NS6detail15normal_iteratorINS8_10device_ptrIiEEEESD_SD_SD_jNS0_19identity_decomposerENS1_16block_id_wrapperIjLb1EEEEE10hipError_tT1_PNSt15iterator_traitsISI_E10value_typeET2_T3_PNSJ_ISO_E10value_typeET4_T5_PST_SU_PNS1_23onesweep_lookback_stateEbbT6_jjT7_P12ihipStream_tbENKUlT_T0_SI_SN_E_clISD_PiSD_S15_EEDaS11_S12_SI_SN_EUlS11_E_NS1_11comp_targetILNS1_3genE6ELNS1_11target_archE950ELNS1_3gpuE13ELNS1_3repE0EEENS1_47radix_sort_onesweep_sort_config_static_selectorELNS0_4arch9wavefront6targetE1EEEvSI_,@function
_ZN7rocprim17ROCPRIM_400000_NS6detail17trampoline_kernelINS0_14default_configENS1_35radix_sort_onesweep_config_selectorIiiEEZZNS1_29radix_sort_onesweep_iterationIS3_Lb1EN6thrust23THRUST_200600_302600_NS6detail15normal_iteratorINS8_10device_ptrIiEEEESD_SD_SD_jNS0_19identity_decomposerENS1_16block_id_wrapperIjLb1EEEEE10hipError_tT1_PNSt15iterator_traitsISI_E10value_typeET2_T3_PNSJ_ISO_E10value_typeET4_T5_PST_SU_PNS1_23onesweep_lookback_stateEbbT6_jjT7_P12ihipStream_tbENKUlT_T0_SI_SN_E_clISD_PiSD_S15_EEDaS11_S12_SI_SN_EUlS11_E_NS1_11comp_targetILNS1_3genE6ELNS1_11target_archE950ELNS1_3gpuE13ELNS1_3repE0EEENS1_47radix_sort_onesweep_sort_config_static_selectorELNS0_4arch9wavefront6targetE1EEEvSI_: ; @_ZN7rocprim17ROCPRIM_400000_NS6detail17trampoline_kernelINS0_14default_configENS1_35radix_sort_onesweep_config_selectorIiiEEZZNS1_29radix_sort_onesweep_iterationIS3_Lb1EN6thrust23THRUST_200600_302600_NS6detail15normal_iteratorINS8_10device_ptrIiEEEESD_SD_SD_jNS0_19identity_decomposerENS1_16block_id_wrapperIjLb1EEEEE10hipError_tT1_PNSt15iterator_traitsISI_E10value_typeET2_T3_PNSJ_ISO_E10value_typeET4_T5_PST_SU_PNS1_23onesweep_lookback_stateEbbT6_jjT7_P12ihipStream_tbENKUlT_T0_SI_SN_E_clISD_PiSD_S15_EEDaS11_S12_SI_SN_EUlS11_E_NS1_11comp_targetILNS1_3genE6ELNS1_11target_archE950ELNS1_3gpuE13ELNS1_3repE0EEENS1_47radix_sort_onesweep_sort_config_static_selectorELNS0_4arch9wavefront6targetE1EEEvSI_
; %bb.0:
	s_load_dwordx4 s[60:63], s[0:1], 0x28
	s_load_dwordx2 s[68:69], s[0:1], 0x38
	s_load_dwordx4 s[64:67], s[0:1], 0x44
	v_and_b32_e32 v2, 0x3ff, v0
	v_cmp_eq_u32_e64 s[44:45], 0, v2
	s_and_saveexec_b64 s[4:5], s[44:45]
	s_cbranch_execz .LBB1009_4
; %bb.1:
	s_mov_b64 s[8:9], exec
	v_mbcnt_lo_u32_b32 v1, s8, 0
	v_mbcnt_hi_u32_b32 v1, s9, v1
	v_cmp_eq_u32_e32 vcc, 0, v1
                                        ; implicit-def: $vgpr3
	s_and_saveexec_b64 s[6:7], vcc
	s_cbranch_execz .LBB1009_3
; %bb.2:
	s_load_dwordx2 s[10:11], s[0:1], 0x50
	s_bcnt1_i32_b64 s3, s[8:9]
	v_mov_b32_e32 v3, 0
	v_mov_b32_e32 v4, s3
	s_waitcnt lgkmcnt(0)
	global_atomic_add v3, v3, v4, s[10:11] sc0
.LBB1009_3:
	s_or_b64 exec, exec, s[6:7]
	s_waitcnt vmcnt(0)
	v_readfirstlane_b32 s3, v3
	v_mov_b32_e32 v3, 0
	s_nop 0
	v_add_u32_e32 v1, s3, v1
	ds_write_b32 v3, v1 offset:20544
.LBB1009_4:
	s_or_b64 exec, exec, s[4:5]
	v_mov_b32_e32 v5, 0
	s_load_dwordx8 s[52:59], s[0:1], 0x0
	s_load_dword s3, s[0:1], 0x20
	s_waitcnt lgkmcnt(0)
	s_barrier
	ds_read_b32 v1, v5 offset:20544
	s_mov_b64 s[4:5], -1
	v_mbcnt_lo_u32_b32 v3, -1, 0
	s_waitcnt lgkmcnt(0)
	s_barrier
	v_cmp_le_u32_e32 vcc, s66, v1
	v_readfirstlane_b32 s33, v1
	v_lshlrev_b32_e32 v1, 4, v2
	s_cbranch_vccz .LBB1009_208
; %bb.5:
	s_lshl_b32 s4, s66, 14
	s_sub_i32 s3, s3, s4
	s_lshl_b32 s4, s33, 14
	s_mov_b32 s5, 0
	s_lshl_b64 s[66:67], s[4:5], 2
	v_mbcnt_hi_u32_b32 v12, -1, v3
	s_add_u32 s4, s52, s66
	v_and_b32_e32 v10, 63, v12
	s_addc_u32 s5, s53, s67
	v_and_b32_e32 v11, 0x3c00, v1
	v_lshlrev_b32_e32 v4, 2, v10
	v_lshl_add_u64 v[8:9], s[4:5], 0, v[4:5]
	v_lshlrev_b32_e32 v6, 2, v11
	v_mov_b32_e32 v7, v5
	v_or_b32_e32 v10, v10, v11
	v_mov_b32_e32 v14, -1
	v_lshl_add_u64 v[8:9], v[8:9], 0, v[6:7]
	v_cmp_gt_u32_e32 vcc, s3, v10
	v_mov_b32_e32 v5, -1
	s_and_saveexec_b64 s[4:5], vcc
	s_cbranch_execz .LBB1009_7
; %bb.6:
	global_load_dword v5, v[8:9], off
	s_waitcnt vmcnt(0)
	v_xor_b32_e32 v5, 0x7fffffff, v5
.LBB1009_7:
	s_or_b64 exec, exec, s[4:5]
	v_or_b32_e32 v7, 64, v10
	v_cmp_gt_u32_e64 s[4:5], s3, v7
	s_and_saveexec_b64 s[6:7], s[4:5]
	s_cbranch_execz .LBB1009_9
; %bb.8:
	global_load_dword v7, v[8:9], off offset:256
	s_waitcnt vmcnt(0)
	v_xor_b32_e32 v14, 0x7fffffff, v7
.LBB1009_9:
	s_or_b64 exec, exec, s[6:7]
	v_or_b32_e32 v7, 0x80, v10
	v_cmp_gt_u32_e64 s[6:7], s3, v7
	v_mov_b32_e32 v7, -1
	v_mov_b32_e32 v15, -1
	s_and_saveexec_b64 s[8:9], s[6:7]
	s_cbranch_execz .LBB1009_11
; %bb.10:
	global_load_dword v11, v[8:9], off offset:512
	s_waitcnt vmcnt(0)
	v_xor_b32_e32 v15, 0x7fffffff, v11
.LBB1009_11:
	s_or_b64 exec, exec, s[8:9]
	v_or_b32_e32 v11, 0xc0, v10
	v_cmp_gt_u32_e64 s[8:9], s3, v11
	s_and_saveexec_b64 s[10:11], s[8:9]
	s_cbranch_execz .LBB1009_13
; %bb.12:
	global_load_dword v7, v[8:9], off offset:768
	s_waitcnt vmcnt(0)
	v_xor_b32_e32 v7, 0x7fffffff, v7
.LBB1009_13:
	s_or_b64 exec, exec, s[10:11]
	v_or_b32_e32 v11, 0x100, v10
	v_cmp_gt_u32_e64 s[10:11], s3, v11
	v_mov_b32_e32 v16, -1
	v_mov_b32_e32 v17, -1
	s_and_saveexec_b64 s[12:13], s[10:11]
	s_cbranch_execz .LBB1009_15
; %bb.14:
	global_load_dword v11, v[8:9], off offset:1024
	s_waitcnt vmcnt(0)
	v_xor_b32_e32 v17, 0x7fffffff, v11
.LBB1009_15:
	;; [unrolled: 22-line block ×7, first 2 shown]
	s_or_b64 exec, exec, s[34:35]
	v_or_b32_e32 v10, 0x3c0, v10
	v_cmp_gt_u32_e64 s[34:35], s3, v10
	s_and_saveexec_b64 s[36:37], s[34:35]
	s_cbranch_execz .LBB1009_37
; %bb.36:
	global_load_dword v8, v[8:9], off offset:3840
	s_waitcnt vmcnt(0)
	v_xor_b32_e32 v26, 0x7fffffff, v8
.LBB1009_37:
	s_or_b64 exec, exec, s[36:37]
	s_load_dword s36, s[0:1], 0x64
	s_load_dword s70, s[0:1], 0x58
	s_add_u32 s37, s0, 0x58
	s_addc_u32 s38, s1, 0
	v_mov_b32_e32 v9, 0
	s_waitcnt lgkmcnt(0)
	s_lshr_b32 s39, s36, 16
	s_cmp_lt_u32 s2, s70
	s_cselect_b32 s36, 12, 18
	s_add_u32 s36, s37, s36
	s_addc_u32 s37, s38, 0
	global_load_ushort v40, v9, s[36:37]
	v_lshrrev_b32_e32 v29, s64, v5
	s_lshl_b32 s36, -1, s65
	v_bfe_u32 v8, v0, 10, 10
	v_bfe_u32 v11, v0, 20, 10
	v_bitop3_b32 v38, v29, s36, v29 bitop3:0x30
	s_movk_i32 s72, 0x44
	v_mad_u32_u24 v42, v11, s39, v8
	v_and_b32_e32 v8, 1, v38
	v_lshlrev_b32_e32 v11, 30, v38
	v_mov_b32_e32 v10, v9
	v_mov_b32_e32 v30, v9
	s_not_b32 s71, s36
	v_mul_lo_u32 v43, v38, s72
	v_lshlrev_b32_e32 v29, 29, v38
	v_lshlrev_b32_e32 v31, 28, v38
	;; [unrolled: 1-line block ×6, first 2 shown]
	v_lshl_add_u64 v[38:39], v[8:9], 0, -1
	v_cmp_ne_u32_e64 s[36:37], 0, v8
	v_not_b32_e32 v8, v11
	v_mov_b32_e32 v28, v9
	v_mov_b32_e32 v32, v9
	v_cmp_gt_i64_e64 s[38:39], 0, v[10:11]
	v_not_b32_e32 v10, v29
	v_cmp_gt_i64_e64 s[42:43], 0, v[30:31]
	v_not_b32_e32 v11, v31
	v_xor_b32_e32 v31, s37, v39
	v_ashrrev_i32_e32 v8, 31, v8
	v_mov_b32_e32 v34, v9
	v_cmp_gt_i64_e64 s[40:41], 0, v[28:29]
	v_cmp_gt_i64_e64 s[46:47], 0, v[32:33]
	v_not_b32_e32 v28, v33
	v_xor_b32_e32 v32, s36, v38
	v_ashrrev_i32_e32 v10, 31, v10
	v_and_b32_e32 v31, exec_hi, v31
	v_xor_b32_e32 v33, s39, v8
	v_cmp_gt_i64_e64 s[48:49], 0, v[34:35]
	v_ashrrev_i32_e32 v11, 31, v11
	v_and_b32_e32 v32, exec_lo, v32
	v_xor_b32_e32 v8, s38, v8
	v_xor_b32_e32 v34, s41, v10
	v_and_b32_e32 v31, v31, v33
	v_mov_b32_e32 v36, v9
	v_not_b32_e32 v29, v35
	v_ashrrev_i32_e32 v28, 31, v28
	v_xor_b32_e32 v10, s40, v10
	v_xor_b32_e32 v35, s43, v11
	v_and_b32_e32 v8, v32, v8
	v_and_b32_e32 v31, v31, v34
	v_cmp_gt_i64_e64 s[50:51], 0, v[36:37]
	v_not_b32_e32 v30, v37
	v_ashrrev_i32_e32 v29, 31, v29
	v_xor_b32_e32 v36, s47, v28
	v_and_b32_e32 v8, v8, v10
	v_and_b32_e32 v10, v31, v35
	v_ashrrev_i32_e32 v30, 31, v30
	v_xor_b32_e32 v11, s42, v11
	v_xor_b32_e32 v37, s49, v29
	v_and_b32_e32 v10, v10, v36
	v_xor_b32_e32 v28, s46, v28
	v_xor_b32_e32 v38, s51, v30
	v_and_b32_e32 v8, v8, v11
	v_and_b32_e32 v10, v10, v37
	;; [unrolled: 1-line block ×4, first 2 shown]
	v_xor_b32_e32 v29, s48, v29
	v_xor_b32_e32 v30, s50, v30
	v_and_b32_e32 v8, v8, v29
	v_and_b32_e32 v8, v8, v30
	v_mul_u32_u24_e32 v13, 20, v2
	ds_write2_b32 v13, v9, v9 offset0:16 offset1:17
	ds_write2_b32 v13, v9, v9 offset0:18 offset1:19
	ds_write_b32 v13, v9 offset:80
	s_waitcnt lgkmcnt(0)
	s_barrier
	s_waitcnt vmcnt(0)
	; wave barrier
	v_mad_u64_u32 v[10:11], s[36:37], v42, v40, v[2:3]
	v_lshrrev_b32_e32 v39, 6, v10
	v_mov_b32_e32 v40, v9
	v_not_b32_e32 v10, v41
	v_cmp_gt_i64_e64 s[36:37], 0, v[40:41]
	v_ashrrev_i32_e32 v10, 31, v10
	v_lshl_add_u32 v32, v39, 2, v43
	v_xor_b32_e32 v11, s37, v10
	v_xor_b32_e32 v10, s36, v10
	v_and_b32_e32 v10, v8, v10
	v_and_b32_e32 v11, v28, v11
	v_mbcnt_lo_u32_b32 v8, v10, 0
	v_mbcnt_hi_u32_b32 v29, v11, v8
	v_cmp_eq_u32_e64 s[36:37], 0, v29
	v_cmp_ne_u64_e64 s[38:39], 0, v[10:11]
	s_and_b64 s[38:39], s[38:39], s[36:37]
	s_and_saveexec_b64 s[36:37], s[38:39]
; %bb.38:
	v_bcnt_u32_b32 v8, v10, 0
	v_bcnt_u32_b32 v8, v11, v8
	ds_write_b32 v32, v8 offset:64
; %bb.39:
	s_or_b64 exec, exec, s[36:37]
	v_lshrrev_b32_e32 v8, s64, v14
	v_and_b32_e32 v30, s71, v8
	v_mul_lo_u32 v8, v30, s72
	v_lshl_add_u32 v34, v39, 2, v8
	v_and_b32_e32 v8, 1, v30
	v_lshl_add_u64 v[10:11], v[8:9], 0, -1
	v_cmp_ne_u32_e64 s[36:37], 0, v8
	; wave barrier
	s_nop 1
	v_xor_b32_e32 v10, s36, v10
	v_xor_b32_e32 v8, s37, v11
	v_and_b32_e32 v31, exec_lo, v10
	v_lshlrev_b32_e32 v11, 30, v30
	v_mov_b32_e32 v10, v9
	v_cmp_gt_i64_e64 s[36:37], 0, v[10:11]
	v_not_b32_e32 v10, v11
	v_ashrrev_i32_e32 v10, 31, v10
	v_and_b32_e32 v8, exec_hi, v8
	v_xor_b32_e32 v11, s37, v10
	v_xor_b32_e32 v10, s36, v10
	v_and_b32_e32 v8, v8, v11
	v_and_b32_e32 v31, v31, v10
	v_lshlrev_b32_e32 v11, 29, v30
	v_mov_b32_e32 v10, v9
	v_cmp_gt_i64_e64 s[36:37], 0, v[10:11]
	v_not_b32_e32 v10, v11
	v_ashrrev_i32_e32 v10, 31, v10
	v_xor_b32_e32 v11, s37, v10
	v_xor_b32_e32 v10, s36, v10
	v_and_b32_e32 v8, v8, v11
	v_and_b32_e32 v31, v31, v10
	v_lshlrev_b32_e32 v11, 28, v30
	v_mov_b32_e32 v10, v9
	v_cmp_gt_i64_e64 s[36:37], 0, v[10:11]
	v_not_b32_e32 v10, v11
	v_ashrrev_i32_e32 v10, 31, v10
	;; [unrolled: 9-line block ×5, first 2 shown]
	v_xor_b32_e32 v11, s37, v10
	v_xor_b32_e32 v10, s36, v10
	v_and_b32_e32 v8, v8, v11
	v_lshlrev_b32_e32 v11, 24, v30
	v_and_b32_e32 v31, v31, v10
	v_mov_b32_e32 v10, v9
	v_not_b32_e32 v9, v11
	v_cmp_gt_i64_e64 s[36:37], 0, v[10:11]
	v_ashrrev_i32_e32 v9, 31, v9
	ds_read_b32 v28, v34 offset:64
	v_xor_b32_e32 v10, s37, v9
	v_xor_b32_e32 v11, s36, v9
	v_and_b32_e32 v9, v8, v10
	v_and_b32_e32 v8, v31, v11
	v_mbcnt_lo_u32_b32 v10, v8, 0
	v_mbcnt_hi_u32_b32 v30, v9, v10
	v_cmp_eq_u32_e64 s[36:37], 0, v30
	v_cmp_ne_u64_e64 s[38:39], 0, v[8:9]
	s_and_b64 s[38:39], s[38:39], s[36:37]
	; wave barrier
	s_and_saveexec_b64 s[36:37], s[38:39]
	s_cbranch_execz .LBB1009_41
; %bb.40:
	v_bcnt_u32_b32 v8, v8, 0
	v_bcnt_u32_b32 v8, v9, v8
	s_waitcnt lgkmcnt(0)
	v_add_u32_e32 v8, v28, v8
	ds_write_b32 v34, v8 offset:64
.LBB1009_41:
	s_or_b64 exec, exec, s[36:37]
	v_lshrrev_b32_e32 v8, s64, v15
	v_and_b32_e32 v33, s71, v8
	s_movk_i32 s40, 0x44
	v_mul_lo_u32 v8, v33, s40
	v_lshl_add_u32 v37, v39, 2, v8
	v_and_b32_e32 v8, 1, v33
	v_mov_b32_e32 v9, 0
	v_lshl_add_u64 v[10:11], v[8:9], 0, -1
	v_cmp_ne_u32_e64 s[36:37], 0, v8
	; wave barrier
	s_nop 1
	v_xor_b32_e32 v10, s36, v10
	v_xor_b32_e32 v8, s37, v11
	v_and_b32_e32 v35, exec_lo, v10
	v_lshlrev_b32_e32 v11, 30, v33
	v_mov_b32_e32 v10, v9
	v_cmp_gt_i64_e64 s[36:37], 0, v[10:11]
	v_not_b32_e32 v10, v11
	v_ashrrev_i32_e32 v10, 31, v10
	v_and_b32_e32 v8, exec_hi, v8
	v_xor_b32_e32 v11, s37, v10
	v_xor_b32_e32 v10, s36, v10
	v_and_b32_e32 v8, v8, v11
	v_and_b32_e32 v35, v35, v10
	v_lshlrev_b32_e32 v11, 29, v33
	v_mov_b32_e32 v10, v9
	v_cmp_gt_i64_e64 s[36:37], 0, v[10:11]
	v_not_b32_e32 v10, v11
	v_ashrrev_i32_e32 v10, 31, v10
	v_xor_b32_e32 v11, s37, v10
	v_xor_b32_e32 v10, s36, v10
	v_and_b32_e32 v8, v8, v11
	v_and_b32_e32 v35, v35, v10
	v_lshlrev_b32_e32 v11, 28, v33
	v_mov_b32_e32 v10, v9
	v_cmp_gt_i64_e64 s[36:37], 0, v[10:11]
	v_not_b32_e32 v10, v11
	v_ashrrev_i32_e32 v10, 31, v10
	;; [unrolled: 9-line block ×6, first 2 shown]
	v_xor_b32_e32 v11, s37, v10
	v_xor_b32_e32 v10, s36, v10
	ds_read_b32 v31, v37 offset:64
	v_and_b32_e32 v10, v35, v10
	v_and_b32_e32 v11, v8, v11
	v_mbcnt_lo_u32_b32 v8, v10, 0
	v_mbcnt_hi_u32_b32 v33, v11, v8
	v_cmp_eq_u32_e64 s[36:37], 0, v33
	v_cmp_ne_u64_e64 s[38:39], 0, v[10:11]
	s_and_b64 s[38:39], s[38:39], s[36:37]
	; wave barrier
	s_and_saveexec_b64 s[36:37], s[38:39]
	s_cbranch_execz .LBB1009_43
; %bb.42:
	v_bcnt_u32_b32 v8, v10, 0
	v_bcnt_u32_b32 v8, v11, v8
	s_waitcnt lgkmcnt(0)
	v_add_u32_e32 v8, v31, v8
	ds_write_b32 v37, v8 offset:64
.LBB1009_43:
	s_or_b64 exec, exec, s[36:37]
	v_lshrrev_b32_e32 v8, s64, v7
	v_and_b32_e32 v36, s71, v8
	v_mul_lo_u32 v8, v36, s40
	v_lshl_add_u32 v41, v39, 2, v8
	v_and_b32_e32 v8, 1, v36
	v_lshl_add_u64 v[10:11], v[8:9], 0, -1
	v_cmp_ne_u32_e64 s[36:37], 0, v8
	; wave barrier
	s_nop 1
	v_xor_b32_e32 v10, s36, v10
	v_xor_b32_e32 v8, s37, v11
	v_and_b32_e32 v38, exec_lo, v10
	v_lshlrev_b32_e32 v11, 30, v36
	v_mov_b32_e32 v10, v9
	v_cmp_gt_i64_e64 s[36:37], 0, v[10:11]
	v_not_b32_e32 v10, v11
	v_ashrrev_i32_e32 v10, 31, v10
	v_and_b32_e32 v8, exec_hi, v8
	v_xor_b32_e32 v11, s37, v10
	v_xor_b32_e32 v10, s36, v10
	v_and_b32_e32 v8, v8, v11
	v_and_b32_e32 v38, v38, v10
	v_lshlrev_b32_e32 v11, 29, v36
	v_mov_b32_e32 v10, v9
	v_cmp_gt_i64_e64 s[36:37], 0, v[10:11]
	v_not_b32_e32 v10, v11
	v_ashrrev_i32_e32 v10, 31, v10
	v_xor_b32_e32 v11, s37, v10
	v_xor_b32_e32 v10, s36, v10
	v_and_b32_e32 v8, v8, v11
	v_and_b32_e32 v38, v38, v10
	v_lshlrev_b32_e32 v11, 28, v36
	v_mov_b32_e32 v10, v9
	v_cmp_gt_i64_e64 s[36:37], 0, v[10:11]
	v_not_b32_e32 v10, v11
	v_ashrrev_i32_e32 v10, 31, v10
	v_xor_b32_e32 v11, s37, v10
	v_xor_b32_e32 v10, s36, v10
	v_and_b32_e32 v8, v8, v11
	v_and_b32_e32 v38, v38, v10
	v_lshlrev_b32_e32 v11, 27, v36
	v_mov_b32_e32 v10, v9
	v_cmp_gt_i64_e64 s[36:37], 0, v[10:11]
	v_not_b32_e32 v10, v11
	v_ashrrev_i32_e32 v10, 31, v10
	v_xor_b32_e32 v11, s37, v10
	v_xor_b32_e32 v10, s36, v10
	v_and_b32_e32 v8, v8, v11
	v_and_b32_e32 v38, v38, v10
	v_lshlrev_b32_e32 v11, 26, v36
	v_mov_b32_e32 v10, v9
	v_cmp_gt_i64_e64 s[36:37], 0, v[10:11]
	v_not_b32_e32 v10, v11
	v_ashrrev_i32_e32 v10, 31, v10
	v_xor_b32_e32 v11, s37, v10
	v_xor_b32_e32 v10, s36, v10
	v_and_b32_e32 v8, v8, v11
	v_and_b32_e32 v38, v38, v10
	v_lshlrev_b32_e32 v11, 25, v36
	v_mov_b32_e32 v10, v9
	v_cmp_gt_i64_e64 s[36:37], 0, v[10:11]
	v_not_b32_e32 v10, v11
	v_ashrrev_i32_e32 v10, 31, v10
	v_xor_b32_e32 v11, s37, v10
	v_xor_b32_e32 v10, s36, v10
	v_and_b32_e32 v8, v8, v11
	v_lshlrev_b32_e32 v11, 24, v36
	v_and_b32_e32 v38, v38, v10
	v_mov_b32_e32 v10, v9
	v_not_b32_e32 v9, v11
	v_cmp_gt_i64_e64 s[36:37], 0, v[10:11]
	v_ashrrev_i32_e32 v9, 31, v9
	ds_read_b32 v35, v41 offset:64
	v_xor_b32_e32 v10, s37, v9
	v_xor_b32_e32 v11, s36, v9
	v_and_b32_e32 v9, v8, v10
	v_and_b32_e32 v8, v38, v11
	v_mbcnt_lo_u32_b32 v10, v8, 0
	v_mbcnt_hi_u32_b32 v36, v9, v10
	v_cmp_eq_u32_e64 s[36:37], 0, v36
	v_cmp_ne_u64_e64 s[38:39], 0, v[8:9]
	s_and_b64 s[38:39], s[38:39], s[36:37]
	; wave barrier
	s_and_saveexec_b64 s[36:37], s[38:39]
	s_cbranch_execz .LBB1009_45
; %bb.44:
	v_bcnt_u32_b32 v8, v8, 0
	v_bcnt_u32_b32 v8, v9, v8
	s_waitcnt lgkmcnt(0)
	v_add_u32_e32 v8, v35, v8
	ds_write_b32 v41, v8 offset:64
.LBB1009_45:
	s_or_b64 exec, exec, s[36:37]
	v_lshrrev_b32_e32 v8, s64, v17
	v_and_b32_e32 v40, s71, v8
	v_mul_lo_u32 v8, v40, s40
	v_lshl_add_u32 v44, v39, 2, v8
	v_and_b32_e32 v8, 1, v40
	v_mov_b32_e32 v9, 0
	v_lshl_add_u64 v[10:11], v[8:9], 0, -1
	v_cmp_ne_u32_e64 s[36:37], 0, v8
	; wave barrier
	s_nop 1
	v_xor_b32_e32 v10, s36, v10
	v_xor_b32_e32 v8, s37, v11
	v_and_b32_e32 v42, exec_lo, v10
	v_lshlrev_b32_e32 v11, 30, v40
	v_mov_b32_e32 v10, v9
	v_cmp_gt_i64_e64 s[36:37], 0, v[10:11]
	v_not_b32_e32 v10, v11
	v_ashrrev_i32_e32 v10, 31, v10
	v_and_b32_e32 v8, exec_hi, v8
	v_xor_b32_e32 v11, s37, v10
	v_xor_b32_e32 v10, s36, v10
	v_and_b32_e32 v8, v8, v11
	v_and_b32_e32 v42, v42, v10
	v_lshlrev_b32_e32 v11, 29, v40
	v_mov_b32_e32 v10, v9
	v_cmp_gt_i64_e64 s[36:37], 0, v[10:11]
	v_not_b32_e32 v10, v11
	v_ashrrev_i32_e32 v10, 31, v10
	v_xor_b32_e32 v11, s37, v10
	v_xor_b32_e32 v10, s36, v10
	v_and_b32_e32 v8, v8, v11
	v_and_b32_e32 v42, v42, v10
	v_lshlrev_b32_e32 v11, 28, v40
	v_mov_b32_e32 v10, v9
	v_cmp_gt_i64_e64 s[36:37], 0, v[10:11]
	v_not_b32_e32 v10, v11
	v_ashrrev_i32_e32 v10, 31, v10
	;; [unrolled: 9-line block ×6, first 2 shown]
	v_xor_b32_e32 v11, s37, v10
	v_xor_b32_e32 v10, s36, v10
	ds_read_b32 v38, v44 offset:64
	v_and_b32_e32 v10, v42, v10
	v_and_b32_e32 v11, v8, v11
	v_mbcnt_lo_u32_b32 v8, v10, 0
	v_mbcnt_hi_u32_b32 v40, v11, v8
	v_cmp_eq_u32_e64 s[36:37], 0, v40
	v_cmp_ne_u64_e64 s[38:39], 0, v[10:11]
	s_and_b64 s[38:39], s[38:39], s[36:37]
	; wave barrier
	s_and_saveexec_b64 s[36:37], s[38:39]
	s_cbranch_execz .LBB1009_47
; %bb.46:
	v_bcnt_u32_b32 v8, v10, 0
	v_bcnt_u32_b32 v8, v11, v8
	s_waitcnt lgkmcnt(0)
	v_add_u32_e32 v8, v38, v8
	ds_write_b32 v44, v8 offset:64
.LBB1009_47:
	s_or_b64 exec, exec, s[36:37]
	v_lshrrev_b32_e32 v8, s64, v16
	v_and_b32_e32 v43, s71, v8
	v_mul_lo_u32 v8, v43, s40
	v_lshl_add_u32 v46, v39, 2, v8
	v_and_b32_e32 v8, 1, v43
	v_lshl_add_u64 v[10:11], v[8:9], 0, -1
	v_cmp_ne_u32_e64 s[36:37], 0, v8
	; wave barrier
	s_nop 1
	v_xor_b32_e32 v10, s36, v10
	v_xor_b32_e32 v8, s37, v11
	v_and_b32_e32 v45, exec_lo, v10
	v_lshlrev_b32_e32 v11, 30, v43
	v_mov_b32_e32 v10, v9
	v_cmp_gt_i64_e64 s[36:37], 0, v[10:11]
	v_not_b32_e32 v10, v11
	v_ashrrev_i32_e32 v10, 31, v10
	v_and_b32_e32 v8, exec_hi, v8
	v_xor_b32_e32 v11, s37, v10
	v_xor_b32_e32 v10, s36, v10
	v_and_b32_e32 v8, v8, v11
	v_and_b32_e32 v45, v45, v10
	v_lshlrev_b32_e32 v11, 29, v43
	v_mov_b32_e32 v10, v9
	v_cmp_gt_i64_e64 s[36:37], 0, v[10:11]
	v_not_b32_e32 v10, v11
	v_ashrrev_i32_e32 v10, 31, v10
	v_xor_b32_e32 v11, s37, v10
	v_xor_b32_e32 v10, s36, v10
	v_and_b32_e32 v8, v8, v11
	v_and_b32_e32 v45, v45, v10
	v_lshlrev_b32_e32 v11, 28, v43
	v_mov_b32_e32 v10, v9
	v_cmp_gt_i64_e64 s[36:37], 0, v[10:11]
	v_not_b32_e32 v10, v11
	v_ashrrev_i32_e32 v10, 31, v10
	v_xor_b32_e32 v11, s37, v10
	v_xor_b32_e32 v10, s36, v10
	v_and_b32_e32 v8, v8, v11
	v_and_b32_e32 v45, v45, v10
	v_lshlrev_b32_e32 v11, 27, v43
	v_mov_b32_e32 v10, v9
	v_cmp_gt_i64_e64 s[36:37], 0, v[10:11]
	v_not_b32_e32 v10, v11
	v_ashrrev_i32_e32 v10, 31, v10
	v_xor_b32_e32 v11, s37, v10
	v_xor_b32_e32 v10, s36, v10
	v_and_b32_e32 v8, v8, v11
	v_and_b32_e32 v45, v45, v10
	v_lshlrev_b32_e32 v11, 26, v43
	v_mov_b32_e32 v10, v9
	v_cmp_gt_i64_e64 s[36:37], 0, v[10:11]
	v_not_b32_e32 v10, v11
	v_ashrrev_i32_e32 v10, 31, v10
	v_xor_b32_e32 v11, s37, v10
	v_xor_b32_e32 v10, s36, v10
	v_and_b32_e32 v8, v8, v11
	v_and_b32_e32 v45, v45, v10
	v_lshlrev_b32_e32 v11, 25, v43
	v_mov_b32_e32 v10, v9
	v_cmp_gt_i64_e64 s[36:37], 0, v[10:11]
	v_not_b32_e32 v10, v11
	v_ashrrev_i32_e32 v10, 31, v10
	v_xor_b32_e32 v11, s37, v10
	v_xor_b32_e32 v10, s36, v10
	v_and_b32_e32 v8, v8, v11
	v_lshlrev_b32_e32 v11, 24, v43
	v_and_b32_e32 v45, v45, v10
	v_mov_b32_e32 v10, v9
	v_not_b32_e32 v9, v11
	v_cmp_gt_i64_e64 s[36:37], 0, v[10:11]
	v_ashrrev_i32_e32 v9, 31, v9
	ds_read_b32 v42, v46 offset:64
	v_xor_b32_e32 v10, s37, v9
	v_xor_b32_e32 v11, s36, v9
	v_and_b32_e32 v9, v8, v10
	v_and_b32_e32 v8, v45, v11
	v_mbcnt_lo_u32_b32 v10, v8, 0
	v_mbcnt_hi_u32_b32 v43, v9, v10
	v_cmp_eq_u32_e64 s[36:37], 0, v43
	v_cmp_ne_u64_e64 s[38:39], 0, v[8:9]
	s_and_b64 s[38:39], s[38:39], s[36:37]
	; wave barrier
	s_and_saveexec_b64 s[36:37], s[38:39]
	s_cbranch_execz .LBB1009_49
; %bb.48:
	v_bcnt_u32_b32 v8, v8, 0
	v_bcnt_u32_b32 v8, v9, v8
	s_waitcnt lgkmcnt(0)
	v_add_u32_e32 v8, v42, v8
	ds_write_b32 v46, v8 offset:64
.LBB1009_49:
	s_or_b64 exec, exec, s[36:37]
	v_lshrrev_b32_e32 v8, s64, v19
	v_and_b32_e32 v47, s71, v8
	v_mul_lo_u32 v8, v47, s40
	v_lshl_add_u32 v49, v39, 2, v8
	v_and_b32_e32 v8, 1, v47
	v_mov_b32_e32 v9, 0
	v_lshl_add_u64 v[10:11], v[8:9], 0, -1
	v_cmp_ne_u32_e64 s[36:37], 0, v8
	; wave barrier
	s_nop 1
	v_xor_b32_e32 v10, s36, v10
	v_xor_b32_e32 v8, s37, v11
	v_and_b32_e32 v48, exec_lo, v10
	v_lshlrev_b32_e32 v11, 30, v47
	v_mov_b32_e32 v10, v9
	v_cmp_gt_i64_e64 s[36:37], 0, v[10:11]
	v_not_b32_e32 v10, v11
	v_ashrrev_i32_e32 v10, 31, v10
	v_and_b32_e32 v8, exec_hi, v8
	v_xor_b32_e32 v11, s37, v10
	v_xor_b32_e32 v10, s36, v10
	v_and_b32_e32 v8, v8, v11
	v_and_b32_e32 v48, v48, v10
	v_lshlrev_b32_e32 v11, 29, v47
	v_mov_b32_e32 v10, v9
	v_cmp_gt_i64_e64 s[36:37], 0, v[10:11]
	v_not_b32_e32 v10, v11
	v_ashrrev_i32_e32 v10, 31, v10
	v_xor_b32_e32 v11, s37, v10
	v_xor_b32_e32 v10, s36, v10
	v_and_b32_e32 v8, v8, v11
	v_and_b32_e32 v48, v48, v10
	v_lshlrev_b32_e32 v11, 28, v47
	v_mov_b32_e32 v10, v9
	v_cmp_gt_i64_e64 s[36:37], 0, v[10:11]
	v_not_b32_e32 v10, v11
	v_ashrrev_i32_e32 v10, 31, v10
	v_xor_b32_e32 v11, s37, v10
	v_xor_b32_e32 v10, s36, v10
	v_and_b32_e32 v8, v8, v11
	v_and_b32_e32 v48, v48, v10
	v_lshlrev_b32_e32 v11, 27, v47
	v_mov_b32_e32 v10, v9
	v_cmp_gt_i64_e64 s[36:37], 0, v[10:11]
	v_not_b32_e32 v10, v11
	v_ashrrev_i32_e32 v10, 31, v10
	v_xor_b32_e32 v11, s37, v10
	v_xor_b32_e32 v10, s36, v10
	v_and_b32_e32 v8, v8, v11
	v_and_b32_e32 v48, v48, v10
	v_lshlrev_b32_e32 v11, 26, v47
	v_mov_b32_e32 v10, v9
	v_cmp_gt_i64_e64 s[36:37], 0, v[10:11]
	v_not_b32_e32 v10, v11
	v_ashrrev_i32_e32 v10, 31, v10
	v_xor_b32_e32 v11, s37, v10
	v_xor_b32_e32 v10, s36, v10
	v_and_b32_e32 v8, v8, v11
	v_and_b32_e32 v48, v48, v10
	v_lshlrev_b32_e32 v11, 25, v47
	v_mov_b32_e32 v10, v9
	v_cmp_gt_i64_e64 s[36:37], 0, v[10:11]
	v_not_b32_e32 v10, v11
	v_ashrrev_i32_e32 v10, 31, v10
	v_xor_b32_e32 v11, s37, v10
	v_xor_b32_e32 v10, s36, v10
	v_and_b32_e32 v8, v8, v11
	v_and_b32_e32 v48, v48, v10
	v_lshlrev_b32_e32 v11, 24, v47
	v_mov_b32_e32 v10, v9
	v_cmp_gt_i64_e64 s[36:37], 0, v[10:11]
	v_not_b32_e32 v10, v11
	v_ashrrev_i32_e32 v10, 31, v10
	v_xor_b32_e32 v11, s37, v10
	v_xor_b32_e32 v10, s36, v10
	ds_read_b32 v45, v49 offset:64
	v_and_b32_e32 v10, v48, v10
	v_and_b32_e32 v11, v8, v11
	v_mbcnt_lo_u32_b32 v8, v10, 0
	v_mbcnt_hi_u32_b32 v47, v11, v8
	v_cmp_eq_u32_e64 s[36:37], 0, v47
	v_cmp_ne_u64_e64 s[38:39], 0, v[10:11]
	s_and_b64 s[38:39], s[38:39], s[36:37]
	; wave barrier
	s_and_saveexec_b64 s[36:37], s[38:39]
	s_cbranch_execz .LBB1009_51
; %bb.50:
	v_bcnt_u32_b32 v8, v10, 0
	v_bcnt_u32_b32 v8, v11, v8
	s_waitcnt lgkmcnt(0)
	v_add_u32_e32 v8, v45, v8
	ds_write_b32 v49, v8 offset:64
.LBB1009_51:
	s_or_b64 exec, exec, s[36:37]
	v_lshrrev_b32_e32 v8, s64, v18
	v_and_b32_e32 v50, s71, v8
	v_mul_lo_u32 v8, v50, s40
	v_lshl_add_u32 v52, v39, 2, v8
	v_and_b32_e32 v8, 1, v50
	v_lshl_add_u64 v[10:11], v[8:9], 0, -1
	v_cmp_ne_u32_e64 s[36:37], 0, v8
	; wave barrier
	s_nop 1
	v_xor_b32_e32 v10, s36, v10
	v_xor_b32_e32 v8, s37, v11
	v_and_b32_e32 v51, exec_lo, v10
	v_lshlrev_b32_e32 v11, 30, v50
	v_mov_b32_e32 v10, v9
	v_cmp_gt_i64_e64 s[36:37], 0, v[10:11]
	v_not_b32_e32 v10, v11
	v_ashrrev_i32_e32 v10, 31, v10
	v_and_b32_e32 v8, exec_hi, v8
	v_xor_b32_e32 v11, s37, v10
	v_xor_b32_e32 v10, s36, v10
	v_and_b32_e32 v8, v8, v11
	v_and_b32_e32 v51, v51, v10
	v_lshlrev_b32_e32 v11, 29, v50
	v_mov_b32_e32 v10, v9
	v_cmp_gt_i64_e64 s[36:37], 0, v[10:11]
	v_not_b32_e32 v10, v11
	v_ashrrev_i32_e32 v10, 31, v10
	v_xor_b32_e32 v11, s37, v10
	v_xor_b32_e32 v10, s36, v10
	v_and_b32_e32 v8, v8, v11
	v_and_b32_e32 v51, v51, v10
	v_lshlrev_b32_e32 v11, 28, v50
	v_mov_b32_e32 v10, v9
	v_cmp_gt_i64_e64 s[36:37], 0, v[10:11]
	v_not_b32_e32 v10, v11
	v_ashrrev_i32_e32 v10, 31, v10
	;; [unrolled: 9-line block ×5, first 2 shown]
	v_xor_b32_e32 v11, s37, v10
	v_xor_b32_e32 v10, s36, v10
	v_and_b32_e32 v8, v8, v11
	v_lshlrev_b32_e32 v11, 24, v50
	v_and_b32_e32 v51, v51, v10
	v_mov_b32_e32 v10, v9
	v_not_b32_e32 v9, v11
	v_cmp_gt_i64_e64 s[36:37], 0, v[10:11]
	v_ashrrev_i32_e32 v9, 31, v9
	ds_read_b32 v48, v52 offset:64
	v_xor_b32_e32 v10, s37, v9
	v_xor_b32_e32 v11, s36, v9
	v_and_b32_e32 v9, v8, v10
	v_and_b32_e32 v8, v51, v11
	v_mbcnt_lo_u32_b32 v10, v8, 0
	v_mbcnt_hi_u32_b32 v50, v9, v10
	v_cmp_eq_u32_e64 s[36:37], 0, v50
	v_cmp_ne_u64_e64 s[38:39], 0, v[8:9]
	s_and_b64 s[38:39], s[38:39], s[36:37]
	; wave barrier
	s_and_saveexec_b64 s[36:37], s[38:39]
	s_cbranch_execz .LBB1009_53
; %bb.52:
	v_bcnt_u32_b32 v8, v8, 0
	v_bcnt_u32_b32 v8, v9, v8
	s_waitcnt lgkmcnt(0)
	v_add_u32_e32 v8, v48, v8
	ds_write_b32 v52, v8 offset:64
.LBB1009_53:
	s_or_b64 exec, exec, s[36:37]
	v_lshrrev_b32_e32 v8, s64, v21
	v_and_b32_e32 v53, s71, v8
	v_mul_lo_u32 v8, v53, s40
	v_lshl_add_u32 v55, v39, 2, v8
	v_and_b32_e32 v8, 1, v53
	v_mov_b32_e32 v9, 0
	v_lshl_add_u64 v[10:11], v[8:9], 0, -1
	v_cmp_ne_u32_e64 s[36:37], 0, v8
	; wave barrier
	s_nop 1
	v_xor_b32_e32 v10, s36, v10
	v_xor_b32_e32 v8, s37, v11
	v_and_b32_e32 v54, exec_lo, v10
	v_lshlrev_b32_e32 v11, 30, v53
	v_mov_b32_e32 v10, v9
	v_cmp_gt_i64_e64 s[36:37], 0, v[10:11]
	v_not_b32_e32 v10, v11
	v_ashrrev_i32_e32 v10, 31, v10
	v_and_b32_e32 v8, exec_hi, v8
	v_xor_b32_e32 v11, s37, v10
	v_xor_b32_e32 v10, s36, v10
	v_and_b32_e32 v8, v8, v11
	v_and_b32_e32 v54, v54, v10
	v_lshlrev_b32_e32 v11, 29, v53
	v_mov_b32_e32 v10, v9
	v_cmp_gt_i64_e64 s[36:37], 0, v[10:11]
	v_not_b32_e32 v10, v11
	v_ashrrev_i32_e32 v10, 31, v10
	v_xor_b32_e32 v11, s37, v10
	v_xor_b32_e32 v10, s36, v10
	v_and_b32_e32 v8, v8, v11
	v_and_b32_e32 v54, v54, v10
	v_lshlrev_b32_e32 v11, 28, v53
	v_mov_b32_e32 v10, v9
	v_cmp_gt_i64_e64 s[36:37], 0, v[10:11]
	v_not_b32_e32 v10, v11
	v_ashrrev_i32_e32 v10, 31, v10
	;; [unrolled: 9-line block ×6, first 2 shown]
	v_xor_b32_e32 v11, s37, v10
	v_xor_b32_e32 v10, s36, v10
	ds_read_b32 v51, v55 offset:64
	v_and_b32_e32 v10, v54, v10
	v_and_b32_e32 v11, v8, v11
	v_mbcnt_lo_u32_b32 v8, v10, 0
	v_mbcnt_hi_u32_b32 v53, v11, v8
	v_cmp_eq_u32_e64 s[36:37], 0, v53
	v_cmp_ne_u64_e64 s[38:39], 0, v[10:11]
	s_and_b64 s[38:39], s[38:39], s[36:37]
	; wave barrier
	s_and_saveexec_b64 s[36:37], s[38:39]
	s_cbranch_execz .LBB1009_55
; %bb.54:
	v_bcnt_u32_b32 v8, v10, 0
	v_bcnt_u32_b32 v8, v11, v8
	s_waitcnt lgkmcnt(0)
	v_add_u32_e32 v8, v51, v8
	ds_write_b32 v55, v8 offset:64
.LBB1009_55:
	s_or_b64 exec, exec, s[36:37]
	v_lshrrev_b32_e32 v8, s64, v20
	v_and_b32_e32 v56, s71, v8
	v_mul_lo_u32 v8, v56, s40
	v_lshl_add_u32 v58, v39, 2, v8
	v_and_b32_e32 v8, 1, v56
	v_lshl_add_u64 v[10:11], v[8:9], 0, -1
	v_cmp_ne_u32_e64 s[36:37], 0, v8
	; wave barrier
	s_nop 1
	v_xor_b32_e32 v10, s36, v10
	v_xor_b32_e32 v8, s37, v11
	v_and_b32_e32 v57, exec_lo, v10
	v_lshlrev_b32_e32 v11, 30, v56
	v_mov_b32_e32 v10, v9
	v_cmp_gt_i64_e64 s[36:37], 0, v[10:11]
	v_not_b32_e32 v10, v11
	v_ashrrev_i32_e32 v10, 31, v10
	v_and_b32_e32 v8, exec_hi, v8
	v_xor_b32_e32 v11, s37, v10
	v_xor_b32_e32 v10, s36, v10
	v_and_b32_e32 v8, v8, v11
	v_and_b32_e32 v57, v57, v10
	v_lshlrev_b32_e32 v11, 29, v56
	v_mov_b32_e32 v10, v9
	v_cmp_gt_i64_e64 s[36:37], 0, v[10:11]
	v_not_b32_e32 v10, v11
	v_ashrrev_i32_e32 v10, 31, v10
	v_xor_b32_e32 v11, s37, v10
	v_xor_b32_e32 v10, s36, v10
	v_and_b32_e32 v8, v8, v11
	v_and_b32_e32 v57, v57, v10
	v_lshlrev_b32_e32 v11, 28, v56
	v_mov_b32_e32 v10, v9
	v_cmp_gt_i64_e64 s[36:37], 0, v[10:11]
	v_not_b32_e32 v10, v11
	v_ashrrev_i32_e32 v10, 31, v10
	;; [unrolled: 9-line block ×5, first 2 shown]
	v_xor_b32_e32 v11, s37, v10
	v_xor_b32_e32 v10, s36, v10
	v_and_b32_e32 v8, v8, v11
	v_lshlrev_b32_e32 v11, 24, v56
	v_and_b32_e32 v57, v57, v10
	v_mov_b32_e32 v10, v9
	v_not_b32_e32 v9, v11
	v_cmp_gt_i64_e64 s[36:37], 0, v[10:11]
	v_ashrrev_i32_e32 v9, 31, v9
	ds_read_b32 v54, v58 offset:64
	v_xor_b32_e32 v10, s37, v9
	v_xor_b32_e32 v11, s36, v9
	v_and_b32_e32 v9, v8, v10
	v_and_b32_e32 v8, v57, v11
	v_mbcnt_lo_u32_b32 v10, v8, 0
	v_mbcnt_hi_u32_b32 v56, v9, v10
	v_cmp_eq_u32_e64 s[36:37], 0, v56
	v_cmp_ne_u64_e64 s[38:39], 0, v[8:9]
	s_and_b64 s[38:39], s[38:39], s[36:37]
	; wave barrier
	s_and_saveexec_b64 s[36:37], s[38:39]
	s_cbranch_execz .LBB1009_57
; %bb.56:
	v_bcnt_u32_b32 v8, v8, 0
	v_bcnt_u32_b32 v8, v9, v8
	s_waitcnt lgkmcnt(0)
	v_add_u32_e32 v8, v54, v8
	ds_write_b32 v58, v8 offset:64
.LBB1009_57:
	s_or_b64 exec, exec, s[36:37]
	v_lshrrev_b32_e32 v8, s64, v23
	v_and_b32_e32 v59, s71, v8
	v_mul_lo_u32 v8, v59, s40
	v_lshl_add_u32 v61, v39, 2, v8
	v_and_b32_e32 v8, 1, v59
	v_mov_b32_e32 v9, 0
	v_lshl_add_u64 v[10:11], v[8:9], 0, -1
	v_cmp_ne_u32_e64 s[36:37], 0, v8
	; wave barrier
	s_nop 1
	v_xor_b32_e32 v10, s36, v10
	v_xor_b32_e32 v8, s37, v11
	v_and_b32_e32 v60, exec_lo, v10
	v_lshlrev_b32_e32 v11, 30, v59
	v_mov_b32_e32 v10, v9
	v_cmp_gt_i64_e64 s[36:37], 0, v[10:11]
	v_not_b32_e32 v10, v11
	v_ashrrev_i32_e32 v10, 31, v10
	v_and_b32_e32 v8, exec_hi, v8
	v_xor_b32_e32 v11, s37, v10
	v_xor_b32_e32 v10, s36, v10
	v_and_b32_e32 v8, v8, v11
	v_and_b32_e32 v60, v60, v10
	v_lshlrev_b32_e32 v11, 29, v59
	v_mov_b32_e32 v10, v9
	v_cmp_gt_i64_e64 s[36:37], 0, v[10:11]
	v_not_b32_e32 v10, v11
	v_ashrrev_i32_e32 v10, 31, v10
	v_xor_b32_e32 v11, s37, v10
	v_xor_b32_e32 v10, s36, v10
	v_and_b32_e32 v8, v8, v11
	v_and_b32_e32 v60, v60, v10
	v_lshlrev_b32_e32 v11, 28, v59
	v_mov_b32_e32 v10, v9
	v_cmp_gt_i64_e64 s[36:37], 0, v[10:11]
	v_not_b32_e32 v10, v11
	v_ashrrev_i32_e32 v10, 31, v10
	;; [unrolled: 9-line block ×6, first 2 shown]
	v_xor_b32_e32 v11, s37, v10
	v_xor_b32_e32 v10, s36, v10
	ds_read_b32 v57, v61 offset:64
	v_and_b32_e32 v10, v60, v10
	v_and_b32_e32 v11, v8, v11
	v_mbcnt_lo_u32_b32 v8, v10, 0
	v_mbcnt_hi_u32_b32 v59, v11, v8
	v_cmp_eq_u32_e64 s[36:37], 0, v59
	v_cmp_ne_u64_e64 s[38:39], 0, v[10:11]
	s_and_b64 s[38:39], s[38:39], s[36:37]
	; wave barrier
	s_and_saveexec_b64 s[36:37], s[38:39]
	s_cbranch_execz .LBB1009_59
; %bb.58:
	v_bcnt_u32_b32 v8, v10, 0
	v_bcnt_u32_b32 v8, v11, v8
	s_waitcnt lgkmcnt(0)
	v_add_u32_e32 v8, v57, v8
	ds_write_b32 v61, v8 offset:64
.LBB1009_59:
	s_or_b64 exec, exec, s[36:37]
	v_lshrrev_b32_e32 v8, s64, v22
	v_and_b32_e32 v62, s71, v8
	v_mul_lo_u32 v8, v62, s40
	v_lshl_add_u32 v64, v39, 2, v8
	v_and_b32_e32 v8, 1, v62
	v_lshl_add_u64 v[10:11], v[8:9], 0, -1
	v_cmp_ne_u32_e64 s[36:37], 0, v8
	; wave barrier
	s_nop 1
	v_xor_b32_e32 v10, s36, v10
	v_xor_b32_e32 v8, s37, v11
	v_and_b32_e32 v63, exec_lo, v10
	v_lshlrev_b32_e32 v11, 30, v62
	v_mov_b32_e32 v10, v9
	v_cmp_gt_i64_e64 s[36:37], 0, v[10:11]
	v_not_b32_e32 v10, v11
	v_ashrrev_i32_e32 v10, 31, v10
	v_and_b32_e32 v8, exec_hi, v8
	v_xor_b32_e32 v11, s37, v10
	v_xor_b32_e32 v10, s36, v10
	v_and_b32_e32 v8, v8, v11
	v_and_b32_e32 v63, v63, v10
	v_lshlrev_b32_e32 v11, 29, v62
	v_mov_b32_e32 v10, v9
	v_cmp_gt_i64_e64 s[36:37], 0, v[10:11]
	v_not_b32_e32 v10, v11
	v_ashrrev_i32_e32 v10, 31, v10
	v_xor_b32_e32 v11, s37, v10
	v_xor_b32_e32 v10, s36, v10
	v_and_b32_e32 v8, v8, v11
	v_and_b32_e32 v63, v63, v10
	v_lshlrev_b32_e32 v11, 28, v62
	v_mov_b32_e32 v10, v9
	v_cmp_gt_i64_e64 s[36:37], 0, v[10:11]
	v_not_b32_e32 v10, v11
	v_ashrrev_i32_e32 v10, 31, v10
	;; [unrolled: 9-line block ×5, first 2 shown]
	v_xor_b32_e32 v11, s37, v10
	v_xor_b32_e32 v10, s36, v10
	v_and_b32_e32 v8, v8, v11
	v_lshlrev_b32_e32 v11, 24, v62
	v_and_b32_e32 v63, v63, v10
	v_mov_b32_e32 v10, v9
	v_not_b32_e32 v9, v11
	v_cmp_gt_i64_e64 s[36:37], 0, v[10:11]
	v_ashrrev_i32_e32 v9, 31, v9
	ds_read_b32 v60, v64 offset:64
	v_xor_b32_e32 v10, s37, v9
	v_xor_b32_e32 v11, s36, v9
	v_and_b32_e32 v9, v8, v10
	v_and_b32_e32 v8, v63, v11
	v_mbcnt_lo_u32_b32 v10, v8, 0
	v_mbcnt_hi_u32_b32 v62, v9, v10
	v_cmp_eq_u32_e64 s[36:37], 0, v62
	v_cmp_ne_u64_e64 s[38:39], 0, v[8:9]
	s_and_b64 s[38:39], s[38:39], s[36:37]
	; wave barrier
	s_and_saveexec_b64 s[36:37], s[38:39]
	s_cbranch_execz .LBB1009_61
; %bb.60:
	v_bcnt_u32_b32 v8, v8, 0
	v_bcnt_u32_b32 v8, v9, v8
	s_waitcnt lgkmcnt(0)
	v_add_u32_e32 v8, v60, v8
	ds_write_b32 v64, v8 offset:64
.LBB1009_61:
	s_or_b64 exec, exec, s[36:37]
	v_lshrrev_b32_e32 v8, s64, v25
	v_and_b32_e32 v65, s71, v8
	v_mul_lo_u32 v8, v65, s40
	v_lshl_add_u32 v67, v39, 2, v8
	v_and_b32_e32 v8, 1, v65
	v_mov_b32_e32 v9, 0
	v_lshl_add_u64 v[10:11], v[8:9], 0, -1
	v_cmp_ne_u32_e64 s[36:37], 0, v8
	; wave barrier
	s_nop 1
	v_xor_b32_e32 v10, s36, v10
	v_xor_b32_e32 v8, s37, v11
	v_and_b32_e32 v66, exec_lo, v10
	v_lshlrev_b32_e32 v11, 30, v65
	v_mov_b32_e32 v10, v9
	v_cmp_gt_i64_e64 s[36:37], 0, v[10:11]
	v_not_b32_e32 v10, v11
	v_ashrrev_i32_e32 v10, 31, v10
	v_and_b32_e32 v8, exec_hi, v8
	v_xor_b32_e32 v11, s37, v10
	v_xor_b32_e32 v10, s36, v10
	v_and_b32_e32 v8, v8, v11
	v_and_b32_e32 v66, v66, v10
	v_lshlrev_b32_e32 v11, 29, v65
	v_mov_b32_e32 v10, v9
	v_cmp_gt_i64_e64 s[36:37], 0, v[10:11]
	v_not_b32_e32 v10, v11
	v_ashrrev_i32_e32 v10, 31, v10
	v_xor_b32_e32 v11, s37, v10
	v_xor_b32_e32 v10, s36, v10
	v_and_b32_e32 v8, v8, v11
	v_and_b32_e32 v66, v66, v10
	v_lshlrev_b32_e32 v11, 28, v65
	v_mov_b32_e32 v10, v9
	v_cmp_gt_i64_e64 s[36:37], 0, v[10:11]
	v_not_b32_e32 v10, v11
	v_ashrrev_i32_e32 v10, 31, v10
	;; [unrolled: 9-line block ×6, first 2 shown]
	v_xor_b32_e32 v11, s37, v10
	v_xor_b32_e32 v10, s36, v10
	ds_read_b32 v63, v67 offset:64
	v_and_b32_e32 v10, v66, v10
	v_and_b32_e32 v11, v8, v11
	v_mbcnt_lo_u32_b32 v8, v10, 0
	v_mbcnt_hi_u32_b32 v65, v11, v8
	v_cmp_eq_u32_e64 s[36:37], 0, v65
	v_cmp_ne_u64_e64 s[38:39], 0, v[10:11]
	s_and_b64 s[38:39], s[38:39], s[36:37]
	; wave barrier
	s_and_saveexec_b64 s[36:37], s[38:39]
	s_cbranch_execz .LBB1009_63
; %bb.62:
	v_bcnt_u32_b32 v8, v10, 0
	v_bcnt_u32_b32 v8, v11, v8
	s_waitcnt lgkmcnt(0)
	v_add_u32_e32 v8, v63, v8
	ds_write_b32 v67, v8 offset:64
.LBB1009_63:
	s_or_b64 exec, exec, s[36:37]
	v_lshrrev_b32_e32 v8, s64, v24
	v_and_b32_e32 v68, s71, v8
	v_mul_lo_u32 v8, v68, s40
	v_lshl_add_u32 v70, v39, 2, v8
	v_and_b32_e32 v8, 1, v68
	v_lshl_add_u64 v[10:11], v[8:9], 0, -1
	v_cmp_ne_u32_e64 s[36:37], 0, v8
	; wave barrier
	s_nop 1
	v_xor_b32_e32 v10, s36, v10
	v_xor_b32_e32 v8, s37, v11
	v_and_b32_e32 v69, exec_lo, v10
	v_lshlrev_b32_e32 v11, 30, v68
	v_mov_b32_e32 v10, v9
	v_cmp_gt_i64_e64 s[36:37], 0, v[10:11]
	v_not_b32_e32 v10, v11
	v_ashrrev_i32_e32 v10, 31, v10
	v_and_b32_e32 v8, exec_hi, v8
	v_xor_b32_e32 v11, s37, v10
	v_xor_b32_e32 v10, s36, v10
	v_and_b32_e32 v8, v8, v11
	v_and_b32_e32 v69, v69, v10
	v_lshlrev_b32_e32 v11, 29, v68
	v_mov_b32_e32 v10, v9
	v_cmp_gt_i64_e64 s[36:37], 0, v[10:11]
	v_not_b32_e32 v10, v11
	v_ashrrev_i32_e32 v10, 31, v10
	v_xor_b32_e32 v11, s37, v10
	v_xor_b32_e32 v10, s36, v10
	v_and_b32_e32 v8, v8, v11
	v_and_b32_e32 v69, v69, v10
	v_lshlrev_b32_e32 v11, 28, v68
	v_mov_b32_e32 v10, v9
	v_cmp_gt_i64_e64 s[36:37], 0, v[10:11]
	v_not_b32_e32 v10, v11
	v_ashrrev_i32_e32 v10, 31, v10
	;; [unrolled: 9-line block ×5, first 2 shown]
	v_xor_b32_e32 v11, s37, v10
	v_xor_b32_e32 v10, s36, v10
	v_and_b32_e32 v8, v8, v11
	v_lshlrev_b32_e32 v11, 24, v68
	v_and_b32_e32 v69, v69, v10
	v_mov_b32_e32 v10, v9
	v_not_b32_e32 v9, v11
	v_cmp_gt_i64_e64 s[36:37], 0, v[10:11]
	v_ashrrev_i32_e32 v9, 31, v9
	ds_read_b32 v66, v70 offset:64
	v_xor_b32_e32 v10, s37, v9
	v_xor_b32_e32 v11, s36, v9
	v_and_b32_e32 v9, v8, v10
	v_and_b32_e32 v8, v69, v11
	v_mbcnt_lo_u32_b32 v10, v8, 0
	v_mbcnt_hi_u32_b32 v68, v9, v10
	v_cmp_eq_u32_e64 s[36:37], 0, v68
	v_cmp_ne_u64_e64 s[38:39], 0, v[8:9]
	s_and_b64 s[38:39], s[38:39], s[36:37]
	; wave barrier
	s_and_saveexec_b64 s[36:37], s[38:39]
	s_cbranch_execz .LBB1009_65
; %bb.64:
	v_bcnt_u32_b32 v8, v8, 0
	v_bcnt_u32_b32 v8, v9, v8
	s_waitcnt lgkmcnt(0)
	v_add_u32_e32 v8, v66, v8
	ds_write_b32 v70, v8 offset:64
.LBB1009_65:
	s_or_b64 exec, exec, s[36:37]
	v_lshrrev_b32_e32 v8, s64, v27
	v_and_b32_e32 v71, s71, v8
	v_mul_lo_u32 v8, v71, s40
	v_lshl_add_u32 v72, v39, 2, v8
	v_and_b32_e32 v8, 1, v71
	v_mov_b32_e32 v9, 0
	v_lshl_add_u64 v[10:11], v[8:9], 0, -1
	v_cmp_ne_u32_e64 s[36:37], 0, v8
	; wave barrier
	s_nop 1
	v_xor_b32_e32 v10, s36, v10
	v_xor_b32_e32 v8, s37, v11
	v_and_b32_e32 v73, exec_lo, v10
	v_lshlrev_b32_e32 v11, 30, v71
	v_mov_b32_e32 v10, v9
	v_cmp_gt_i64_e64 s[36:37], 0, v[10:11]
	v_not_b32_e32 v10, v11
	v_ashrrev_i32_e32 v10, 31, v10
	v_and_b32_e32 v8, exec_hi, v8
	v_xor_b32_e32 v11, s37, v10
	v_xor_b32_e32 v10, s36, v10
	v_and_b32_e32 v8, v8, v11
	v_and_b32_e32 v73, v73, v10
	v_lshlrev_b32_e32 v11, 29, v71
	v_mov_b32_e32 v10, v9
	v_cmp_gt_i64_e64 s[36:37], 0, v[10:11]
	v_not_b32_e32 v10, v11
	v_ashrrev_i32_e32 v10, 31, v10
	v_xor_b32_e32 v11, s37, v10
	v_xor_b32_e32 v10, s36, v10
	v_and_b32_e32 v8, v8, v11
	v_and_b32_e32 v73, v73, v10
	v_lshlrev_b32_e32 v11, 28, v71
	v_mov_b32_e32 v10, v9
	v_cmp_gt_i64_e64 s[36:37], 0, v[10:11]
	v_not_b32_e32 v10, v11
	v_ashrrev_i32_e32 v10, 31, v10
	;; [unrolled: 9-line block ×6, first 2 shown]
	v_xor_b32_e32 v11, s37, v10
	v_xor_b32_e32 v10, s36, v10
	ds_read_b32 v69, v72 offset:64
	v_and_b32_e32 v10, v73, v10
	v_and_b32_e32 v11, v8, v11
	v_mbcnt_lo_u32_b32 v8, v10, 0
	v_mbcnt_hi_u32_b32 v71, v11, v8
	v_cmp_eq_u32_e64 s[36:37], 0, v71
	v_cmp_ne_u64_e64 s[38:39], 0, v[10:11]
	s_and_b64 s[38:39], s[38:39], s[36:37]
	; wave barrier
	s_and_saveexec_b64 s[36:37], s[38:39]
	s_cbranch_execz .LBB1009_67
; %bb.66:
	v_bcnt_u32_b32 v8, v10, 0
	v_bcnt_u32_b32 v8, v11, v8
	s_waitcnt lgkmcnt(0)
	v_add_u32_e32 v8, v69, v8
	ds_write_b32 v72, v8 offset:64
.LBB1009_67:
	s_or_b64 exec, exec, s[36:37]
	v_lshrrev_b32_e32 v8, s64, v26
	v_and_b32_e32 v73, s71, v8
	v_mul_lo_u32 v8, v73, s40
	v_lshl_add_u32 v74, v39, 2, v8
	v_and_b32_e32 v8, 1, v73
	v_lshl_add_u64 v[10:11], v[8:9], 0, -1
	v_cmp_ne_u32_e64 s[36:37], 0, v8
	; wave barrier
	s_nop 1
	v_xor_b32_e32 v10, s36, v10
	v_xor_b32_e32 v8, s37, v11
	v_and_b32_e32 v75, exec_lo, v10
	v_lshlrev_b32_e32 v11, 30, v73
	v_mov_b32_e32 v10, v9
	v_cmp_gt_i64_e64 s[36:37], 0, v[10:11]
	v_not_b32_e32 v10, v11
	v_ashrrev_i32_e32 v10, 31, v10
	v_and_b32_e32 v8, exec_hi, v8
	v_xor_b32_e32 v11, s37, v10
	v_xor_b32_e32 v10, s36, v10
	v_and_b32_e32 v8, v8, v11
	v_and_b32_e32 v75, v75, v10
	v_lshlrev_b32_e32 v11, 29, v73
	v_mov_b32_e32 v10, v9
	v_cmp_gt_i64_e64 s[36:37], 0, v[10:11]
	v_not_b32_e32 v10, v11
	v_ashrrev_i32_e32 v10, 31, v10
	v_xor_b32_e32 v11, s37, v10
	v_xor_b32_e32 v10, s36, v10
	v_and_b32_e32 v8, v8, v11
	v_and_b32_e32 v75, v75, v10
	v_lshlrev_b32_e32 v11, 28, v73
	v_mov_b32_e32 v10, v9
	v_cmp_gt_i64_e64 s[36:37], 0, v[10:11]
	v_not_b32_e32 v10, v11
	v_ashrrev_i32_e32 v10, 31, v10
	;; [unrolled: 9-line block ×5, first 2 shown]
	v_xor_b32_e32 v11, s37, v10
	v_xor_b32_e32 v10, s36, v10
	v_and_b32_e32 v8, v8, v11
	v_lshlrev_b32_e32 v11, 24, v73
	v_and_b32_e32 v75, v75, v10
	v_mov_b32_e32 v10, v9
	v_not_b32_e32 v9, v11
	v_cmp_gt_i64_e64 s[36:37], 0, v[10:11]
	v_ashrrev_i32_e32 v9, 31, v9
	ds_read_b32 v39, v74 offset:64
	v_xor_b32_e32 v10, s37, v9
	v_xor_b32_e32 v11, s36, v9
	v_and_b32_e32 v9, v8, v10
	v_and_b32_e32 v8, v75, v11
	v_mbcnt_lo_u32_b32 v10, v8, 0
	v_mbcnt_hi_u32_b32 v73, v9, v10
	v_cmp_eq_u32_e64 s[36:37], 0, v73
	v_cmp_ne_u64_e64 s[38:39], 0, v[8:9]
	s_and_b64 s[38:39], s[38:39], s[36:37]
	; wave barrier
	s_and_saveexec_b64 s[36:37], s[38:39]
	s_cbranch_execz .LBB1009_69
; %bb.68:
	v_bcnt_u32_b32 v8, v8, 0
	v_bcnt_u32_b32 v8, v9, v8
	s_waitcnt lgkmcnt(0)
	v_add_u32_e32 v8, v39, v8
	ds_write_b32 v74, v8 offset:64
.LBB1009_69:
	s_or_b64 exec, exec, s[36:37]
	; wave barrier
	s_waitcnt lgkmcnt(0)
	s_barrier
	ds_read2_b32 v[10:11], v13 offset0:16 offset1:17
	ds_read2_b32 v[8:9], v13 offset0:18 offset1:19
	ds_read_b32 v75, v13 offset:80
	v_cmp_lt_u32_e64 s[46:47], 31, v12
	s_waitcnt lgkmcnt(1)
	v_add3_u32 v76, v11, v10, v8
	s_waitcnt lgkmcnt(0)
	v_add3_u32 v75, v76, v9, v75
	v_and_b32_e32 v76, 15, v12
	v_cmp_eq_u32_e64 s[36:37], 0, v76
	v_mov_b32_dpp v77, v75 row_shr:1 row_mask:0xf bank_mask:0xf
	v_cmp_lt_u32_e64 s[38:39], 1, v76
	v_cndmask_b32_e64 v77, v77, 0, s[36:37]
	v_add_u32_e32 v75, v77, v75
	v_cmp_lt_u32_e64 s[40:41], 3, v76
	v_cmp_lt_u32_e64 s[42:43], 7, v76
	v_mov_b32_dpp v77, v75 row_shr:2 row_mask:0xf bank_mask:0xf
	v_cndmask_b32_e64 v77, 0, v77, s[38:39]
	v_add_u32_e32 v75, v75, v77
	s_nop 1
	v_mov_b32_dpp v77, v75 row_shr:4 row_mask:0xf bank_mask:0xf
	v_cndmask_b32_e64 v77, 0, v77, s[40:41]
	v_add_u32_e32 v75, v75, v77
	s_nop 1
	v_mov_b32_dpp v77, v75 row_shr:8 row_mask:0xf bank_mask:0xf
	v_cndmask_b32_e64 v76, 0, v77, s[42:43]
	v_add_u32_e32 v75, v75, v76
	v_bfe_i32 v77, v12, 4, 1
	s_nop 0
	v_mov_b32_dpp v76, v75 row_bcast:15 row_mask:0xf bank_mask:0xf
	v_and_b32_e32 v76, v77, v76
	v_add_u32_e32 v75, v75, v76
	v_and_b32_e32 v77, 63, v2
	s_nop 0
	v_mov_b32_dpp v76, v75 row_bcast:31 row_mask:0xf bank_mask:0xf
	v_cndmask_b32_e64 v76, 0, v76, s[46:47]
	v_add_u32_e32 v75, v75, v76
	v_lshrrev_b32_e32 v76, 6, v2
	v_cmp_eq_u32_e64 s[46:47], 63, v77
	s_and_saveexec_b64 s[48:49], s[46:47]
; %bb.70:
	v_lshlrev_b32_e32 v77, 2, v76
	ds_write_b32 v77, v75
; %bb.71:
	s_or_b64 exec, exec, s[48:49]
	v_cmp_gt_u32_e64 s[46:47], 16, v2
	s_waitcnt lgkmcnt(0)
	s_barrier
	s_and_saveexec_b64 s[48:49], s[46:47]
	s_cbranch_execz .LBB1009_73
; %bb.72:
	v_lshlrev_b32_e32 v77, 2, v2
	ds_read_b32 v78, v77
	s_waitcnt lgkmcnt(0)
	s_nop 0
	v_mov_b32_dpp v79, v78 row_shr:1 row_mask:0xf bank_mask:0xf
	v_cndmask_b32_e64 v79, v79, 0, s[36:37]
	v_add_u32_e32 v78, v79, v78
	s_nop 1
	v_mov_b32_dpp v79, v78 row_shr:2 row_mask:0xf bank_mask:0xf
	v_cndmask_b32_e64 v79, 0, v79, s[38:39]
	v_add_u32_e32 v78, v78, v79
	s_nop 1
	v_mov_b32_dpp v79, v78 row_shr:4 row_mask:0xf bank_mask:0xf
	v_cndmask_b32_e64 v79, 0, v79, s[40:41]
	v_add_u32_e32 v78, v78, v79
	s_nop 1
	v_mov_b32_dpp v79, v78 row_shr:8 row_mask:0xf bank_mask:0xf
	v_cndmask_b32_e64 v79, 0, v79, s[42:43]
	v_add_u32_e32 v78, v78, v79
	ds_write_b32 v77, v78
.LBB1009_73:
	s_or_b64 exec, exec, s[48:49]
	v_cmp_lt_u32_e64 s[36:37], 63, v2
	v_mov_b32_e32 v77, 0
	s_waitcnt lgkmcnt(0)
	s_barrier
	s_and_saveexec_b64 s[38:39], s[36:37]
; %bb.74:
	v_lshl_add_u32 v76, v76, 2, -4
	ds_read_b32 v77, v76
; %bb.75:
	s_or_b64 exec, exec, s[38:39]
	v_subrev_co_u32_e64 v76, s[36:37], 1, v12
	v_and_b32_e32 v78, 64, v12
	v_cmp_lt_i32_e64 s[38:39], v76, v78
	s_waitcnt lgkmcnt(0)
	v_add_u32_e32 v75, v77, v75
	s_movk_i32 s40, 0x100
	v_cndmask_b32_e64 v12, v76, v12, s[38:39]
	v_lshlrev_b32_e32 v12, 2, v12
	ds_bpermute_b32 v12, v12, v75
	v_cmp_gt_u32_e64 s[38:39], s40, v2
	s_waitcnt lgkmcnt(0)
	v_cndmask_b32_e64 v12, v12, v77, s[36:37]
	v_cndmask_b32_e64 v12, v12, 0, s[44:45]
	v_add_u32_e32 v10, v12, v10
	v_add_u32_e32 v11, v10, v11
	;; [unrolled: 1-line block ×4, first 2 shown]
	ds_write2_b32 v13, v12, v10 offset0:16 offset1:17
	ds_write2_b32 v13, v11, v8 offset0:18 offset1:19
	ds_write_b32 v13, v9 offset:80
	s_waitcnt lgkmcnt(0)
	s_barrier
	ds_read_b32 v84, v32 offset:64
	ds_read_b32 v75, v34 offset:64
	;; [unrolled: 1-line block ×16, first 2 shown]
	s_movk_i32 s36, 0xff
	v_cmp_lt_u32_e64 s[36:37], s36, v2
                                        ; implicit-def: $vgpr32
                                        ; implicit-def: $vgpr34
	s_and_saveexec_b64 s[42:43], s[38:39]
	s_cbranch_execz .LBB1009_79
; %bb.76:
	v_mul_u32_u24_e32 v8, 0x44, v2
	ds_read_b32 v32, v8 offset:64
	v_add_u32_e32 v9, 1, v2
	v_cmp_ne_u32_e64 s[40:41], s40, v9
	v_mov_b32_e32 v8, 0x4000
	s_and_saveexec_b64 s[46:47], s[40:41]
; %bb.77:
	v_mul_u32_u24_e32 v8, 0x44, v9
	ds_read_b32 v8, v8 offset:64
; %bb.78:
	s_or_b64 exec, exec, s[46:47]
	s_waitcnt lgkmcnt(0)
	v_sub_u32_e32 v34, v8, v32
.LBB1009_79:
	s_or_b64 exec, exec, s[42:43]
	v_mov_b32_e32 v9, 0
	v_lshlrev_b32_e32 v37, 2, v2
	s_waitcnt lgkmcnt(0)
	s_barrier
	s_and_saveexec_b64 s[40:41], s[38:39]
	s_cbranch_execz .LBB1009_89
; %bb.80:
	v_lshl_add_u32 v8, s33, 8, v2
	v_lshl_add_u64 v[10:11], v[8:9], 2, s[68:69]
	v_or_b32_e32 v8, 2.0, v34
	s_mov_b64 s[42:43], 0
	s_brev_b32 s50, -4
	s_mov_b32 s51, s33
	v_mov_b32_e32 v55, 0
	global_store_dword v[10:11], v8, off sc1
                                        ; implicit-def: $sgpr38_sgpr39
	s_branch .LBB1009_83
.LBB1009_81:                            ;   in Loop: Header=BB1009_83 Depth=1
	s_or_b64 exec, exec, s[48:49]
.LBB1009_82:                            ;   in Loop: Header=BB1009_83 Depth=1
	s_or_b64 exec, exec, s[46:47]
	v_and_b32_e32 v12, 0x3fffffff, v8
	v_add_u32_e32 v55, v12, v55
	v_cmp_gt_i32_e64 s[38:39], -2.0, v8
	s_and_b64 s[46:47], exec, s[38:39]
	s_or_b64 s[42:43], s[46:47], s[42:43]
	s_andn2_b64 exec, exec, s[42:43]
	s_cbranch_execz .LBB1009_88
.LBB1009_83:                            ; =>This Loop Header: Depth=1
                                        ;     Child Loop BB1009_86 Depth 2
	s_or_b64 s[38:39], s[38:39], exec
	s_cmp_eq_u32 s51, 0
	s_cbranch_scc1 .LBB1009_87
; %bb.84:                               ;   in Loop: Header=BB1009_83 Depth=1
	s_add_i32 s51, s51, -1
	v_lshl_or_b32 v8, s51, 8, v2
	v_lshl_add_u64 v[12:13], v[8:9], 2, s[68:69]
	global_load_dword v8, v[12:13], off sc1
	s_waitcnt vmcnt(0)
	v_cmp_gt_u32_e64 s[38:39], 2.0, v8
	s_and_saveexec_b64 s[46:47], s[38:39]
	s_cbranch_execz .LBB1009_82
; %bb.85:                               ;   in Loop: Header=BB1009_83 Depth=1
	s_mov_b64 s[48:49], 0
.LBB1009_86:                            ;   Parent Loop BB1009_83 Depth=1
                                        ; =>  This Inner Loop Header: Depth=2
	global_load_dword v8, v[12:13], off sc1
	s_waitcnt vmcnt(0)
	v_cmp_lt_u32_e64 s[38:39], s50, v8
	s_or_b64 s[48:49], s[38:39], s[48:49]
	s_andn2_b64 exec, exec, s[48:49]
	s_cbranch_execnz .LBB1009_86
	s_branch .LBB1009_81
.LBB1009_87:                            ;   in Loop: Header=BB1009_83 Depth=1
                                        ; implicit-def: $sgpr51
	s_and_b64 s[46:47], exec, s[38:39]
	s_or_b64 s[42:43], s[46:47], s[42:43]
	s_andn2_b64 exec, exec, s[42:43]
	s_cbranch_execnz .LBB1009_83
.LBB1009_88:
	s_or_b64 exec, exec, s[42:43]
	v_add_u32_e32 v8, v55, v34
	v_or_b32_e32 v8, 0x80000000, v8
	global_store_dword v[10:11], v8, off sc1
	global_load_dword v8, v37, s[60:61]
	v_sub_u32_e32 v9, v55, v32
	s_waitcnt vmcnt(0)
	v_add_u32_e32 v8, v9, v8
	ds_write_b32 v37, v8
.LBB1009_89:
	s_or_b64 exec, exec, s[40:41]
	v_add_u32_e32 v10, v84, v29
	v_add3_u32 v8, v30, v28, v75
	v_add3_u32 v9, v33, v31, v76
	;; [unrolled: 1-line block ×15, first 2 shown]
	v_mov_b32_e32 v88, 0x400
	s_movk_i32 s42, 0x400
	v_lshl_add_u32 v11, v11, 2, v88
	v_add3_u32 v12, v73, v49, v39
	v_lshl_add_u32 v13, v13, 2, v88
	v_add3_u32 v29, v71, v44, v69
	;; [unrolled: 2-line block ×15, first 2 shown]
	v_lshl_add_u32 v30, v10, 2, v88
	s_mov_b32 s43, 0
	s_mov_b32 s46, 0
	s_movk_i32 s47, 0x1000
	v_mov_b32_e32 v9, 0
	s_movk_i32 s48, 0x800
	s_movk_i32 s49, 0xc00
	v_mov_b32_e32 v59, v2
	s_mov_b32 s50, 0
	s_branch .LBB1009_91
.LBB1009_90:                            ;   in Loop: Header=BB1009_91 Depth=1
	s_or_b64 exec, exec, s[40:41]
	s_addk_i32 s50, 0xc000
	s_add_i32 s43, s43, 16
	s_addk_i32 s46, 0xf000
	s_cmp_eq_u32 s50, 0xffff0000
	v_add_u32_e32 v59, 0x1000, v59
	s_barrier
	s_cbranch_scc1 .LBB1009_131
.LBB1009_91:                            ; =>This Inner Loop Header: Depth=1
	v_add_u32_e32 v8, s46, v10
	v_cmp_gt_u32_e64 s[38:39], s47, v8
	s_and_saveexec_b64 s[40:41], s[38:39]
; %bb.92:                               ;   in Loop: Header=BB1009_91 Depth=1
	v_add_u32_e32 v8, s50, v30
	ds_write_b32 v8, v5
; %bb.93:                               ;   in Loop: Header=BB1009_91 Depth=1
	s_or_b64 exec, exec, s[40:41]
	v_add_u32_e32 v8, s46, v28
	v_cmp_gt_u32_e64 s[38:39], s47, v8
	s_and_saveexec_b64 s[40:41], s[38:39]
; %bb.94:                               ;   in Loop: Header=BB1009_91 Depth=1
	v_add_u32_e32 v8, s50, v33
	ds_write_b32 v8, v14
; %bb.95:                               ;   in Loop: Header=BB1009_91 Depth=1
	s_or_b64 exec, exec, s[40:41]
	;; [unrolled: 8-line block ×4, first 2 shown]
	v_add_u32_e32 v8, s46, v38
	v_cmp_gt_u32_e64 s[38:39], s47, v8
	s_and_saveexec_b64 s[40:41], s[38:39]
; %bb.100:                              ;   in Loop: Header=BB1009_91 Depth=1
	v_add_u32_e32 v8, s50, v43
	ds_write_b32 v8, v17
; %bb.101:                              ;   in Loop: Header=BB1009_91 Depth=1
	s_or_b64 exec, exec, s[40:41]
	v_add_u32_e32 v8, s46, v42
	v_cmp_gt_u32_e64 s[38:39], s47, v8
	s_and_saveexec_b64 s[40:41], s[38:39]
; %bb.102:                              ;   in Loop: Header=BB1009_91 Depth=1
	v_add_u32_e32 v8, s50, v47
	ds_write_b32 v8, v16
; %bb.103:                              ;   in Loop: Header=BB1009_91 Depth=1
	s_or_b64 exec, exec, s[40:41]
	;; [unrolled: 8-line block ×12, first 2 shown]
	v_cmp_gt_u32_e64 s[38:39], s3, v59
	s_waitcnt lgkmcnt(0)
	s_barrier
	s_and_saveexec_b64 s[40:41], s[38:39]
	s_cbranch_execz .LBB1009_125
; %bb.124:                              ;   in Loop: Header=BB1009_91 Depth=1
	ds_read_b32 v8, v37 offset:1024
	s_waitcnt lgkmcnt(0)
	v_lshrrev_b32_e32 v60, s64, v8
	v_and_b32_e32 v62, s71, v60
	v_lshlrev_b32_e32 v60, 2, v62
	ds_read_b32 v60, v60
	v_xor_b32_e32 v63, 0x7fffffff, v8
	s_waitcnt lgkmcnt(0)
	v_add_u32_e32 v8, v59, v60
	v_lshl_add_u64 v[60:61], v[8:9], 2, s[54:55]
	global_store_dword v[60:61], v63, off
	scratch_store_dword off, v62, s43
.LBB1009_125:                           ;   in Loop: Header=BB1009_91 Depth=1
	s_or_b64 exec, exec, s[40:41]
	v_add_u32_e32 v8, 0x400, v59
	v_cmp_gt_u32_e64 s[38:39], s3, v8
	s_and_saveexec_b64 s[40:41], s[38:39]
	s_cbranch_execz .LBB1009_127
; %bb.126:                              ;   in Loop: Header=BB1009_91 Depth=1
	ds_read_b32 v8, v37 offset:5120
	s_add_i32 s38, s43, 4
	s_waitcnt lgkmcnt(0)
	v_lshrrev_b32_e32 v60, s64, v8
	v_and_b32_e32 v62, s71, v60
	v_lshlrev_b32_e32 v60, 2, v62
	ds_read_b32 v60, v60
	v_xor_b32_e32 v63, 0x7fffffff, v8
	s_waitcnt lgkmcnt(0)
	v_add3_u32 v8, v59, v60, s42
	v_lshl_add_u64 v[60:61], v[8:9], 2, s[54:55]
	global_store_dword v[60:61], v63, off
	scratch_store_dword off, v62, s38
.LBB1009_127:                           ;   in Loop: Header=BB1009_91 Depth=1
	s_or_b64 exec, exec, s[40:41]
	v_add_u32_e32 v8, 0x800, v59
	v_cmp_gt_u32_e64 s[38:39], s3, v8
	s_and_saveexec_b64 s[40:41], s[38:39]
	s_cbranch_execz .LBB1009_129
; %bb.128:                              ;   in Loop: Header=BB1009_91 Depth=1
	ds_read_b32 v8, v37 offset:9216
	s_add_i32 s38, s43, 8
	s_waitcnt lgkmcnt(0)
	v_lshrrev_b32_e32 v60, s64, v8
	v_and_b32_e32 v62, s71, v60
	v_lshlrev_b32_e32 v60, 2, v62
	ds_read_b32 v60, v60
	v_xor_b32_e32 v63, 0x7fffffff, v8
	s_waitcnt lgkmcnt(0)
	v_add3_u32 v8, v59, v60, s48
	v_lshl_add_u64 v[60:61], v[8:9], 2, s[54:55]
	global_store_dword v[60:61], v63, off
	scratch_store_dword off, v62, s38
.LBB1009_129:                           ;   in Loop: Header=BB1009_91 Depth=1
	s_or_b64 exec, exec, s[40:41]
	v_add_u32_e32 v8, 0xc00, v59
	v_cmp_gt_u32_e64 s[38:39], s3, v8
	s_and_saveexec_b64 s[40:41], s[38:39]
	s_cbranch_execz .LBB1009_90
; %bb.130:                              ;   in Loop: Header=BB1009_91 Depth=1
	ds_read_b32 v8, v37 offset:13312
	s_add_i32 s38, s43, 12
	s_waitcnt lgkmcnt(0)
	v_lshrrev_b32_e32 v60, s64, v8
	v_and_b32_e32 v62, s71, v60
	v_lshlrev_b32_e32 v60, 2, v62
	ds_read_b32 v60, v60
	v_xor_b32_e32 v63, 0x7fffffff, v8
	s_waitcnt lgkmcnt(0)
	v_add3_u32 v8, v59, v60, s49
	v_lshl_add_u64 v[60:61], v[8:9], 2, s[54:55]
	global_store_dword v[60:61], v63, off
	scratch_store_dword off, v62, s38
	s_branch .LBB1009_90
.LBB1009_131:
	s_add_u32 s38, s56, s66
	s_addc_u32 s39, s57, s67
	v_mov_b32_e32 v5, 0
	v_lshl_add_u64 v[8:9], s[38:39], 0, v[4:5]
	v_mov_b32_e32 v7, v5
	v_lshl_add_u64 v[4:5], v[8:9], 0, v[6:7]
                                        ; implicit-def: $vgpr6
	s_and_saveexec_b64 s[38:39], vcc
	s_cbranch_execz .LBB1009_147
; %bb.132:
	global_load_dword v6, v[4:5], off
	s_or_b64 exec, exec, s[38:39]
                                        ; implicit-def: $vgpr7
	s_and_saveexec_b64 s[38:39], s[4:5]
	s_cbranch_execnz .LBB1009_148
.LBB1009_133:
	s_or_b64 exec, exec, s[38:39]
                                        ; implicit-def: $vgpr8
	s_and_saveexec_b64 s[4:5], s[6:7]
	s_cbranch_execz .LBB1009_149
.LBB1009_134:
	global_load_dword v8, v[4:5], off offset:512
	s_or_b64 exec, exec, s[4:5]
                                        ; implicit-def: $vgpr9
	s_and_saveexec_b64 s[4:5], s[8:9]
	s_cbranch_execnz .LBB1009_150
.LBB1009_135:
	s_or_b64 exec, exec, s[4:5]
                                        ; implicit-def: $vgpr14
	s_and_saveexec_b64 s[4:5], s[10:11]
	s_cbranch_execz .LBB1009_151
.LBB1009_136:
	global_load_dword v14, v[4:5], off offset:1024
	s_or_b64 exec, exec, s[4:5]
                                        ; implicit-def: $vgpr15
	s_and_saveexec_b64 s[4:5], s[12:13]
	s_cbranch_execnz .LBB1009_152
.LBB1009_137:
	s_or_b64 exec, exec, s[4:5]
                                        ; implicit-def: $vgpr16
	s_and_saveexec_b64 s[4:5], s[14:15]
	s_cbranch_execz .LBB1009_153
.LBB1009_138:
	global_load_dword v16, v[4:5], off offset:1536
	s_or_b64 exec, exec, s[4:5]
                                        ; implicit-def: $vgpr17
	s_and_saveexec_b64 s[4:5], s[16:17]
	s_cbranch_execnz .LBB1009_154
.LBB1009_139:
	s_or_b64 exec, exec, s[4:5]
                                        ; implicit-def: $vgpr18
	s_and_saveexec_b64 s[4:5], s[18:19]
	s_cbranch_execz .LBB1009_155
.LBB1009_140:
	global_load_dword v18, v[4:5], off offset:2048
	s_or_b64 exec, exec, s[4:5]
                                        ; implicit-def: $vgpr19
	s_and_saveexec_b64 s[4:5], s[20:21]
	s_cbranch_execnz .LBB1009_156
.LBB1009_141:
	s_or_b64 exec, exec, s[4:5]
                                        ; implicit-def: $vgpr20
	s_and_saveexec_b64 s[4:5], s[22:23]
	s_cbranch_execz .LBB1009_157
.LBB1009_142:
	global_load_dword v20, v[4:5], off offset:2560
	s_or_b64 exec, exec, s[4:5]
                                        ; implicit-def: $vgpr21
	s_and_saveexec_b64 s[4:5], s[24:25]
	s_cbranch_execnz .LBB1009_158
.LBB1009_143:
	s_or_b64 exec, exec, s[4:5]
                                        ; implicit-def: $vgpr22
	s_and_saveexec_b64 s[4:5], s[26:27]
	s_cbranch_execz .LBB1009_159
.LBB1009_144:
	global_load_dword v22, v[4:5], off offset:3072
	s_or_b64 exec, exec, s[4:5]
                                        ; implicit-def: $vgpr23
	s_and_saveexec_b64 s[4:5], s[28:29]
	s_cbranch_execnz .LBB1009_160
.LBB1009_145:
	s_or_b64 exec, exec, s[4:5]
                                        ; implicit-def: $vgpr24
	s_and_saveexec_b64 s[4:5], s[30:31]
	s_cbranch_execz .LBB1009_161
.LBB1009_146:
	global_load_dword v24, v[4:5], off offset:3584
	s_or_b64 exec, exec, s[4:5]
                                        ; implicit-def: $vgpr25
	s_and_saveexec_b64 s[4:5], s[34:35]
	s_cbranch_execnz .LBB1009_162
	s_branch .LBB1009_163
.LBB1009_147:
	s_or_b64 exec, exec, s[38:39]
                                        ; implicit-def: $vgpr7
	s_and_saveexec_b64 s[38:39], s[4:5]
	s_cbranch_execz .LBB1009_133
.LBB1009_148:
	global_load_dword v7, v[4:5], off offset:256
	s_or_b64 exec, exec, s[38:39]
                                        ; implicit-def: $vgpr8
	s_and_saveexec_b64 s[4:5], s[6:7]
	s_cbranch_execnz .LBB1009_134
.LBB1009_149:
	s_or_b64 exec, exec, s[4:5]
                                        ; implicit-def: $vgpr9
	s_and_saveexec_b64 s[4:5], s[8:9]
	s_cbranch_execz .LBB1009_135
.LBB1009_150:
	global_load_dword v9, v[4:5], off offset:768
	s_or_b64 exec, exec, s[4:5]
                                        ; implicit-def: $vgpr14
	s_and_saveexec_b64 s[4:5], s[10:11]
	s_cbranch_execnz .LBB1009_136
.LBB1009_151:
	s_or_b64 exec, exec, s[4:5]
                                        ; implicit-def: $vgpr15
	s_and_saveexec_b64 s[4:5], s[12:13]
	s_cbranch_execz .LBB1009_137
.LBB1009_152:
	global_load_dword v15, v[4:5], off offset:1280
	s_or_b64 exec, exec, s[4:5]
                                        ; implicit-def: $vgpr16
	s_and_saveexec_b64 s[4:5], s[14:15]
	s_cbranch_execnz .LBB1009_138
.LBB1009_153:
	s_or_b64 exec, exec, s[4:5]
                                        ; implicit-def: $vgpr17
	s_and_saveexec_b64 s[4:5], s[16:17]
	s_cbranch_execz .LBB1009_139
.LBB1009_154:
	global_load_dword v17, v[4:5], off offset:1792
	s_or_b64 exec, exec, s[4:5]
                                        ; implicit-def: $vgpr18
	s_and_saveexec_b64 s[4:5], s[18:19]
	s_cbranch_execnz .LBB1009_140
.LBB1009_155:
	s_or_b64 exec, exec, s[4:5]
                                        ; implicit-def: $vgpr19
	s_and_saveexec_b64 s[4:5], s[20:21]
	s_cbranch_execz .LBB1009_141
.LBB1009_156:
	global_load_dword v19, v[4:5], off offset:2304
	s_or_b64 exec, exec, s[4:5]
                                        ; implicit-def: $vgpr20
	s_and_saveexec_b64 s[4:5], s[22:23]
	s_cbranch_execnz .LBB1009_142
.LBB1009_157:
	s_or_b64 exec, exec, s[4:5]
                                        ; implicit-def: $vgpr21
	s_and_saveexec_b64 s[4:5], s[24:25]
	s_cbranch_execz .LBB1009_143
.LBB1009_158:
	global_load_dword v21, v[4:5], off offset:2816
	s_or_b64 exec, exec, s[4:5]
                                        ; implicit-def: $vgpr22
	s_and_saveexec_b64 s[4:5], s[26:27]
	s_cbranch_execnz .LBB1009_144
.LBB1009_159:
	s_or_b64 exec, exec, s[4:5]
                                        ; implicit-def: $vgpr23
	s_and_saveexec_b64 s[4:5], s[28:29]
	s_cbranch_execz .LBB1009_145
.LBB1009_160:
	global_load_dword v23, v[4:5], off offset:3328
	s_or_b64 exec, exec, s[4:5]
                                        ; implicit-def: $vgpr24
	s_and_saveexec_b64 s[4:5], s[30:31]
	s_cbranch_execnz .LBB1009_146
.LBB1009_161:
	s_or_b64 exec, exec, s[4:5]
                                        ; implicit-def: $vgpr25
	s_and_saveexec_b64 s[4:5], s[34:35]
	s_cbranch_execz .LBB1009_163
.LBB1009_162:
	global_load_dword v25, v[4:5], off offset:3840
.LBB1009_163:
	s_or_b64 exec, exec, s[4:5]
	s_mov_b32 s6, 0
	s_mov_b32 s7, 0
	s_movk_i32 s8, 0x1000
	v_mov_b32_e32 v5, 0
	s_movk_i32 s9, 0x400
	s_movk_i32 s10, 0x800
	;; [unrolled: 1-line block ×3, first 2 shown]
	s_mov_b32 s12, 0
	v_mov_b32_e32 v26, v2
	s_branch .LBB1009_165
.LBB1009_164:                           ;   in Loop: Header=BB1009_165 Depth=1
	s_or_b64 exec, exec, s[4:5]
	s_addk_i32 s12, 0xc000
	s_addk_i32 s7, 0xf000
	s_add_i32 s6, s6, 16
	s_cmp_eq_u32 s12, 0xffff0000
	v_add_u32_e32 v26, 0x1000, v26
	s_barrier
	s_cbranch_scc1 .LBB1009_205
.LBB1009_165:                           ; =>This Inner Loop Header: Depth=1
	v_add_u32_e32 v4, s7, v10
	v_cmp_gt_u32_e32 vcc, s8, v4
	s_and_saveexec_b64 s[4:5], vcc
	s_cbranch_execz .LBB1009_167
; %bb.166:                              ;   in Loop: Header=BB1009_165 Depth=1
	v_add_u32_e32 v4, s12, v30
	s_waitcnt vmcnt(0)
	ds_write_b32 v4, v6
.LBB1009_167:                           ;   in Loop: Header=BB1009_165 Depth=1
	s_or_b64 exec, exec, s[4:5]
	v_add_u32_e32 v4, s7, v28
	v_cmp_gt_u32_e32 vcc, s8, v4
	s_and_saveexec_b64 s[4:5], vcc
	s_cbranch_execz .LBB1009_169
; %bb.168:                              ;   in Loop: Header=BB1009_165 Depth=1
	v_add_u32_e32 v4, s12, v33
	s_waitcnt vmcnt(0)
	ds_write_b32 v4, v7
.LBB1009_169:                           ;   in Loop: Header=BB1009_165 Depth=1
	s_or_b64 exec, exec, s[4:5]
	;; [unrolled: 10-line block ×16, first 2 shown]
	v_cmp_gt_u32_e32 vcc, s3, v26
	s_waitcnt lgkmcnt(0)
	s_barrier
	s_and_saveexec_b64 s[4:5], vcc
	s_cbranch_execz .LBB1009_199
; %bb.198:                              ;   in Loop: Header=BB1009_165 Depth=1
	scratch_load_dword v4, off, s6
	s_waitcnt vmcnt(0)
	v_lshlrev_b32_e32 v4, 2, v4
	ds_read_b32 v4, v4
	ds_read_b32 v27, v37 offset:1024
	s_waitcnt lgkmcnt(1)
	v_add_u32_e32 v4, v26, v4
	v_lshl_add_u64 v[60:61], v[4:5], 2, s[58:59]
	s_waitcnt lgkmcnt(0)
	global_store_dword v[60:61], v27, off
.LBB1009_199:                           ;   in Loop: Header=BB1009_165 Depth=1
	s_or_b64 exec, exec, s[4:5]
	v_add_u32_e32 v4, 0x400, v26
	v_cmp_gt_u32_e32 vcc, s3, v4
	s_and_saveexec_b64 s[4:5], vcc
	s_cbranch_execz .LBB1009_201
; %bb.200:                              ;   in Loop: Header=BB1009_165 Depth=1
	s_add_i32 s13, s6, 4
	scratch_load_dword v4, off, s13
	s_waitcnt vmcnt(0)
	v_lshlrev_b32_e32 v4, 2, v4
	ds_read_b32 v4, v4
	ds_read_b32 v27, v37 offset:5120
	s_waitcnt lgkmcnt(1)
	v_add3_u32 v4, v26, v4, s9
	v_lshl_add_u64 v[60:61], v[4:5], 2, s[58:59]
	s_waitcnt lgkmcnt(0)
	global_store_dword v[60:61], v27, off
.LBB1009_201:                           ;   in Loop: Header=BB1009_165 Depth=1
	s_or_b64 exec, exec, s[4:5]
	v_add_u32_e32 v4, 0x800, v26
	v_cmp_gt_u32_e32 vcc, s3, v4
	s_and_saveexec_b64 s[4:5], vcc
	s_cbranch_execz .LBB1009_203
; %bb.202:                              ;   in Loop: Header=BB1009_165 Depth=1
	s_add_i32 s13, s6, 8
	scratch_load_dword v4, off, s13
	s_waitcnt vmcnt(0)
	v_lshlrev_b32_e32 v4, 2, v4
	ds_read_b32 v4, v4
	ds_read_b32 v27, v37 offset:9216
	s_waitcnt lgkmcnt(1)
	v_add3_u32 v4, v26, v4, s10
	v_lshl_add_u64 v[60:61], v[4:5], 2, s[58:59]
	s_waitcnt lgkmcnt(0)
	global_store_dword v[60:61], v27, off
.LBB1009_203:                           ;   in Loop: Header=BB1009_165 Depth=1
	s_or_b64 exec, exec, s[4:5]
	v_add_u32_e32 v4, 0xc00, v26
	v_cmp_gt_u32_e32 vcc, s3, v4
	s_and_saveexec_b64 s[4:5], vcc
	s_cbranch_execz .LBB1009_164
; %bb.204:                              ;   in Loop: Header=BB1009_165 Depth=1
	s_add_i32 s13, s6, 12
	scratch_load_dword v4, off, s13
	s_waitcnt vmcnt(0)
	v_lshlrev_b32_e32 v4, 2, v4
	ds_read_b32 v4, v4
	ds_read_b32 v27, v37 offset:13312
	s_waitcnt lgkmcnt(1)
	v_add3_u32 v4, v26, v4, s11
	v_lshl_add_u64 v[60:61], v[4:5], 2, s[58:59]
	s_waitcnt lgkmcnt(0)
	global_store_dword v[60:61], v27, off
	s_branch .LBB1009_164
.LBB1009_205:
	s_add_i32 s70, s70, -1
	s_cmp_eq_u32 s33, s70
	s_cselect_b64 s[4:5], -1, 0
	s_xor_b64 s[6:7], s[36:37], -1
	s_and_b64 s[6:7], s[6:7], s[4:5]
	s_and_saveexec_b64 s[4:5], s[6:7]
	s_cbranch_execz .LBB1009_207
; %bb.206:
	ds_read_b32 v4, v37
	s_waitcnt lgkmcnt(0)
	v_add3_u32 v4, v32, v34, v4
	global_store_dword v37, v4, s[62:63]
.LBB1009_207:
	s_or_b64 exec, exec, s[4:5]
	s_mov_b64 s[4:5], 0
.LBB1009_208:
	s_and_b64 vcc, exec, s[4:5]
	s_cbranch_vccz .LBB1009_331
; %bb.209:
	s_lshl_b32 s4, s33, 14
	s_mov_b32 s5, 0
	s_load_dword s12, s[0:1], 0x58
	s_load_dword s3, s[0:1], 0x64
	s_lshl_b64 s[8:9], s[4:5], 2
	v_mbcnt_hi_u32_b32 v10, -1, v3
	s_add_u32 s4, s52, s8
	v_and_b32_e32 v3, 63, v10
	s_waitcnt vmcnt(0)
	v_and_b32_e32 v6, 0x3c00, v1
	v_mov_b32_e32 v1, 0
	s_addc_u32 s5, s53, s9
	v_lshlrev_b32_e32 v4, 2, v3
	v_mov_b32_e32 v5, v1
	v_lshl_add_u64 v[8:9], s[4:5], 0, v[4:5]
	v_lshlrev_b32_e32 v6, 2, v6
	v_mov_b32_e32 v7, v1
	s_add_u32 s0, s0, 0x58
	v_lshl_add_u64 v[8:9], v[8:9], 0, v[6:7]
	s_addc_u32 s1, s1, 0
	s_waitcnt lgkmcnt(0)
	s_lshr_b32 s3, s3, 16
	global_load_dword v3, v[8:9], off
	s_cmp_lt_u32 s2, s12
	s_cselect_b32 s2, 12, 18
	s_add_u32 s0, s0, s2
	s_addc_u32 s1, s1, 0
	global_load_ushort v13, v1, s[0:1]
	v_mul_u32_u24_e32 v11, 20, v2
	ds_write2_b32 v11, v1, v1 offset0:16 offset1:17
	ds_write2_b32 v11, v1, v1 offset0:18 offset1:19
	ds_write_b32 v11, v1 offset:80
	global_load_dword v5, v[8:9], off offset:256
	global_load_dword v7, v[8:9], off offset:512
	;; [unrolled: 1-line block ×15, first 2 shown]
	v_bfe_u32 v14, v0, 10, 10
	v_bfe_u32 v0, v0, 20, 10
	v_mad_u32_u24 v8, v0, s3, v14
	s_lshl_b32 s0, -1, s65
	v_mov_b32_e32 v16, v1
	v_mov_b32_e32 v26, v1
	s_not_b32 s13, s0
	v_mov_b32_e32 v20, v1
	s_movk_i32 s6, 0x44
	s_waitcnt lgkmcnt(0)
	s_barrier
	s_waitcnt vmcnt(16)
	; wave barrier
	v_xor_b32_e32 v3, 0x7fffffff, v3
	v_lshrrev_b32_e32 v0, s64, v3
	v_bitop3_b32 v14, v0, s0, v0 bitop3:0x30
	v_and_b32_e32 v0, 1, v14
	v_lshlrev_b32_e32 v17, 30, v14
	v_lshlrev_b32_e32 v21, 29, v14
	;; [unrolled: 1-line block ×3, first 2 shown]
	s_waitcnt vmcnt(15)
	v_mad_u64_u32 v[8:9], s[0:1], v8, v13, v[2:3]
	v_lshl_add_u64 v[32:33], v[0:1], 0, -1
	v_cmp_ne_u32_e32 vcc, 0, v0
	v_not_b32_e32 v0, v17
	v_cmp_gt_i64_e64 s[0:1], 0, v[16:17]
	v_not_b32_e32 v9, v21
	v_cmp_gt_i64_e64 s[4:5], 0, v[26:27]
	v_not_b32_e32 v13, v27
	v_lshrrev_b32_e32 v27, 6, v8
	v_xor_b32_e32 v8, vcc_hi, v33
	v_ashrrev_i32_e32 v0, 31, v0
	v_cmp_gt_i64_e64 s[2:3], 0, v[20:21]
	v_xor_b32_e32 v16, vcc_lo, v32
	v_ashrrev_i32_e32 v9, 31, v9
	v_and_b32_e32 v8, exec_hi, v8
	v_xor_b32_e32 v17, s1, v0
	v_ashrrev_i32_e32 v13, 31, v13
	v_and_b32_e32 v16, exec_lo, v16
	v_xor_b32_e32 v0, s0, v0
	v_xor_b32_e32 v20, s3, v9
	v_and_b32_e32 v8, v8, v17
	v_xor_b32_e32 v9, s2, v9
	v_xor_b32_e32 v21, s5, v13
	v_and_b32_e32 v0, v16, v0
	v_and_b32_e32 v8, v8, v20
	v_and_b32_e32 v0, v0, v9
	v_and_b32_e32 v16, v8, v21
	v_lshlrev_b32_e32 v9, 27, v14
	v_mov_b32_e32 v8, v1
	v_cmp_gt_i64_e32 vcc, 0, v[8:9]
	v_not_b32_e32 v8, v9
	v_xor_b32_e32 v13, s4, v13
	v_ashrrev_i32_e32 v8, 31, v8
	v_and_b32_e32 v0, v0, v13
	v_xor_b32_e32 v9, vcc_hi, v8
	v_xor_b32_e32 v8, vcc_lo, v8
	v_and_b32_e32 v13, v16, v9
	v_and_b32_e32 v0, v0, v8
	v_lshlrev_b32_e32 v9, 26, v14
	v_mov_b32_e32 v8, v1
	v_cmp_gt_i64_e32 vcc, 0, v[8:9]
	v_not_b32_e32 v8, v9
	v_ashrrev_i32_e32 v8, 31, v8
	v_xor_b32_e32 v9, vcc_hi, v8
	v_xor_b32_e32 v8, vcc_lo, v8
	v_and_b32_e32 v13, v13, v9
	v_and_b32_e32 v0, v0, v8
	v_lshlrev_b32_e32 v9, 25, v14
	v_mov_b32_e32 v8, v1
	v_cmp_gt_i64_e32 vcc, 0, v[8:9]
	v_not_b32_e32 v8, v9
	v_ashrrev_i32_e32 v8, 31, v8
	;; [unrolled: 9-line block ×3, first 2 shown]
	v_xor_b32_e32 v9, vcc_hi, v8
	v_xor_b32_e32 v8, vcc_lo, v8
	v_and_b32_e32 v8, v0, v8
	v_and_b32_e32 v9, v13, v9
	v_mbcnt_lo_u32_b32 v0, v8, 0
	v_mul_lo_u32 v18, v14, s6
	v_mbcnt_hi_u32_b32 v14, v9, v0
	v_cmp_eq_u32_e32 vcc, 0, v14
	v_cmp_ne_u64_e64 s[0:1], 0, v[8:9]
	v_lshl_add_u32 v18, v27, 2, v18
	s_and_b64 s[2:3], s[0:1], vcc
	s_and_saveexec_b64 s[0:1], s[2:3]
; %bb.210:
	v_bcnt_u32_b32 v0, v8, 0
	v_bcnt_u32_b32 v0, v9, v0
	ds_write_b32 v18, v0 offset:64
; %bb.211:
	s_or_b64 exec, exec, s[0:1]
	s_waitcnt vmcnt(14)
	v_xor_b32_e32 v5, 0x7fffffff, v5
	v_lshrrev_b32_e32 v0, s64, v5
	v_and_b32_e32 v16, s13, v0
	v_mul_lo_u32 v0, v16, s6
	v_lshl_add_u32 v21, v27, 2, v0
	v_and_b32_e32 v0, 1, v16
	v_lshl_add_u64 v[8:9], v[0:1], 0, -1
	v_cmp_ne_u32_e32 vcc, 0, v0
	; wave barrier
	s_nop 1
	v_xor_b32_e32 v8, vcc_lo, v8
	v_xor_b32_e32 v0, vcc_hi, v9
	v_and_b32_e32 v17, exec_lo, v8
	v_lshlrev_b32_e32 v9, 30, v16
	v_mov_b32_e32 v8, v1
	v_cmp_gt_i64_e32 vcc, 0, v[8:9]
	v_not_b32_e32 v8, v9
	v_ashrrev_i32_e32 v8, 31, v8
	v_and_b32_e32 v0, exec_hi, v0
	v_xor_b32_e32 v9, vcc_hi, v8
	v_xor_b32_e32 v8, vcc_lo, v8
	v_and_b32_e32 v0, v0, v9
	v_and_b32_e32 v17, v17, v8
	v_lshlrev_b32_e32 v9, 29, v16
	v_mov_b32_e32 v8, v1
	v_cmp_gt_i64_e32 vcc, 0, v[8:9]
	v_not_b32_e32 v8, v9
	v_ashrrev_i32_e32 v8, 31, v8
	v_xor_b32_e32 v9, vcc_hi, v8
	v_xor_b32_e32 v8, vcc_lo, v8
	v_and_b32_e32 v0, v0, v9
	v_and_b32_e32 v17, v17, v8
	v_lshlrev_b32_e32 v9, 28, v16
	v_mov_b32_e32 v8, v1
	v_cmp_gt_i64_e32 vcc, 0, v[8:9]
	v_not_b32_e32 v8, v9
	v_ashrrev_i32_e32 v8, 31, v8
	;; [unrolled: 9-line block ×5, first 2 shown]
	v_xor_b32_e32 v9, vcc_hi, v8
	v_xor_b32_e32 v8, vcc_lo, v8
	v_and_b32_e32 v0, v0, v9
	v_lshlrev_b32_e32 v9, 24, v16
	v_and_b32_e32 v17, v17, v8
	v_mov_b32_e32 v8, v1
	v_not_b32_e32 v1, v9
	v_cmp_gt_i64_e32 vcc, 0, v[8:9]
	v_ashrrev_i32_e32 v1, 31, v1
	ds_read_b32 v13, v21 offset:64
	v_xor_b32_e32 v8, vcc_hi, v1
	v_xor_b32_e32 v9, vcc_lo, v1
	v_and_b32_e32 v1, v0, v8
	v_and_b32_e32 v0, v17, v9
	v_mbcnt_lo_u32_b32 v8, v0, 0
	v_mbcnt_hi_u32_b32 v16, v1, v8
	v_cmp_eq_u32_e32 vcc, 0, v16
	v_cmp_ne_u64_e64 s[0:1], 0, v[0:1]
	s_and_b64 s[2:3], s[0:1], vcc
	; wave barrier
	s_and_saveexec_b64 s[0:1], s[2:3]
	s_cbranch_execz .LBB1009_213
; %bb.212:
	v_bcnt_u32_b32 v0, v0, 0
	v_bcnt_u32_b32 v0, v1, v0
	s_waitcnt lgkmcnt(0)
	v_add_u32_e32 v0, v13, v0
	ds_write_b32 v21, v0 offset:64
.LBB1009_213:
	s_or_b64 exec, exec, s[0:1]
	s_waitcnt vmcnt(13)
	v_xor_b32_e32 v7, 0x7fffffff, v7
	v_lshrrev_b32_e32 v0, s64, v7
	v_and_b32_e32 v20, s13, v0
	s_movk_i32 s2, 0x44
	v_mul_lo_u32 v0, v20, s2
	v_lshl_add_u32 v26, v27, 2, v0
	v_and_b32_e32 v0, 1, v20
	v_mov_b32_e32 v1, 0
	v_lshl_add_u64 v[8:9], v[0:1], 0, -1
	v_cmp_ne_u32_e32 vcc, 0, v0
	; wave barrier
	s_nop 1
	v_xor_b32_e32 v8, vcc_lo, v8
	v_xor_b32_e32 v0, vcc_hi, v9
	v_and_b32_e32 v22, exec_lo, v8
	v_lshlrev_b32_e32 v9, 30, v20
	v_mov_b32_e32 v8, v1
	v_cmp_gt_i64_e32 vcc, 0, v[8:9]
	v_not_b32_e32 v8, v9
	v_ashrrev_i32_e32 v8, 31, v8
	v_and_b32_e32 v0, exec_hi, v0
	v_xor_b32_e32 v9, vcc_hi, v8
	v_xor_b32_e32 v8, vcc_lo, v8
	v_and_b32_e32 v0, v0, v9
	v_and_b32_e32 v22, v22, v8
	v_lshlrev_b32_e32 v9, 29, v20
	v_mov_b32_e32 v8, v1
	v_cmp_gt_i64_e32 vcc, 0, v[8:9]
	v_not_b32_e32 v8, v9
	v_ashrrev_i32_e32 v8, 31, v8
	v_xor_b32_e32 v9, vcc_hi, v8
	v_xor_b32_e32 v8, vcc_lo, v8
	v_and_b32_e32 v0, v0, v9
	v_and_b32_e32 v22, v22, v8
	v_lshlrev_b32_e32 v9, 28, v20
	v_mov_b32_e32 v8, v1
	v_cmp_gt_i64_e32 vcc, 0, v[8:9]
	v_not_b32_e32 v8, v9
	v_ashrrev_i32_e32 v8, 31, v8
	;; [unrolled: 9-line block ×6, first 2 shown]
	v_xor_b32_e32 v9, vcc_hi, v8
	v_xor_b32_e32 v8, vcc_lo, v8
	ds_read_b32 v17, v26 offset:64
	v_and_b32_e32 v8, v22, v8
	v_and_b32_e32 v9, v0, v9
	v_mbcnt_lo_u32_b32 v0, v8, 0
	v_mbcnt_hi_u32_b32 v20, v9, v0
	v_cmp_eq_u32_e32 vcc, 0, v20
	v_cmp_ne_u64_e64 s[0:1], 0, v[8:9]
	s_and_b64 s[4:5], s[0:1], vcc
	; wave barrier
	s_and_saveexec_b64 s[0:1], s[4:5]
	s_cbranch_execz .LBB1009_215
; %bb.214:
	v_bcnt_u32_b32 v0, v8, 0
	v_bcnt_u32_b32 v0, v9, v0
	s_waitcnt lgkmcnt(0)
	v_add_u32_e32 v0, v17, v0
	ds_write_b32 v26, v0 offset:64
.LBB1009_215:
	s_or_b64 exec, exec, s[0:1]
	s_waitcnt vmcnt(12)
	v_xor_b32_e32 v12, 0x7fffffff, v12
	v_lshrrev_b32_e32 v0, s64, v12
	v_and_b32_e32 v24, s13, v0
	v_mul_lo_u32 v0, v24, s2
	v_lshl_add_u32 v32, v27, 2, v0
	v_and_b32_e32 v0, 1, v24
	v_lshl_add_u64 v[8:9], v[0:1], 0, -1
	v_cmp_ne_u32_e32 vcc, 0, v0
	; wave barrier
	s_nop 1
	v_xor_b32_e32 v8, vcc_lo, v8
	v_xor_b32_e32 v0, vcc_hi, v9
	v_and_b32_e32 v28, exec_lo, v8
	v_lshlrev_b32_e32 v9, 30, v24
	v_mov_b32_e32 v8, v1
	v_cmp_gt_i64_e32 vcc, 0, v[8:9]
	v_not_b32_e32 v8, v9
	v_ashrrev_i32_e32 v8, 31, v8
	v_and_b32_e32 v0, exec_hi, v0
	v_xor_b32_e32 v9, vcc_hi, v8
	v_xor_b32_e32 v8, vcc_lo, v8
	v_and_b32_e32 v0, v0, v9
	v_and_b32_e32 v28, v28, v8
	v_lshlrev_b32_e32 v9, 29, v24
	v_mov_b32_e32 v8, v1
	v_cmp_gt_i64_e32 vcc, 0, v[8:9]
	v_not_b32_e32 v8, v9
	v_ashrrev_i32_e32 v8, 31, v8
	v_xor_b32_e32 v9, vcc_hi, v8
	v_xor_b32_e32 v8, vcc_lo, v8
	v_and_b32_e32 v0, v0, v9
	v_and_b32_e32 v28, v28, v8
	v_lshlrev_b32_e32 v9, 28, v24
	v_mov_b32_e32 v8, v1
	v_cmp_gt_i64_e32 vcc, 0, v[8:9]
	v_not_b32_e32 v8, v9
	v_ashrrev_i32_e32 v8, 31, v8
	;; [unrolled: 9-line block ×5, first 2 shown]
	v_xor_b32_e32 v9, vcc_hi, v8
	v_xor_b32_e32 v8, vcc_lo, v8
	v_and_b32_e32 v0, v0, v9
	v_lshlrev_b32_e32 v9, 24, v24
	v_and_b32_e32 v28, v28, v8
	v_mov_b32_e32 v8, v1
	v_not_b32_e32 v1, v9
	v_cmp_gt_i64_e32 vcc, 0, v[8:9]
	v_ashrrev_i32_e32 v1, 31, v1
	ds_read_b32 v22, v32 offset:64
	v_xor_b32_e32 v8, vcc_hi, v1
	v_xor_b32_e32 v9, vcc_lo, v1
	v_and_b32_e32 v1, v0, v8
	v_and_b32_e32 v0, v28, v9
	v_mbcnt_lo_u32_b32 v8, v0, 0
	v_mbcnt_hi_u32_b32 v24, v1, v8
	v_cmp_eq_u32_e32 vcc, 0, v24
	v_cmp_ne_u64_e64 s[0:1], 0, v[0:1]
	s_and_b64 s[2:3], s[0:1], vcc
	; wave barrier
	s_and_saveexec_b64 s[0:1], s[2:3]
	s_cbranch_execz .LBB1009_217
; %bb.216:
	v_bcnt_u32_b32 v0, v0, 0
	v_bcnt_u32_b32 v0, v1, v0
	s_waitcnt lgkmcnt(0)
	v_add_u32_e32 v0, v22, v0
	ds_write_b32 v32, v0 offset:64
.LBB1009_217:
	s_or_b64 exec, exec, s[0:1]
	s_waitcnt vmcnt(11)
	v_xor_b32_e32 v15, 0x7fffffff, v15
	v_lshrrev_b32_e32 v0, s64, v15
	v_and_b32_e32 v30, s13, v0
	s_movk_i32 s2, 0x44
	v_mul_lo_u32 v0, v30, s2
	v_lshl_add_u32 v37, v27, 2, v0
	v_and_b32_e32 v0, 1, v30
	v_mov_b32_e32 v1, 0
	v_lshl_add_u64 v[8:9], v[0:1], 0, -1
	v_cmp_ne_u32_e32 vcc, 0, v0
	; wave barrier
	s_nop 1
	v_xor_b32_e32 v8, vcc_lo, v8
	v_xor_b32_e32 v0, vcc_hi, v9
	v_and_b32_e32 v33, exec_lo, v8
	v_lshlrev_b32_e32 v9, 30, v30
	v_mov_b32_e32 v8, v1
	v_cmp_gt_i64_e32 vcc, 0, v[8:9]
	v_not_b32_e32 v8, v9
	v_ashrrev_i32_e32 v8, 31, v8
	v_and_b32_e32 v0, exec_hi, v0
	v_xor_b32_e32 v9, vcc_hi, v8
	v_xor_b32_e32 v8, vcc_lo, v8
	v_and_b32_e32 v0, v0, v9
	v_and_b32_e32 v33, v33, v8
	v_lshlrev_b32_e32 v9, 29, v30
	v_mov_b32_e32 v8, v1
	v_cmp_gt_i64_e32 vcc, 0, v[8:9]
	v_not_b32_e32 v8, v9
	v_ashrrev_i32_e32 v8, 31, v8
	v_xor_b32_e32 v9, vcc_hi, v8
	v_xor_b32_e32 v8, vcc_lo, v8
	v_and_b32_e32 v0, v0, v9
	v_and_b32_e32 v33, v33, v8
	v_lshlrev_b32_e32 v9, 28, v30
	v_mov_b32_e32 v8, v1
	v_cmp_gt_i64_e32 vcc, 0, v[8:9]
	v_not_b32_e32 v8, v9
	v_ashrrev_i32_e32 v8, 31, v8
	;; [unrolled: 9-line block ×6, first 2 shown]
	v_xor_b32_e32 v9, vcc_hi, v8
	v_xor_b32_e32 v8, vcc_lo, v8
	ds_read_b32 v28, v37 offset:64
	v_and_b32_e32 v8, v33, v8
	v_and_b32_e32 v9, v0, v9
	v_mbcnt_lo_u32_b32 v0, v8, 0
	v_mbcnt_hi_u32_b32 v30, v9, v0
	v_cmp_eq_u32_e32 vcc, 0, v30
	v_cmp_ne_u64_e64 s[0:1], 0, v[8:9]
	s_and_b64 s[4:5], s[0:1], vcc
	; wave barrier
	s_and_saveexec_b64 s[0:1], s[4:5]
	s_cbranch_execz .LBB1009_219
; %bb.218:
	v_bcnt_u32_b32 v0, v8, 0
	v_bcnt_u32_b32 v0, v9, v0
	s_waitcnt lgkmcnt(0)
	v_add_u32_e32 v0, v28, v0
	ds_write_b32 v37, v0 offset:64
.LBB1009_219:
	s_or_b64 exec, exec, s[0:1]
	s_waitcnt vmcnt(10)
	v_xor_b32_e32 v19, 0x7fffffff, v19
	v_lshrrev_b32_e32 v0, s64, v19
	v_and_b32_e32 v35, s13, v0
	v_mul_lo_u32 v0, v35, s2
	v_lshl_add_u32 v41, v27, 2, v0
	v_and_b32_e32 v0, 1, v35
	v_lshl_add_u64 v[8:9], v[0:1], 0, -1
	v_cmp_ne_u32_e32 vcc, 0, v0
	; wave barrier
	s_nop 1
	v_xor_b32_e32 v8, vcc_lo, v8
	v_xor_b32_e32 v0, vcc_hi, v9
	v_and_b32_e32 v38, exec_lo, v8
	v_lshlrev_b32_e32 v9, 30, v35
	v_mov_b32_e32 v8, v1
	v_cmp_gt_i64_e32 vcc, 0, v[8:9]
	v_not_b32_e32 v8, v9
	v_ashrrev_i32_e32 v8, 31, v8
	v_and_b32_e32 v0, exec_hi, v0
	v_xor_b32_e32 v9, vcc_hi, v8
	v_xor_b32_e32 v8, vcc_lo, v8
	v_and_b32_e32 v0, v0, v9
	v_and_b32_e32 v38, v38, v8
	v_lshlrev_b32_e32 v9, 29, v35
	v_mov_b32_e32 v8, v1
	v_cmp_gt_i64_e32 vcc, 0, v[8:9]
	v_not_b32_e32 v8, v9
	v_ashrrev_i32_e32 v8, 31, v8
	v_xor_b32_e32 v9, vcc_hi, v8
	v_xor_b32_e32 v8, vcc_lo, v8
	v_and_b32_e32 v0, v0, v9
	v_and_b32_e32 v38, v38, v8
	v_lshlrev_b32_e32 v9, 28, v35
	v_mov_b32_e32 v8, v1
	v_cmp_gt_i64_e32 vcc, 0, v[8:9]
	v_not_b32_e32 v8, v9
	v_ashrrev_i32_e32 v8, 31, v8
	;; [unrolled: 9-line block ×5, first 2 shown]
	v_xor_b32_e32 v9, vcc_hi, v8
	v_xor_b32_e32 v8, vcc_lo, v8
	v_and_b32_e32 v0, v0, v9
	v_lshlrev_b32_e32 v9, 24, v35
	v_and_b32_e32 v38, v38, v8
	v_mov_b32_e32 v8, v1
	v_not_b32_e32 v1, v9
	v_cmp_gt_i64_e32 vcc, 0, v[8:9]
	v_ashrrev_i32_e32 v1, 31, v1
	ds_read_b32 v33, v41 offset:64
	v_xor_b32_e32 v8, vcc_hi, v1
	v_xor_b32_e32 v9, vcc_lo, v1
	v_and_b32_e32 v1, v0, v8
	v_and_b32_e32 v0, v38, v9
	v_mbcnt_lo_u32_b32 v8, v0, 0
	v_mbcnt_hi_u32_b32 v35, v1, v8
	v_cmp_eq_u32_e32 vcc, 0, v35
	v_cmp_ne_u64_e64 s[0:1], 0, v[0:1]
	s_and_b64 s[2:3], s[0:1], vcc
	; wave barrier
	s_and_saveexec_b64 s[0:1], s[2:3]
	s_cbranch_execz .LBB1009_221
; %bb.220:
	v_bcnt_u32_b32 v0, v0, 0
	v_bcnt_u32_b32 v0, v1, v0
	s_waitcnt lgkmcnt(0)
	v_add_u32_e32 v0, v33, v0
	ds_write_b32 v41, v0 offset:64
.LBB1009_221:
	s_or_b64 exec, exec, s[0:1]
	s_waitcnt vmcnt(9)
	v_xor_b32_e32 v23, 0x7fffffff, v23
	v_lshrrev_b32_e32 v0, s64, v23
	v_and_b32_e32 v42, s13, v0
	s_movk_i32 s2, 0x44
	v_mul_lo_u32 v0, v42, s2
	v_lshl_add_u32 v46, v27, 2, v0
	v_and_b32_e32 v0, 1, v42
	v_mov_b32_e32 v1, 0
	v_lshl_add_u64 v[8:9], v[0:1], 0, -1
	v_cmp_ne_u32_e32 vcc, 0, v0
	; wave barrier
	s_nop 1
	v_xor_b32_e32 v8, vcc_lo, v8
	v_xor_b32_e32 v0, vcc_hi, v9
	v_and_b32_e32 v43, exec_lo, v8
	v_lshlrev_b32_e32 v9, 30, v42
	v_mov_b32_e32 v8, v1
	v_cmp_gt_i64_e32 vcc, 0, v[8:9]
	v_not_b32_e32 v8, v9
	v_ashrrev_i32_e32 v8, 31, v8
	v_and_b32_e32 v0, exec_hi, v0
	v_xor_b32_e32 v9, vcc_hi, v8
	v_xor_b32_e32 v8, vcc_lo, v8
	v_and_b32_e32 v0, v0, v9
	v_and_b32_e32 v43, v43, v8
	v_lshlrev_b32_e32 v9, 29, v42
	v_mov_b32_e32 v8, v1
	v_cmp_gt_i64_e32 vcc, 0, v[8:9]
	v_not_b32_e32 v8, v9
	v_ashrrev_i32_e32 v8, 31, v8
	v_xor_b32_e32 v9, vcc_hi, v8
	v_xor_b32_e32 v8, vcc_lo, v8
	v_and_b32_e32 v0, v0, v9
	v_and_b32_e32 v43, v43, v8
	v_lshlrev_b32_e32 v9, 28, v42
	v_mov_b32_e32 v8, v1
	v_cmp_gt_i64_e32 vcc, 0, v[8:9]
	v_not_b32_e32 v8, v9
	v_ashrrev_i32_e32 v8, 31, v8
	;; [unrolled: 9-line block ×6, first 2 shown]
	v_xor_b32_e32 v9, vcc_hi, v8
	v_xor_b32_e32 v8, vcc_lo, v8
	ds_read_b32 v38, v46 offset:64
	v_and_b32_e32 v8, v43, v8
	v_and_b32_e32 v9, v0, v9
	v_mbcnt_lo_u32_b32 v0, v8, 0
	v_mbcnt_hi_u32_b32 v42, v9, v0
	v_cmp_eq_u32_e32 vcc, 0, v42
	v_cmp_ne_u64_e64 s[0:1], 0, v[8:9]
	s_and_b64 s[4:5], s[0:1], vcc
	; wave barrier
	s_and_saveexec_b64 s[0:1], s[4:5]
	s_cbranch_execz .LBB1009_223
; %bb.222:
	v_bcnt_u32_b32 v0, v8, 0
	v_bcnt_u32_b32 v0, v9, v0
	s_waitcnt lgkmcnt(0)
	v_add_u32_e32 v0, v38, v0
	ds_write_b32 v46, v0 offset:64
.LBB1009_223:
	s_or_b64 exec, exec, s[0:1]
	s_waitcnt vmcnt(8)
	v_xor_b32_e32 v29, 0x7fffffff, v29
	v_lshrrev_b32_e32 v0, s64, v29
	v_and_b32_e32 v47, s13, v0
	v_mul_lo_u32 v0, v47, s2
	v_lshl_add_u32 v49, v27, 2, v0
	v_and_b32_e32 v0, 1, v47
	v_lshl_add_u64 v[8:9], v[0:1], 0, -1
	v_cmp_ne_u32_e32 vcc, 0, v0
	; wave barrier
	s_nop 1
	v_xor_b32_e32 v8, vcc_lo, v8
	v_xor_b32_e32 v0, vcc_hi, v9
	v_and_b32_e32 v48, exec_lo, v8
	v_lshlrev_b32_e32 v9, 30, v47
	v_mov_b32_e32 v8, v1
	v_cmp_gt_i64_e32 vcc, 0, v[8:9]
	v_not_b32_e32 v8, v9
	v_ashrrev_i32_e32 v8, 31, v8
	v_and_b32_e32 v0, exec_hi, v0
	v_xor_b32_e32 v9, vcc_hi, v8
	v_xor_b32_e32 v8, vcc_lo, v8
	v_and_b32_e32 v0, v0, v9
	v_and_b32_e32 v48, v48, v8
	v_lshlrev_b32_e32 v9, 29, v47
	v_mov_b32_e32 v8, v1
	v_cmp_gt_i64_e32 vcc, 0, v[8:9]
	v_not_b32_e32 v8, v9
	v_ashrrev_i32_e32 v8, 31, v8
	v_xor_b32_e32 v9, vcc_hi, v8
	v_xor_b32_e32 v8, vcc_lo, v8
	v_and_b32_e32 v0, v0, v9
	v_and_b32_e32 v48, v48, v8
	v_lshlrev_b32_e32 v9, 28, v47
	v_mov_b32_e32 v8, v1
	v_cmp_gt_i64_e32 vcc, 0, v[8:9]
	v_not_b32_e32 v8, v9
	v_ashrrev_i32_e32 v8, 31, v8
	;; [unrolled: 9-line block ×5, first 2 shown]
	v_xor_b32_e32 v9, vcc_hi, v8
	v_xor_b32_e32 v8, vcc_lo, v8
	v_and_b32_e32 v0, v0, v9
	v_lshlrev_b32_e32 v9, 24, v47
	v_and_b32_e32 v48, v48, v8
	v_mov_b32_e32 v8, v1
	v_not_b32_e32 v1, v9
	v_cmp_gt_i64_e32 vcc, 0, v[8:9]
	v_ashrrev_i32_e32 v1, 31, v1
	ds_read_b32 v43, v49 offset:64
	v_xor_b32_e32 v8, vcc_hi, v1
	v_xor_b32_e32 v9, vcc_lo, v1
	v_and_b32_e32 v1, v0, v8
	v_and_b32_e32 v0, v48, v9
	v_mbcnt_lo_u32_b32 v8, v0, 0
	v_mbcnt_hi_u32_b32 v47, v1, v8
	v_cmp_eq_u32_e32 vcc, 0, v47
	v_cmp_ne_u64_e64 s[0:1], 0, v[0:1]
	s_and_b64 s[2:3], s[0:1], vcc
	; wave barrier
	s_and_saveexec_b64 s[0:1], s[2:3]
	s_cbranch_execz .LBB1009_225
; %bb.224:
	v_bcnt_u32_b32 v0, v0, 0
	v_bcnt_u32_b32 v0, v1, v0
	s_waitcnt lgkmcnt(0)
	v_add_u32_e32 v0, v43, v0
	ds_write_b32 v49, v0 offset:64
.LBB1009_225:
	s_or_b64 exec, exec, s[0:1]
	s_waitcnt vmcnt(7)
	v_xor_b32_e32 v34, 0x7fffffff, v34
	v_lshrrev_b32_e32 v0, s64, v34
	v_and_b32_e32 v50, s13, v0
	s_movk_i32 s2, 0x44
	v_mul_lo_u32 v0, v50, s2
	v_lshl_add_u32 v52, v27, 2, v0
	v_and_b32_e32 v0, 1, v50
	v_mov_b32_e32 v1, 0
	v_lshl_add_u64 v[8:9], v[0:1], 0, -1
	v_cmp_ne_u32_e32 vcc, 0, v0
	; wave barrier
	s_nop 1
	v_xor_b32_e32 v8, vcc_lo, v8
	v_xor_b32_e32 v0, vcc_hi, v9
	v_and_b32_e32 v51, exec_lo, v8
	v_lshlrev_b32_e32 v9, 30, v50
	v_mov_b32_e32 v8, v1
	v_cmp_gt_i64_e32 vcc, 0, v[8:9]
	v_not_b32_e32 v8, v9
	v_ashrrev_i32_e32 v8, 31, v8
	v_and_b32_e32 v0, exec_hi, v0
	v_xor_b32_e32 v9, vcc_hi, v8
	v_xor_b32_e32 v8, vcc_lo, v8
	v_and_b32_e32 v0, v0, v9
	v_and_b32_e32 v51, v51, v8
	v_lshlrev_b32_e32 v9, 29, v50
	v_mov_b32_e32 v8, v1
	v_cmp_gt_i64_e32 vcc, 0, v[8:9]
	v_not_b32_e32 v8, v9
	v_ashrrev_i32_e32 v8, 31, v8
	v_xor_b32_e32 v9, vcc_hi, v8
	v_xor_b32_e32 v8, vcc_lo, v8
	v_and_b32_e32 v0, v0, v9
	v_and_b32_e32 v51, v51, v8
	v_lshlrev_b32_e32 v9, 28, v50
	v_mov_b32_e32 v8, v1
	v_cmp_gt_i64_e32 vcc, 0, v[8:9]
	v_not_b32_e32 v8, v9
	v_ashrrev_i32_e32 v8, 31, v8
	;; [unrolled: 9-line block ×6, first 2 shown]
	v_xor_b32_e32 v9, vcc_hi, v8
	v_xor_b32_e32 v8, vcc_lo, v8
	ds_read_b32 v48, v52 offset:64
	v_and_b32_e32 v8, v51, v8
	v_and_b32_e32 v9, v0, v9
	v_mbcnt_lo_u32_b32 v0, v8, 0
	v_mbcnt_hi_u32_b32 v50, v9, v0
	v_cmp_eq_u32_e32 vcc, 0, v50
	v_cmp_ne_u64_e64 s[0:1], 0, v[8:9]
	s_and_b64 s[4:5], s[0:1], vcc
	; wave barrier
	s_and_saveexec_b64 s[0:1], s[4:5]
	s_cbranch_execz .LBB1009_227
; %bb.226:
	v_bcnt_u32_b32 v0, v8, 0
	v_bcnt_u32_b32 v0, v9, v0
	s_waitcnt lgkmcnt(0)
	v_add_u32_e32 v0, v48, v0
	ds_write_b32 v52, v0 offset:64
.LBB1009_227:
	s_or_b64 exec, exec, s[0:1]
	s_waitcnt vmcnt(6)
	v_xor_b32_e32 v39, 0x7fffffff, v39
	v_lshrrev_b32_e32 v0, s64, v39
	v_and_b32_e32 v53, s13, v0
	v_mul_lo_u32 v0, v53, s2
	v_lshl_add_u32 v55, v27, 2, v0
	v_and_b32_e32 v0, 1, v53
	v_lshl_add_u64 v[8:9], v[0:1], 0, -1
	v_cmp_ne_u32_e32 vcc, 0, v0
	; wave barrier
	s_nop 1
	v_xor_b32_e32 v8, vcc_lo, v8
	v_xor_b32_e32 v0, vcc_hi, v9
	v_and_b32_e32 v54, exec_lo, v8
	v_lshlrev_b32_e32 v9, 30, v53
	v_mov_b32_e32 v8, v1
	v_cmp_gt_i64_e32 vcc, 0, v[8:9]
	v_not_b32_e32 v8, v9
	v_ashrrev_i32_e32 v8, 31, v8
	v_and_b32_e32 v0, exec_hi, v0
	v_xor_b32_e32 v9, vcc_hi, v8
	v_xor_b32_e32 v8, vcc_lo, v8
	v_and_b32_e32 v0, v0, v9
	v_and_b32_e32 v54, v54, v8
	v_lshlrev_b32_e32 v9, 29, v53
	v_mov_b32_e32 v8, v1
	v_cmp_gt_i64_e32 vcc, 0, v[8:9]
	v_not_b32_e32 v8, v9
	v_ashrrev_i32_e32 v8, 31, v8
	v_xor_b32_e32 v9, vcc_hi, v8
	v_xor_b32_e32 v8, vcc_lo, v8
	v_and_b32_e32 v0, v0, v9
	v_and_b32_e32 v54, v54, v8
	v_lshlrev_b32_e32 v9, 28, v53
	v_mov_b32_e32 v8, v1
	v_cmp_gt_i64_e32 vcc, 0, v[8:9]
	v_not_b32_e32 v8, v9
	v_ashrrev_i32_e32 v8, 31, v8
	;; [unrolled: 9-line block ×5, first 2 shown]
	v_xor_b32_e32 v9, vcc_hi, v8
	v_xor_b32_e32 v8, vcc_lo, v8
	v_and_b32_e32 v0, v0, v9
	v_lshlrev_b32_e32 v9, 24, v53
	v_and_b32_e32 v54, v54, v8
	v_mov_b32_e32 v8, v1
	v_not_b32_e32 v1, v9
	v_cmp_gt_i64_e32 vcc, 0, v[8:9]
	v_ashrrev_i32_e32 v1, 31, v1
	ds_read_b32 v51, v55 offset:64
	v_xor_b32_e32 v8, vcc_hi, v1
	v_xor_b32_e32 v9, vcc_lo, v1
	v_and_b32_e32 v1, v0, v8
	v_and_b32_e32 v0, v54, v9
	v_mbcnt_lo_u32_b32 v8, v0, 0
	v_mbcnt_hi_u32_b32 v53, v1, v8
	v_cmp_eq_u32_e32 vcc, 0, v53
	v_cmp_ne_u64_e64 s[0:1], 0, v[0:1]
	s_and_b64 s[2:3], s[0:1], vcc
	; wave barrier
	s_and_saveexec_b64 s[0:1], s[2:3]
	s_cbranch_execz .LBB1009_229
; %bb.228:
	v_bcnt_u32_b32 v0, v0, 0
	v_bcnt_u32_b32 v0, v1, v0
	s_waitcnt lgkmcnt(0)
	v_add_u32_e32 v0, v51, v0
	ds_write_b32 v55, v0 offset:64
.LBB1009_229:
	s_or_b64 exec, exec, s[0:1]
	s_waitcnt vmcnt(5)
	v_xor_b32_e32 v44, 0x7fffffff, v44
	v_lshrrev_b32_e32 v0, s64, v44
	v_and_b32_e32 v56, s13, v0
	s_movk_i32 s2, 0x44
	v_mul_lo_u32 v0, v56, s2
	v_lshl_add_u32 v58, v27, 2, v0
	v_and_b32_e32 v0, 1, v56
	v_mov_b32_e32 v1, 0
	v_lshl_add_u64 v[8:9], v[0:1], 0, -1
	v_cmp_ne_u32_e32 vcc, 0, v0
	; wave barrier
	s_nop 1
	v_xor_b32_e32 v8, vcc_lo, v8
	v_xor_b32_e32 v0, vcc_hi, v9
	v_and_b32_e32 v57, exec_lo, v8
	v_lshlrev_b32_e32 v9, 30, v56
	v_mov_b32_e32 v8, v1
	v_cmp_gt_i64_e32 vcc, 0, v[8:9]
	v_not_b32_e32 v8, v9
	v_ashrrev_i32_e32 v8, 31, v8
	v_and_b32_e32 v0, exec_hi, v0
	v_xor_b32_e32 v9, vcc_hi, v8
	v_xor_b32_e32 v8, vcc_lo, v8
	v_and_b32_e32 v0, v0, v9
	v_and_b32_e32 v57, v57, v8
	v_lshlrev_b32_e32 v9, 29, v56
	v_mov_b32_e32 v8, v1
	v_cmp_gt_i64_e32 vcc, 0, v[8:9]
	v_not_b32_e32 v8, v9
	v_ashrrev_i32_e32 v8, 31, v8
	v_xor_b32_e32 v9, vcc_hi, v8
	v_xor_b32_e32 v8, vcc_lo, v8
	v_and_b32_e32 v0, v0, v9
	v_and_b32_e32 v57, v57, v8
	v_lshlrev_b32_e32 v9, 28, v56
	v_mov_b32_e32 v8, v1
	v_cmp_gt_i64_e32 vcc, 0, v[8:9]
	v_not_b32_e32 v8, v9
	v_ashrrev_i32_e32 v8, 31, v8
	;; [unrolled: 9-line block ×6, first 2 shown]
	v_xor_b32_e32 v9, vcc_hi, v8
	v_xor_b32_e32 v8, vcc_lo, v8
	ds_read_b32 v54, v58 offset:64
	v_and_b32_e32 v8, v57, v8
	v_and_b32_e32 v9, v0, v9
	v_mbcnt_lo_u32_b32 v0, v8, 0
	v_mbcnt_hi_u32_b32 v56, v9, v0
	v_cmp_eq_u32_e32 vcc, 0, v56
	v_cmp_ne_u64_e64 s[0:1], 0, v[8:9]
	s_and_b64 s[4:5], s[0:1], vcc
	; wave barrier
	s_and_saveexec_b64 s[0:1], s[4:5]
	s_cbranch_execz .LBB1009_231
; %bb.230:
	v_bcnt_u32_b32 v0, v8, 0
	v_bcnt_u32_b32 v0, v9, v0
	s_waitcnt lgkmcnt(0)
	v_add_u32_e32 v0, v54, v0
	ds_write_b32 v58, v0 offset:64
.LBB1009_231:
	s_or_b64 exec, exec, s[0:1]
	s_waitcnt vmcnt(4)
	v_xor_b32_e32 v45, 0x7fffffff, v45
	v_lshrrev_b32_e32 v0, s64, v45
	v_and_b32_e32 v59, s13, v0
	v_mul_lo_u32 v0, v59, s2
	v_lshl_add_u32 v62, v27, 2, v0
	v_and_b32_e32 v0, 1, v59
	v_lshl_add_u64 v[8:9], v[0:1], 0, -1
	v_cmp_ne_u32_e32 vcc, 0, v0
	; wave barrier
	s_nop 1
	v_xor_b32_e32 v8, vcc_lo, v8
	v_xor_b32_e32 v0, vcc_hi, v9
	v_and_b32_e32 v60, exec_lo, v8
	v_lshlrev_b32_e32 v9, 30, v59
	v_mov_b32_e32 v8, v1
	v_cmp_gt_i64_e32 vcc, 0, v[8:9]
	v_not_b32_e32 v8, v9
	v_ashrrev_i32_e32 v8, 31, v8
	v_and_b32_e32 v0, exec_hi, v0
	v_xor_b32_e32 v9, vcc_hi, v8
	v_xor_b32_e32 v8, vcc_lo, v8
	v_and_b32_e32 v0, v0, v9
	v_and_b32_e32 v60, v60, v8
	v_lshlrev_b32_e32 v9, 29, v59
	v_mov_b32_e32 v8, v1
	v_cmp_gt_i64_e32 vcc, 0, v[8:9]
	v_not_b32_e32 v8, v9
	v_ashrrev_i32_e32 v8, 31, v8
	v_xor_b32_e32 v9, vcc_hi, v8
	v_xor_b32_e32 v8, vcc_lo, v8
	v_and_b32_e32 v0, v0, v9
	v_and_b32_e32 v60, v60, v8
	v_lshlrev_b32_e32 v9, 28, v59
	v_mov_b32_e32 v8, v1
	v_cmp_gt_i64_e32 vcc, 0, v[8:9]
	v_not_b32_e32 v8, v9
	v_ashrrev_i32_e32 v8, 31, v8
	;; [unrolled: 9-line block ×5, first 2 shown]
	v_xor_b32_e32 v9, vcc_hi, v8
	v_xor_b32_e32 v8, vcc_lo, v8
	v_and_b32_e32 v0, v0, v9
	v_lshlrev_b32_e32 v9, 24, v59
	v_and_b32_e32 v60, v60, v8
	v_mov_b32_e32 v8, v1
	v_not_b32_e32 v1, v9
	v_cmp_gt_i64_e32 vcc, 0, v[8:9]
	v_ashrrev_i32_e32 v1, 31, v1
	ds_read_b32 v57, v62 offset:64
	v_xor_b32_e32 v8, vcc_hi, v1
	v_xor_b32_e32 v9, vcc_lo, v1
	v_and_b32_e32 v1, v0, v8
	v_and_b32_e32 v0, v60, v9
	v_mbcnt_lo_u32_b32 v8, v0, 0
	v_mbcnt_hi_u32_b32 v59, v1, v8
	v_cmp_eq_u32_e32 vcc, 0, v59
	v_cmp_ne_u64_e64 s[0:1], 0, v[0:1]
	s_and_b64 s[2:3], s[0:1], vcc
	; wave barrier
	s_and_saveexec_b64 s[0:1], s[2:3]
	s_cbranch_execz .LBB1009_233
; %bb.232:
	v_bcnt_u32_b32 v0, v0, 0
	v_bcnt_u32_b32 v0, v1, v0
	s_waitcnt lgkmcnt(0)
	v_add_u32_e32 v0, v57, v0
	ds_write_b32 v62, v0 offset:64
.LBB1009_233:
	s_or_b64 exec, exec, s[0:1]
	s_waitcnt vmcnt(3)
	v_xor_b32_e32 v40, 0x7fffffff, v40
	v_lshrrev_b32_e32 v0, s64, v40
	v_and_b32_e32 v61, s13, v0
	s_movk_i32 s2, 0x44
	v_mul_lo_u32 v0, v61, s2
	v_lshl_add_u32 v65, v27, 2, v0
	v_and_b32_e32 v0, 1, v61
	v_mov_b32_e32 v1, 0
	v_lshl_add_u64 v[8:9], v[0:1], 0, -1
	v_cmp_ne_u32_e32 vcc, 0, v0
	; wave barrier
	s_nop 1
	v_xor_b32_e32 v8, vcc_lo, v8
	v_xor_b32_e32 v0, vcc_hi, v9
	v_and_b32_e32 v63, exec_lo, v8
	v_lshlrev_b32_e32 v9, 30, v61
	v_mov_b32_e32 v8, v1
	v_cmp_gt_i64_e32 vcc, 0, v[8:9]
	v_not_b32_e32 v8, v9
	v_ashrrev_i32_e32 v8, 31, v8
	v_and_b32_e32 v0, exec_hi, v0
	v_xor_b32_e32 v9, vcc_hi, v8
	v_xor_b32_e32 v8, vcc_lo, v8
	v_and_b32_e32 v0, v0, v9
	v_and_b32_e32 v63, v63, v8
	v_lshlrev_b32_e32 v9, 29, v61
	v_mov_b32_e32 v8, v1
	v_cmp_gt_i64_e32 vcc, 0, v[8:9]
	v_not_b32_e32 v8, v9
	v_ashrrev_i32_e32 v8, 31, v8
	v_xor_b32_e32 v9, vcc_hi, v8
	v_xor_b32_e32 v8, vcc_lo, v8
	v_and_b32_e32 v0, v0, v9
	v_and_b32_e32 v63, v63, v8
	v_lshlrev_b32_e32 v9, 28, v61
	v_mov_b32_e32 v8, v1
	v_cmp_gt_i64_e32 vcc, 0, v[8:9]
	v_not_b32_e32 v8, v9
	v_ashrrev_i32_e32 v8, 31, v8
	v_xor_b32_e32 v9, vcc_hi, v8
	v_xor_b32_e32 v8, vcc_lo, v8
	v_and_b32_e32 v0, v0, v9
	v_and_b32_e32 v63, v63, v8
	v_lshlrev_b32_e32 v9, 27, v61
	v_mov_b32_e32 v8, v1
	v_cmp_gt_i64_e32 vcc, 0, v[8:9]
	v_not_b32_e32 v8, v9
	v_ashrrev_i32_e32 v8, 31, v8
	v_xor_b32_e32 v9, vcc_hi, v8
	v_xor_b32_e32 v8, vcc_lo, v8
	v_and_b32_e32 v0, v0, v9
	v_and_b32_e32 v63, v63, v8
	v_lshlrev_b32_e32 v9, 26, v61
	v_mov_b32_e32 v8, v1
	v_cmp_gt_i64_e32 vcc, 0, v[8:9]
	v_not_b32_e32 v8, v9
	v_ashrrev_i32_e32 v8, 31, v8
	v_xor_b32_e32 v9, vcc_hi, v8
	v_xor_b32_e32 v8, vcc_lo, v8
	v_and_b32_e32 v0, v0, v9
	v_and_b32_e32 v63, v63, v8
	v_lshlrev_b32_e32 v9, 25, v61
	v_mov_b32_e32 v8, v1
	v_cmp_gt_i64_e32 vcc, 0, v[8:9]
	v_not_b32_e32 v8, v9
	v_ashrrev_i32_e32 v8, 31, v8
	v_xor_b32_e32 v9, vcc_hi, v8
	v_xor_b32_e32 v8, vcc_lo, v8
	v_and_b32_e32 v0, v0, v9
	v_and_b32_e32 v63, v63, v8
	v_lshlrev_b32_e32 v9, 24, v61
	v_mov_b32_e32 v8, v1
	v_cmp_gt_i64_e32 vcc, 0, v[8:9]
	v_not_b32_e32 v8, v9
	v_ashrrev_i32_e32 v8, 31, v8
	v_xor_b32_e32 v9, vcc_hi, v8
	v_xor_b32_e32 v8, vcc_lo, v8
	ds_read_b32 v60, v65 offset:64
	v_and_b32_e32 v8, v63, v8
	v_and_b32_e32 v9, v0, v9
	v_mbcnt_lo_u32_b32 v0, v8, 0
	v_mbcnt_hi_u32_b32 v63, v9, v0
	v_cmp_eq_u32_e32 vcc, 0, v63
	v_cmp_ne_u64_e64 s[0:1], 0, v[8:9]
	s_and_b64 s[4:5], s[0:1], vcc
	; wave barrier
	s_and_saveexec_b64 s[0:1], s[4:5]
	s_cbranch_execz .LBB1009_235
; %bb.234:
	v_bcnt_u32_b32 v0, v8, 0
	v_bcnt_u32_b32 v0, v9, v0
	s_waitcnt lgkmcnt(0)
	v_add_u32_e32 v0, v60, v0
	ds_write_b32 v65, v0 offset:64
.LBB1009_235:
	s_or_b64 exec, exec, s[0:1]
	s_waitcnt vmcnt(2)
	v_xor_b32_e32 v36, 0x7fffffff, v36
	v_lshrrev_b32_e32 v0, s64, v36
	v_and_b32_e32 v61, s13, v0
	v_mul_lo_u32 v0, v61, s2
	v_lshl_add_u32 v68, v27, 2, v0
	v_and_b32_e32 v0, 1, v61
	v_lshl_add_u64 v[8:9], v[0:1], 0, -1
	v_cmp_ne_u32_e32 vcc, 0, v0
	; wave barrier
	s_nop 1
	v_xor_b32_e32 v8, vcc_lo, v8
	v_xor_b32_e32 v0, vcc_hi, v9
	v_and_b32_e32 v66, exec_lo, v8
	v_lshlrev_b32_e32 v9, 30, v61
	v_mov_b32_e32 v8, v1
	v_cmp_gt_i64_e32 vcc, 0, v[8:9]
	v_not_b32_e32 v8, v9
	v_ashrrev_i32_e32 v8, 31, v8
	v_and_b32_e32 v0, exec_hi, v0
	v_xor_b32_e32 v9, vcc_hi, v8
	v_xor_b32_e32 v8, vcc_lo, v8
	v_and_b32_e32 v0, v0, v9
	v_and_b32_e32 v66, v66, v8
	v_lshlrev_b32_e32 v9, 29, v61
	v_mov_b32_e32 v8, v1
	v_cmp_gt_i64_e32 vcc, 0, v[8:9]
	v_not_b32_e32 v8, v9
	v_ashrrev_i32_e32 v8, 31, v8
	v_xor_b32_e32 v9, vcc_hi, v8
	v_xor_b32_e32 v8, vcc_lo, v8
	v_and_b32_e32 v0, v0, v9
	v_and_b32_e32 v66, v66, v8
	v_lshlrev_b32_e32 v9, 28, v61
	v_mov_b32_e32 v8, v1
	v_cmp_gt_i64_e32 vcc, 0, v[8:9]
	v_not_b32_e32 v8, v9
	v_ashrrev_i32_e32 v8, 31, v8
	;; [unrolled: 9-line block ×5, first 2 shown]
	v_xor_b32_e32 v9, vcc_hi, v8
	v_xor_b32_e32 v8, vcc_lo, v8
	v_and_b32_e32 v0, v0, v9
	v_lshlrev_b32_e32 v9, 24, v61
	v_and_b32_e32 v66, v66, v8
	v_mov_b32_e32 v8, v1
	v_not_b32_e32 v1, v9
	v_cmp_gt_i64_e32 vcc, 0, v[8:9]
	v_ashrrev_i32_e32 v1, 31, v1
	ds_read_b32 v64, v68 offset:64
	v_xor_b32_e32 v8, vcc_hi, v1
	v_xor_b32_e32 v9, vcc_lo, v1
	v_and_b32_e32 v1, v0, v8
	v_and_b32_e32 v0, v66, v9
	v_mbcnt_lo_u32_b32 v8, v0, 0
	v_mbcnt_hi_u32_b32 v66, v1, v8
	v_cmp_eq_u32_e32 vcc, 0, v66
	v_cmp_ne_u64_e64 s[0:1], 0, v[0:1]
	s_and_b64 s[2:3], s[0:1], vcc
	; wave barrier
	s_and_saveexec_b64 s[0:1], s[2:3]
	s_cbranch_execz .LBB1009_237
; %bb.236:
	v_bcnt_u32_b32 v0, v0, 0
	v_bcnt_u32_b32 v0, v1, v0
	s_waitcnt lgkmcnt(0)
	v_add_u32_e32 v0, v64, v0
	ds_write_b32 v68, v0 offset:64
.LBB1009_237:
	s_or_b64 exec, exec, s[0:1]
	s_waitcnt vmcnt(1)
	v_xor_b32_e32 v31, 0x7fffffff, v31
	v_lshrrev_b32_e32 v0, s64, v31
	v_and_b32_e32 v61, s13, v0
	s_movk_i32 s2, 0x44
	v_mul_lo_u32 v0, v61, s2
	v_lshl_add_u32 v70, v27, 2, v0
	v_and_b32_e32 v0, 1, v61
	v_mov_b32_e32 v1, 0
	v_lshl_add_u64 v[8:9], v[0:1], 0, -1
	v_cmp_ne_u32_e32 vcc, 0, v0
	; wave barrier
	s_nop 1
	v_xor_b32_e32 v8, vcc_lo, v8
	v_xor_b32_e32 v0, vcc_hi, v9
	v_and_b32_e32 v69, exec_lo, v8
	v_lshlrev_b32_e32 v9, 30, v61
	v_mov_b32_e32 v8, v1
	v_cmp_gt_i64_e32 vcc, 0, v[8:9]
	v_not_b32_e32 v8, v9
	v_ashrrev_i32_e32 v8, 31, v8
	v_and_b32_e32 v0, exec_hi, v0
	v_xor_b32_e32 v9, vcc_hi, v8
	v_xor_b32_e32 v8, vcc_lo, v8
	v_and_b32_e32 v0, v0, v9
	v_and_b32_e32 v69, v69, v8
	v_lshlrev_b32_e32 v9, 29, v61
	v_mov_b32_e32 v8, v1
	v_cmp_gt_i64_e32 vcc, 0, v[8:9]
	v_not_b32_e32 v8, v9
	v_ashrrev_i32_e32 v8, 31, v8
	v_xor_b32_e32 v9, vcc_hi, v8
	v_xor_b32_e32 v8, vcc_lo, v8
	v_and_b32_e32 v0, v0, v9
	v_and_b32_e32 v69, v69, v8
	v_lshlrev_b32_e32 v9, 28, v61
	v_mov_b32_e32 v8, v1
	v_cmp_gt_i64_e32 vcc, 0, v[8:9]
	v_not_b32_e32 v8, v9
	v_ashrrev_i32_e32 v8, 31, v8
	v_xor_b32_e32 v9, vcc_hi, v8
	v_xor_b32_e32 v8, vcc_lo, v8
	v_and_b32_e32 v0, v0, v9
	v_and_b32_e32 v69, v69, v8
	v_lshlrev_b32_e32 v9, 27, v61
	v_mov_b32_e32 v8, v1
	v_cmp_gt_i64_e32 vcc, 0, v[8:9]
	v_not_b32_e32 v8, v9
	v_ashrrev_i32_e32 v8, 31, v8
	v_xor_b32_e32 v9, vcc_hi, v8
	v_xor_b32_e32 v8, vcc_lo, v8
	v_and_b32_e32 v0, v0, v9
	v_and_b32_e32 v69, v69, v8
	v_lshlrev_b32_e32 v9, 26, v61
	v_mov_b32_e32 v8, v1
	v_cmp_gt_i64_e32 vcc, 0, v[8:9]
	v_not_b32_e32 v8, v9
	v_ashrrev_i32_e32 v8, 31, v8
	v_xor_b32_e32 v9, vcc_hi, v8
	v_xor_b32_e32 v8, vcc_lo, v8
	v_and_b32_e32 v0, v0, v9
	v_and_b32_e32 v69, v69, v8
	v_lshlrev_b32_e32 v9, 25, v61
	v_mov_b32_e32 v8, v1
	v_cmp_gt_i64_e32 vcc, 0, v[8:9]
	v_not_b32_e32 v8, v9
	v_ashrrev_i32_e32 v8, 31, v8
	v_xor_b32_e32 v9, vcc_hi, v8
	v_xor_b32_e32 v8, vcc_lo, v8
	v_and_b32_e32 v0, v0, v9
	v_and_b32_e32 v69, v69, v8
	v_lshlrev_b32_e32 v9, 24, v61
	v_mov_b32_e32 v8, v1
	v_cmp_gt_i64_e32 vcc, 0, v[8:9]
	v_not_b32_e32 v8, v9
	v_ashrrev_i32_e32 v8, 31, v8
	v_xor_b32_e32 v9, vcc_hi, v8
	v_xor_b32_e32 v8, vcc_lo, v8
	ds_read_b32 v67, v70 offset:64
	v_and_b32_e32 v8, v69, v8
	v_and_b32_e32 v9, v0, v9
	v_mbcnt_lo_u32_b32 v0, v8, 0
	v_mbcnt_hi_u32_b32 v69, v9, v0
	v_cmp_eq_u32_e32 vcc, 0, v69
	v_cmp_ne_u64_e64 s[0:1], 0, v[8:9]
	s_and_b64 s[4:5], s[0:1], vcc
	; wave barrier
	s_and_saveexec_b64 s[0:1], s[4:5]
	s_cbranch_execz .LBB1009_239
; %bb.238:
	v_bcnt_u32_b32 v0, v8, 0
	v_bcnt_u32_b32 v0, v9, v0
	s_waitcnt lgkmcnt(0)
	v_add_u32_e32 v0, v67, v0
	ds_write_b32 v70, v0 offset:64
.LBB1009_239:
	s_or_b64 exec, exec, s[0:1]
	s_waitcnt vmcnt(0)
	v_xor_b32_e32 v61, 0x7fffffff, v25
	v_lshrrev_b32_e32 v0, s64, v61
	v_and_b32_e32 v25, s13, v0
	v_mul_lo_u32 v0, v25, s2
	v_lshl_add_u32 v72, v27, 2, v0
	v_and_b32_e32 v0, 1, v25
	v_lshl_add_u64 v[8:9], v[0:1], 0, -1
	v_cmp_ne_u32_e32 vcc, 0, v0
	; wave barrier
	s_nop 1
	v_xor_b32_e32 v8, vcc_lo, v8
	v_xor_b32_e32 v0, vcc_hi, v9
	v_and_b32_e32 v71, exec_lo, v8
	v_lshlrev_b32_e32 v9, 30, v25
	v_mov_b32_e32 v8, v1
	v_cmp_gt_i64_e32 vcc, 0, v[8:9]
	v_not_b32_e32 v8, v9
	v_ashrrev_i32_e32 v8, 31, v8
	v_and_b32_e32 v0, exec_hi, v0
	v_xor_b32_e32 v9, vcc_hi, v8
	v_xor_b32_e32 v8, vcc_lo, v8
	v_and_b32_e32 v0, v0, v9
	v_and_b32_e32 v71, v71, v8
	v_lshlrev_b32_e32 v9, 29, v25
	v_mov_b32_e32 v8, v1
	v_cmp_gt_i64_e32 vcc, 0, v[8:9]
	v_not_b32_e32 v8, v9
	v_ashrrev_i32_e32 v8, 31, v8
	v_xor_b32_e32 v9, vcc_hi, v8
	v_xor_b32_e32 v8, vcc_lo, v8
	v_and_b32_e32 v0, v0, v9
	v_and_b32_e32 v71, v71, v8
	v_lshlrev_b32_e32 v9, 28, v25
	v_mov_b32_e32 v8, v1
	v_cmp_gt_i64_e32 vcc, 0, v[8:9]
	v_not_b32_e32 v8, v9
	v_ashrrev_i32_e32 v8, 31, v8
	;; [unrolled: 9-line block ×5, first 2 shown]
	v_xor_b32_e32 v9, vcc_hi, v8
	v_xor_b32_e32 v8, vcc_lo, v8
	v_and_b32_e32 v0, v0, v9
	v_lshlrev_b32_e32 v9, 24, v25
	v_and_b32_e32 v71, v71, v8
	v_mov_b32_e32 v8, v1
	v_not_b32_e32 v1, v9
	v_cmp_gt_i64_e32 vcc, 0, v[8:9]
	v_ashrrev_i32_e32 v1, 31, v1
	ds_read_b32 v27, v72 offset:64
	v_xor_b32_e32 v8, vcc_hi, v1
	v_xor_b32_e32 v9, vcc_lo, v1
	v_and_b32_e32 v1, v0, v8
	v_and_b32_e32 v0, v71, v9
	v_mbcnt_lo_u32_b32 v8, v0, 0
	v_mbcnt_hi_u32_b32 v71, v1, v8
	v_cmp_eq_u32_e32 vcc, 0, v71
	v_cmp_ne_u64_e64 s[0:1], 0, v[0:1]
	s_and_b64 s[2:3], s[0:1], vcc
	; wave barrier
	s_and_saveexec_b64 s[0:1], s[2:3]
	s_cbranch_execz .LBB1009_241
; %bb.240:
	v_bcnt_u32_b32 v0, v0, 0
	v_bcnt_u32_b32 v0, v1, v0
	s_waitcnt lgkmcnt(0)
	v_add_u32_e32 v0, v27, v0
	ds_write_b32 v72, v0 offset:64
.LBB1009_241:
	s_or_b64 exec, exec, s[0:1]
	; wave barrier
	s_waitcnt lgkmcnt(0)
	s_barrier
	ds_read2_b32 v[8:9], v11 offset0:16 offset1:17
	ds_read2_b32 v[0:1], v11 offset0:18 offset1:19
	ds_read_b32 v25, v11 offset:80
	v_cmp_lt_u32_e64 s[2:3], 31, v10
	s_waitcnt lgkmcnt(1)
	v_add3_u32 v73, v9, v8, v0
	s_waitcnt lgkmcnt(0)
	v_add3_u32 v25, v73, v1, v25
	v_and_b32_e32 v73, 15, v10
	v_cmp_eq_u32_e32 vcc, 0, v73
	v_mov_b32_dpp v74, v25 row_shr:1 row_mask:0xf bank_mask:0xf
	v_cmp_lt_u32_e64 s[0:1], 1, v73
	v_cndmask_b32_e64 v74, v74, 0, vcc
	v_add_u32_e32 v25, v74, v25
	v_cmp_lt_u32_e64 s[4:5], 3, v73
	v_cmp_lt_u32_e64 s[6:7], 7, v73
	v_mov_b32_dpp v74, v25 row_shr:2 row_mask:0xf bank_mask:0xf
	v_cndmask_b32_e64 v74, 0, v74, s[0:1]
	v_add_u32_e32 v25, v25, v74
	s_nop 1
	v_mov_b32_dpp v74, v25 row_shr:4 row_mask:0xf bank_mask:0xf
	v_cndmask_b32_e64 v74, 0, v74, s[4:5]
	v_add_u32_e32 v25, v25, v74
	s_nop 1
	v_mov_b32_dpp v74, v25 row_shr:8 row_mask:0xf bank_mask:0xf
	v_cndmask_b32_e64 v73, 0, v74, s[6:7]
	v_add_u32_e32 v25, v25, v73
	v_bfe_i32 v74, v10, 4, 1
	s_nop 0
	v_mov_b32_dpp v73, v25 row_bcast:15 row_mask:0xf bank_mask:0xf
	v_and_b32_e32 v73, v74, v73
	v_add_u32_e32 v25, v25, v73
	v_lshrrev_b32_e32 v74, 6, v2
	s_nop 0
	v_mov_b32_dpp v73, v25 row_bcast:31 row_mask:0xf bank_mask:0xf
	v_cndmask_b32_e64 v73, 0, v73, s[2:3]
	v_add_u32_e32 v73, v25, v73
	v_and_b32_e32 v25, 63, v2
	v_cmp_eq_u32_e64 s[2:3], 63, v25
	s_and_saveexec_b64 s[10:11], s[2:3]
; %bb.242:
	v_lshlrev_b32_e32 v25, 2, v74
	ds_write_b32 v25, v73
; %bb.243:
	s_or_b64 exec, exec, s[10:11]
	v_cmp_gt_u32_e64 s[2:3], 16, v2
	v_lshlrev_b32_e32 v25, 2, v2
	s_waitcnt lgkmcnt(0)
	s_barrier
	s_and_saveexec_b64 s[10:11], s[2:3]
	s_cbranch_execz .LBB1009_245
; %bb.244:
	ds_read_b32 v75, v25
	s_waitcnt lgkmcnt(0)
	s_nop 0
	v_mov_b32_dpp v76, v75 row_shr:1 row_mask:0xf bank_mask:0xf
	v_cndmask_b32_e64 v76, v76, 0, vcc
	v_add_u32_e32 v75, v76, v75
	s_nop 1
	v_mov_b32_dpp v76, v75 row_shr:2 row_mask:0xf bank_mask:0xf
	v_cndmask_b32_e64 v76, 0, v76, s[0:1]
	v_add_u32_e32 v75, v75, v76
	s_nop 1
	v_mov_b32_dpp v76, v75 row_shr:4 row_mask:0xf bank_mask:0xf
	v_cndmask_b32_e64 v76, 0, v76, s[4:5]
	;; [unrolled: 4-line block ×3, first 2 shown]
	v_add_u32_e32 v75, v75, v76
	ds_write_b32 v25, v75
.LBB1009_245:
	s_or_b64 exec, exec, s[10:11]
	v_cmp_lt_u32_e32 vcc, 63, v2
	v_mov_b32_e32 v75, 0
	s_waitcnt lgkmcnt(0)
	s_barrier
	s_and_saveexec_b64 s[0:1], vcc
; %bb.246:
	v_lshl_add_u32 v74, v74, 2, -4
	ds_read_b32 v75, v74
; %bb.247:
	s_or_b64 exec, exec, s[0:1]
	v_subrev_co_u32_e32 v74, vcc, 1, v10
	v_and_b32_e32 v76, 64, v10
	v_cmp_lt_i32_e64 s[0:1], v74, v76
	s_waitcnt lgkmcnt(0)
	v_add_u32_e32 v73, v75, v73
	s_movk_i32 s2, 0x100
	v_cndmask_b32_e64 v10, v74, v10, s[0:1]
	v_lshlrev_b32_e32 v10, 2, v10
	ds_bpermute_b32 v10, v10, v73
	s_movk_i32 s0, 0xff
	s_waitcnt lgkmcnt(0)
	v_cndmask_b32_e32 v10, v10, v75, vcc
	v_cndmask_b32_e64 v10, v10, 0, s[44:45]
	v_add_u32_e32 v8, v10, v8
	v_add_u32_e32 v9, v8, v9
	;; [unrolled: 1-line block ×4, first 2 shown]
	ds_write2_b32 v11, v10, v8 offset0:16 offset1:17
	ds_write2_b32 v11, v9, v0 offset0:18 offset1:19
	ds_write_b32 v11, v1 offset:80
	s_waitcnt lgkmcnt(0)
	s_barrier
	ds_read_b32 v81, v18 offset:64
	ds_read_b32 v73, v21 offset:64
	;; [unrolled: 1-line block ×16, first 2 shown]
	v_cmp_lt_u32_e32 vcc, s0, v2
	v_cmp_gt_u32_e64 s[0:1], s2, v2
                                        ; implicit-def: $vgpr18
                                        ; implicit-def: $vgpr21
	s_and_saveexec_b64 s[4:5], s[0:1]
	s_cbranch_execz .LBB1009_251
; %bb.248:
	v_mul_u32_u24_e32 v0, 0x44, v2
	ds_read_b32 v18, v0 offset:64
	v_add_u32_e32 v1, 1, v2
	v_cmp_ne_u32_e64 s[2:3], s2, v1
	v_mov_b32_e32 v0, 0x4000
	s_and_saveexec_b64 s[6:7], s[2:3]
; %bb.249:
	v_mul_u32_u24_e32 v0, 0x44, v1
	ds_read_b32 v0, v0 offset:64
; %bb.250:
	s_or_b64 exec, exec, s[6:7]
	s_waitcnt lgkmcnt(0)
	v_sub_u32_e32 v21, v0, v18
.LBB1009_251:
	s_or_b64 exec, exec, s[4:5]
	v_mov_b32_e32 v1, 0
	s_waitcnt lgkmcnt(0)
	s_barrier
	s_and_saveexec_b64 s[2:3], s[0:1]
	s_cbranch_execz .LBB1009_261
; %bb.252:
	v_lshl_add_u32 v0, s33, 8, v2
	v_lshl_add_u64 v[8:9], v[0:1], 2, s[68:69]
	v_or_b32_e32 v0, 2.0, v21
	s_mov_b64 s[4:5], 0
	s_brev_b32 s14, -4
	s_mov_b32 s15, s33
	v_mov_b32_e32 v49, 0
	global_store_dword v[8:9], v0, off sc1
                                        ; implicit-def: $sgpr0_sgpr1
	s_branch .LBB1009_255
.LBB1009_253:                           ;   in Loop: Header=BB1009_255 Depth=1
	s_or_b64 exec, exec, s[10:11]
.LBB1009_254:                           ;   in Loop: Header=BB1009_255 Depth=1
	s_or_b64 exec, exec, s[6:7]
	v_and_b32_e32 v10, 0x3fffffff, v0
	v_add_u32_e32 v49, v10, v49
	v_cmp_gt_i32_e64 s[0:1], -2.0, v0
	s_and_b64 s[6:7], exec, s[0:1]
	s_or_b64 s[4:5], s[6:7], s[4:5]
	s_andn2_b64 exec, exec, s[4:5]
	s_cbranch_execz .LBB1009_260
.LBB1009_255:                           ; =>This Loop Header: Depth=1
                                        ;     Child Loop BB1009_258 Depth 2
	s_or_b64 s[0:1], s[0:1], exec
	s_cmp_eq_u32 s15, 0
	s_cbranch_scc1 .LBB1009_259
; %bb.256:                              ;   in Loop: Header=BB1009_255 Depth=1
	s_add_i32 s15, s15, -1
	v_lshl_or_b32 v0, s15, 8, v2
	v_lshl_add_u64 v[10:11], v[0:1], 2, s[68:69]
	global_load_dword v0, v[10:11], off sc1
	s_waitcnt vmcnt(0)
	v_cmp_gt_u32_e64 s[0:1], 2.0, v0
	s_and_saveexec_b64 s[6:7], s[0:1]
	s_cbranch_execz .LBB1009_254
; %bb.257:                              ;   in Loop: Header=BB1009_255 Depth=1
	s_mov_b64 s[10:11], 0
.LBB1009_258:                           ;   Parent Loop BB1009_255 Depth=1
                                        ; =>  This Inner Loop Header: Depth=2
	global_load_dword v0, v[10:11], off sc1
	s_waitcnt vmcnt(0)
	v_cmp_lt_u32_e64 s[0:1], s14, v0
	s_or_b64 s[10:11], s[0:1], s[10:11]
	s_andn2_b64 exec, exec, s[10:11]
	s_cbranch_execnz .LBB1009_258
	s_branch .LBB1009_253
.LBB1009_259:                           ;   in Loop: Header=BB1009_255 Depth=1
                                        ; implicit-def: $sgpr15
	s_and_b64 s[6:7], exec, s[0:1]
	s_or_b64 s[4:5], s[6:7], s[4:5]
	s_andn2_b64 exec, exec, s[4:5]
	s_cbranch_execnz .LBB1009_255
.LBB1009_260:
	s_or_b64 exec, exec, s[4:5]
	v_add_u32_e32 v0, v49, v21
	v_or_b32_e32 v0, 0x80000000, v0
	global_store_dword v[8:9], v0, off sc1
	global_load_dword v0, v25, s[60:61]
	v_sub_u32_e32 v1, v49, v18
	s_waitcnt vmcnt(0)
	v_add_u32_e32 v0, v1, v0
	ds_write_b32 v25, v0
.LBB1009_261:
	s_or_b64 exec, exec, s[2:3]
	v_add_u32_e32 v8, v81, v14
	v_add3_u32 v0, v16, v13, v73
	v_add3_u32 v1, v20, v17, v74
	;; [unrolled: 1-line block ×15, first 2 shown]
	v_mov_b32_e32 v85, 0x400
	s_mov_b32 s4, s64
	s_mov_b32 s5, s13
	s_movk_i32 s6, 0x400
	v_lshl_add_u32 v9, v9, 2, v85
	v_add3_u32 v10, v71, v41, v27
	v_lshl_add_u32 v11, v11, 2, v85
	v_add3_u32 v14, v69, v26, v67
	;; [unrolled: 2-line block ×15, first 2 shown]
	v_lshl_add_u32 v16, v8, 2, v85
	s_mov_b32 s7, 0
	s_mov_b32 s10, 0
	s_movk_i32 s11, 0x1000
	v_mov_b32_e32 v1, 0
	s_movk_i32 s14, 0x800
	s_movk_i32 s15, 0xc00
	v_mov_b32_e32 v55, v2
	s_mov_b32 s16, 0
	s_branch .LBB1009_263
.LBB1009_262:                           ;   in Loop: Header=BB1009_263 Depth=1
	s_or_b64 exec, exec, s[2:3]
	s_waitcnt lgkmcnt(0)
	s_barrier
	ds_read2st64_b32 v[56:57], v25 offset0:4 offset1:20
	ds_read2st64_b32 v[62:63], v25 offset0:36 offset1:52
	s_addk_i32 s16, 0xc000
	s_addk_i32 s10, 0xf000
	s_waitcnt lgkmcnt(1)
	v_xor_b32_e32 v60, 0x7fffffff, v56
	v_lshrrev_b32_e32 v56, s64, v56
	v_lshrrev_b32_e32 v0, s4, v57
	v_and_b32_e32 v56, s13, v56
	v_xor_b32_e32 v66, 0x7fffffff, v57
	v_and_b32_e32 v57, s5, v0
	v_lshlrev_b32_e32 v0, 2, v56
	ds_read_b32 v0, v0
	s_waitcnt lgkmcnt(1)
	v_lshrrev_b32_e32 v58, s4, v63
	v_lshrrev_b32_e32 v65, s64, v62
	v_and_b32_e32 v59, s5, v58
	v_lshlrev_b32_e32 v64, 2, v57
	v_and_b32_e32 v58, s13, v65
	v_lshlrev_b32_e32 v67, 2, v59
	v_lshlrev_b32_e32 v65, 2, v58
	ds_read_b32 v68, v64
	ds_read_b32 v69, v65
	;; [unrolled: 1-line block ×3, first 2 shown]
	s_waitcnt lgkmcnt(3)
	v_add_u32_e32 v0, v55, v0
	v_lshl_add_u64 v[64:65], v[0:1], 2, s[54:55]
	s_waitcnt lgkmcnt(2)
	v_add3_u32 v0, v55, v68, s6
	global_store_dword v[64:65], v60, off
	v_lshl_add_u64 v[64:65], v[0:1], 2, s[54:55]
	s_waitcnt lgkmcnt(1)
	v_add3_u32 v0, v55, v69, s14
	global_store_dword v[64:65], v66, off
	v_xor_b32_e32 v60, 0x7fffffff, v62
	v_xor_b32_e32 v64, 0x7fffffff, v63
	v_lshl_add_u64 v[62:63], v[0:1], 2, s[54:55]
	s_waitcnt lgkmcnt(0)
	v_add3_u32 v0, v55, v67, s15
	global_store_dword v[62:63], v60, off
	v_lshl_add_u64 v[62:63], v[0:1], 2, s[54:55]
	global_store_dword v[62:63], v64, off
	scratch_store_dwordx4 off, v[56:59], s7
	s_add_i32 s7, s7, 16
	s_cmp_eq_u32 s16, 0xffff0000
	v_add_u32_e32 v55, 0x1000, v55
	s_barrier
	s_cbranch_scc1 .LBB1009_295
.LBB1009_263:                           ; =>This Inner Loop Header: Depth=1
	v_add_u32_e32 v0, s10, v8
	v_cmp_gt_u32_e64 s[0:1], s11, v0
	s_and_saveexec_b64 s[2:3], s[0:1]
; %bb.264:                              ;   in Loop: Header=BB1009_263 Depth=1
	v_add_u32_e32 v0, s16, v16
	ds_write_b32 v0, v3
; %bb.265:                              ;   in Loop: Header=BB1009_263 Depth=1
	s_or_b64 exec, exec, s[2:3]
	v_add_u32_e32 v0, s10, v13
	v_cmp_gt_u32_e64 s[0:1], s11, v0
	s_and_saveexec_b64 s[2:3], s[0:1]
; %bb.266:                              ;   in Loop: Header=BB1009_263 Depth=1
	v_add_u32_e32 v0, s16, v20
	ds_write_b32 v0, v5
; %bb.267:                              ;   in Loop: Header=BB1009_263 Depth=1
	s_or_b64 exec, exec, s[2:3]
	;; [unrolled: 8-line block ×15, first 2 shown]
	v_add_u32_e32 v0, s10, v10
	v_cmp_gt_u32_e64 s[0:1], s11, v0
	s_and_saveexec_b64 s[2:3], s[0:1]
	s_cbranch_execz .LBB1009_262
; %bb.294:                              ;   in Loop: Header=BB1009_263 Depth=1
	v_add_u32_e32 v0, s16, v9
	ds_write_b32 v0, v61
	s_branch .LBB1009_262
.LBB1009_295:
	s_add_u32 s0, s56, s8
	s_addc_u32 s1, s57, s9
	v_mov_b32_e32 v5, 0
	v_lshl_add_u64 v[0:1], s[0:1], 0, v[4:5]
	v_mov_b32_e32 v7, v5
	v_lshl_add_u64 v[44:45], v[0:1], 0, v[6:7]
	global_load_dword v0, v[44:45], off
	global_load_dword v1, v[44:45], off offset:256
	global_load_dword v3, v[44:45], off offset:512
	global_load_dword v6, v[44:45], off offset:768
	global_load_dword v7, v[44:45], off offset:1024
	global_load_dword v12, v[44:45], off offset:1280
	global_load_dword v15, v[44:45], off offset:1536
	global_load_dword v19, v[44:45], off offset:1792
	global_load_dword v23, v[44:45], off offset:2048
	global_load_dword v29, v[44:45], off offset:2304
	global_load_dword v31, v[44:45], off offset:2560
	global_load_dword v34, v[44:45], off offset:2816
	global_load_dword v36, v[44:45], off offset:3072
	global_load_dword v39, v[44:45], off offset:3328
	global_load_dword v40, v[44:45], off offset:3584
	s_nop 0
	global_load_dword v44, v[44:45], off offset:3840
	s_mov_b32 s4, 0
	s_mov_b32 s5, 0
	s_movk_i32 s6, 0x1000
	s_movk_i32 s7, 0x400
	;; [unrolled: 1-line block ×4, first 2 shown]
	s_mov_b32 s10, 0
	s_branch .LBB1009_297
.LBB1009_296:                           ;   in Loop: Header=BB1009_297 Depth=1
	s_or_b64 exec, exec, s[2:3]
	s_waitcnt lgkmcnt(0)
	s_barrier
	scratch_load_dwordx4 v[56:59], off, s4
	ds_read2st64_b32 v[60:61], v25 offset0:4 offset1:20
	ds_read2st64_b32 v[62:63], v25 offset0:36 offset1:52
	s_addk_i32 s10, 0xc000
	s_addk_i32 s5, 0xf000
	s_add_i32 s4, s4, 16
	s_cmp_eq_u32 s10, 0xffff0000
	s_waitcnt vmcnt(0)
	v_lshlrev_b32_e32 v4, 2, v56
	ds_read_b32 v4, v4
	v_lshlrev_b32_e32 v45, 2, v57
	v_lshlrev_b32_e32 v55, 2, v58
	;; [unrolled: 1-line block ×3, first 2 shown]
	ds_read_b32 v45, v45
	ds_read_b32 v55, v55
	;; [unrolled: 1-line block ×3, first 2 shown]
	s_waitcnt lgkmcnt(3)
	v_add_u32_e32 v4, v2, v4
	v_lshl_add_u64 v[56:57], v[4:5], 2, s[58:59]
	s_waitcnt lgkmcnt(2)
	v_add3_u32 v4, v2, v45, s7
	global_store_dword v[56:57], v60, off
	v_lshl_add_u64 v[56:57], v[4:5], 2, s[58:59]
	s_waitcnt lgkmcnt(1)
	v_add3_u32 v4, v2, v55, s8
	global_store_dword v[56:57], v61, off
	;; [unrolled: 4-line block ×3, first 2 shown]
	v_lshl_add_u64 v[56:57], v[4:5], 2, s[58:59]
	v_add_u32_e32 v2, 0x1000, v2
	global_store_dword v[56:57], v63, off
	s_barrier
	s_cbranch_scc1 .LBB1009_329
.LBB1009_297:                           ; =>This Inner Loop Header: Depth=1
	v_add_u32_e32 v4, s5, v8
	v_cmp_gt_u32_e64 s[0:1], s6, v4
	s_and_saveexec_b64 s[2:3], s[0:1]
	s_cbranch_execz .LBB1009_299
; %bb.298:                              ;   in Loop: Header=BB1009_297 Depth=1
	v_add_u32_e32 v4, s10, v16
	s_waitcnt vmcnt(15)
	ds_write_b32 v4, v0
.LBB1009_299:                           ;   in Loop: Header=BB1009_297 Depth=1
	s_or_b64 exec, exec, s[2:3]
	v_add_u32_e32 v4, s5, v13
	v_cmp_gt_u32_e64 s[0:1], s6, v4
	s_and_saveexec_b64 s[2:3], s[0:1]
	s_cbranch_execz .LBB1009_301
; %bb.300:                              ;   in Loop: Header=BB1009_297 Depth=1
	v_add_u32_e32 v4, s10, v20
	s_waitcnt vmcnt(14)
	ds_write_b32 v4, v1
.LBB1009_301:                           ;   in Loop: Header=BB1009_297 Depth=1
	s_or_b64 exec, exec, s[2:3]
	;; [unrolled: 10-line block ×15, first 2 shown]
	v_add_u32_e32 v4, s5, v10
	v_cmp_gt_u32_e64 s[0:1], s6, v4
	s_and_saveexec_b64 s[2:3], s[0:1]
	s_cbranch_execz .LBB1009_296
; %bb.328:                              ;   in Loop: Header=BB1009_297 Depth=1
	v_add_u32_e32 v4, s10, v9
	s_waitcnt vmcnt(0)
	ds_write_b32 v4, v44
	s_branch .LBB1009_296
.LBB1009_329:
	s_add_i32 s12, s12, -1
	s_cmp_eq_u32 s33, s12
	s_cselect_b64 s[0:1], -1, 0
	s_xor_b64 s[2:3], vcc, -1
	s_and_b64 s[0:1], s[2:3], s[0:1]
	s_and_saveexec_b64 s[2:3], s[0:1]
	s_cbranch_execz .LBB1009_331
; %bb.330:
	ds_read_b32 v0, v25
	s_waitcnt lgkmcnt(0)
	v_add3_u32 v0, v18, v21, v0
	global_store_dword v25, v0, s[62:63]
.LBB1009_331:
	s_endpgm
	.section	.rodata,"a",@progbits
	.p2align	6, 0x0
	.amdhsa_kernel _ZN7rocprim17ROCPRIM_400000_NS6detail17trampoline_kernelINS0_14default_configENS1_35radix_sort_onesweep_config_selectorIiiEEZZNS1_29radix_sort_onesweep_iterationIS3_Lb1EN6thrust23THRUST_200600_302600_NS6detail15normal_iteratorINS8_10device_ptrIiEEEESD_SD_SD_jNS0_19identity_decomposerENS1_16block_id_wrapperIjLb1EEEEE10hipError_tT1_PNSt15iterator_traitsISI_E10value_typeET2_T3_PNSJ_ISO_E10value_typeET4_T5_PST_SU_PNS1_23onesweep_lookback_stateEbbT6_jjT7_P12ihipStream_tbENKUlT_T0_SI_SN_E_clISD_PiSD_S15_EEDaS11_S12_SI_SN_EUlS11_E_NS1_11comp_targetILNS1_3genE6ELNS1_11target_archE950ELNS1_3gpuE13ELNS1_3repE0EEENS1_47radix_sort_onesweep_sort_config_static_selectorELNS0_4arch9wavefront6targetE1EEEvSI_
		.amdhsa_group_segment_fixed_size 20552
		.amdhsa_private_segment_fixed_size 80
		.amdhsa_kernarg_size 344
		.amdhsa_user_sgpr_count 2
		.amdhsa_user_sgpr_dispatch_ptr 0
		.amdhsa_user_sgpr_queue_ptr 0
		.amdhsa_user_sgpr_kernarg_segment_ptr 1
		.amdhsa_user_sgpr_dispatch_id 0
		.amdhsa_user_sgpr_kernarg_preload_length 0
		.amdhsa_user_sgpr_kernarg_preload_offset 0
		.amdhsa_user_sgpr_private_segment_size 0
		.amdhsa_uses_dynamic_stack 0
		.amdhsa_enable_private_segment 1
		.amdhsa_system_sgpr_workgroup_id_x 1
		.amdhsa_system_sgpr_workgroup_id_y 0
		.amdhsa_system_sgpr_workgroup_id_z 0
		.amdhsa_system_sgpr_workgroup_info 0
		.amdhsa_system_vgpr_workitem_id 2
		.amdhsa_next_free_vgpr 89
		.amdhsa_next_free_sgpr 73
		.amdhsa_accum_offset 92
		.amdhsa_reserve_vcc 1
		.amdhsa_float_round_mode_32 0
		.amdhsa_float_round_mode_16_64 0
		.amdhsa_float_denorm_mode_32 3
		.amdhsa_float_denorm_mode_16_64 3
		.amdhsa_dx10_clamp 1
		.amdhsa_ieee_mode 1
		.amdhsa_fp16_overflow 0
		.amdhsa_tg_split 0
		.amdhsa_exception_fp_ieee_invalid_op 0
		.amdhsa_exception_fp_denorm_src 0
		.amdhsa_exception_fp_ieee_div_zero 0
		.amdhsa_exception_fp_ieee_overflow 0
		.amdhsa_exception_fp_ieee_underflow 0
		.amdhsa_exception_fp_ieee_inexact 0
		.amdhsa_exception_int_div_zero 0
	.end_amdhsa_kernel
	.section	.text._ZN7rocprim17ROCPRIM_400000_NS6detail17trampoline_kernelINS0_14default_configENS1_35radix_sort_onesweep_config_selectorIiiEEZZNS1_29radix_sort_onesweep_iterationIS3_Lb1EN6thrust23THRUST_200600_302600_NS6detail15normal_iteratorINS8_10device_ptrIiEEEESD_SD_SD_jNS0_19identity_decomposerENS1_16block_id_wrapperIjLb1EEEEE10hipError_tT1_PNSt15iterator_traitsISI_E10value_typeET2_T3_PNSJ_ISO_E10value_typeET4_T5_PST_SU_PNS1_23onesweep_lookback_stateEbbT6_jjT7_P12ihipStream_tbENKUlT_T0_SI_SN_E_clISD_PiSD_S15_EEDaS11_S12_SI_SN_EUlS11_E_NS1_11comp_targetILNS1_3genE6ELNS1_11target_archE950ELNS1_3gpuE13ELNS1_3repE0EEENS1_47radix_sort_onesweep_sort_config_static_selectorELNS0_4arch9wavefront6targetE1EEEvSI_,"axG",@progbits,_ZN7rocprim17ROCPRIM_400000_NS6detail17trampoline_kernelINS0_14default_configENS1_35radix_sort_onesweep_config_selectorIiiEEZZNS1_29radix_sort_onesweep_iterationIS3_Lb1EN6thrust23THRUST_200600_302600_NS6detail15normal_iteratorINS8_10device_ptrIiEEEESD_SD_SD_jNS0_19identity_decomposerENS1_16block_id_wrapperIjLb1EEEEE10hipError_tT1_PNSt15iterator_traitsISI_E10value_typeET2_T3_PNSJ_ISO_E10value_typeET4_T5_PST_SU_PNS1_23onesweep_lookback_stateEbbT6_jjT7_P12ihipStream_tbENKUlT_T0_SI_SN_E_clISD_PiSD_S15_EEDaS11_S12_SI_SN_EUlS11_E_NS1_11comp_targetILNS1_3genE6ELNS1_11target_archE950ELNS1_3gpuE13ELNS1_3repE0EEENS1_47radix_sort_onesweep_sort_config_static_selectorELNS0_4arch9wavefront6targetE1EEEvSI_,comdat
.Lfunc_end1009:
	.size	_ZN7rocprim17ROCPRIM_400000_NS6detail17trampoline_kernelINS0_14default_configENS1_35radix_sort_onesweep_config_selectorIiiEEZZNS1_29radix_sort_onesweep_iterationIS3_Lb1EN6thrust23THRUST_200600_302600_NS6detail15normal_iteratorINS8_10device_ptrIiEEEESD_SD_SD_jNS0_19identity_decomposerENS1_16block_id_wrapperIjLb1EEEEE10hipError_tT1_PNSt15iterator_traitsISI_E10value_typeET2_T3_PNSJ_ISO_E10value_typeET4_T5_PST_SU_PNS1_23onesweep_lookback_stateEbbT6_jjT7_P12ihipStream_tbENKUlT_T0_SI_SN_E_clISD_PiSD_S15_EEDaS11_S12_SI_SN_EUlS11_E_NS1_11comp_targetILNS1_3genE6ELNS1_11target_archE950ELNS1_3gpuE13ELNS1_3repE0EEENS1_47radix_sort_onesweep_sort_config_static_selectorELNS0_4arch9wavefront6targetE1EEEvSI_, .Lfunc_end1009-_ZN7rocprim17ROCPRIM_400000_NS6detail17trampoline_kernelINS0_14default_configENS1_35radix_sort_onesweep_config_selectorIiiEEZZNS1_29radix_sort_onesweep_iterationIS3_Lb1EN6thrust23THRUST_200600_302600_NS6detail15normal_iteratorINS8_10device_ptrIiEEEESD_SD_SD_jNS0_19identity_decomposerENS1_16block_id_wrapperIjLb1EEEEE10hipError_tT1_PNSt15iterator_traitsISI_E10value_typeET2_T3_PNSJ_ISO_E10value_typeET4_T5_PST_SU_PNS1_23onesweep_lookback_stateEbbT6_jjT7_P12ihipStream_tbENKUlT_T0_SI_SN_E_clISD_PiSD_S15_EEDaS11_S12_SI_SN_EUlS11_E_NS1_11comp_targetILNS1_3genE6ELNS1_11target_archE950ELNS1_3gpuE13ELNS1_3repE0EEENS1_47radix_sort_onesweep_sort_config_static_selectorELNS0_4arch9wavefront6targetE1EEEvSI_
                                        ; -- End function
	.set _ZN7rocprim17ROCPRIM_400000_NS6detail17trampoline_kernelINS0_14default_configENS1_35radix_sort_onesweep_config_selectorIiiEEZZNS1_29radix_sort_onesweep_iterationIS3_Lb1EN6thrust23THRUST_200600_302600_NS6detail15normal_iteratorINS8_10device_ptrIiEEEESD_SD_SD_jNS0_19identity_decomposerENS1_16block_id_wrapperIjLb1EEEEE10hipError_tT1_PNSt15iterator_traitsISI_E10value_typeET2_T3_PNSJ_ISO_E10value_typeET4_T5_PST_SU_PNS1_23onesweep_lookback_stateEbbT6_jjT7_P12ihipStream_tbENKUlT_T0_SI_SN_E_clISD_PiSD_S15_EEDaS11_S12_SI_SN_EUlS11_E_NS1_11comp_targetILNS1_3genE6ELNS1_11target_archE950ELNS1_3gpuE13ELNS1_3repE0EEENS1_47radix_sort_onesweep_sort_config_static_selectorELNS0_4arch9wavefront6targetE1EEEvSI_.num_vgpr, 89
	.set _ZN7rocprim17ROCPRIM_400000_NS6detail17trampoline_kernelINS0_14default_configENS1_35radix_sort_onesweep_config_selectorIiiEEZZNS1_29radix_sort_onesweep_iterationIS3_Lb1EN6thrust23THRUST_200600_302600_NS6detail15normal_iteratorINS8_10device_ptrIiEEEESD_SD_SD_jNS0_19identity_decomposerENS1_16block_id_wrapperIjLb1EEEEE10hipError_tT1_PNSt15iterator_traitsISI_E10value_typeET2_T3_PNSJ_ISO_E10value_typeET4_T5_PST_SU_PNS1_23onesweep_lookback_stateEbbT6_jjT7_P12ihipStream_tbENKUlT_T0_SI_SN_E_clISD_PiSD_S15_EEDaS11_S12_SI_SN_EUlS11_E_NS1_11comp_targetILNS1_3genE6ELNS1_11target_archE950ELNS1_3gpuE13ELNS1_3repE0EEENS1_47radix_sort_onesweep_sort_config_static_selectorELNS0_4arch9wavefront6targetE1EEEvSI_.num_agpr, 0
	.set _ZN7rocprim17ROCPRIM_400000_NS6detail17trampoline_kernelINS0_14default_configENS1_35radix_sort_onesweep_config_selectorIiiEEZZNS1_29radix_sort_onesweep_iterationIS3_Lb1EN6thrust23THRUST_200600_302600_NS6detail15normal_iteratorINS8_10device_ptrIiEEEESD_SD_SD_jNS0_19identity_decomposerENS1_16block_id_wrapperIjLb1EEEEE10hipError_tT1_PNSt15iterator_traitsISI_E10value_typeET2_T3_PNSJ_ISO_E10value_typeET4_T5_PST_SU_PNS1_23onesweep_lookback_stateEbbT6_jjT7_P12ihipStream_tbENKUlT_T0_SI_SN_E_clISD_PiSD_S15_EEDaS11_S12_SI_SN_EUlS11_E_NS1_11comp_targetILNS1_3genE6ELNS1_11target_archE950ELNS1_3gpuE13ELNS1_3repE0EEENS1_47radix_sort_onesweep_sort_config_static_selectorELNS0_4arch9wavefront6targetE1EEEvSI_.numbered_sgpr, 73
	.set _ZN7rocprim17ROCPRIM_400000_NS6detail17trampoline_kernelINS0_14default_configENS1_35radix_sort_onesweep_config_selectorIiiEEZZNS1_29radix_sort_onesweep_iterationIS3_Lb1EN6thrust23THRUST_200600_302600_NS6detail15normal_iteratorINS8_10device_ptrIiEEEESD_SD_SD_jNS0_19identity_decomposerENS1_16block_id_wrapperIjLb1EEEEE10hipError_tT1_PNSt15iterator_traitsISI_E10value_typeET2_T3_PNSJ_ISO_E10value_typeET4_T5_PST_SU_PNS1_23onesweep_lookback_stateEbbT6_jjT7_P12ihipStream_tbENKUlT_T0_SI_SN_E_clISD_PiSD_S15_EEDaS11_S12_SI_SN_EUlS11_E_NS1_11comp_targetILNS1_3genE6ELNS1_11target_archE950ELNS1_3gpuE13ELNS1_3repE0EEENS1_47radix_sort_onesweep_sort_config_static_selectorELNS0_4arch9wavefront6targetE1EEEvSI_.num_named_barrier, 0
	.set _ZN7rocprim17ROCPRIM_400000_NS6detail17trampoline_kernelINS0_14default_configENS1_35radix_sort_onesweep_config_selectorIiiEEZZNS1_29radix_sort_onesweep_iterationIS3_Lb1EN6thrust23THRUST_200600_302600_NS6detail15normal_iteratorINS8_10device_ptrIiEEEESD_SD_SD_jNS0_19identity_decomposerENS1_16block_id_wrapperIjLb1EEEEE10hipError_tT1_PNSt15iterator_traitsISI_E10value_typeET2_T3_PNSJ_ISO_E10value_typeET4_T5_PST_SU_PNS1_23onesweep_lookback_stateEbbT6_jjT7_P12ihipStream_tbENKUlT_T0_SI_SN_E_clISD_PiSD_S15_EEDaS11_S12_SI_SN_EUlS11_E_NS1_11comp_targetILNS1_3genE6ELNS1_11target_archE950ELNS1_3gpuE13ELNS1_3repE0EEENS1_47radix_sort_onesweep_sort_config_static_selectorELNS0_4arch9wavefront6targetE1EEEvSI_.private_seg_size, 80
	.set _ZN7rocprim17ROCPRIM_400000_NS6detail17trampoline_kernelINS0_14default_configENS1_35radix_sort_onesweep_config_selectorIiiEEZZNS1_29radix_sort_onesweep_iterationIS3_Lb1EN6thrust23THRUST_200600_302600_NS6detail15normal_iteratorINS8_10device_ptrIiEEEESD_SD_SD_jNS0_19identity_decomposerENS1_16block_id_wrapperIjLb1EEEEE10hipError_tT1_PNSt15iterator_traitsISI_E10value_typeET2_T3_PNSJ_ISO_E10value_typeET4_T5_PST_SU_PNS1_23onesweep_lookback_stateEbbT6_jjT7_P12ihipStream_tbENKUlT_T0_SI_SN_E_clISD_PiSD_S15_EEDaS11_S12_SI_SN_EUlS11_E_NS1_11comp_targetILNS1_3genE6ELNS1_11target_archE950ELNS1_3gpuE13ELNS1_3repE0EEENS1_47radix_sort_onesweep_sort_config_static_selectorELNS0_4arch9wavefront6targetE1EEEvSI_.uses_vcc, 1
	.set _ZN7rocprim17ROCPRIM_400000_NS6detail17trampoline_kernelINS0_14default_configENS1_35radix_sort_onesweep_config_selectorIiiEEZZNS1_29radix_sort_onesweep_iterationIS3_Lb1EN6thrust23THRUST_200600_302600_NS6detail15normal_iteratorINS8_10device_ptrIiEEEESD_SD_SD_jNS0_19identity_decomposerENS1_16block_id_wrapperIjLb1EEEEE10hipError_tT1_PNSt15iterator_traitsISI_E10value_typeET2_T3_PNSJ_ISO_E10value_typeET4_T5_PST_SU_PNS1_23onesweep_lookback_stateEbbT6_jjT7_P12ihipStream_tbENKUlT_T0_SI_SN_E_clISD_PiSD_S15_EEDaS11_S12_SI_SN_EUlS11_E_NS1_11comp_targetILNS1_3genE6ELNS1_11target_archE950ELNS1_3gpuE13ELNS1_3repE0EEENS1_47radix_sort_onesweep_sort_config_static_selectorELNS0_4arch9wavefront6targetE1EEEvSI_.uses_flat_scratch, 0
	.set _ZN7rocprim17ROCPRIM_400000_NS6detail17trampoline_kernelINS0_14default_configENS1_35radix_sort_onesweep_config_selectorIiiEEZZNS1_29radix_sort_onesweep_iterationIS3_Lb1EN6thrust23THRUST_200600_302600_NS6detail15normal_iteratorINS8_10device_ptrIiEEEESD_SD_SD_jNS0_19identity_decomposerENS1_16block_id_wrapperIjLb1EEEEE10hipError_tT1_PNSt15iterator_traitsISI_E10value_typeET2_T3_PNSJ_ISO_E10value_typeET4_T5_PST_SU_PNS1_23onesweep_lookback_stateEbbT6_jjT7_P12ihipStream_tbENKUlT_T0_SI_SN_E_clISD_PiSD_S15_EEDaS11_S12_SI_SN_EUlS11_E_NS1_11comp_targetILNS1_3genE6ELNS1_11target_archE950ELNS1_3gpuE13ELNS1_3repE0EEENS1_47radix_sort_onesweep_sort_config_static_selectorELNS0_4arch9wavefront6targetE1EEEvSI_.has_dyn_sized_stack, 0
	.set _ZN7rocprim17ROCPRIM_400000_NS6detail17trampoline_kernelINS0_14default_configENS1_35radix_sort_onesweep_config_selectorIiiEEZZNS1_29radix_sort_onesweep_iterationIS3_Lb1EN6thrust23THRUST_200600_302600_NS6detail15normal_iteratorINS8_10device_ptrIiEEEESD_SD_SD_jNS0_19identity_decomposerENS1_16block_id_wrapperIjLb1EEEEE10hipError_tT1_PNSt15iterator_traitsISI_E10value_typeET2_T3_PNSJ_ISO_E10value_typeET4_T5_PST_SU_PNS1_23onesweep_lookback_stateEbbT6_jjT7_P12ihipStream_tbENKUlT_T0_SI_SN_E_clISD_PiSD_S15_EEDaS11_S12_SI_SN_EUlS11_E_NS1_11comp_targetILNS1_3genE6ELNS1_11target_archE950ELNS1_3gpuE13ELNS1_3repE0EEENS1_47radix_sort_onesweep_sort_config_static_selectorELNS0_4arch9wavefront6targetE1EEEvSI_.has_recursion, 0
	.set _ZN7rocprim17ROCPRIM_400000_NS6detail17trampoline_kernelINS0_14default_configENS1_35radix_sort_onesweep_config_selectorIiiEEZZNS1_29radix_sort_onesweep_iterationIS3_Lb1EN6thrust23THRUST_200600_302600_NS6detail15normal_iteratorINS8_10device_ptrIiEEEESD_SD_SD_jNS0_19identity_decomposerENS1_16block_id_wrapperIjLb1EEEEE10hipError_tT1_PNSt15iterator_traitsISI_E10value_typeET2_T3_PNSJ_ISO_E10value_typeET4_T5_PST_SU_PNS1_23onesweep_lookback_stateEbbT6_jjT7_P12ihipStream_tbENKUlT_T0_SI_SN_E_clISD_PiSD_S15_EEDaS11_S12_SI_SN_EUlS11_E_NS1_11comp_targetILNS1_3genE6ELNS1_11target_archE950ELNS1_3gpuE13ELNS1_3repE0EEENS1_47radix_sort_onesweep_sort_config_static_selectorELNS0_4arch9wavefront6targetE1EEEvSI_.has_indirect_call, 0
	.section	.AMDGPU.csdata,"",@progbits
; Kernel info:
; codeLenInByte = 22700
; TotalNumSgprs: 79
; NumVgprs: 89
; NumAgprs: 0
; TotalNumVgprs: 89
; ScratchSize: 80
; MemoryBound: 0
; FloatMode: 240
; IeeeMode: 1
; LDSByteSize: 20552 bytes/workgroup (compile time only)
; SGPRBlocks: 9
; VGPRBlocks: 11
; NumSGPRsForWavesPerEU: 79
; NumVGPRsForWavesPerEU: 89
; AccumOffset: 92
; Occupancy: 5
; WaveLimiterHint : 1
; COMPUTE_PGM_RSRC2:SCRATCH_EN: 1
; COMPUTE_PGM_RSRC2:USER_SGPR: 2
; COMPUTE_PGM_RSRC2:TRAP_HANDLER: 0
; COMPUTE_PGM_RSRC2:TGID_X_EN: 1
; COMPUTE_PGM_RSRC2:TGID_Y_EN: 0
; COMPUTE_PGM_RSRC2:TGID_Z_EN: 0
; COMPUTE_PGM_RSRC2:TIDIG_COMP_CNT: 2
; COMPUTE_PGM_RSRC3_GFX90A:ACCUM_OFFSET: 22
; COMPUTE_PGM_RSRC3_GFX90A:TG_SPLIT: 0
	.section	.text._ZN7rocprim17ROCPRIM_400000_NS6detail17trampoline_kernelINS0_14default_configENS1_35radix_sort_onesweep_config_selectorIiiEEZZNS1_29radix_sort_onesweep_iterationIS3_Lb1EN6thrust23THRUST_200600_302600_NS6detail15normal_iteratorINS8_10device_ptrIiEEEESD_SD_SD_jNS0_19identity_decomposerENS1_16block_id_wrapperIjLb1EEEEE10hipError_tT1_PNSt15iterator_traitsISI_E10value_typeET2_T3_PNSJ_ISO_E10value_typeET4_T5_PST_SU_PNS1_23onesweep_lookback_stateEbbT6_jjT7_P12ihipStream_tbENKUlT_T0_SI_SN_E_clISD_PiSD_S15_EEDaS11_S12_SI_SN_EUlS11_E_NS1_11comp_targetILNS1_3genE5ELNS1_11target_archE942ELNS1_3gpuE9ELNS1_3repE0EEENS1_47radix_sort_onesweep_sort_config_static_selectorELNS0_4arch9wavefront6targetE1EEEvSI_,"axG",@progbits,_ZN7rocprim17ROCPRIM_400000_NS6detail17trampoline_kernelINS0_14default_configENS1_35radix_sort_onesweep_config_selectorIiiEEZZNS1_29radix_sort_onesweep_iterationIS3_Lb1EN6thrust23THRUST_200600_302600_NS6detail15normal_iteratorINS8_10device_ptrIiEEEESD_SD_SD_jNS0_19identity_decomposerENS1_16block_id_wrapperIjLb1EEEEE10hipError_tT1_PNSt15iterator_traitsISI_E10value_typeET2_T3_PNSJ_ISO_E10value_typeET4_T5_PST_SU_PNS1_23onesweep_lookback_stateEbbT6_jjT7_P12ihipStream_tbENKUlT_T0_SI_SN_E_clISD_PiSD_S15_EEDaS11_S12_SI_SN_EUlS11_E_NS1_11comp_targetILNS1_3genE5ELNS1_11target_archE942ELNS1_3gpuE9ELNS1_3repE0EEENS1_47radix_sort_onesweep_sort_config_static_selectorELNS0_4arch9wavefront6targetE1EEEvSI_,comdat
	.protected	_ZN7rocprim17ROCPRIM_400000_NS6detail17trampoline_kernelINS0_14default_configENS1_35radix_sort_onesweep_config_selectorIiiEEZZNS1_29radix_sort_onesweep_iterationIS3_Lb1EN6thrust23THRUST_200600_302600_NS6detail15normal_iteratorINS8_10device_ptrIiEEEESD_SD_SD_jNS0_19identity_decomposerENS1_16block_id_wrapperIjLb1EEEEE10hipError_tT1_PNSt15iterator_traitsISI_E10value_typeET2_T3_PNSJ_ISO_E10value_typeET4_T5_PST_SU_PNS1_23onesweep_lookback_stateEbbT6_jjT7_P12ihipStream_tbENKUlT_T0_SI_SN_E_clISD_PiSD_S15_EEDaS11_S12_SI_SN_EUlS11_E_NS1_11comp_targetILNS1_3genE5ELNS1_11target_archE942ELNS1_3gpuE9ELNS1_3repE0EEENS1_47radix_sort_onesweep_sort_config_static_selectorELNS0_4arch9wavefront6targetE1EEEvSI_ ; -- Begin function _ZN7rocprim17ROCPRIM_400000_NS6detail17trampoline_kernelINS0_14default_configENS1_35radix_sort_onesweep_config_selectorIiiEEZZNS1_29radix_sort_onesweep_iterationIS3_Lb1EN6thrust23THRUST_200600_302600_NS6detail15normal_iteratorINS8_10device_ptrIiEEEESD_SD_SD_jNS0_19identity_decomposerENS1_16block_id_wrapperIjLb1EEEEE10hipError_tT1_PNSt15iterator_traitsISI_E10value_typeET2_T3_PNSJ_ISO_E10value_typeET4_T5_PST_SU_PNS1_23onesweep_lookback_stateEbbT6_jjT7_P12ihipStream_tbENKUlT_T0_SI_SN_E_clISD_PiSD_S15_EEDaS11_S12_SI_SN_EUlS11_E_NS1_11comp_targetILNS1_3genE5ELNS1_11target_archE942ELNS1_3gpuE9ELNS1_3repE0EEENS1_47radix_sort_onesweep_sort_config_static_selectorELNS0_4arch9wavefront6targetE1EEEvSI_
	.globl	_ZN7rocprim17ROCPRIM_400000_NS6detail17trampoline_kernelINS0_14default_configENS1_35radix_sort_onesweep_config_selectorIiiEEZZNS1_29radix_sort_onesweep_iterationIS3_Lb1EN6thrust23THRUST_200600_302600_NS6detail15normal_iteratorINS8_10device_ptrIiEEEESD_SD_SD_jNS0_19identity_decomposerENS1_16block_id_wrapperIjLb1EEEEE10hipError_tT1_PNSt15iterator_traitsISI_E10value_typeET2_T3_PNSJ_ISO_E10value_typeET4_T5_PST_SU_PNS1_23onesweep_lookback_stateEbbT6_jjT7_P12ihipStream_tbENKUlT_T0_SI_SN_E_clISD_PiSD_S15_EEDaS11_S12_SI_SN_EUlS11_E_NS1_11comp_targetILNS1_3genE5ELNS1_11target_archE942ELNS1_3gpuE9ELNS1_3repE0EEENS1_47radix_sort_onesweep_sort_config_static_selectorELNS0_4arch9wavefront6targetE1EEEvSI_
	.p2align	8
	.type	_ZN7rocprim17ROCPRIM_400000_NS6detail17trampoline_kernelINS0_14default_configENS1_35radix_sort_onesweep_config_selectorIiiEEZZNS1_29radix_sort_onesweep_iterationIS3_Lb1EN6thrust23THRUST_200600_302600_NS6detail15normal_iteratorINS8_10device_ptrIiEEEESD_SD_SD_jNS0_19identity_decomposerENS1_16block_id_wrapperIjLb1EEEEE10hipError_tT1_PNSt15iterator_traitsISI_E10value_typeET2_T3_PNSJ_ISO_E10value_typeET4_T5_PST_SU_PNS1_23onesweep_lookback_stateEbbT6_jjT7_P12ihipStream_tbENKUlT_T0_SI_SN_E_clISD_PiSD_S15_EEDaS11_S12_SI_SN_EUlS11_E_NS1_11comp_targetILNS1_3genE5ELNS1_11target_archE942ELNS1_3gpuE9ELNS1_3repE0EEENS1_47radix_sort_onesweep_sort_config_static_selectorELNS0_4arch9wavefront6targetE1EEEvSI_,@function
_ZN7rocprim17ROCPRIM_400000_NS6detail17trampoline_kernelINS0_14default_configENS1_35radix_sort_onesweep_config_selectorIiiEEZZNS1_29radix_sort_onesweep_iterationIS3_Lb1EN6thrust23THRUST_200600_302600_NS6detail15normal_iteratorINS8_10device_ptrIiEEEESD_SD_SD_jNS0_19identity_decomposerENS1_16block_id_wrapperIjLb1EEEEE10hipError_tT1_PNSt15iterator_traitsISI_E10value_typeET2_T3_PNSJ_ISO_E10value_typeET4_T5_PST_SU_PNS1_23onesweep_lookback_stateEbbT6_jjT7_P12ihipStream_tbENKUlT_T0_SI_SN_E_clISD_PiSD_S15_EEDaS11_S12_SI_SN_EUlS11_E_NS1_11comp_targetILNS1_3genE5ELNS1_11target_archE942ELNS1_3gpuE9ELNS1_3repE0EEENS1_47radix_sort_onesweep_sort_config_static_selectorELNS0_4arch9wavefront6targetE1EEEvSI_: ; @_ZN7rocprim17ROCPRIM_400000_NS6detail17trampoline_kernelINS0_14default_configENS1_35radix_sort_onesweep_config_selectorIiiEEZZNS1_29radix_sort_onesweep_iterationIS3_Lb1EN6thrust23THRUST_200600_302600_NS6detail15normal_iteratorINS8_10device_ptrIiEEEESD_SD_SD_jNS0_19identity_decomposerENS1_16block_id_wrapperIjLb1EEEEE10hipError_tT1_PNSt15iterator_traitsISI_E10value_typeET2_T3_PNSJ_ISO_E10value_typeET4_T5_PST_SU_PNS1_23onesweep_lookback_stateEbbT6_jjT7_P12ihipStream_tbENKUlT_T0_SI_SN_E_clISD_PiSD_S15_EEDaS11_S12_SI_SN_EUlS11_E_NS1_11comp_targetILNS1_3genE5ELNS1_11target_archE942ELNS1_3gpuE9ELNS1_3repE0EEENS1_47radix_sort_onesweep_sort_config_static_selectorELNS0_4arch9wavefront6targetE1EEEvSI_
; %bb.0:
	.section	.rodata,"a",@progbits
	.p2align	6, 0x0
	.amdhsa_kernel _ZN7rocprim17ROCPRIM_400000_NS6detail17trampoline_kernelINS0_14default_configENS1_35radix_sort_onesweep_config_selectorIiiEEZZNS1_29radix_sort_onesweep_iterationIS3_Lb1EN6thrust23THRUST_200600_302600_NS6detail15normal_iteratorINS8_10device_ptrIiEEEESD_SD_SD_jNS0_19identity_decomposerENS1_16block_id_wrapperIjLb1EEEEE10hipError_tT1_PNSt15iterator_traitsISI_E10value_typeET2_T3_PNSJ_ISO_E10value_typeET4_T5_PST_SU_PNS1_23onesweep_lookback_stateEbbT6_jjT7_P12ihipStream_tbENKUlT_T0_SI_SN_E_clISD_PiSD_S15_EEDaS11_S12_SI_SN_EUlS11_E_NS1_11comp_targetILNS1_3genE5ELNS1_11target_archE942ELNS1_3gpuE9ELNS1_3repE0EEENS1_47radix_sort_onesweep_sort_config_static_selectorELNS0_4arch9wavefront6targetE1EEEvSI_
		.amdhsa_group_segment_fixed_size 0
		.amdhsa_private_segment_fixed_size 0
		.amdhsa_kernarg_size 88
		.amdhsa_user_sgpr_count 2
		.amdhsa_user_sgpr_dispatch_ptr 0
		.amdhsa_user_sgpr_queue_ptr 0
		.amdhsa_user_sgpr_kernarg_segment_ptr 1
		.amdhsa_user_sgpr_dispatch_id 0
		.amdhsa_user_sgpr_kernarg_preload_length 0
		.amdhsa_user_sgpr_kernarg_preload_offset 0
		.amdhsa_user_sgpr_private_segment_size 0
		.amdhsa_uses_dynamic_stack 0
		.amdhsa_enable_private_segment 0
		.amdhsa_system_sgpr_workgroup_id_x 1
		.amdhsa_system_sgpr_workgroup_id_y 0
		.amdhsa_system_sgpr_workgroup_id_z 0
		.amdhsa_system_sgpr_workgroup_info 0
		.amdhsa_system_vgpr_workitem_id 0
		.amdhsa_next_free_vgpr 1
		.amdhsa_next_free_sgpr 0
		.amdhsa_accum_offset 4
		.amdhsa_reserve_vcc 0
		.amdhsa_float_round_mode_32 0
		.amdhsa_float_round_mode_16_64 0
		.amdhsa_float_denorm_mode_32 3
		.amdhsa_float_denorm_mode_16_64 3
		.amdhsa_dx10_clamp 1
		.amdhsa_ieee_mode 1
		.amdhsa_fp16_overflow 0
		.amdhsa_tg_split 0
		.amdhsa_exception_fp_ieee_invalid_op 0
		.amdhsa_exception_fp_denorm_src 0
		.amdhsa_exception_fp_ieee_div_zero 0
		.amdhsa_exception_fp_ieee_overflow 0
		.amdhsa_exception_fp_ieee_underflow 0
		.amdhsa_exception_fp_ieee_inexact 0
		.amdhsa_exception_int_div_zero 0
	.end_amdhsa_kernel
	.section	.text._ZN7rocprim17ROCPRIM_400000_NS6detail17trampoline_kernelINS0_14default_configENS1_35radix_sort_onesweep_config_selectorIiiEEZZNS1_29radix_sort_onesweep_iterationIS3_Lb1EN6thrust23THRUST_200600_302600_NS6detail15normal_iteratorINS8_10device_ptrIiEEEESD_SD_SD_jNS0_19identity_decomposerENS1_16block_id_wrapperIjLb1EEEEE10hipError_tT1_PNSt15iterator_traitsISI_E10value_typeET2_T3_PNSJ_ISO_E10value_typeET4_T5_PST_SU_PNS1_23onesweep_lookback_stateEbbT6_jjT7_P12ihipStream_tbENKUlT_T0_SI_SN_E_clISD_PiSD_S15_EEDaS11_S12_SI_SN_EUlS11_E_NS1_11comp_targetILNS1_3genE5ELNS1_11target_archE942ELNS1_3gpuE9ELNS1_3repE0EEENS1_47radix_sort_onesweep_sort_config_static_selectorELNS0_4arch9wavefront6targetE1EEEvSI_,"axG",@progbits,_ZN7rocprim17ROCPRIM_400000_NS6detail17trampoline_kernelINS0_14default_configENS1_35radix_sort_onesweep_config_selectorIiiEEZZNS1_29radix_sort_onesweep_iterationIS3_Lb1EN6thrust23THRUST_200600_302600_NS6detail15normal_iteratorINS8_10device_ptrIiEEEESD_SD_SD_jNS0_19identity_decomposerENS1_16block_id_wrapperIjLb1EEEEE10hipError_tT1_PNSt15iterator_traitsISI_E10value_typeET2_T3_PNSJ_ISO_E10value_typeET4_T5_PST_SU_PNS1_23onesweep_lookback_stateEbbT6_jjT7_P12ihipStream_tbENKUlT_T0_SI_SN_E_clISD_PiSD_S15_EEDaS11_S12_SI_SN_EUlS11_E_NS1_11comp_targetILNS1_3genE5ELNS1_11target_archE942ELNS1_3gpuE9ELNS1_3repE0EEENS1_47radix_sort_onesweep_sort_config_static_selectorELNS0_4arch9wavefront6targetE1EEEvSI_,comdat
.Lfunc_end1010:
	.size	_ZN7rocprim17ROCPRIM_400000_NS6detail17trampoline_kernelINS0_14default_configENS1_35radix_sort_onesweep_config_selectorIiiEEZZNS1_29radix_sort_onesweep_iterationIS3_Lb1EN6thrust23THRUST_200600_302600_NS6detail15normal_iteratorINS8_10device_ptrIiEEEESD_SD_SD_jNS0_19identity_decomposerENS1_16block_id_wrapperIjLb1EEEEE10hipError_tT1_PNSt15iterator_traitsISI_E10value_typeET2_T3_PNSJ_ISO_E10value_typeET4_T5_PST_SU_PNS1_23onesweep_lookback_stateEbbT6_jjT7_P12ihipStream_tbENKUlT_T0_SI_SN_E_clISD_PiSD_S15_EEDaS11_S12_SI_SN_EUlS11_E_NS1_11comp_targetILNS1_3genE5ELNS1_11target_archE942ELNS1_3gpuE9ELNS1_3repE0EEENS1_47radix_sort_onesweep_sort_config_static_selectorELNS0_4arch9wavefront6targetE1EEEvSI_, .Lfunc_end1010-_ZN7rocprim17ROCPRIM_400000_NS6detail17trampoline_kernelINS0_14default_configENS1_35radix_sort_onesweep_config_selectorIiiEEZZNS1_29radix_sort_onesweep_iterationIS3_Lb1EN6thrust23THRUST_200600_302600_NS6detail15normal_iteratorINS8_10device_ptrIiEEEESD_SD_SD_jNS0_19identity_decomposerENS1_16block_id_wrapperIjLb1EEEEE10hipError_tT1_PNSt15iterator_traitsISI_E10value_typeET2_T3_PNSJ_ISO_E10value_typeET4_T5_PST_SU_PNS1_23onesweep_lookback_stateEbbT6_jjT7_P12ihipStream_tbENKUlT_T0_SI_SN_E_clISD_PiSD_S15_EEDaS11_S12_SI_SN_EUlS11_E_NS1_11comp_targetILNS1_3genE5ELNS1_11target_archE942ELNS1_3gpuE9ELNS1_3repE0EEENS1_47radix_sort_onesweep_sort_config_static_selectorELNS0_4arch9wavefront6targetE1EEEvSI_
                                        ; -- End function
	.set _ZN7rocprim17ROCPRIM_400000_NS6detail17trampoline_kernelINS0_14default_configENS1_35radix_sort_onesweep_config_selectorIiiEEZZNS1_29radix_sort_onesweep_iterationIS3_Lb1EN6thrust23THRUST_200600_302600_NS6detail15normal_iteratorINS8_10device_ptrIiEEEESD_SD_SD_jNS0_19identity_decomposerENS1_16block_id_wrapperIjLb1EEEEE10hipError_tT1_PNSt15iterator_traitsISI_E10value_typeET2_T3_PNSJ_ISO_E10value_typeET4_T5_PST_SU_PNS1_23onesweep_lookback_stateEbbT6_jjT7_P12ihipStream_tbENKUlT_T0_SI_SN_E_clISD_PiSD_S15_EEDaS11_S12_SI_SN_EUlS11_E_NS1_11comp_targetILNS1_3genE5ELNS1_11target_archE942ELNS1_3gpuE9ELNS1_3repE0EEENS1_47radix_sort_onesweep_sort_config_static_selectorELNS0_4arch9wavefront6targetE1EEEvSI_.num_vgpr, 0
	.set _ZN7rocprim17ROCPRIM_400000_NS6detail17trampoline_kernelINS0_14default_configENS1_35radix_sort_onesweep_config_selectorIiiEEZZNS1_29radix_sort_onesweep_iterationIS3_Lb1EN6thrust23THRUST_200600_302600_NS6detail15normal_iteratorINS8_10device_ptrIiEEEESD_SD_SD_jNS0_19identity_decomposerENS1_16block_id_wrapperIjLb1EEEEE10hipError_tT1_PNSt15iterator_traitsISI_E10value_typeET2_T3_PNSJ_ISO_E10value_typeET4_T5_PST_SU_PNS1_23onesweep_lookback_stateEbbT6_jjT7_P12ihipStream_tbENKUlT_T0_SI_SN_E_clISD_PiSD_S15_EEDaS11_S12_SI_SN_EUlS11_E_NS1_11comp_targetILNS1_3genE5ELNS1_11target_archE942ELNS1_3gpuE9ELNS1_3repE0EEENS1_47radix_sort_onesweep_sort_config_static_selectorELNS0_4arch9wavefront6targetE1EEEvSI_.num_agpr, 0
	.set _ZN7rocprim17ROCPRIM_400000_NS6detail17trampoline_kernelINS0_14default_configENS1_35radix_sort_onesweep_config_selectorIiiEEZZNS1_29radix_sort_onesweep_iterationIS3_Lb1EN6thrust23THRUST_200600_302600_NS6detail15normal_iteratorINS8_10device_ptrIiEEEESD_SD_SD_jNS0_19identity_decomposerENS1_16block_id_wrapperIjLb1EEEEE10hipError_tT1_PNSt15iterator_traitsISI_E10value_typeET2_T3_PNSJ_ISO_E10value_typeET4_T5_PST_SU_PNS1_23onesweep_lookback_stateEbbT6_jjT7_P12ihipStream_tbENKUlT_T0_SI_SN_E_clISD_PiSD_S15_EEDaS11_S12_SI_SN_EUlS11_E_NS1_11comp_targetILNS1_3genE5ELNS1_11target_archE942ELNS1_3gpuE9ELNS1_3repE0EEENS1_47radix_sort_onesweep_sort_config_static_selectorELNS0_4arch9wavefront6targetE1EEEvSI_.numbered_sgpr, 0
	.set _ZN7rocprim17ROCPRIM_400000_NS6detail17trampoline_kernelINS0_14default_configENS1_35radix_sort_onesweep_config_selectorIiiEEZZNS1_29radix_sort_onesweep_iterationIS3_Lb1EN6thrust23THRUST_200600_302600_NS6detail15normal_iteratorINS8_10device_ptrIiEEEESD_SD_SD_jNS0_19identity_decomposerENS1_16block_id_wrapperIjLb1EEEEE10hipError_tT1_PNSt15iterator_traitsISI_E10value_typeET2_T3_PNSJ_ISO_E10value_typeET4_T5_PST_SU_PNS1_23onesweep_lookback_stateEbbT6_jjT7_P12ihipStream_tbENKUlT_T0_SI_SN_E_clISD_PiSD_S15_EEDaS11_S12_SI_SN_EUlS11_E_NS1_11comp_targetILNS1_3genE5ELNS1_11target_archE942ELNS1_3gpuE9ELNS1_3repE0EEENS1_47radix_sort_onesweep_sort_config_static_selectorELNS0_4arch9wavefront6targetE1EEEvSI_.num_named_barrier, 0
	.set _ZN7rocprim17ROCPRIM_400000_NS6detail17trampoline_kernelINS0_14default_configENS1_35radix_sort_onesweep_config_selectorIiiEEZZNS1_29radix_sort_onesweep_iterationIS3_Lb1EN6thrust23THRUST_200600_302600_NS6detail15normal_iteratorINS8_10device_ptrIiEEEESD_SD_SD_jNS0_19identity_decomposerENS1_16block_id_wrapperIjLb1EEEEE10hipError_tT1_PNSt15iterator_traitsISI_E10value_typeET2_T3_PNSJ_ISO_E10value_typeET4_T5_PST_SU_PNS1_23onesweep_lookback_stateEbbT6_jjT7_P12ihipStream_tbENKUlT_T0_SI_SN_E_clISD_PiSD_S15_EEDaS11_S12_SI_SN_EUlS11_E_NS1_11comp_targetILNS1_3genE5ELNS1_11target_archE942ELNS1_3gpuE9ELNS1_3repE0EEENS1_47radix_sort_onesweep_sort_config_static_selectorELNS0_4arch9wavefront6targetE1EEEvSI_.private_seg_size, 0
	.set _ZN7rocprim17ROCPRIM_400000_NS6detail17trampoline_kernelINS0_14default_configENS1_35radix_sort_onesweep_config_selectorIiiEEZZNS1_29radix_sort_onesweep_iterationIS3_Lb1EN6thrust23THRUST_200600_302600_NS6detail15normal_iteratorINS8_10device_ptrIiEEEESD_SD_SD_jNS0_19identity_decomposerENS1_16block_id_wrapperIjLb1EEEEE10hipError_tT1_PNSt15iterator_traitsISI_E10value_typeET2_T3_PNSJ_ISO_E10value_typeET4_T5_PST_SU_PNS1_23onesweep_lookback_stateEbbT6_jjT7_P12ihipStream_tbENKUlT_T0_SI_SN_E_clISD_PiSD_S15_EEDaS11_S12_SI_SN_EUlS11_E_NS1_11comp_targetILNS1_3genE5ELNS1_11target_archE942ELNS1_3gpuE9ELNS1_3repE0EEENS1_47radix_sort_onesweep_sort_config_static_selectorELNS0_4arch9wavefront6targetE1EEEvSI_.uses_vcc, 0
	.set _ZN7rocprim17ROCPRIM_400000_NS6detail17trampoline_kernelINS0_14default_configENS1_35radix_sort_onesweep_config_selectorIiiEEZZNS1_29radix_sort_onesweep_iterationIS3_Lb1EN6thrust23THRUST_200600_302600_NS6detail15normal_iteratorINS8_10device_ptrIiEEEESD_SD_SD_jNS0_19identity_decomposerENS1_16block_id_wrapperIjLb1EEEEE10hipError_tT1_PNSt15iterator_traitsISI_E10value_typeET2_T3_PNSJ_ISO_E10value_typeET4_T5_PST_SU_PNS1_23onesweep_lookback_stateEbbT6_jjT7_P12ihipStream_tbENKUlT_T0_SI_SN_E_clISD_PiSD_S15_EEDaS11_S12_SI_SN_EUlS11_E_NS1_11comp_targetILNS1_3genE5ELNS1_11target_archE942ELNS1_3gpuE9ELNS1_3repE0EEENS1_47radix_sort_onesweep_sort_config_static_selectorELNS0_4arch9wavefront6targetE1EEEvSI_.uses_flat_scratch, 0
	.set _ZN7rocprim17ROCPRIM_400000_NS6detail17trampoline_kernelINS0_14default_configENS1_35radix_sort_onesweep_config_selectorIiiEEZZNS1_29radix_sort_onesweep_iterationIS3_Lb1EN6thrust23THRUST_200600_302600_NS6detail15normal_iteratorINS8_10device_ptrIiEEEESD_SD_SD_jNS0_19identity_decomposerENS1_16block_id_wrapperIjLb1EEEEE10hipError_tT1_PNSt15iterator_traitsISI_E10value_typeET2_T3_PNSJ_ISO_E10value_typeET4_T5_PST_SU_PNS1_23onesweep_lookback_stateEbbT6_jjT7_P12ihipStream_tbENKUlT_T0_SI_SN_E_clISD_PiSD_S15_EEDaS11_S12_SI_SN_EUlS11_E_NS1_11comp_targetILNS1_3genE5ELNS1_11target_archE942ELNS1_3gpuE9ELNS1_3repE0EEENS1_47radix_sort_onesweep_sort_config_static_selectorELNS0_4arch9wavefront6targetE1EEEvSI_.has_dyn_sized_stack, 0
	.set _ZN7rocprim17ROCPRIM_400000_NS6detail17trampoline_kernelINS0_14default_configENS1_35radix_sort_onesweep_config_selectorIiiEEZZNS1_29radix_sort_onesweep_iterationIS3_Lb1EN6thrust23THRUST_200600_302600_NS6detail15normal_iteratorINS8_10device_ptrIiEEEESD_SD_SD_jNS0_19identity_decomposerENS1_16block_id_wrapperIjLb1EEEEE10hipError_tT1_PNSt15iterator_traitsISI_E10value_typeET2_T3_PNSJ_ISO_E10value_typeET4_T5_PST_SU_PNS1_23onesweep_lookback_stateEbbT6_jjT7_P12ihipStream_tbENKUlT_T0_SI_SN_E_clISD_PiSD_S15_EEDaS11_S12_SI_SN_EUlS11_E_NS1_11comp_targetILNS1_3genE5ELNS1_11target_archE942ELNS1_3gpuE9ELNS1_3repE0EEENS1_47radix_sort_onesweep_sort_config_static_selectorELNS0_4arch9wavefront6targetE1EEEvSI_.has_recursion, 0
	.set _ZN7rocprim17ROCPRIM_400000_NS6detail17trampoline_kernelINS0_14default_configENS1_35radix_sort_onesweep_config_selectorIiiEEZZNS1_29radix_sort_onesweep_iterationIS3_Lb1EN6thrust23THRUST_200600_302600_NS6detail15normal_iteratorINS8_10device_ptrIiEEEESD_SD_SD_jNS0_19identity_decomposerENS1_16block_id_wrapperIjLb1EEEEE10hipError_tT1_PNSt15iterator_traitsISI_E10value_typeET2_T3_PNSJ_ISO_E10value_typeET4_T5_PST_SU_PNS1_23onesweep_lookback_stateEbbT6_jjT7_P12ihipStream_tbENKUlT_T0_SI_SN_E_clISD_PiSD_S15_EEDaS11_S12_SI_SN_EUlS11_E_NS1_11comp_targetILNS1_3genE5ELNS1_11target_archE942ELNS1_3gpuE9ELNS1_3repE0EEENS1_47radix_sort_onesweep_sort_config_static_selectorELNS0_4arch9wavefront6targetE1EEEvSI_.has_indirect_call, 0
	.section	.AMDGPU.csdata,"",@progbits
; Kernel info:
; codeLenInByte = 0
; TotalNumSgprs: 6
; NumVgprs: 0
; NumAgprs: 0
; TotalNumVgprs: 0
; ScratchSize: 0
; MemoryBound: 0
; FloatMode: 240
; IeeeMode: 1
; LDSByteSize: 0 bytes/workgroup (compile time only)
; SGPRBlocks: 0
; VGPRBlocks: 0
; NumSGPRsForWavesPerEU: 6
; NumVGPRsForWavesPerEU: 1
; AccumOffset: 4
; Occupancy: 8
; WaveLimiterHint : 0
; COMPUTE_PGM_RSRC2:SCRATCH_EN: 0
; COMPUTE_PGM_RSRC2:USER_SGPR: 2
; COMPUTE_PGM_RSRC2:TRAP_HANDLER: 0
; COMPUTE_PGM_RSRC2:TGID_X_EN: 1
; COMPUTE_PGM_RSRC2:TGID_Y_EN: 0
; COMPUTE_PGM_RSRC2:TGID_Z_EN: 0
; COMPUTE_PGM_RSRC2:TIDIG_COMP_CNT: 0
; COMPUTE_PGM_RSRC3_GFX90A:ACCUM_OFFSET: 0
; COMPUTE_PGM_RSRC3_GFX90A:TG_SPLIT: 0
	.section	.text._ZN7rocprim17ROCPRIM_400000_NS6detail17trampoline_kernelINS0_14default_configENS1_35radix_sort_onesweep_config_selectorIiiEEZZNS1_29radix_sort_onesweep_iterationIS3_Lb1EN6thrust23THRUST_200600_302600_NS6detail15normal_iteratorINS8_10device_ptrIiEEEESD_SD_SD_jNS0_19identity_decomposerENS1_16block_id_wrapperIjLb1EEEEE10hipError_tT1_PNSt15iterator_traitsISI_E10value_typeET2_T3_PNSJ_ISO_E10value_typeET4_T5_PST_SU_PNS1_23onesweep_lookback_stateEbbT6_jjT7_P12ihipStream_tbENKUlT_T0_SI_SN_E_clISD_PiSD_S15_EEDaS11_S12_SI_SN_EUlS11_E_NS1_11comp_targetILNS1_3genE2ELNS1_11target_archE906ELNS1_3gpuE6ELNS1_3repE0EEENS1_47radix_sort_onesweep_sort_config_static_selectorELNS0_4arch9wavefront6targetE1EEEvSI_,"axG",@progbits,_ZN7rocprim17ROCPRIM_400000_NS6detail17trampoline_kernelINS0_14default_configENS1_35radix_sort_onesweep_config_selectorIiiEEZZNS1_29radix_sort_onesweep_iterationIS3_Lb1EN6thrust23THRUST_200600_302600_NS6detail15normal_iteratorINS8_10device_ptrIiEEEESD_SD_SD_jNS0_19identity_decomposerENS1_16block_id_wrapperIjLb1EEEEE10hipError_tT1_PNSt15iterator_traitsISI_E10value_typeET2_T3_PNSJ_ISO_E10value_typeET4_T5_PST_SU_PNS1_23onesweep_lookback_stateEbbT6_jjT7_P12ihipStream_tbENKUlT_T0_SI_SN_E_clISD_PiSD_S15_EEDaS11_S12_SI_SN_EUlS11_E_NS1_11comp_targetILNS1_3genE2ELNS1_11target_archE906ELNS1_3gpuE6ELNS1_3repE0EEENS1_47radix_sort_onesweep_sort_config_static_selectorELNS0_4arch9wavefront6targetE1EEEvSI_,comdat
	.protected	_ZN7rocprim17ROCPRIM_400000_NS6detail17trampoline_kernelINS0_14default_configENS1_35radix_sort_onesweep_config_selectorIiiEEZZNS1_29radix_sort_onesweep_iterationIS3_Lb1EN6thrust23THRUST_200600_302600_NS6detail15normal_iteratorINS8_10device_ptrIiEEEESD_SD_SD_jNS0_19identity_decomposerENS1_16block_id_wrapperIjLb1EEEEE10hipError_tT1_PNSt15iterator_traitsISI_E10value_typeET2_T3_PNSJ_ISO_E10value_typeET4_T5_PST_SU_PNS1_23onesweep_lookback_stateEbbT6_jjT7_P12ihipStream_tbENKUlT_T0_SI_SN_E_clISD_PiSD_S15_EEDaS11_S12_SI_SN_EUlS11_E_NS1_11comp_targetILNS1_3genE2ELNS1_11target_archE906ELNS1_3gpuE6ELNS1_3repE0EEENS1_47radix_sort_onesweep_sort_config_static_selectorELNS0_4arch9wavefront6targetE1EEEvSI_ ; -- Begin function _ZN7rocprim17ROCPRIM_400000_NS6detail17trampoline_kernelINS0_14default_configENS1_35radix_sort_onesweep_config_selectorIiiEEZZNS1_29radix_sort_onesweep_iterationIS3_Lb1EN6thrust23THRUST_200600_302600_NS6detail15normal_iteratorINS8_10device_ptrIiEEEESD_SD_SD_jNS0_19identity_decomposerENS1_16block_id_wrapperIjLb1EEEEE10hipError_tT1_PNSt15iterator_traitsISI_E10value_typeET2_T3_PNSJ_ISO_E10value_typeET4_T5_PST_SU_PNS1_23onesweep_lookback_stateEbbT6_jjT7_P12ihipStream_tbENKUlT_T0_SI_SN_E_clISD_PiSD_S15_EEDaS11_S12_SI_SN_EUlS11_E_NS1_11comp_targetILNS1_3genE2ELNS1_11target_archE906ELNS1_3gpuE6ELNS1_3repE0EEENS1_47radix_sort_onesweep_sort_config_static_selectorELNS0_4arch9wavefront6targetE1EEEvSI_
	.globl	_ZN7rocprim17ROCPRIM_400000_NS6detail17trampoline_kernelINS0_14default_configENS1_35radix_sort_onesweep_config_selectorIiiEEZZNS1_29radix_sort_onesweep_iterationIS3_Lb1EN6thrust23THRUST_200600_302600_NS6detail15normal_iteratorINS8_10device_ptrIiEEEESD_SD_SD_jNS0_19identity_decomposerENS1_16block_id_wrapperIjLb1EEEEE10hipError_tT1_PNSt15iterator_traitsISI_E10value_typeET2_T3_PNSJ_ISO_E10value_typeET4_T5_PST_SU_PNS1_23onesweep_lookback_stateEbbT6_jjT7_P12ihipStream_tbENKUlT_T0_SI_SN_E_clISD_PiSD_S15_EEDaS11_S12_SI_SN_EUlS11_E_NS1_11comp_targetILNS1_3genE2ELNS1_11target_archE906ELNS1_3gpuE6ELNS1_3repE0EEENS1_47radix_sort_onesweep_sort_config_static_selectorELNS0_4arch9wavefront6targetE1EEEvSI_
	.p2align	8
	.type	_ZN7rocprim17ROCPRIM_400000_NS6detail17trampoline_kernelINS0_14default_configENS1_35radix_sort_onesweep_config_selectorIiiEEZZNS1_29radix_sort_onesweep_iterationIS3_Lb1EN6thrust23THRUST_200600_302600_NS6detail15normal_iteratorINS8_10device_ptrIiEEEESD_SD_SD_jNS0_19identity_decomposerENS1_16block_id_wrapperIjLb1EEEEE10hipError_tT1_PNSt15iterator_traitsISI_E10value_typeET2_T3_PNSJ_ISO_E10value_typeET4_T5_PST_SU_PNS1_23onesweep_lookback_stateEbbT6_jjT7_P12ihipStream_tbENKUlT_T0_SI_SN_E_clISD_PiSD_S15_EEDaS11_S12_SI_SN_EUlS11_E_NS1_11comp_targetILNS1_3genE2ELNS1_11target_archE906ELNS1_3gpuE6ELNS1_3repE0EEENS1_47radix_sort_onesweep_sort_config_static_selectorELNS0_4arch9wavefront6targetE1EEEvSI_,@function
_ZN7rocprim17ROCPRIM_400000_NS6detail17trampoline_kernelINS0_14default_configENS1_35radix_sort_onesweep_config_selectorIiiEEZZNS1_29radix_sort_onesweep_iterationIS3_Lb1EN6thrust23THRUST_200600_302600_NS6detail15normal_iteratorINS8_10device_ptrIiEEEESD_SD_SD_jNS0_19identity_decomposerENS1_16block_id_wrapperIjLb1EEEEE10hipError_tT1_PNSt15iterator_traitsISI_E10value_typeET2_T3_PNSJ_ISO_E10value_typeET4_T5_PST_SU_PNS1_23onesweep_lookback_stateEbbT6_jjT7_P12ihipStream_tbENKUlT_T0_SI_SN_E_clISD_PiSD_S15_EEDaS11_S12_SI_SN_EUlS11_E_NS1_11comp_targetILNS1_3genE2ELNS1_11target_archE906ELNS1_3gpuE6ELNS1_3repE0EEENS1_47radix_sort_onesweep_sort_config_static_selectorELNS0_4arch9wavefront6targetE1EEEvSI_: ; @_ZN7rocprim17ROCPRIM_400000_NS6detail17trampoline_kernelINS0_14default_configENS1_35radix_sort_onesweep_config_selectorIiiEEZZNS1_29radix_sort_onesweep_iterationIS3_Lb1EN6thrust23THRUST_200600_302600_NS6detail15normal_iteratorINS8_10device_ptrIiEEEESD_SD_SD_jNS0_19identity_decomposerENS1_16block_id_wrapperIjLb1EEEEE10hipError_tT1_PNSt15iterator_traitsISI_E10value_typeET2_T3_PNSJ_ISO_E10value_typeET4_T5_PST_SU_PNS1_23onesweep_lookback_stateEbbT6_jjT7_P12ihipStream_tbENKUlT_T0_SI_SN_E_clISD_PiSD_S15_EEDaS11_S12_SI_SN_EUlS11_E_NS1_11comp_targetILNS1_3genE2ELNS1_11target_archE906ELNS1_3gpuE6ELNS1_3repE0EEENS1_47radix_sort_onesweep_sort_config_static_selectorELNS0_4arch9wavefront6targetE1EEEvSI_
; %bb.0:
	.section	.rodata,"a",@progbits
	.p2align	6, 0x0
	.amdhsa_kernel _ZN7rocprim17ROCPRIM_400000_NS6detail17trampoline_kernelINS0_14default_configENS1_35radix_sort_onesweep_config_selectorIiiEEZZNS1_29radix_sort_onesweep_iterationIS3_Lb1EN6thrust23THRUST_200600_302600_NS6detail15normal_iteratorINS8_10device_ptrIiEEEESD_SD_SD_jNS0_19identity_decomposerENS1_16block_id_wrapperIjLb1EEEEE10hipError_tT1_PNSt15iterator_traitsISI_E10value_typeET2_T3_PNSJ_ISO_E10value_typeET4_T5_PST_SU_PNS1_23onesweep_lookback_stateEbbT6_jjT7_P12ihipStream_tbENKUlT_T0_SI_SN_E_clISD_PiSD_S15_EEDaS11_S12_SI_SN_EUlS11_E_NS1_11comp_targetILNS1_3genE2ELNS1_11target_archE906ELNS1_3gpuE6ELNS1_3repE0EEENS1_47radix_sort_onesweep_sort_config_static_selectorELNS0_4arch9wavefront6targetE1EEEvSI_
		.amdhsa_group_segment_fixed_size 0
		.amdhsa_private_segment_fixed_size 0
		.amdhsa_kernarg_size 88
		.amdhsa_user_sgpr_count 2
		.amdhsa_user_sgpr_dispatch_ptr 0
		.amdhsa_user_sgpr_queue_ptr 0
		.amdhsa_user_sgpr_kernarg_segment_ptr 1
		.amdhsa_user_sgpr_dispatch_id 0
		.amdhsa_user_sgpr_kernarg_preload_length 0
		.amdhsa_user_sgpr_kernarg_preload_offset 0
		.amdhsa_user_sgpr_private_segment_size 0
		.amdhsa_uses_dynamic_stack 0
		.amdhsa_enable_private_segment 0
		.amdhsa_system_sgpr_workgroup_id_x 1
		.amdhsa_system_sgpr_workgroup_id_y 0
		.amdhsa_system_sgpr_workgroup_id_z 0
		.amdhsa_system_sgpr_workgroup_info 0
		.amdhsa_system_vgpr_workitem_id 0
		.amdhsa_next_free_vgpr 1
		.amdhsa_next_free_sgpr 0
		.amdhsa_accum_offset 4
		.amdhsa_reserve_vcc 0
		.amdhsa_float_round_mode_32 0
		.amdhsa_float_round_mode_16_64 0
		.amdhsa_float_denorm_mode_32 3
		.amdhsa_float_denorm_mode_16_64 3
		.amdhsa_dx10_clamp 1
		.amdhsa_ieee_mode 1
		.amdhsa_fp16_overflow 0
		.amdhsa_tg_split 0
		.amdhsa_exception_fp_ieee_invalid_op 0
		.amdhsa_exception_fp_denorm_src 0
		.amdhsa_exception_fp_ieee_div_zero 0
		.amdhsa_exception_fp_ieee_overflow 0
		.amdhsa_exception_fp_ieee_underflow 0
		.amdhsa_exception_fp_ieee_inexact 0
		.amdhsa_exception_int_div_zero 0
	.end_amdhsa_kernel
	.section	.text._ZN7rocprim17ROCPRIM_400000_NS6detail17trampoline_kernelINS0_14default_configENS1_35radix_sort_onesweep_config_selectorIiiEEZZNS1_29radix_sort_onesweep_iterationIS3_Lb1EN6thrust23THRUST_200600_302600_NS6detail15normal_iteratorINS8_10device_ptrIiEEEESD_SD_SD_jNS0_19identity_decomposerENS1_16block_id_wrapperIjLb1EEEEE10hipError_tT1_PNSt15iterator_traitsISI_E10value_typeET2_T3_PNSJ_ISO_E10value_typeET4_T5_PST_SU_PNS1_23onesweep_lookback_stateEbbT6_jjT7_P12ihipStream_tbENKUlT_T0_SI_SN_E_clISD_PiSD_S15_EEDaS11_S12_SI_SN_EUlS11_E_NS1_11comp_targetILNS1_3genE2ELNS1_11target_archE906ELNS1_3gpuE6ELNS1_3repE0EEENS1_47radix_sort_onesweep_sort_config_static_selectorELNS0_4arch9wavefront6targetE1EEEvSI_,"axG",@progbits,_ZN7rocprim17ROCPRIM_400000_NS6detail17trampoline_kernelINS0_14default_configENS1_35radix_sort_onesweep_config_selectorIiiEEZZNS1_29radix_sort_onesweep_iterationIS3_Lb1EN6thrust23THRUST_200600_302600_NS6detail15normal_iteratorINS8_10device_ptrIiEEEESD_SD_SD_jNS0_19identity_decomposerENS1_16block_id_wrapperIjLb1EEEEE10hipError_tT1_PNSt15iterator_traitsISI_E10value_typeET2_T3_PNSJ_ISO_E10value_typeET4_T5_PST_SU_PNS1_23onesweep_lookback_stateEbbT6_jjT7_P12ihipStream_tbENKUlT_T0_SI_SN_E_clISD_PiSD_S15_EEDaS11_S12_SI_SN_EUlS11_E_NS1_11comp_targetILNS1_3genE2ELNS1_11target_archE906ELNS1_3gpuE6ELNS1_3repE0EEENS1_47radix_sort_onesweep_sort_config_static_selectorELNS0_4arch9wavefront6targetE1EEEvSI_,comdat
.Lfunc_end1011:
	.size	_ZN7rocprim17ROCPRIM_400000_NS6detail17trampoline_kernelINS0_14default_configENS1_35radix_sort_onesweep_config_selectorIiiEEZZNS1_29radix_sort_onesweep_iterationIS3_Lb1EN6thrust23THRUST_200600_302600_NS6detail15normal_iteratorINS8_10device_ptrIiEEEESD_SD_SD_jNS0_19identity_decomposerENS1_16block_id_wrapperIjLb1EEEEE10hipError_tT1_PNSt15iterator_traitsISI_E10value_typeET2_T3_PNSJ_ISO_E10value_typeET4_T5_PST_SU_PNS1_23onesweep_lookback_stateEbbT6_jjT7_P12ihipStream_tbENKUlT_T0_SI_SN_E_clISD_PiSD_S15_EEDaS11_S12_SI_SN_EUlS11_E_NS1_11comp_targetILNS1_3genE2ELNS1_11target_archE906ELNS1_3gpuE6ELNS1_3repE0EEENS1_47radix_sort_onesweep_sort_config_static_selectorELNS0_4arch9wavefront6targetE1EEEvSI_, .Lfunc_end1011-_ZN7rocprim17ROCPRIM_400000_NS6detail17trampoline_kernelINS0_14default_configENS1_35radix_sort_onesweep_config_selectorIiiEEZZNS1_29radix_sort_onesweep_iterationIS3_Lb1EN6thrust23THRUST_200600_302600_NS6detail15normal_iteratorINS8_10device_ptrIiEEEESD_SD_SD_jNS0_19identity_decomposerENS1_16block_id_wrapperIjLb1EEEEE10hipError_tT1_PNSt15iterator_traitsISI_E10value_typeET2_T3_PNSJ_ISO_E10value_typeET4_T5_PST_SU_PNS1_23onesweep_lookback_stateEbbT6_jjT7_P12ihipStream_tbENKUlT_T0_SI_SN_E_clISD_PiSD_S15_EEDaS11_S12_SI_SN_EUlS11_E_NS1_11comp_targetILNS1_3genE2ELNS1_11target_archE906ELNS1_3gpuE6ELNS1_3repE0EEENS1_47radix_sort_onesweep_sort_config_static_selectorELNS0_4arch9wavefront6targetE1EEEvSI_
                                        ; -- End function
	.set _ZN7rocprim17ROCPRIM_400000_NS6detail17trampoline_kernelINS0_14default_configENS1_35radix_sort_onesweep_config_selectorIiiEEZZNS1_29radix_sort_onesweep_iterationIS3_Lb1EN6thrust23THRUST_200600_302600_NS6detail15normal_iteratorINS8_10device_ptrIiEEEESD_SD_SD_jNS0_19identity_decomposerENS1_16block_id_wrapperIjLb1EEEEE10hipError_tT1_PNSt15iterator_traitsISI_E10value_typeET2_T3_PNSJ_ISO_E10value_typeET4_T5_PST_SU_PNS1_23onesweep_lookback_stateEbbT6_jjT7_P12ihipStream_tbENKUlT_T0_SI_SN_E_clISD_PiSD_S15_EEDaS11_S12_SI_SN_EUlS11_E_NS1_11comp_targetILNS1_3genE2ELNS1_11target_archE906ELNS1_3gpuE6ELNS1_3repE0EEENS1_47radix_sort_onesweep_sort_config_static_selectorELNS0_4arch9wavefront6targetE1EEEvSI_.num_vgpr, 0
	.set _ZN7rocprim17ROCPRIM_400000_NS6detail17trampoline_kernelINS0_14default_configENS1_35radix_sort_onesweep_config_selectorIiiEEZZNS1_29radix_sort_onesweep_iterationIS3_Lb1EN6thrust23THRUST_200600_302600_NS6detail15normal_iteratorINS8_10device_ptrIiEEEESD_SD_SD_jNS0_19identity_decomposerENS1_16block_id_wrapperIjLb1EEEEE10hipError_tT1_PNSt15iterator_traitsISI_E10value_typeET2_T3_PNSJ_ISO_E10value_typeET4_T5_PST_SU_PNS1_23onesweep_lookback_stateEbbT6_jjT7_P12ihipStream_tbENKUlT_T0_SI_SN_E_clISD_PiSD_S15_EEDaS11_S12_SI_SN_EUlS11_E_NS1_11comp_targetILNS1_3genE2ELNS1_11target_archE906ELNS1_3gpuE6ELNS1_3repE0EEENS1_47radix_sort_onesweep_sort_config_static_selectorELNS0_4arch9wavefront6targetE1EEEvSI_.num_agpr, 0
	.set _ZN7rocprim17ROCPRIM_400000_NS6detail17trampoline_kernelINS0_14default_configENS1_35radix_sort_onesweep_config_selectorIiiEEZZNS1_29radix_sort_onesweep_iterationIS3_Lb1EN6thrust23THRUST_200600_302600_NS6detail15normal_iteratorINS8_10device_ptrIiEEEESD_SD_SD_jNS0_19identity_decomposerENS1_16block_id_wrapperIjLb1EEEEE10hipError_tT1_PNSt15iterator_traitsISI_E10value_typeET2_T3_PNSJ_ISO_E10value_typeET4_T5_PST_SU_PNS1_23onesweep_lookback_stateEbbT6_jjT7_P12ihipStream_tbENKUlT_T0_SI_SN_E_clISD_PiSD_S15_EEDaS11_S12_SI_SN_EUlS11_E_NS1_11comp_targetILNS1_3genE2ELNS1_11target_archE906ELNS1_3gpuE6ELNS1_3repE0EEENS1_47radix_sort_onesweep_sort_config_static_selectorELNS0_4arch9wavefront6targetE1EEEvSI_.numbered_sgpr, 0
	.set _ZN7rocprim17ROCPRIM_400000_NS6detail17trampoline_kernelINS0_14default_configENS1_35radix_sort_onesweep_config_selectorIiiEEZZNS1_29radix_sort_onesweep_iterationIS3_Lb1EN6thrust23THRUST_200600_302600_NS6detail15normal_iteratorINS8_10device_ptrIiEEEESD_SD_SD_jNS0_19identity_decomposerENS1_16block_id_wrapperIjLb1EEEEE10hipError_tT1_PNSt15iterator_traitsISI_E10value_typeET2_T3_PNSJ_ISO_E10value_typeET4_T5_PST_SU_PNS1_23onesweep_lookback_stateEbbT6_jjT7_P12ihipStream_tbENKUlT_T0_SI_SN_E_clISD_PiSD_S15_EEDaS11_S12_SI_SN_EUlS11_E_NS1_11comp_targetILNS1_3genE2ELNS1_11target_archE906ELNS1_3gpuE6ELNS1_3repE0EEENS1_47radix_sort_onesweep_sort_config_static_selectorELNS0_4arch9wavefront6targetE1EEEvSI_.num_named_barrier, 0
	.set _ZN7rocprim17ROCPRIM_400000_NS6detail17trampoline_kernelINS0_14default_configENS1_35radix_sort_onesweep_config_selectorIiiEEZZNS1_29radix_sort_onesweep_iterationIS3_Lb1EN6thrust23THRUST_200600_302600_NS6detail15normal_iteratorINS8_10device_ptrIiEEEESD_SD_SD_jNS0_19identity_decomposerENS1_16block_id_wrapperIjLb1EEEEE10hipError_tT1_PNSt15iterator_traitsISI_E10value_typeET2_T3_PNSJ_ISO_E10value_typeET4_T5_PST_SU_PNS1_23onesweep_lookback_stateEbbT6_jjT7_P12ihipStream_tbENKUlT_T0_SI_SN_E_clISD_PiSD_S15_EEDaS11_S12_SI_SN_EUlS11_E_NS1_11comp_targetILNS1_3genE2ELNS1_11target_archE906ELNS1_3gpuE6ELNS1_3repE0EEENS1_47radix_sort_onesweep_sort_config_static_selectorELNS0_4arch9wavefront6targetE1EEEvSI_.private_seg_size, 0
	.set _ZN7rocprim17ROCPRIM_400000_NS6detail17trampoline_kernelINS0_14default_configENS1_35radix_sort_onesweep_config_selectorIiiEEZZNS1_29radix_sort_onesweep_iterationIS3_Lb1EN6thrust23THRUST_200600_302600_NS6detail15normal_iteratorINS8_10device_ptrIiEEEESD_SD_SD_jNS0_19identity_decomposerENS1_16block_id_wrapperIjLb1EEEEE10hipError_tT1_PNSt15iterator_traitsISI_E10value_typeET2_T3_PNSJ_ISO_E10value_typeET4_T5_PST_SU_PNS1_23onesweep_lookback_stateEbbT6_jjT7_P12ihipStream_tbENKUlT_T0_SI_SN_E_clISD_PiSD_S15_EEDaS11_S12_SI_SN_EUlS11_E_NS1_11comp_targetILNS1_3genE2ELNS1_11target_archE906ELNS1_3gpuE6ELNS1_3repE0EEENS1_47radix_sort_onesweep_sort_config_static_selectorELNS0_4arch9wavefront6targetE1EEEvSI_.uses_vcc, 0
	.set _ZN7rocprim17ROCPRIM_400000_NS6detail17trampoline_kernelINS0_14default_configENS1_35radix_sort_onesweep_config_selectorIiiEEZZNS1_29radix_sort_onesweep_iterationIS3_Lb1EN6thrust23THRUST_200600_302600_NS6detail15normal_iteratorINS8_10device_ptrIiEEEESD_SD_SD_jNS0_19identity_decomposerENS1_16block_id_wrapperIjLb1EEEEE10hipError_tT1_PNSt15iterator_traitsISI_E10value_typeET2_T3_PNSJ_ISO_E10value_typeET4_T5_PST_SU_PNS1_23onesweep_lookback_stateEbbT6_jjT7_P12ihipStream_tbENKUlT_T0_SI_SN_E_clISD_PiSD_S15_EEDaS11_S12_SI_SN_EUlS11_E_NS1_11comp_targetILNS1_3genE2ELNS1_11target_archE906ELNS1_3gpuE6ELNS1_3repE0EEENS1_47radix_sort_onesweep_sort_config_static_selectorELNS0_4arch9wavefront6targetE1EEEvSI_.uses_flat_scratch, 0
	.set _ZN7rocprim17ROCPRIM_400000_NS6detail17trampoline_kernelINS0_14default_configENS1_35radix_sort_onesweep_config_selectorIiiEEZZNS1_29radix_sort_onesweep_iterationIS3_Lb1EN6thrust23THRUST_200600_302600_NS6detail15normal_iteratorINS8_10device_ptrIiEEEESD_SD_SD_jNS0_19identity_decomposerENS1_16block_id_wrapperIjLb1EEEEE10hipError_tT1_PNSt15iterator_traitsISI_E10value_typeET2_T3_PNSJ_ISO_E10value_typeET4_T5_PST_SU_PNS1_23onesweep_lookback_stateEbbT6_jjT7_P12ihipStream_tbENKUlT_T0_SI_SN_E_clISD_PiSD_S15_EEDaS11_S12_SI_SN_EUlS11_E_NS1_11comp_targetILNS1_3genE2ELNS1_11target_archE906ELNS1_3gpuE6ELNS1_3repE0EEENS1_47radix_sort_onesweep_sort_config_static_selectorELNS0_4arch9wavefront6targetE1EEEvSI_.has_dyn_sized_stack, 0
	.set _ZN7rocprim17ROCPRIM_400000_NS6detail17trampoline_kernelINS0_14default_configENS1_35radix_sort_onesweep_config_selectorIiiEEZZNS1_29radix_sort_onesweep_iterationIS3_Lb1EN6thrust23THRUST_200600_302600_NS6detail15normal_iteratorINS8_10device_ptrIiEEEESD_SD_SD_jNS0_19identity_decomposerENS1_16block_id_wrapperIjLb1EEEEE10hipError_tT1_PNSt15iterator_traitsISI_E10value_typeET2_T3_PNSJ_ISO_E10value_typeET4_T5_PST_SU_PNS1_23onesweep_lookback_stateEbbT6_jjT7_P12ihipStream_tbENKUlT_T0_SI_SN_E_clISD_PiSD_S15_EEDaS11_S12_SI_SN_EUlS11_E_NS1_11comp_targetILNS1_3genE2ELNS1_11target_archE906ELNS1_3gpuE6ELNS1_3repE0EEENS1_47radix_sort_onesweep_sort_config_static_selectorELNS0_4arch9wavefront6targetE1EEEvSI_.has_recursion, 0
	.set _ZN7rocprim17ROCPRIM_400000_NS6detail17trampoline_kernelINS0_14default_configENS1_35radix_sort_onesweep_config_selectorIiiEEZZNS1_29radix_sort_onesweep_iterationIS3_Lb1EN6thrust23THRUST_200600_302600_NS6detail15normal_iteratorINS8_10device_ptrIiEEEESD_SD_SD_jNS0_19identity_decomposerENS1_16block_id_wrapperIjLb1EEEEE10hipError_tT1_PNSt15iterator_traitsISI_E10value_typeET2_T3_PNSJ_ISO_E10value_typeET4_T5_PST_SU_PNS1_23onesweep_lookback_stateEbbT6_jjT7_P12ihipStream_tbENKUlT_T0_SI_SN_E_clISD_PiSD_S15_EEDaS11_S12_SI_SN_EUlS11_E_NS1_11comp_targetILNS1_3genE2ELNS1_11target_archE906ELNS1_3gpuE6ELNS1_3repE0EEENS1_47radix_sort_onesweep_sort_config_static_selectorELNS0_4arch9wavefront6targetE1EEEvSI_.has_indirect_call, 0
	.section	.AMDGPU.csdata,"",@progbits
; Kernel info:
; codeLenInByte = 0
; TotalNumSgprs: 6
; NumVgprs: 0
; NumAgprs: 0
; TotalNumVgprs: 0
; ScratchSize: 0
; MemoryBound: 0
; FloatMode: 240
; IeeeMode: 1
; LDSByteSize: 0 bytes/workgroup (compile time only)
; SGPRBlocks: 0
; VGPRBlocks: 0
; NumSGPRsForWavesPerEU: 6
; NumVGPRsForWavesPerEU: 1
; AccumOffset: 4
; Occupancy: 8
; WaveLimiterHint : 0
; COMPUTE_PGM_RSRC2:SCRATCH_EN: 0
; COMPUTE_PGM_RSRC2:USER_SGPR: 2
; COMPUTE_PGM_RSRC2:TRAP_HANDLER: 0
; COMPUTE_PGM_RSRC2:TGID_X_EN: 1
; COMPUTE_PGM_RSRC2:TGID_Y_EN: 0
; COMPUTE_PGM_RSRC2:TGID_Z_EN: 0
; COMPUTE_PGM_RSRC2:TIDIG_COMP_CNT: 0
; COMPUTE_PGM_RSRC3_GFX90A:ACCUM_OFFSET: 0
; COMPUTE_PGM_RSRC3_GFX90A:TG_SPLIT: 0
	.section	.text._ZN7rocprim17ROCPRIM_400000_NS6detail17trampoline_kernelINS0_14default_configENS1_35radix_sort_onesweep_config_selectorIiiEEZZNS1_29radix_sort_onesweep_iterationIS3_Lb1EN6thrust23THRUST_200600_302600_NS6detail15normal_iteratorINS8_10device_ptrIiEEEESD_SD_SD_jNS0_19identity_decomposerENS1_16block_id_wrapperIjLb1EEEEE10hipError_tT1_PNSt15iterator_traitsISI_E10value_typeET2_T3_PNSJ_ISO_E10value_typeET4_T5_PST_SU_PNS1_23onesweep_lookback_stateEbbT6_jjT7_P12ihipStream_tbENKUlT_T0_SI_SN_E_clISD_PiSD_S15_EEDaS11_S12_SI_SN_EUlS11_E_NS1_11comp_targetILNS1_3genE4ELNS1_11target_archE910ELNS1_3gpuE8ELNS1_3repE0EEENS1_47radix_sort_onesweep_sort_config_static_selectorELNS0_4arch9wavefront6targetE1EEEvSI_,"axG",@progbits,_ZN7rocprim17ROCPRIM_400000_NS6detail17trampoline_kernelINS0_14default_configENS1_35radix_sort_onesweep_config_selectorIiiEEZZNS1_29radix_sort_onesweep_iterationIS3_Lb1EN6thrust23THRUST_200600_302600_NS6detail15normal_iteratorINS8_10device_ptrIiEEEESD_SD_SD_jNS0_19identity_decomposerENS1_16block_id_wrapperIjLb1EEEEE10hipError_tT1_PNSt15iterator_traitsISI_E10value_typeET2_T3_PNSJ_ISO_E10value_typeET4_T5_PST_SU_PNS1_23onesweep_lookback_stateEbbT6_jjT7_P12ihipStream_tbENKUlT_T0_SI_SN_E_clISD_PiSD_S15_EEDaS11_S12_SI_SN_EUlS11_E_NS1_11comp_targetILNS1_3genE4ELNS1_11target_archE910ELNS1_3gpuE8ELNS1_3repE0EEENS1_47radix_sort_onesweep_sort_config_static_selectorELNS0_4arch9wavefront6targetE1EEEvSI_,comdat
	.protected	_ZN7rocprim17ROCPRIM_400000_NS6detail17trampoline_kernelINS0_14default_configENS1_35radix_sort_onesweep_config_selectorIiiEEZZNS1_29radix_sort_onesweep_iterationIS3_Lb1EN6thrust23THRUST_200600_302600_NS6detail15normal_iteratorINS8_10device_ptrIiEEEESD_SD_SD_jNS0_19identity_decomposerENS1_16block_id_wrapperIjLb1EEEEE10hipError_tT1_PNSt15iterator_traitsISI_E10value_typeET2_T3_PNSJ_ISO_E10value_typeET4_T5_PST_SU_PNS1_23onesweep_lookback_stateEbbT6_jjT7_P12ihipStream_tbENKUlT_T0_SI_SN_E_clISD_PiSD_S15_EEDaS11_S12_SI_SN_EUlS11_E_NS1_11comp_targetILNS1_3genE4ELNS1_11target_archE910ELNS1_3gpuE8ELNS1_3repE0EEENS1_47radix_sort_onesweep_sort_config_static_selectorELNS0_4arch9wavefront6targetE1EEEvSI_ ; -- Begin function _ZN7rocprim17ROCPRIM_400000_NS6detail17trampoline_kernelINS0_14default_configENS1_35radix_sort_onesweep_config_selectorIiiEEZZNS1_29radix_sort_onesweep_iterationIS3_Lb1EN6thrust23THRUST_200600_302600_NS6detail15normal_iteratorINS8_10device_ptrIiEEEESD_SD_SD_jNS0_19identity_decomposerENS1_16block_id_wrapperIjLb1EEEEE10hipError_tT1_PNSt15iterator_traitsISI_E10value_typeET2_T3_PNSJ_ISO_E10value_typeET4_T5_PST_SU_PNS1_23onesweep_lookback_stateEbbT6_jjT7_P12ihipStream_tbENKUlT_T0_SI_SN_E_clISD_PiSD_S15_EEDaS11_S12_SI_SN_EUlS11_E_NS1_11comp_targetILNS1_3genE4ELNS1_11target_archE910ELNS1_3gpuE8ELNS1_3repE0EEENS1_47radix_sort_onesweep_sort_config_static_selectorELNS0_4arch9wavefront6targetE1EEEvSI_
	.globl	_ZN7rocprim17ROCPRIM_400000_NS6detail17trampoline_kernelINS0_14default_configENS1_35radix_sort_onesweep_config_selectorIiiEEZZNS1_29radix_sort_onesweep_iterationIS3_Lb1EN6thrust23THRUST_200600_302600_NS6detail15normal_iteratorINS8_10device_ptrIiEEEESD_SD_SD_jNS0_19identity_decomposerENS1_16block_id_wrapperIjLb1EEEEE10hipError_tT1_PNSt15iterator_traitsISI_E10value_typeET2_T3_PNSJ_ISO_E10value_typeET4_T5_PST_SU_PNS1_23onesweep_lookback_stateEbbT6_jjT7_P12ihipStream_tbENKUlT_T0_SI_SN_E_clISD_PiSD_S15_EEDaS11_S12_SI_SN_EUlS11_E_NS1_11comp_targetILNS1_3genE4ELNS1_11target_archE910ELNS1_3gpuE8ELNS1_3repE0EEENS1_47radix_sort_onesweep_sort_config_static_selectorELNS0_4arch9wavefront6targetE1EEEvSI_
	.p2align	8
	.type	_ZN7rocprim17ROCPRIM_400000_NS6detail17trampoline_kernelINS0_14default_configENS1_35radix_sort_onesweep_config_selectorIiiEEZZNS1_29radix_sort_onesweep_iterationIS3_Lb1EN6thrust23THRUST_200600_302600_NS6detail15normal_iteratorINS8_10device_ptrIiEEEESD_SD_SD_jNS0_19identity_decomposerENS1_16block_id_wrapperIjLb1EEEEE10hipError_tT1_PNSt15iterator_traitsISI_E10value_typeET2_T3_PNSJ_ISO_E10value_typeET4_T5_PST_SU_PNS1_23onesweep_lookback_stateEbbT6_jjT7_P12ihipStream_tbENKUlT_T0_SI_SN_E_clISD_PiSD_S15_EEDaS11_S12_SI_SN_EUlS11_E_NS1_11comp_targetILNS1_3genE4ELNS1_11target_archE910ELNS1_3gpuE8ELNS1_3repE0EEENS1_47radix_sort_onesweep_sort_config_static_selectorELNS0_4arch9wavefront6targetE1EEEvSI_,@function
_ZN7rocprim17ROCPRIM_400000_NS6detail17trampoline_kernelINS0_14default_configENS1_35radix_sort_onesweep_config_selectorIiiEEZZNS1_29radix_sort_onesweep_iterationIS3_Lb1EN6thrust23THRUST_200600_302600_NS6detail15normal_iteratorINS8_10device_ptrIiEEEESD_SD_SD_jNS0_19identity_decomposerENS1_16block_id_wrapperIjLb1EEEEE10hipError_tT1_PNSt15iterator_traitsISI_E10value_typeET2_T3_PNSJ_ISO_E10value_typeET4_T5_PST_SU_PNS1_23onesweep_lookback_stateEbbT6_jjT7_P12ihipStream_tbENKUlT_T0_SI_SN_E_clISD_PiSD_S15_EEDaS11_S12_SI_SN_EUlS11_E_NS1_11comp_targetILNS1_3genE4ELNS1_11target_archE910ELNS1_3gpuE8ELNS1_3repE0EEENS1_47radix_sort_onesweep_sort_config_static_selectorELNS0_4arch9wavefront6targetE1EEEvSI_: ; @_ZN7rocprim17ROCPRIM_400000_NS6detail17trampoline_kernelINS0_14default_configENS1_35radix_sort_onesweep_config_selectorIiiEEZZNS1_29radix_sort_onesweep_iterationIS3_Lb1EN6thrust23THRUST_200600_302600_NS6detail15normal_iteratorINS8_10device_ptrIiEEEESD_SD_SD_jNS0_19identity_decomposerENS1_16block_id_wrapperIjLb1EEEEE10hipError_tT1_PNSt15iterator_traitsISI_E10value_typeET2_T3_PNSJ_ISO_E10value_typeET4_T5_PST_SU_PNS1_23onesweep_lookback_stateEbbT6_jjT7_P12ihipStream_tbENKUlT_T0_SI_SN_E_clISD_PiSD_S15_EEDaS11_S12_SI_SN_EUlS11_E_NS1_11comp_targetILNS1_3genE4ELNS1_11target_archE910ELNS1_3gpuE8ELNS1_3repE0EEENS1_47radix_sort_onesweep_sort_config_static_selectorELNS0_4arch9wavefront6targetE1EEEvSI_
; %bb.0:
	.section	.rodata,"a",@progbits
	.p2align	6, 0x0
	.amdhsa_kernel _ZN7rocprim17ROCPRIM_400000_NS6detail17trampoline_kernelINS0_14default_configENS1_35radix_sort_onesweep_config_selectorIiiEEZZNS1_29radix_sort_onesweep_iterationIS3_Lb1EN6thrust23THRUST_200600_302600_NS6detail15normal_iteratorINS8_10device_ptrIiEEEESD_SD_SD_jNS0_19identity_decomposerENS1_16block_id_wrapperIjLb1EEEEE10hipError_tT1_PNSt15iterator_traitsISI_E10value_typeET2_T3_PNSJ_ISO_E10value_typeET4_T5_PST_SU_PNS1_23onesweep_lookback_stateEbbT6_jjT7_P12ihipStream_tbENKUlT_T0_SI_SN_E_clISD_PiSD_S15_EEDaS11_S12_SI_SN_EUlS11_E_NS1_11comp_targetILNS1_3genE4ELNS1_11target_archE910ELNS1_3gpuE8ELNS1_3repE0EEENS1_47radix_sort_onesweep_sort_config_static_selectorELNS0_4arch9wavefront6targetE1EEEvSI_
		.amdhsa_group_segment_fixed_size 0
		.amdhsa_private_segment_fixed_size 0
		.amdhsa_kernarg_size 88
		.amdhsa_user_sgpr_count 2
		.amdhsa_user_sgpr_dispatch_ptr 0
		.amdhsa_user_sgpr_queue_ptr 0
		.amdhsa_user_sgpr_kernarg_segment_ptr 1
		.amdhsa_user_sgpr_dispatch_id 0
		.amdhsa_user_sgpr_kernarg_preload_length 0
		.amdhsa_user_sgpr_kernarg_preload_offset 0
		.amdhsa_user_sgpr_private_segment_size 0
		.amdhsa_uses_dynamic_stack 0
		.amdhsa_enable_private_segment 0
		.amdhsa_system_sgpr_workgroup_id_x 1
		.amdhsa_system_sgpr_workgroup_id_y 0
		.amdhsa_system_sgpr_workgroup_id_z 0
		.amdhsa_system_sgpr_workgroup_info 0
		.amdhsa_system_vgpr_workitem_id 0
		.amdhsa_next_free_vgpr 1
		.amdhsa_next_free_sgpr 0
		.amdhsa_accum_offset 4
		.amdhsa_reserve_vcc 0
		.amdhsa_float_round_mode_32 0
		.amdhsa_float_round_mode_16_64 0
		.amdhsa_float_denorm_mode_32 3
		.amdhsa_float_denorm_mode_16_64 3
		.amdhsa_dx10_clamp 1
		.amdhsa_ieee_mode 1
		.amdhsa_fp16_overflow 0
		.amdhsa_tg_split 0
		.amdhsa_exception_fp_ieee_invalid_op 0
		.amdhsa_exception_fp_denorm_src 0
		.amdhsa_exception_fp_ieee_div_zero 0
		.amdhsa_exception_fp_ieee_overflow 0
		.amdhsa_exception_fp_ieee_underflow 0
		.amdhsa_exception_fp_ieee_inexact 0
		.amdhsa_exception_int_div_zero 0
	.end_amdhsa_kernel
	.section	.text._ZN7rocprim17ROCPRIM_400000_NS6detail17trampoline_kernelINS0_14default_configENS1_35radix_sort_onesweep_config_selectorIiiEEZZNS1_29radix_sort_onesweep_iterationIS3_Lb1EN6thrust23THRUST_200600_302600_NS6detail15normal_iteratorINS8_10device_ptrIiEEEESD_SD_SD_jNS0_19identity_decomposerENS1_16block_id_wrapperIjLb1EEEEE10hipError_tT1_PNSt15iterator_traitsISI_E10value_typeET2_T3_PNSJ_ISO_E10value_typeET4_T5_PST_SU_PNS1_23onesweep_lookback_stateEbbT6_jjT7_P12ihipStream_tbENKUlT_T0_SI_SN_E_clISD_PiSD_S15_EEDaS11_S12_SI_SN_EUlS11_E_NS1_11comp_targetILNS1_3genE4ELNS1_11target_archE910ELNS1_3gpuE8ELNS1_3repE0EEENS1_47radix_sort_onesweep_sort_config_static_selectorELNS0_4arch9wavefront6targetE1EEEvSI_,"axG",@progbits,_ZN7rocprim17ROCPRIM_400000_NS6detail17trampoline_kernelINS0_14default_configENS1_35radix_sort_onesweep_config_selectorIiiEEZZNS1_29radix_sort_onesweep_iterationIS3_Lb1EN6thrust23THRUST_200600_302600_NS6detail15normal_iteratorINS8_10device_ptrIiEEEESD_SD_SD_jNS0_19identity_decomposerENS1_16block_id_wrapperIjLb1EEEEE10hipError_tT1_PNSt15iterator_traitsISI_E10value_typeET2_T3_PNSJ_ISO_E10value_typeET4_T5_PST_SU_PNS1_23onesweep_lookback_stateEbbT6_jjT7_P12ihipStream_tbENKUlT_T0_SI_SN_E_clISD_PiSD_S15_EEDaS11_S12_SI_SN_EUlS11_E_NS1_11comp_targetILNS1_3genE4ELNS1_11target_archE910ELNS1_3gpuE8ELNS1_3repE0EEENS1_47radix_sort_onesweep_sort_config_static_selectorELNS0_4arch9wavefront6targetE1EEEvSI_,comdat
.Lfunc_end1012:
	.size	_ZN7rocprim17ROCPRIM_400000_NS6detail17trampoline_kernelINS0_14default_configENS1_35radix_sort_onesweep_config_selectorIiiEEZZNS1_29radix_sort_onesweep_iterationIS3_Lb1EN6thrust23THRUST_200600_302600_NS6detail15normal_iteratorINS8_10device_ptrIiEEEESD_SD_SD_jNS0_19identity_decomposerENS1_16block_id_wrapperIjLb1EEEEE10hipError_tT1_PNSt15iterator_traitsISI_E10value_typeET2_T3_PNSJ_ISO_E10value_typeET4_T5_PST_SU_PNS1_23onesweep_lookback_stateEbbT6_jjT7_P12ihipStream_tbENKUlT_T0_SI_SN_E_clISD_PiSD_S15_EEDaS11_S12_SI_SN_EUlS11_E_NS1_11comp_targetILNS1_3genE4ELNS1_11target_archE910ELNS1_3gpuE8ELNS1_3repE0EEENS1_47radix_sort_onesweep_sort_config_static_selectorELNS0_4arch9wavefront6targetE1EEEvSI_, .Lfunc_end1012-_ZN7rocprim17ROCPRIM_400000_NS6detail17trampoline_kernelINS0_14default_configENS1_35radix_sort_onesweep_config_selectorIiiEEZZNS1_29radix_sort_onesweep_iterationIS3_Lb1EN6thrust23THRUST_200600_302600_NS6detail15normal_iteratorINS8_10device_ptrIiEEEESD_SD_SD_jNS0_19identity_decomposerENS1_16block_id_wrapperIjLb1EEEEE10hipError_tT1_PNSt15iterator_traitsISI_E10value_typeET2_T3_PNSJ_ISO_E10value_typeET4_T5_PST_SU_PNS1_23onesweep_lookback_stateEbbT6_jjT7_P12ihipStream_tbENKUlT_T0_SI_SN_E_clISD_PiSD_S15_EEDaS11_S12_SI_SN_EUlS11_E_NS1_11comp_targetILNS1_3genE4ELNS1_11target_archE910ELNS1_3gpuE8ELNS1_3repE0EEENS1_47radix_sort_onesweep_sort_config_static_selectorELNS0_4arch9wavefront6targetE1EEEvSI_
                                        ; -- End function
	.set _ZN7rocprim17ROCPRIM_400000_NS6detail17trampoline_kernelINS0_14default_configENS1_35radix_sort_onesweep_config_selectorIiiEEZZNS1_29radix_sort_onesweep_iterationIS3_Lb1EN6thrust23THRUST_200600_302600_NS6detail15normal_iteratorINS8_10device_ptrIiEEEESD_SD_SD_jNS0_19identity_decomposerENS1_16block_id_wrapperIjLb1EEEEE10hipError_tT1_PNSt15iterator_traitsISI_E10value_typeET2_T3_PNSJ_ISO_E10value_typeET4_T5_PST_SU_PNS1_23onesweep_lookback_stateEbbT6_jjT7_P12ihipStream_tbENKUlT_T0_SI_SN_E_clISD_PiSD_S15_EEDaS11_S12_SI_SN_EUlS11_E_NS1_11comp_targetILNS1_3genE4ELNS1_11target_archE910ELNS1_3gpuE8ELNS1_3repE0EEENS1_47radix_sort_onesweep_sort_config_static_selectorELNS0_4arch9wavefront6targetE1EEEvSI_.num_vgpr, 0
	.set _ZN7rocprim17ROCPRIM_400000_NS6detail17trampoline_kernelINS0_14default_configENS1_35radix_sort_onesweep_config_selectorIiiEEZZNS1_29radix_sort_onesweep_iterationIS3_Lb1EN6thrust23THRUST_200600_302600_NS6detail15normal_iteratorINS8_10device_ptrIiEEEESD_SD_SD_jNS0_19identity_decomposerENS1_16block_id_wrapperIjLb1EEEEE10hipError_tT1_PNSt15iterator_traitsISI_E10value_typeET2_T3_PNSJ_ISO_E10value_typeET4_T5_PST_SU_PNS1_23onesweep_lookback_stateEbbT6_jjT7_P12ihipStream_tbENKUlT_T0_SI_SN_E_clISD_PiSD_S15_EEDaS11_S12_SI_SN_EUlS11_E_NS1_11comp_targetILNS1_3genE4ELNS1_11target_archE910ELNS1_3gpuE8ELNS1_3repE0EEENS1_47radix_sort_onesweep_sort_config_static_selectorELNS0_4arch9wavefront6targetE1EEEvSI_.num_agpr, 0
	.set _ZN7rocprim17ROCPRIM_400000_NS6detail17trampoline_kernelINS0_14default_configENS1_35radix_sort_onesweep_config_selectorIiiEEZZNS1_29radix_sort_onesweep_iterationIS3_Lb1EN6thrust23THRUST_200600_302600_NS6detail15normal_iteratorINS8_10device_ptrIiEEEESD_SD_SD_jNS0_19identity_decomposerENS1_16block_id_wrapperIjLb1EEEEE10hipError_tT1_PNSt15iterator_traitsISI_E10value_typeET2_T3_PNSJ_ISO_E10value_typeET4_T5_PST_SU_PNS1_23onesweep_lookback_stateEbbT6_jjT7_P12ihipStream_tbENKUlT_T0_SI_SN_E_clISD_PiSD_S15_EEDaS11_S12_SI_SN_EUlS11_E_NS1_11comp_targetILNS1_3genE4ELNS1_11target_archE910ELNS1_3gpuE8ELNS1_3repE0EEENS1_47radix_sort_onesweep_sort_config_static_selectorELNS0_4arch9wavefront6targetE1EEEvSI_.numbered_sgpr, 0
	.set _ZN7rocprim17ROCPRIM_400000_NS6detail17trampoline_kernelINS0_14default_configENS1_35radix_sort_onesweep_config_selectorIiiEEZZNS1_29radix_sort_onesweep_iterationIS3_Lb1EN6thrust23THRUST_200600_302600_NS6detail15normal_iteratorINS8_10device_ptrIiEEEESD_SD_SD_jNS0_19identity_decomposerENS1_16block_id_wrapperIjLb1EEEEE10hipError_tT1_PNSt15iterator_traitsISI_E10value_typeET2_T3_PNSJ_ISO_E10value_typeET4_T5_PST_SU_PNS1_23onesweep_lookback_stateEbbT6_jjT7_P12ihipStream_tbENKUlT_T0_SI_SN_E_clISD_PiSD_S15_EEDaS11_S12_SI_SN_EUlS11_E_NS1_11comp_targetILNS1_3genE4ELNS1_11target_archE910ELNS1_3gpuE8ELNS1_3repE0EEENS1_47radix_sort_onesweep_sort_config_static_selectorELNS0_4arch9wavefront6targetE1EEEvSI_.num_named_barrier, 0
	.set _ZN7rocprim17ROCPRIM_400000_NS6detail17trampoline_kernelINS0_14default_configENS1_35radix_sort_onesweep_config_selectorIiiEEZZNS1_29radix_sort_onesweep_iterationIS3_Lb1EN6thrust23THRUST_200600_302600_NS6detail15normal_iteratorINS8_10device_ptrIiEEEESD_SD_SD_jNS0_19identity_decomposerENS1_16block_id_wrapperIjLb1EEEEE10hipError_tT1_PNSt15iterator_traitsISI_E10value_typeET2_T3_PNSJ_ISO_E10value_typeET4_T5_PST_SU_PNS1_23onesweep_lookback_stateEbbT6_jjT7_P12ihipStream_tbENKUlT_T0_SI_SN_E_clISD_PiSD_S15_EEDaS11_S12_SI_SN_EUlS11_E_NS1_11comp_targetILNS1_3genE4ELNS1_11target_archE910ELNS1_3gpuE8ELNS1_3repE0EEENS1_47radix_sort_onesweep_sort_config_static_selectorELNS0_4arch9wavefront6targetE1EEEvSI_.private_seg_size, 0
	.set _ZN7rocprim17ROCPRIM_400000_NS6detail17trampoline_kernelINS0_14default_configENS1_35radix_sort_onesweep_config_selectorIiiEEZZNS1_29radix_sort_onesweep_iterationIS3_Lb1EN6thrust23THRUST_200600_302600_NS6detail15normal_iteratorINS8_10device_ptrIiEEEESD_SD_SD_jNS0_19identity_decomposerENS1_16block_id_wrapperIjLb1EEEEE10hipError_tT1_PNSt15iterator_traitsISI_E10value_typeET2_T3_PNSJ_ISO_E10value_typeET4_T5_PST_SU_PNS1_23onesweep_lookback_stateEbbT6_jjT7_P12ihipStream_tbENKUlT_T0_SI_SN_E_clISD_PiSD_S15_EEDaS11_S12_SI_SN_EUlS11_E_NS1_11comp_targetILNS1_3genE4ELNS1_11target_archE910ELNS1_3gpuE8ELNS1_3repE0EEENS1_47radix_sort_onesweep_sort_config_static_selectorELNS0_4arch9wavefront6targetE1EEEvSI_.uses_vcc, 0
	.set _ZN7rocprim17ROCPRIM_400000_NS6detail17trampoline_kernelINS0_14default_configENS1_35radix_sort_onesweep_config_selectorIiiEEZZNS1_29radix_sort_onesweep_iterationIS3_Lb1EN6thrust23THRUST_200600_302600_NS6detail15normal_iteratorINS8_10device_ptrIiEEEESD_SD_SD_jNS0_19identity_decomposerENS1_16block_id_wrapperIjLb1EEEEE10hipError_tT1_PNSt15iterator_traitsISI_E10value_typeET2_T3_PNSJ_ISO_E10value_typeET4_T5_PST_SU_PNS1_23onesweep_lookback_stateEbbT6_jjT7_P12ihipStream_tbENKUlT_T0_SI_SN_E_clISD_PiSD_S15_EEDaS11_S12_SI_SN_EUlS11_E_NS1_11comp_targetILNS1_3genE4ELNS1_11target_archE910ELNS1_3gpuE8ELNS1_3repE0EEENS1_47radix_sort_onesweep_sort_config_static_selectorELNS0_4arch9wavefront6targetE1EEEvSI_.uses_flat_scratch, 0
	.set _ZN7rocprim17ROCPRIM_400000_NS6detail17trampoline_kernelINS0_14default_configENS1_35radix_sort_onesweep_config_selectorIiiEEZZNS1_29radix_sort_onesweep_iterationIS3_Lb1EN6thrust23THRUST_200600_302600_NS6detail15normal_iteratorINS8_10device_ptrIiEEEESD_SD_SD_jNS0_19identity_decomposerENS1_16block_id_wrapperIjLb1EEEEE10hipError_tT1_PNSt15iterator_traitsISI_E10value_typeET2_T3_PNSJ_ISO_E10value_typeET4_T5_PST_SU_PNS1_23onesweep_lookback_stateEbbT6_jjT7_P12ihipStream_tbENKUlT_T0_SI_SN_E_clISD_PiSD_S15_EEDaS11_S12_SI_SN_EUlS11_E_NS1_11comp_targetILNS1_3genE4ELNS1_11target_archE910ELNS1_3gpuE8ELNS1_3repE0EEENS1_47radix_sort_onesweep_sort_config_static_selectorELNS0_4arch9wavefront6targetE1EEEvSI_.has_dyn_sized_stack, 0
	.set _ZN7rocprim17ROCPRIM_400000_NS6detail17trampoline_kernelINS0_14default_configENS1_35radix_sort_onesweep_config_selectorIiiEEZZNS1_29radix_sort_onesweep_iterationIS3_Lb1EN6thrust23THRUST_200600_302600_NS6detail15normal_iteratorINS8_10device_ptrIiEEEESD_SD_SD_jNS0_19identity_decomposerENS1_16block_id_wrapperIjLb1EEEEE10hipError_tT1_PNSt15iterator_traitsISI_E10value_typeET2_T3_PNSJ_ISO_E10value_typeET4_T5_PST_SU_PNS1_23onesweep_lookback_stateEbbT6_jjT7_P12ihipStream_tbENKUlT_T0_SI_SN_E_clISD_PiSD_S15_EEDaS11_S12_SI_SN_EUlS11_E_NS1_11comp_targetILNS1_3genE4ELNS1_11target_archE910ELNS1_3gpuE8ELNS1_3repE0EEENS1_47radix_sort_onesweep_sort_config_static_selectorELNS0_4arch9wavefront6targetE1EEEvSI_.has_recursion, 0
	.set _ZN7rocprim17ROCPRIM_400000_NS6detail17trampoline_kernelINS0_14default_configENS1_35radix_sort_onesweep_config_selectorIiiEEZZNS1_29radix_sort_onesweep_iterationIS3_Lb1EN6thrust23THRUST_200600_302600_NS6detail15normal_iteratorINS8_10device_ptrIiEEEESD_SD_SD_jNS0_19identity_decomposerENS1_16block_id_wrapperIjLb1EEEEE10hipError_tT1_PNSt15iterator_traitsISI_E10value_typeET2_T3_PNSJ_ISO_E10value_typeET4_T5_PST_SU_PNS1_23onesweep_lookback_stateEbbT6_jjT7_P12ihipStream_tbENKUlT_T0_SI_SN_E_clISD_PiSD_S15_EEDaS11_S12_SI_SN_EUlS11_E_NS1_11comp_targetILNS1_3genE4ELNS1_11target_archE910ELNS1_3gpuE8ELNS1_3repE0EEENS1_47radix_sort_onesweep_sort_config_static_selectorELNS0_4arch9wavefront6targetE1EEEvSI_.has_indirect_call, 0
	.section	.AMDGPU.csdata,"",@progbits
; Kernel info:
; codeLenInByte = 0
; TotalNumSgprs: 6
; NumVgprs: 0
; NumAgprs: 0
; TotalNumVgprs: 0
; ScratchSize: 0
; MemoryBound: 0
; FloatMode: 240
; IeeeMode: 1
; LDSByteSize: 0 bytes/workgroup (compile time only)
; SGPRBlocks: 0
; VGPRBlocks: 0
; NumSGPRsForWavesPerEU: 6
; NumVGPRsForWavesPerEU: 1
; AccumOffset: 4
; Occupancy: 8
; WaveLimiterHint : 0
; COMPUTE_PGM_RSRC2:SCRATCH_EN: 0
; COMPUTE_PGM_RSRC2:USER_SGPR: 2
; COMPUTE_PGM_RSRC2:TRAP_HANDLER: 0
; COMPUTE_PGM_RSRC2:TGID_X_EN: 1
; COMPUTE_PGM_RSRC2:TGID_Y_EN: 0
; COMPUTE_PGM_RSRC2:TGID_Z_EN: 0
; COMPUTE_PGM_RSRC2:TIDIG_COMP_CNT: 0
; COMPUTE_PGM_RSRC3_GFX90A:ACCUM_OFFSET: 0
; COMPUTE_PGM_RSRC3_GFX90A:TG_SPLIT: 0
	.section	.text._ZN7rocprim17ROCPRIM_400000_NS6detail17trampoline_kernelINS0_14default_configENS1_35radix_sort_onesweep_config_selectorIiiEEZZNS1_29radix_sort_onesweep_iterationIS3_Lb1EN6thrust23THRUST_200600_302600_NS6detail15normal_iteratorINS8_10device_ptrIiEEEESD_SD_SD_jNS0_19identity_decomposerENS1_16block_id_wrapperIjLb1EEEEE10hipError_tT1_PNSt15iterator_traitsISI_E10value_typeET2_T3_PNSJ_ISO_E10value_typeET4_T5_PST_SU_PNS1_23onesweep_lookback_stateEbbT6_jjT7_P12ihipStream_tbENKUlT_T0_SI_SN_E_clISD_PiSD_S15_EEDaS11_S12_SI_SN_EUlS11_E_NS1_11comp_targetILNS1_3genE3ELNS1_11target_archE908ELNS1_3gpuE7ELNS1_3repE0EEENS1_47radix_sort_onesweep_sort_config_static_selectorELNS0_4arch9wavefront6targetE1EEEvSI_,"axG",@progbits,_ZN7rocprim17ROCPRIM_400000_NS6detail17trampoline_kernelINS0_14default_configENS1_35radix_sort_onesweep_config_selectorIiiEEZZNS1_29radix_sort_onesweep_iterationIS3_Lb1EN6thrust23THRUST_200600_302600_NS6detail15normal_iteratorINS8_10device_ptrIiEEEESD_SD_SD_jNS0_19identity_decomposerENS1_16block_id_wrapperIjLb1EEEEE10hipError_tT1_PNSt15iterator_traitsISI_E10value_typeET2_T3_PNSJ_ISO_E10value_typeET4_T5_PST_SU_PNS1_23onesweep_lookback_stateEbbT6_jjT7_P12ihipStream_tbENKUlT_T0_SI_SN_E_clISD_PiSD_S15_EEDaS11_S12_SI_SN_EUlS11_E_NS1_11comp_targetILNS1_3genE3ELNS1_11target_archE908ELNS1_3gpuE7ELNS1_3repE0EEENS1_47radix_sort_onesweep_sort_config_static_selectorELNS0_4arch9wavefront6targetE1EEEvSI_,comdat
	.protected	_ZN7rocprim17ROCPRIM_400000_NS6detail17trampoline_kernelINS0_14default_configENS1_35radix_sort_onesweep_config_selectorIiiEEZZNS1_29radix_sort_onesweep_iterationIS3_Lb1EN6thrust23THRUST_200600_302600_NS6detail15normal_iteratorINS8_10device_ptrIiEEEESD_SD_SD_jNS0_19identity_decomposerENS1_16block_id_wrapperIjLb1EEEEE10hipError_tT1_PNSt15iterator_traitsISI_E10value_typeET2_T3_PNSJ_ISO_E10value_typeET4_T5_PST_SU_PNS1_23onesweep_lookback_stateEbbT6_jjT7_P12ihipStream_tbENKUlT_T0_SI_SN_E_clISD_PiSD_S15_EEDaS11_S12_SI_SN_EUlS11_E_NS1_11comp_targetILNS1_3genE3ELNS1_11target_archE908ELNS1_3gpuE7ELNS1_3repE0EEENS1_47radix_sort_onesweep_sort_config_static_selectorELNS0_4arch9wavefront6targetE1EEEvSI_ ; -- Begin function _ZN7rocprim17ROCPRIM_400000_NS6detail17trampoline_kernelINS0_14default_configENS1_35radix_sort_onesweep_config_selectorIiiEEZZNS1_29radix_sort_onesweep_iterationIS3_Lb1EN6thrust23THRUST_200600_302600_NS6detail15normal_iteratorINS8_10device_ptrIiEEEESD_SD_SD_jNS0_19identity_decomposerENS1_16block_id_wrapperIjLb1EEEEE10hipError_tT1_PNSt15iterator_traitsISI_E10value_typeET2_T3_PNSJ_ISO_E10value_typeET4_T5_PST_SU_PNS1_23onesweep_lookback_stateEbbT6_jjT7_P12ihipStream_tbENKUlT_T0_SI_SN_E_clISD_PiSD_S15_EEDaS11_S12_SI_SN_EUlS11_E_NS1_11comp_targetILNS1_3genE3ELNS1_11target_archE908ELNS1_3gpuE7ELNS1_3repE0EEENS1_47radix_sort_onesweep_sort_config_static_selectorELNS0_4arch9wavefront6targetE1EEEvSI_
	.globl	_ZN7rocprim17ROCPRIM_400000_NS6detail17trampoline_kernelINS0_14default_configENS1_35radix_sort_onesweep_config_selectorIiiEEZZNS1_29radix_sort_onesweep_iterationIS3_Lb1EN6thrust23THRUST_200600_302600_NS6detail15normal_iteratorINS8_10device_ptrIiEEEESD_SD_SD_jNS0_19identity_decomposerENS1_16block_id_wrapperIjLb1EEEEE10hipError_tT1_PNSt15iterator_traitsISI_E10value_typeET2_T3_PNSJ_ISO_E10value_typeET4_T5_PST_SU_PNS1_23onesweep_lookback_stateEbbT6_jjT7_P12ihipStream_tbENKUlT_T0_SI_SN_E_clISD_PiSD_S15_EEDaS11_S12_SI_SN_EUlS11_E_NS1_11comp_targetILNS1_3genE3ELNS1_11target_archE908ELNS1_3gpuE7ELNS1_3repE0EEENS1_47radix_sort_onesweep_sort_config_static_selectorELNS0_4arch9wavefront6targetE1EEEvSI_
	.p2align	8
	.type	_ZN7rocprim17ROCPRIM_400000_NS6detail17trampoline_kernelINS0_14default_configENS1_35radix_sort_onesweep_config_selectorIiiEEZZNS1_29radix_sort_onesweep_iterationIS3_Lb1EN6thrust23THRUST_200600_302600_NS6detail15normal_iteratorINS8_10device_ptrIiEEEESD_SD_SD_jNS0_19identity_decomposerENS1_16block_id_wrapperIjLb1EEEEE10hipError_tT1_PNSt15iterator_traitsISI_E10value_typeET2_T3_PNSJ_ISO_E10value_typeET4_T5_PST_SU_PNS1_23onesweep_lookback_stateEbbT6_jjT7_P12ihipStream_tbENKUlT_T0_SI_SN_E_clISD_PiSD_S15_EEDaS11_S12_SI_SN_EUlS11_E_NS1_11comp_targetILNS1_3genE3ELNS1_11target_archE908ELNS1_3gpuE7ELNS1_3repE0EEENS1_47radix_sort_onesweep_sort_config_static_selectorELNS0_4arch9wavefront6targetE1EEEvSI_,@function
_ZN7rocprim17ROCPRIM_400000_NS6detail17trampoline_kernelINS0_14default_configENS1_35radix_sort_onesweep_config_selectorIiiEEZZNS1_29radix_sort_onesweep_iterationIS3_Lb1EN6thrust23THRUST_200600_302600_NS6detail15normal_iteratorINS8_10device_ptrIiEEEESD_SD_SD_jNS0_19identity_decomposerENS1_16block_id_wrapperIjLb1EEEEE10hipError_tT1_PNSt15iterator_traitsISI_E10value_typeET2_T3_PNSJ_ISO_E10value_typeET4_T5_PST_SU_PNS1_23onesweep_lookback_stateEbbT6_jjT7_P12ihipStream_tbENKUlT_T0_SI_SN_E_clISD_PiSD_S15_EEDaS11_S12_SI_SN_EUlS11_E_NS1_11comp_targetILNS1_3genE3ELNS1_11target_archE908ELNS1_3gpuE7ELNS1_3repE0EEENS1_47radix_sort_onesweep_sort_config_static_selectorELNS0_4arch9wavefront6targetE1EEEvSI_: ; @_ZN7rocprim17ROCPRIM_400000_NS6detail17trampoline_kernelINS0_14default_configENS1_35radix_sort_onesweep_config_selectorIiiEEZZNS1_29radix_sort_onesweep_iterationIS3_Lb1EN6thrust23THRUST_200600_302600_NS6detail15normal_iteratorINS8_10device_ptrIiEEEESD_SD_SD_jNS0_19identity_decomposerENS1_16block_id_wrapperIjLb1EEEEE10hipError_tT1_PNSt15iterator_traitsISI_E10value_typeET2_T3_PNSJ_ISO_E10value_typeET4_T5_PST_SU_PNS1_23onesweep_lookback_stateEbbT6_jjT7_P12ihipStream_tbENKUlT_T0_SI_SN_E_clISD_PiSD_S15_EEDaS11_S12_SI_SN_EUlS11_E_NS1_11comp_targetILNS1_3genE3ELNS1_11target_archE908ELNS1_3gpuE7ELNS1_3repE0EEENS1_47radix_sort_onesweep_sort_config_static_selectorELNS0_4arch9wavefront6targetE1EEEvSI_
; %bb.0:
	.section	.rodata,"a",@progbits
	.p2align	6, 0x0
	.amdhsa_kernel _ZN7rocprim17ROCPRIM_400000_NS6detail17trampoline_kernelINS0_14default_configENS1_35radix_sort_onesweep_config_selectorIiiEEZZNS1_29radix_sort_onesweep_iterationIS3_Lb1EN6thrust23THRUST_200600_302600_NS6detail15normal_iteratorINS8_10device_ptrIiEEEESD_SD_SD_jNS0_19identity_decomposerENS1_16block_id_wrapperIjLb1EEEEE10hipError_tT1_PNSt15iterator_traitsISI_E10value_typeET2_T3_PNSJ_ISO_E10value_typeET4_T5_PST_SU_PNS1_23onesweep_lookback_stateEbbT6_jjT7_P12ihipStream_tbENKUlT_T0_SI_SN_E_clISD_PiSD_S15_EEDaS11_S12_SI_SN_EUlS11_E_NS1_11comp_targetILNS1_3genE3ELNS1_11target_archE908ELNS1_3gpuE7ELNS1_3repE0EEENS1_47radix_sort_onesweep_sort_config_static_selectorELNS0_4arch9wavefront6targetE1EEEvSI_
		.amdhsa_group_segment_fixed_size 0
		.amdhsa_private_segment_fixed_size 0
		.amdhsa_kernarg_size 88
		.amdhsa_user_sgpr_count 2
		.amdhsa_user_sgpr_dispatch_ptr 0
		.amdhsa_user_sgpr_queue_ptr 0
		.amdhsa_user_sgpr_kernarg_segment_ptr 1
		.amdhsa_user_sgpr_dispatch_id 0
		.amdhsa_user_sgpr_kernarg_preload_length 0
		.amdhsa_user_sgpr_kernarg_preload_offset 0
		.amdhsa_user_sgpr_private_segment_size 0
		.amdhsa_uses_dynamic_stack 0
		.amdhsa_enable_private_segment 0
		.amdhsa_system_sgpr_workgroup_id_x 1
		.amdhsa_system_sgpr_workgroup_id_y 0
		.amdhsa_system_sgpr_workgroup_id_z 0
		.amdhsa_system_sgpr_workgroup_info 0
		.amdhsa_system_vgpr_workitem_id 0
		.amdhsa_next_free_vgpr 1
		.amdhsa_next_free_sgpr 0
		.amdhsa_accum_offset 4
		.amdhsa_reserve_vcc 0
		.amdhsa_float_round_mode_32 0
		.amdhsa_float_round_mode_16_64 0
		.amdhsa_float_denorm_mode_32 3
		.amdhsa_float_denorm_mode_16_64 3
		.amdhsa_dx10_clamp 1
		.amdhsa_ieee_mode 1
		.amdhsa_fp16_overflow 0
		.amdhsa_tg_split 0
		.amdhsa_exception_fp_ieee_invalid_op 0
		.amdhsa_exception_fp_denorm_src 0
		.amdhsa_exception_fp_ieee_div_zero 0
		.amdhsa_exception_fp_ieee_overflow 0
		.amdhsa_exception_fp_ieee_underflow 0
		.amdhsa_exception_fp_ieee_inexact 0
		.amdhsa_exception_int_div_zero 0
	.end_amdhsa_kernel
	.section	.text._ZN7rocprim17ROCPRIM_400000_NS6detail17trampoline_kernelINS0_14default_configENS1_35radix_sort_onesweep_config_selectorIiiEEZZNS1_29radix_sort_onesweep_iterationIS3_Lb1EN6thrust23THRUST_200600_302600_NS6detail15normal_iteratorINS8_10device_ptrIiEEEESD_SD_SD_jNS0_19identity_decomposerENS1_16block_id_wrapperIjLb1EEEEE10hipError_tT1_PNSt15iterator_traitsISI_E10value_typeET2_T3_PNSJ_ISO_E10value_typeET4_T5_PST_SU_PNS1_23onesweep_lookback_stateEbbT6_jjT7_P12ihipStream_tbENKUlT_T0_SI_SN_E_clISD_PiSD_S15_EEDaS11_S12_SI_SN_EUlS11_E_NS1_11comp_targetILNS1_3genE3ELNS1_11target_archE908ELNS1_3gpuE7ELNS1_3repE0EEENS1_47radix_sort_onesweep_sort_config_static_selectorELNS0_4arch9wavefront6targetE1EEEvSI_,"axG",@progbits,_ZN7rocprim17ROCPRIM_400000_NS6detail17trampoline_kernelINS0_14default_configENS1_35radix_sort_onesweep_config_selectorIiiEEZZNS1_29radix_sort_onesweep_iterationIS3_Lb1EN6thrust23THRUST_200600_302600_NS6detail15normal_iteratorINS8_10device_ptrIiEEEESD_SD_SD_jNS0_19identity_decomposerENS1_16block_id_wrapperIjLb1EEEEE10hipError_tT1_PNSt15iterator_traitsISI_E10value_typeET2_T3_PNSJ_ISO_E10value_typeET4_T5_PST_SU_PNS1_23onesweep_lookback_stateEbbT6_jjT7_P12ihipStream_tbENKUlT_T0_SI_SN_E_clISD_PiSD_S15_EEDaS11_S12_SI_SN_EUlS11_E_NS1_11comp_targetILNS1_3genE3ELNS1_11target_archE908ELNS1_3gpuE7ELNS1_3repE0EEENS1_47radix_sort_onesweep_sort_config_static_selectorELNS0_4arch9wavefront6targetE1EEEvSI_,comdat
.Lfunc_end1013:
	.size	_ZN7rocprim17ROCPRIM_400000_NS6detail17trampoline_kernelINS0_14default_configENS1_35radix_sort_onesweep_config_selectorIiiEEZZNS1_29radix_sort_onesweep_iterationIS3_Lb1EN6thrust23THRUST_200600_302600_NS6detail15normal_iteratorINS8_10device_ptrIiEEEESD_SD_SD_jNS0_19identity_decomposerENS1_16block_id_wrapperIjLb1EEEEE10hipError_tT1_PNSt15iterator_traitsISI_E10value_typeET2_T3_PNSJ_ISO_E10value_typeET4_T5_PST_SU_PNS1_23onesweep_lookback_stateEbbT6_jjT7_P12ihipStream_tbENKUlT_T0_SI_SN_E_clISD_PiSD_S15_EEDaS11_S12_SI_SN_EUlS11_E_NS1_11comp_targetILNS1_3genE3ELNS1_11target_archE908ELNS1_3gpuE7ELNS1_3repE0EEENS1_47radix_sort_onesweep_sort_config_static_selectorELNS0_4arch9wavefront6targetE1EEEvSI_, .Lfunc_end1013-_ZN7rocprim17ROCPRIM_400000_NS6detail17trampoline_kernelINS0_14default_configENS1_35radix_sort_onesweep_config_selectorIiiEEZZNS1_29radix_sort_onesweep_iterationIS3_Lb1EN6thrust23THRUST_200600_302600_NS6detail15normal_iteratorINS8_10device_ptrIiEEEESD_SD_SD_jNS0_19identity_decomposerENS1_16block_id_wrapperIjLb1EEEEE10hipError_tT1_PNSt15iterator_traitsISI_E10value_typeET2_T3_PNSJ_ISO_E10value_typeET4_T5_PST_SU_PNS1_23onesweep_lookback_stateEbbT6_jjT7_P12ihipStream_tbENKUlT_T0_SI_SN_E_clISD_PiSD_S15_EEDaS11_S12_SI_SN_EUlS11_E_NS1_11comp_targetILNS1_3genE3ELNS1_11target_archE908ELNS1_3gpuE7ELNS1_3repE0EEENS1_47radix_sort_onesweep_sort_config_static_selectorELNS0_4arch9wavefront6targetE1EEEvSI_
                                        ; -- End function
	.set _ZN7rocprim17ROCPRIM_400000_NS6detail17trampoline_kernelINS0_14default_configENS1_35radix_sort_onesweep_config_selectorIiiEEZZNS1_29radix_sort_onesweep_iterationIS3_Lb1EN6thrust23THRUST_200600_302600_NS6detail15normal_iteratorINS8_10device_ptrIiEEEESD_SD_SD_jNS0_19identity_decomposerENS1_16block_id_wrapperIjLb1EEEEE10hipError_tT1_PNSt15iterator_traitsISI_E10value_typeET2_T3_PNSJ_ISO_E10value_typeET4_T5_PST_SU_PNS1_23onesweep_lookback_stateEbbT6_jjT7_P12ihipStream_tbENKUlT_T0_SI_SN_E_clISD_PiSD_S15_EEDaS11_S12_SI_SN_EUlS11_E_NS1_11comp_targetILNS1_3genE3ELNS1_11target_archE908ELNS1_3gpuE7ELNS1_3repE0EEENS1_47radix_sort_onesweep_sort_config_static_selectorELNS0_4arch9wavefront6targetE1EEEvSI_.num_vgpr, 0
	.set _ZN7rocprim17ROCPRIM_400000_NS6detail17trampoline_kernelINS0_14default_configENS1_35radix_sort_onesweep_config_selectorIiiEEZZNS1_29radix_sort_onesweep_iterationIS3_Lb1EN6thrust23THRUST_200600_302600_NS6detail15normal_iteratorINS8_10device_ptrIiEEEESD_SD_SD_jNS0_19identity_decomposerENS1_16block_id_wrapperIjLb1EEEEE10hipError_tT1_PNSt15iterator_traitsISI_E10value_typeET2_T3_PNSJ_ISO_E10value_typeET4_T5_PST_SU_PNS1_23onesweep_lookback_stateEbbT6_jjT7_P12ihipStream_tbENKUlT_T0_SI_SN_E_clISD_PiSD_S15_EEDaS11_S12_SI_SN_EUlS11_E_NS1_11comp_targetILNS1_3genE3ELNS1_11target_archE908ELNS1_3gpuE7ELNS1_3repE0EEENS1_47radix_sort_onesweep_sort_config_static_selectorELNS0_4arch9wavefront6targetE1EEEvSI_.num_agpr, 0
	.set _ZN7rocprim17ROCPRIM_400000_NS6detail17trampoline_kernelINS0_14default_configENS1_35radix_sort_onesweep_config_selectorIiiEEZZNS1_29radix_sort_onesweep_iterationIS3_Lb1EN6thrust23THRUST_200600_302600_NS6detail15normal_iteratorINS8_10device_ptrIiEEEESD_SD_SD_jNS0_19identity_decomposerENS1_16block_id_wrapperIjLb1EEEEE10hipError_tT1_PNSt15iterator_traitsISI_E10value_typeET2_T3_PNSJ_ISO_E10value_typeET4_T5_PST_SU_PNS1_23onesweep_lookback_stateEbbT6_jjT7_P12ihipStream_tbENKUlT_T0_SI_SN_E_clISD_PiSD_S15_EEDaS11_S12_SI_SN_EUlS11_E_NS1_11comp_targetILNS1_3genE3ELNS1_11target_archE908ELNS1_3gpuE7ELNS1_3repE0EEENS1_47radix_sort_onesweep_sort_config_static_selectorELNS0_4arch9wavefront6targetE1EEEvSI_.numbered_sgpr, 0
	.set _ZN7rocprim17ROCPRIM_400000_NS6detail17trampoline_kernelINS0_14default_configENS1_35radix_sort_onesweep_config_selectorIiiEEZZNS1_29radix_sort_onesweep_iterationIS3_Lb1EN6thrust23THRUST_200600_302600_NS6detail15normal_iteratorINS8_10device_ptrIiEEEESD_SD_SD_jNS0_19identity_decomposerENS1_16block_id_wrapperIjLb1EEEEE10hipError_tT1_PNSt15iterator_traitsISI_E10value_typeET2_T3_PNSJ_ISO_E10value_typeET4_T5_PST_SU_PNS1_23onesweep_lookback_stateEbbT6_jjT7_P12ihipStream_tbENKUlT_T0_SI_SN_E_clISD_PiSD_S15_EEDaS11_S12_SI_SN_EUlS11_E_NS1_11comp_targetILNS1_3genE3ELNS1_11target_archE908ELNS1_3gpuE7ELNS1_3repE0EEENS1_47radix_sort_onesweep_sort_config_static_selectorELNS0_4arch9wavefront6targetE1EEEvSI_.num_named_barrier, 0
	.set _ZN7rocprim17ROCPRIM_400000_NS6detail17trampoline_kernelINS0_14default_configENS1_35radix_sort_onesweep_config_selectorIiiEEZZNS1_29radix_sort_onesweep_iterationIS3_Lb1EN6thrust23THRUST_200600_302600_NS6detail15normal_iteratorINS8_10device_ptrIiEEEESD_SD_SD_jNS0_19identity_decomposerENS1_16block_id_wrapperIjLb1EEEEE10hipError_tT1_PNSt15iterator_traitsISI_E10value_typeET2_T3_PNSJ_ISO_E10value_typeET4_T5_PST_SU_PNS1_23onesweep_lookback_stateEbbT6_jjT7_P12ihipStream_tbENKUlT_T0_SI_SN_E_clISD_PiSD_S15_EEDaS11_S12_SI_SN_EUlS11_E_NS1_11comp_targetILNS1_3genE3ELNS1_11target_archE908ELNS1_3gpuE7ELNS1_3repE0EEENS1_47radix_sort_onesweep_sort_config_static_selectorELNS0_4arch9wavefront6targetE1EEEvSI_.private_seg_size, 0
	.set _ZN7rocprim17ROCPRIM_400000_NS6detail17trampoline_kernelINS0_14default_configENS1_35radix_sort_onesweep_config_selectorIiiEEZZNS1_29radix_sort_onesweep_iterationIS3_Lb1EN6thrust23THRUST_200600_302600_NS6detail15normal_iteratorINS8_10device_ptrIiEEEESD_SD_SD_jNS0_19identity_decomposerENS1_16block_id_wrapperIjLb1EEEEE10hipError_tT1_PNSt15iterator_traitsISI_E10value_typeET2_T3_PNSJ_ISO_E10value_typeET4_T5_PST_SU_PNS1_23onesweep_lookback_stateEbbT6_jjT7_P12ihipStream_tbENKUlT_T0_SI_SN_E_clISD_PiSD_S15_EEDaS11_S12_SI_SN_EUlS11_E_NS1_11comp_targetILNS1_3genE3ELNS1_11target_archE908ELNS1_3gpuE7ELNS1_3repE0EEENS1_47radix_sort_onesweep_sort_config_static_selectorELNS0_4arch9wavefront6targetE1EEEvSI_.uses_vcc, 0
	.set _ZN7rocprim17ROCPRIM_400000_NS6detail17trampoline_kernelINS0_14default_configENS1_35radix_sort_onesweep_config_selectorIiiEEZZNS1_29radix_sort_onesweep_iterationIS3_Lb1EN6thrust23THRUST_200600_302600_NS6detail15normal_iteratorINS8_10device_ptrIiEEEESD_SD_SD_jNS0_19identity_decomposerENS1_16block_id_wrapperIjLb1EEEEE10hipError_tT1_PNSt15iterator_traitsISI_E10value_typeET2_T3_PNSJ_ISO_E10value_typeET4_T5_PST_SU_PNS1_23onesweep_lookback_stateEbbT6_jjT7_P12ihipStream_tbENKUlT_T0_SI_SN_E_clISD_PiSD_S15_EEDaS11_S12_SI_SN_EUlS11_E_NS1_11comp_targetILNS1_3genE3ELNS1_11target_archE908ELNS1_3gpuE7ELNS1_3repE0EEENS1_47radix_sort_onesweep_sort_config_static_selectorELNS0_4arch9wavefront6targetE1EEEvSI_.uses_flat_scratch, 0
	.set _ZN7rocprim17ROCPRIM_400000_NS6detail17trampoline_kernelINS0_14default_configENS1_35radix_sort_onesweep_config_selectorIiiEEZZNS1_29radix_sort_onesweep_iterationIS3_Lb1EN6thrust23THRUST_200600_302600_NS6detail15normal_iteratorINS8_10device_ptrIiEEEESD_SD_SD_jNS0_19identity_decomposerENS1_16block_id_wrapperIjLb1EEEEE10hipError_tT1_PNSt15iterator_traitsISI_E10value_typeET2_T3_PNSJ_ISO_E10value_typeET4_T5_PST_SU_PNS1_23onesweep_lookback_stateEbbT6_jjT7_P12ihipStream_tbENKUlT_T0_SI_SN_E_clISD_PiSD_S15_EEDaS11_S12_SI_SN_EUlS11_E_NS1_11comp_targetILNS1_3genE3ELNS1_11target_archE908ELNS1_3gpuE7ELNS1_3repE0EEENS1_47radix_sort_onesweep_sort_config_static_selectorELNS0_4arch9wavefront6targetE1EEEvSI_.has_dyn_sized_stack, 0
	.set _ZN7rocprim17ROCPRIM_400000_NS6detail17trampoline_kernelINS0_14default_configENS1_35radix_sort_onesweep_config_selectorIiiEEZZNS1_29radix_sort_onesweep_iterationIS3_Lb1EN6thrust23THRUST_200600_302600_NS6detail15normal_iteratorINS8_10device_ptrIiEEEESD_SD_SD_jNS0_19identity_decomposerENS1_16block_id_wrapperIjLb1EEEEE10hipError_tT1_PNSt15iterator_traitsISI_E10value_typeET2_T3_PNSJ_ISO_E10value_typeET4_T5_PST_SU_PNS1_23onesweep_lookback_stateEbbT6_jjT7_P12ihipStream_tbENKUlT_T0_SI_SN_E_clISD_PiSD_S15_EEDaS11_S12_SI_SN_EUlS11_E_NS1_11comp_targetILNS1_3genE3ELNS1_11target_archE908ELNS1_3gpuE7ELNS1_3repE0EEENS1_47radix_sort_onesweep_sort_config_static_selectorELNS0_4arch9wavefront6targetE1EEEvSI_.has_recursion, 0
	.set _ZN7rocprim17ROCPRIM_400000_NS6detail17trampoline_kernelINS0_14default_configENS1_35radix_sort_onesweep_config_selectorIiiEEZZNS1_29radix_sort_onesweep_iterationIS3_Lb1EN6thrust23THRUST_200600_302600_NS6detail15normal_iteratorINS8_10device_ptrIiEEEESD_SD_SD_jNS0_19identity_decomposerENS1_16block_id_wrapperIjLb1EEEEE10hipError_tT1_PNSt15iterator_traitsISI_E10value_typeET2_T3_PNSJ_ISO_E10value_typeET4_T5_PST_SU_PNS1_23onesweep_lookback_stateEbbT6_jjT7_P12ihipStream_tbENKUlT_T0_SI_SN_E_clISD_PiSD_S15_EEDaS11_S12_SI_SN_EUlS11_E_NS1_11comp_targetILNS1_3genE3ELNS1_11target_archE908ELNS1_3gpuE7ELNS1_3repE0EEENS1_47radix_sort_onesweep_sort_config_static_selectorELNS0_4arch9wavefront6targetE1EEEvSI_.has_indirect_call, 0
	.section	.AMDGPU.csdata,"",@progbits
; Kernel info:
; codeLenInByte = 0
; TotalNumSgprs: 6
; NumVgprs: 0
; NumAgprs: 0
; TotalNumVgprs: 0
; ScratchSize: 0
; MemoryBound: 0
; FloatMode: 240
; IeeeMode: 1
; LDSByteSize: 0 bytes/workgroup (compile time only)
; SGPRBlocks: 0
; VGPRBlocks: 0
; NumSGPRsForWavesPerEU: 6
; NumVGPRsForWavesPerEU: 1
; AccumOffset: 4
; Occupancy: 8
; WaveLimiterHint : 0
; COMPUTE_PGM_RSRC2:SCRATCH_EN: 0
; COMPUTE_PGM_RSRC2:USER_SGPR: 2
; COMPUTE_PGM_RSRC2:TRAP_HANDLER: 0
; COMPUTE_PGM_RSRC2:TGID_X_EN: 1
; COMPUTE_PGM_RSRC2:TGID_Y_EN: 0
; COMPUTE_PGM_RSRC2:TGID_Z_EN: 0
; COMPUTE_PGM_RSRC2:TIDIG_COMP_CNT: 0
; COMPUTE_PGM_RSRC3_GFX90A:ACCUM_OFFSET: 0
; COMPUTE_PGM_RSRC3_GFX90A:TG_SPLIT: 0
	.section	.text._ZN7rocprim17ROCPRIM_400000_NS6detail17trampoline_kernelINS0_14default_configENS1_35radix_sort_onesweep_config_selectorIiiEEZZNS1_29radix_sort_onesweep_iterationIS3_Lb1EN6thrust23THRUST_200600_302600_NS6detail15normal_iteratorINS8_10device_ptrIiEEEESD_SD_SD_jNS0_19identity_decomposerENS1_16block_id_wrapperIjLb1EEEEE10hipError_tT1_PNSt15iterator_traitsISI_E10value_typeET2_T3_PNSJ_ISO_E10value_typeET4_T5_PST_SU_PNS1_23onesweep_lookback_stateEbbT6_jjT7_P12ihipStream_tbENKUlT_T0_SI_SN_E_clISD_PiSD_S15_EEDaS11_S12_SI_SN_EUlS11_E_NS1_11comp_targetILNS1_3genE10ELNS1_11target_archE1201ELNS1_3gpuE5ELNS1_3repE0EEENS1_47radix_sort_onesweep_sort_config_static_selectorELNS0_4arch9wavefront6targetE1EEEvSI_,"axG",@progbits,_ZN7rocprim17ROCPRIM_400000_NS6detail17trampoline_kernelINS0_14default_configENS1_35radix_sort_onesweep_config_selectorIiiEEZZNS1_29radix_sort_onesweep_iterationIS3_Lb1EN6thrust23THRUST_200600_302600_NS6detail15normal_iteratorINS8_10device_ptrIiEEEESD_SD_SD_jNS0_19identity_decomposerENS1_16block_id_wrapperIjLb1EEEEE10hipError_tT1_PNSt15iterator_traitsISI_E10value_typeET2_T3_PNSJ_ISO_E10value_typeET4_T5_PST_SU_PNS1_23onesweep_lookback_stateEbbT6_jjT7_P12ihipStream_tbENKUlT_T0_SI_SN_E_clISD_PiSD_S15_EEDaS11_S12_SI_SN_EUlS11_E_NS1_11comp_targetILNS1_3genE10ELNS1_11target_archE1201ELNS1_3gpuE5ELNS1_3repE0EEENS1_47radix_sort_onesweep_sort_config_static_selectorELNS0_4arch9wavefront6targetE1EEEvSI_,comdat
	.protected	_ZN7rocprim17ROCPRIM_400000_NS6detail17trampoline_kernelINS0_14default_configENS1_35radix_sort_onesweep_config_selectorIiiEEZZNS1_29radix_sort_onesweep_iterationIS3_Lb1EN6thrust23THRUST_200600_302600_NS6detail15normal_iteratorINS8_10device_ptrIiEEEESD_SD_SD_jNS0_19identity_decomposerENS1_16block_id_wrapperIjLb1EEEEE10hipError_tT1_PNSt15iterator_traitsISI_E10value_typeET2_T3_PNSJ_ISO_E10value_typeET4_T5_PST_SU_PNS1_23onesweep_lookback_stateEbbT6_jjT7_P12ihipStream_tbENKUlT_T0_SI_SN_E_clISD_PiSD_S15_EEDaS11_S12_SI_SN_EUlS11_E_NS1_11comp_targetILNS1_3genE10ELNS1_11target_archE1201ELNS1_3gpuE5ELNS1_3repE0EEENS1_47radix_sort_onesweep_sort_config_static_selectorELNS0_4arch9wavefront6targetE1EEEvSI_ ; -- Begin function _ZN7rocprim17ROCPRIM_400000_NS6detail17trampoline_kernelINS0_14default_configENS1_35radix_sort_onesweep_config_selectorIiiEEZZNS1_29radix_sort_onesweep_iterationIS3_Lb1EN6thrust23THRUST_200600_302600_NS6detail15normal_iteratorINS8_10device_ptrIiEEEESD_SD_SD_jNS0_19identity_decomposerENS1_16block_id_wrapperIjLb1EEEEE10hipError_tT1_PNSt15iterator_traitsISI_E10value_typeET2_T3_PNSJ_ISO_E10value_typeET4_T5_PST_SU_PNS1_23onesweep_lookback_stateEbbT6_jjT7_P12ihipStream_tbENKUlT_T0_SI_SN_E_clISD_PiSD_S15_EEDaS11_S12_SI_SN_EUlS11_E_NS1_11comp_targetILNS1_3genE10ELNS1_11target_archE1201ELNS1_3gpuE5ELNS1_3repE0EEENS1_47radix_sort_onesweep_sort_config_static_selectorELNS0_4arch9wavefront6targetE1EEEvSI_
	.globl	_ZN7rocprim17ROCPRIM_400000_NS6detail17trampoline_kernelINS0_14default_configENS1_35radix_sort_onesweep_config_selectorIiiEEZZNS1_29radix_sort_onesweep_iterationIS3_Lb1EN6thrust23THRUST_200600_302600_NS6detail15normal_iteratorINS8_10device_ptrIiEEEESD_SD_SD_jNS0_19identity_decomposerENS1_16block_id_wrapperIjLb1EEEEE10hipError_tT1_PNSt15iterator_traitsISI_E10value_typeET2_T3_PNSJ_ISO_E10value_typeET4_T5_PST_SU_PNS1_23onesweep_lookback_stateEbbT6_jjT7_P12ihipStream_tbENKUlT_T0_SI_SN_E_clISD_PiSD_S15_EEDaS11_S12_SI_SN_EUlS11_E_NS1_11comp_targetILNS1_3genE10ELNS1_11target_archE1201ELNS1_3gpuE5ELNS1_3repE0EEENS1_47radix_sort_onesweep_sort_config_static_selectorELNS0_4arch9wavefront6targetE1EEEvSI_
	.p2align	8
	.type	_ZN7rocprim17ROCPRIM_400000_NS6detail17trampoline_kernelINS0_14default_configENS1_35radix_sort_onesweep_config_selectorIiiEEZZNS1_29radix_sort_onesweep_iterationIS3_Lb1EN6thrust23THRUST_200600_302600_NS6detail15normal_iteratorINS8_10device_ptrIiEEEESD_SD_SD_jNS0_19identity_decomposerENS1_16block_id_wrapperIjLb1EEEEE10hipError_tT1_PNSt15iterator_traitsISI_E10value_typeET2_T3_PNSJ_ISO_E10value_typeET4_T5_PST_SU_PNS1_23onesweep_lookback_stateEbbT6_jjT7_P12ihipStream_tbENKUlT_T0_SI_SN_E_clISD_PiSD_S15_EEDaS11_S12_SI_SN_EUlS11_E_NS1_11comp_targetILNS1_3genE10ELNS1_11target_archE1201ELNS1_3gpuE5ELNS1_3repE0EEENS1_47radix_sort_onesweep_sort_config_static_selectorELNS0_4arch9wavefront6targetE1EEEvSI_,@function
_ZN7rocprim17ROCPRIM_400000_NS6detail17trampoline_kernelINS0_14default_configENS1_35radix_sort_onesweep_config_selectorIiiEEZZNS1_29radix_sort_onesweep_iterationIS3_Lb1EN6thrust23THRUST_200600_302600_NS6detail15normal_iteratorINS8_10device_ptrIiEEEESD_SD_SD_jNS0_19identity_decomposerENS1_16block_id_wrapperIjLb1EEEEE10hipError_tT1_PNSt15iterator_traitsISI_E10value_typeET2_T3_PNSJ_ISO_E10value_typeET4_T5_PST_SU_PNS1_23onesweep_lookback_stateEbbT6_jjT7_P12ihipStream_tbENKUlT_T0_SI_SN_E_clISD_PiSD_S15_EEDaS11_S12_SI_SN_EUlS11_E_NS1_11comp_targetILNS1_3genE10ELNS1_11target_archE1201ELNS1_3gpuE5ELNS1_3repE0EEENS1_47radix_sort_onesweep_sort_config_static_selectorELNS0_4arch9wavefront6targetE1EEEvSI_: ; @_ZN7rocprim17ROCPRIM_400000_NS6detail17trampoline_kernelINS0_14default_configENS1_35radix_sort_onesweep_config_selectorIiiEEZZNS1_29radix_sort_onesweep_iterationIS3_Lb1EN6thrust23THRUST_200600_302600_NS6detail15normal_iteratorINS8_10device_ptrIiEEEESD_SD_SD_jNS0_19identity_decomposerENS1_16block_id_wrapperIjLb1EEEEE10hipError_tT1_PNSt15iterator_traitsISI_E10value_typeET2_T3_PNSJ_ISO_E10value_typeET4_T5_PST_SU_PNS1_23onesweep_lookback_stateEbbT6_jjT7_P12ihipStream_tbENKUlT_T0_SI_SN_E_clISD_PiSD_S15_EEDaS11_S12_SI_SN_EUlS11_E_NS1_11comp_targetILNS1_3genE10ELNS1_11target_archE1201ELNS1_3gpuE5ELNS1_3repE0EEENS1_47radix_sort_onesweep_sort_config_static_selectorELNS0_4arch9wavefront6targetE1EEEvSI_
; %bb.0:
	.section	.rodata,"a",@progbits
	.p2align	6, 0x0
	.amdhsa_kernel _ZN7rocprim17ROCPRIM_400000_NS6detail17trampoline_kernelINS0_14default_configENS1_35radix_sort_onesweep_config_selectorIiiEEZZNS1_29radix_sort_onesweep_iterationIS3_Lb1EN6thrust23THRUST_200600_302600_NS6detail15normal_iteratorINS8_10device_ptrIiEEEESD_SD_SD_jNS0_19identity_decomposerENS1_16block_id_wrapperIjLb1EEEEE10hipError_tT1_PNSt15iterator_traitsISI_E10value_typeET2_T3_PNSJ_ISO_E10value_typeET4_T5_PST_SU_PNS1_23onesweep_lookback_stateEbbT6_jjT7_P12ihipStream_tbENKUlT_T0_SI_SN_E_clISD_PiSD_S15_EEDaS11_S12_SI_SN_EUlS11_E_NS1_11comp_targetILNS1_3genE10ELNS1_11target_archE1201ELNS1_3gpuE5ELNS1_3repE0EEENS1_47radix_sort_onesweep_sort_config_static_selectorELNS0_4arch9wavefront6targetE1EEEvSI_
		.amdhsa_group_segment_fixed_size 0
		.amdhsa_private_segment_fixed_size 0
		.amdhsa_kernarg_size 88
		.amdhsa_user_sgpr_count 2
		.amdhsa_user_sgpr_dispatch_ptr 0
		.amdhsa_user_sgpr_queue_ptr 0
		.amdhsa_user_sgpr_kernarg_segment_ptr 1
		.amdhsa_user_sgpr_dispatch_id 0
		.amdhsa_user_sgpr_kernarg_preload_length 0
		.amdhsa_user_sgpr_kernarg_preload_offset 0
		.amdhsa_user_sgpr_private_segment_size 0
		.amdhsa_uses_dynamic_stack 0
		.amdhsa_enable_private_segment 0
		.amdhsa_system_sgpr_workgroup_id_x 1
		.amdhsa_system_sgpr_workgroup_id_y 0
		.amdhsa_system_sgpr_workgroup_id_z 0
		.amdhsa_system_sgpr_workgroup_info 0
		.amdhsa_system_vgpr_workitem_id 0
		.amdhsa_next_free_vgpr 1
		.amdhsa_next_free_sgpr 0
		.amdhsa_accum_offset 4
		.amdhsa_reserve_vcc 0
		.amdhsa_float_round_mode_32 0
		.amdhsa_float_round_mode_16_64 0
		.amdhsa_float_denorm_mode_32 3
		.amdhsa_float_denorm_mode_16_64 3
		.amdhsa_dx10_clamp 1
		.amdhsa_ieee_mode 1
		.amdhsa_fp16_overflow 0
		.amdhsa_tg_split 0
		.amdhsa_exception_fp_ieee_invalid_op 0
		.amdhsa_exception_fp_denorm_src 0
		.amdhsa_exception_fp_ieee_div_zero 0
		.amdhsa_exception_fp_ieee_overflow 0
		.amdhsa_exception_fp_ieee_underflow 0
		.amdhsa_exception_fp_ieee_inexact 0
		.amdhsa_exception_int_div_zero 0
	.end_amdhsa_kernel
	.section	.text._ZN7rocprim17ROCPRIM_400000_NS6detail17trampoline_kernelINS0_14default_configENS1_35radix_sort_onesweep_config_selectorIiiEEZZNS1_29radix_sort_onesweep_iterationIS3_Lb1EN6thrust23THRUST_200600_302600_NS6detail15normal_iteratorINS8_10device_ptrIiEEEESD_SD_SD_jNS0_19identity_decomposerENS1_16block_id_wrapperIjLb1EEEEE10hipError_tT1_PNSt15iterator_traitsISI_E10value_typeET2_T3_PNSJ_ISO_E10value_typeET4_T5_PST_SU_PNS1_23onesweep_lookback_stateEbbT6_jjT7_P12ihipStream_tbENKUlT_T0_SI_SN_E_clISD_PiSD_S15_EEDaS11_S12_SI_SN_EUlS11_E_NS1_11comp_targetILNS1_3genE10ELNS1_11target_archE1201ELNS1_3gpuE5ELNS1_3repE0EEENS1_47radix_sort_onesweep_sort_config_static_selectorELNS0_4arch9wavefront6targetE1EEEvSI_,"axG",@progbits,_ZN7rocprim17ROCPRIM_400000_NS6detail17trampoline_kernelINS0_14default_configENS1_35radix_sort_onesweep_config_selectorIiiEEZZNS1_29radix_sort_onesweep_iterationIS3_Lb1EN6thrust23THRUST_200600_302600_NS6detail15normal_iteratorINS8_10device_ptrIiEEEESD_SD_SD_jNS0_19identity_decomposerENS1_16block_id_wrapperIjLb1EEEEE10hipError_tT1_PNSt15iterator_traitsISI_E10value_typeET2_T3_PNSJ_ISO_E10value_typeET4_T5_PST_SU_PNS1_23onesweep_lookback_stateEbbT6_jjT7_P12ihipStream_tbENKUlT_T0_SI_SN_E_clISD_PiSD_S15_EEDaS11_S12_SI_SN_EUlS11_E_NS1_11comp_targetILNS1_3genE10ELNS1_11target_archE1201ELNS1_3gpuE5ELNS1_3repE0EEENS1_47radix_sort_onesweep_sort_config_static_selectorELNS0_4arch9wavefront6targetE1EEEvSI_,comdat
.Lfunc_end1014:
	.size	_ZN7rocprim17ROCPRIM_400000_NS6detail17trampoline_kernelINS0_14default_configENS1_35radix_sort_onesweep_config_selectorIiiEEZZNS1_29radix_sort_onesweep_iterationIS3_Lb1EN6thrust23THRUST_200600_302600_NS6detail15normal_iteratorINS8_10device_ptrIiEEEESD_SD_SD_jNS0_19identity_decomposerENS1_16block_id_wrapperIjLb1EEEEE10hipError_tT1_PNSt15iterator_traitsISI_E10value_typeET2_T3_PNSJ_ISO_E10value_typeET4_T5_PST_SU_PNS1_23onesweep_lookback_stateEbbT6_jjT7_P12ihipStream_tbENKUlT_T0_SI_SN_E_clISD_PiSD_S15_EEDaS11_S12_SI_SN_EUlS11_E_NS1_11comp_targetILNS1_3genE10ELNS1_11target_archE1201ELNS1_3gpuE5ELNS1_3repE0EEENS1_47radix_sort_onesweep_sort_config_static_selectorELNS0_4arch9wavefront6targetE1EEEvSI_, .Lfunc_end1014-_ZN7rocprim17ROCPRIM_400000_NS6detail17trampoline_kernelINS0_14default_configENS1_35radix_sort_onesweep_config_selectorIiiEEZZNS1_29radix_sort_onesweep_iterationIS3_Lb1EN6thrust23THRUST_200600_302600_NS6detail15normal_iteratorINS8_10device_ptrIiEEEESD_SD_SD_jNS0_19identity_decomposerENS1_16block_id_wrapperIjLb1EEEEE10hipError_tT1_PNSt15iterator_traitsISI_E10value_typeET2_T3_PNSJ_ISO_E10value_typeET4_T5_PST_SU_PNS1_23onesweep_lookback_stateEbbT6_jjT7_P12ihipStream_tbENKUlT_T0_SI_SN_E_clISD_PiSD_S15_EEDaS11_S12_SI_SN_EUlS11_E_NS1_11comp_targetILNS1_3genE10ELNS1_11target_archE1201ELNS1_3gpuE5ELNS1_3repE0EEENS1_47radix_sort_onesweep_sort_config_static_selectorELNS0_4arch9wavefront6targetE1EEEvSI_
                                        ; -- End function
	.set _ZN7rocprim17ROCPRIM_400000_NS6detail17trampoline_kernelINS0_14default_configENS1_35radix_sort_onesweep_config_selectorIiiEEZZNS1_29radix_sort_onesweep_iterationIS3_Lb1EN6thrust23THRUST_200600_302600_NS6detail15normal_iteratorINS8_10device_ptrIiEEEESD_SD_SD_jNS0_19identity_decomposerENS1_16block_id_wrapperIjLb1EEEEE10hipError_tT1_PNSt15iterator_traitsISI_E10value_typeET2_T3_PNSJ_ISO_E10value_typeET4_T5_PST_SU_PNS1_23onesweep_lookback_stateEbbT6_jjT7_P12ihipStream_tbENKUlT_T0_SI_SN_E_clISD_PiSD_S15_EEDaS11_S12_SI_SN_EUlS11_E_NS1_11comp_targetILNS1_3genE10ELNS1_11target_archE1201ELNS1_3gpuE5ELNS1_3repE0EEENS1_47radix_sort_onesweep_sort_config_static_selectorELNS0_4arch9wavefront6targetE1EEEvSI_.num_vgpr, 0
	.set _ZN7rocprim17ROCPRIM_400000_NS6detail17trampoline_kernelINS0_14default_configENS1_35radix_sort_onesweep_config_selectorIiiEEZZNS1_29radix_sort_onesweep_iterationIS3_Lb1EN6thrust23THRUST_200600_302600_NS6detail15normal_iteratorINS8_10device_ptrIiEEEESD_SD_SD_jNS0_19identity_decomposerENS1_16block_id_wrapperIjLb1EEEEE10hipError_tT1_PNSt15iterator_traitsISI_E10value_typeET2_T3_PNSJ_ISO_E10value_typeET4_T5_PST_SU_PNS1_23onesweep_lookback_stateEbbT6_jjT7_P12ihipStream_tbENKUlT_T0_SI_SN_E_clISD_PiSD_S15_EEDaS11_S12_SI_SN_EUlS11_E_NS1_11comp_targetILNS1_3genE10ELNS1_11target_archE1201ELNS1_3gpuE5ELNS1_3repE0EEENS1_47radix_sort_onesweep_sort_config_static_selectorELNS0_4arch9wavefront6targetE1EEEvSI_.num_agpr, 0
	.set _ZN7rocprim17ROCPRIM_400000_NS6detail17trampoline_kernelINS0_14default_configENS1_35radix_sort_onesweep_config_selectorIiiEEZZNS1_29radix_sort_onesweep_iterationIS3_Lb1EN6thrust23THRUST_200600_302600_NS6detail15normal_iteratorINS8_10device_ptrIiEEEESD_SD_SD_jNS0_19identity_decomposerENS1_16block_id_wrapperIjLb1EEEEE10hipError_tT1_PNSt15iterator_traitsISI_E10value_typeET2_T3_PNSJ_ISO_E10value_typeET4_T5_PST_SU_PNS1_23onesweep_lookback_stateEbbT6_jjT7_P12ihipStream_tbENKUlT_T0_SI_SN_E_clISD_PiSD_S15_EEDaS11_S12_SI_SN_EUlS11_E_NS1_11comp_targetILNS1_3genE10ELNS1_11target_archE1201ELNS1_3gpuE5ELNS1_3repE0EEENS1_47radix_sort_onesweep_sort_config_static_selectorELNS0_4arch9wavefront6targetE1EEEvSI_.numbered_sgpr, 0
	.set _ZN7rocprim17ROCPRIM_400000_NS6detail17trampoline_kernelINS0_14default_configENS1_35radix_sort_onesweep_config_selectorIiiEEZZNS1_29radix_sort_onesweep_iterationIS3_Lb1EN6thrust23THRUST_200600_302600_NS6detail15normal_iteratorINS8_10device_ptrIiEEEESD_SD_SD_jNS0_19identity_decomposerENS1_16block_id_wrapperIjLb1EEEEE10hipError_tT1_PNSt15iterator_traitsISI_E10value_typeET2_T3_PNSJ_ISO_E10value_typeET4_T5_PST_SU_PNS1_23onesweep_lookback_stateEbbT6_jjT7_P12ihipStream_tbENKUlT_T0_SI_SN_E_clISD_PiSD_S15_EEDaS11_S12_SI_SN_EUlS11_E_NS1_11comp_targetILNS1_3genE10ELNS1_11target_archE1201ELNS1_3gpuE5ELNS1_3repE0EEENS1_47radix_sort_onesweep_sort_config_static_selectorELNS0_4arch9wavefront6targetE1EEEvSI_.num_named_barrier, 0
	.set _ZN7rocprim17ROCPRIM_400000_NS6detail17trampoline_kernelINS0_14default_configENS1_35radix_sort_onesweep_config_selectorIiiEEZZNS1_29radix_sort_onesweep_iterationIS3_Lb1EN6thrust23THRUST_200600_302600_NS6detail15normal_iteratorINS8_10device_ptrIiEEEESD_SD_SD_jNS0_19identity_decomposerENS1_16block_id_wrapperIjLb1EEEEE10hipError_tT1_PNSt15iterator_traitsISI_E10value_typeET2_T3_PNSJ_ISO_E10value_typeET4_T5_PST_SU_PNS1_23onesweep_lookback_stateEbbT6_jjT7_P12ihipStream_tbENKUlT_T0_SI_SN_E_clISD_PiSD_S15_EEDaS11_S12_SI_SN_EUlS11_E_NS1_11comp_targetILNS1_3genE10ELNS1_11target_archE1201ELNS1_3gpuE5ELNS1_3repE0EEENS1_47radix_sort_onesweep_sort_config_static_selectorELNS0_4arch9wavefront6targetE1EEEvSI_.private_seg_size, 0
	.set _ZN7rocprim17ROCPRIM_400000_NS6detail17trampoline_kernelINS0_14default_configENS1_35radix_sort_onesweep_config_selectorIiiEEZZNS1_29radix_sort_onesweep_iterationIS3_Lb1EN6thrust23THRUST_200600_302600_NS6detail15normal_iteratorINS8_10device_ptrIiEEEESD_SD_SD_jNS0_19identity_decomposerENS1_16block_id_wrapperIjLb1EEEEE10hipError_tT1_PNSt15iterator_traitsISI_E10value_typeET2_T3_PNSJ_ISO_E10value_typeET4_T5_PST_SU_PNS1_23onesweep_lookback_stateEbbT6_jjT7_P12ihipStream_tbENKUlT_T0_SI_SN_E_clISD_PiSD_S15_EEDaS11_S12_SI_SN_EUlS11_E_NS1_11comp_targetILNS1_3genE10ELNS1_11target_archE1201ELNS1_3gpuE5ELNS1_3repE0EEENS1_47radix_sort_onesweep_sort_config_static_selectorELNS0_4arch9wavefront6targetE1EEEvSI_.uses_vcc, 0
	.set _ZN7rocprim17ROCPRIM_400000_NS6detail17trampoline_kernelINS0_14default_configENS1_35radix_sort_onesweep_config_selectorIiiEEZZNS1_29radix_sort_onesweep_iterationIS3_Lb1EN6thrust23THRUST_200600_302600_NS6detail15normal_iteratorINS8_10device_ptrIiEEEESD_SD_SD_jNS0_19identity_decomposerENS1_16block_id_wrapperIjLb1EEEEE10hipError_tT1_PNSt15iterator_traitsISI_E10value_typeET2_T3_PNSJ_ISO_E10value_typeET4_T5_PST_SU_PNS1_23onesweep_lookback_stateEbbT6_jjT7_P12ihipStream_tbENKUlT_T0_SI_SN_E_clISD_PiSD_S15_EEDaS11_S12_SI_SN_EUlS11_E_NS1_11comp_targetILNS1_3genE10ELNS1_11target_archE1201ELNS1_3gpuE5ELNS1_3repE0EEENS1_47radix_sort_onesweep_sort_config_static_selectorELNS0_4arch9wavefront6targetE1EEEvSI_.uses_flat_scratch, 0
	.set _ZN7rocprim17ROCPRIM_400000_NS6detail17trampoline_kernelINS0_14default_configENS1_35radix_sort_onesweep_config_selectorIiiEEZZNS1_29radix_sort_onesweep_iterationIS3_Lb1EN6thrust23THRUST_200600_302600_NS6detail15normal_iteratorINS8_10device_ptrIiEEEESD_SD_SD_jNS0_19identity_decomposerENS1_16block_id_wrapperIjLb1EEEEE10hipError_tT1_PNSt15iterator_traitsISI_E10value_typeET2_T3_PNSJ_ISO_E10value_typeET4_T5_PST_SU_PNS1_23onesweep_lookback_stateEbbT6_jjT7_P12ihipStream_tbENKUlT_T0_SI_SN_E_clISD_PiSD_S15_EEDaS11_S12_SI_SN_EUlS11_E_NS1_11comp_targetILNS1_3genE10ELNS1_11target_archE1201ELNS1_3gpuE5ELNS1_3repE0EEENS1_47radix_sort_onesweep_sort_config_static_selectorELNS0_4arch9wavefront6targetE1EEEvSI_.has_dyn_sized_stack, 0
	.set _ZN7rocprim17ROCPRIM_400000_NS6detail17trampoline_kernelINS0_14default_configENS1_35radix_sort_onesweep_config_selectorIiiEEZZNS1_29radix_sort_onesweep_iterationIS3_Lb1EN6thrust23THRUST_200600_302600_NS6detail15normal_iteratorINS8_10device_ptrIiEEEESD_SD_SD_jNS0_19identity_decomposerENS1_16block_id_wrapperIjLb1EEEEE10hipError_tT1_PNSt15iterator_traitsISI_E10value_typeET2_T3_PNSJ_ISO_E10value_typeET4_T5_PST_SU_PNS1_23onesweep_lookback_stateEbbT6_jjT7_P12ihipStream_tbENKUlT_T0_SI_SN_E_clISD_PiSD_S15_EEDaS11_S12_SI_SN_EUlS11_E_NS1_11comp_targetILNS1_3genE10ELNS1_11target_archE1201ELNS1_3gpuE5ELNS1_3repE0EEENS1_47radix_sort_onesweep_sort_config_static_selectorELNS0_4arch9wavefront6targetE1EEEvSI_.has_recursion, 0
	.set _ZN7rocprim17ROCPRIM_400000_NS6detail17trampoline_kernelINS0_14default_configENS1_35radix_sort_onesweep_config_selectorIiiEEZZNS1_29radix_sort_onesweep_iterationIS3_Lb1EN6thrust23THRUST_200600_302600_NS6detail15normal_iteratorINS8_10device_ptrIiEEEESD_SD_SD_jNS0_19identity_decomposerENS1_16block_id_wrapperIjLb1EEEEE10hipError_tT1_PNSt15iterator_traitsISI_E10value_typeET2_T3_PNSJ_ISO_E10value_typeET4_T5_PST_SU_PNS1_23onesweep_lookback_stateEbbT6_jjT7_P12ihipStream_tbENKUlT_T0_SI_SN_E_clISD_PiSD_S15_EEDaS11_S12_SI_SN_EUlS11_E_NS1_11comp_targetILNS1_3genE10ELNS1_11target_archE1201ELNS1_3gpuE5ELNS1_3repE0EEENS1_47radix_sort_onesweep_sort_config_static_selectorELNS0_4arch9wavefront6targetE1EEEvSI_.has_indirect_call, 0
	.section	.AMDGPU.csdata,"",@progbits
; Kernel info:
; codeLenInByte = 0
; TotalNumSgprs: 6
; NumVgprs: 0
; NumAgprs: 0
; TotalNumVgprs: 0
; ScratchSize: 0
; MemoryBound: 0
; FloatMode: 240
; IeeeMode: 1
; LDSByteSize: 0 bytes/workgroup (compile time only)
; SGPRBlocks: 0
; VGPRBlocks: 0
; NumSGPRsForWavesPerEU: 6
; NumVGPRsForWavesPerEU: 1
; AccumOffset: 4
; Occupancy: 8
; WaveLimiterHint : 0
; COMPUTE_PGM_RSRC2:SCRATCH_EN: 0
; COMPUTE_PGM_RSRC2:USER_SGPR: 2
; COMPUTE_PGM_RSRC2:TRAP_HANDLER: 0
; COMPUTE_PGM_RSRC2:TGID_X_EN: 1
; COMPUTE_PGM_RSRC2:TGID_Y_EN: 0
; COMPUTE_PGM_RSRC2:TGID_Z_EN: 0
; COMPUTE_PGM_RSRC2:TIDIG_COMP_CNT: 0
; COMPUTE_PGM_RSRC3_GFX90A:ACCUM_OFFSET: 0
; COMPUTE_PGM_RSRC3_GFX90A:TG_SPLIT: 0
	.section	.text._ZN7rocprim17ROCPRIM_400000_NS6detail17trampoline_kernelINS0_14default_configENS1_35radix_sort_onesweep_config_selectorIiiEEZZNS1_29radix_sort_onesweep_iterationIS3_Lb1EN6thrust23THRUST_200600_302600_NS6detail15normal_iteratorINS8_10device_ptrIiEEEESD_SD_SD_jNS0_19identity_decomposerENS1_16block_id_wrapperIjLb1EEEEE10hipError_tT1_PNSt15iterator_traitsISI_E10value_typeET2_T3_PNSJ_ISO_E10value_typeET4_T5_PST_SU_PNS1_23onesweep_lookback_stateEbbT6_jjT7_P12ihipStream_tbENKUlT_T0_SI_SN_E_clISD_PiSD_S15_EEDaS11_S12_SI_SN_EUlS11_E_NS1_11comp_targetILNS1_3genE9ELNS1_11target_archE1100ELNS1_3gpuE3ELNS1_3repE0EEENS1_47radix_sort_onesweep_sort_config_static_selectorELNS0_4arch9wavefront6targetE1EEEvSI_,"axG",@progbits,_ZN7rocprim17ROCPRIM_400000_NS6detail17trampoline_kernelINS0_14default_configENS1_35radix_sort_onesweep_config_selectorIiiEEZZNS1_29radix_sort_onesweep_iterationIS3_Lb1EN6thrust23THRUST_200600_302600_NS6detail15normal_iteratorINS8_10device_ptrIiEEEESD_SD_SD_jNS0_19identity_decomposerENS1_16block_id_wrapperIjLb1EEEEE10hipError_tT1_PNSt15iterator_traitsISI_E10value_typeET2_T3_PNSJ_ISO_E10value_typeET4_T5_PST_SU_PNS1_23onesweep_lookback_stateEbbT6_jjT7_P12ihipStream_tbENKUlT_T0_SI_SN_E_clISD_PiSD_S15_EEDaS11_S12_SI_SN_EUlS11_E_NS1_11comp_targetILNS1_3genE9ELNS1_11target_archE1100ELNS1_3gpuE3ELNS1_3repE0EEENS1_47radix_sort_onesweep_sort_config_static_selectorELNS0_4arch9wavefront6targetE1EEEvSI_,comdat
	.protected	_ZN7rocprim17ROCPRIM_400000_NS6detail17trampoline_kernelINS0_14default_configENS1_35radix_sort_onesweep_config_selectorIiiEEZZNS1_29radix_sort_onesweep_iterationIS3_Lb1EN6thrust23THRUST_200600_302600_NS6detail15normal_iteratorINS8_10device_ptrIiEEEESD_SD_SD_jNS0_19identity_decomposerENS1_16block_id_wrapperIjLb1EEEEE10hipError_tT1_PNSt15iterator_traitsISI_E10value_typeET2_T3_PNSJ_ISO_E10value_typeET4_T5_PST_SU_PNS1_23onesweep_lookback_stateEbbT6_jjT7_P12ihipStream_tbENKUlT_T0_SI_SN_E_clISD_PiSD_S15_EEDaS11_S12_SI_SN_EUlS11_E_NS1_11comp_targetILNS1_3genE9ELNS1_11target_archE1100ELNS1_3gpuE3ELNS1_3repE0EEENS1_47radix_sort_onesweep_sort_config_static_selectorELNS0_4arch9wavefront6targetE1EEEvSI_ ; -- Begin function _ZN7rocprim17ROCPRIM_400000_NS6detail17trampoline_kernelINS0_14default_configENS1_35radix_sort_onesweep_config_selectorIiiEEZZNS1_29radix_sort_onesweep_iterationIS3_Lb1EN6thrust23THRUST_200600_302600_NS6detail15normal_iteratorINS8_10device_ptrIiEEEESD_SD_SD_jNS0_19identity_decomposerENS1_16block_id_wrapperIjLb1EEEEE10hipError_tT1_PNSt15iterator_traitsISI_E10value_typeET2_T3_PNSJ_ISO_E10value_typeET4_T5_PST_SU_PNS1_23onesweep_lookback_stateEbbT6_jjT7_P12ihipStream_tbENKUlT_T0_SI_SN_E_clISD_PiSD_S15_EEDaS11_S12_SI_SN_EUlS11_E_NS1_11comp_targetILNS1_3genE9ELNS1_11target_archE1100ELNS1_3gpuE3ELNS1_3repE0EEENS1_47radix_sort_onesweep_sort_config_static_selectorELNS0_4arch9wavefront6targetE1EEEvSI_
	.globl	_ZN7rocprim17ROCPRIM_400000_NS6detail17trampoline_kernelINS0_14default_configENS1_35radix_sort_onesweep_config_selectorIiiEEZZNS1_29radix_sort_onesweep_iterationIS3_Lb1EN6thrust23THRUST_200600_302600_NS6detail15normal_iteratorINS8_10device_ptrIiEEEESD_SD_SD_jNS0_19identity_decomposerENS1_16block_id_wrapperIjLb1EEEEE10hipError_tT1_PNSt15iterator_traitsISI_E10value_typeET2_T3_PNSJ_ISO_E10value_typeET4_T5_PST_SU_PNS1_23onesweep_lookback_stateEbbT6_jjT7_P12ihipStream_tbENKUlT_T0_SI_SN_E_clISD_PiSD_S15_EEDaS11_S12_SI_SN_EUlS11_E_NS1_11comp_targetILNS1_3genE9ELNS1_11target_archE1100ELNS1_3gpuE3ELNS1_3repE0EEENS1_47radix_sort_onesweep_sort_config_static_selectorELNS0_4arch9wavefront6targetE1EEEvSI_
	.p2align	8
	.type	_ZN7rocprim17ROCPRIM_400000_NS6detail17trampoline_kernelINS0_14default_configENS1_35radix_sort_onesweep_config_selectorIiiEEZZNS1_29radix_sort_onesweep_iterationIS3_Lb1EN6thrust23THRUST_200600_302600_NS6detail15normal_iteratorINS8_10device_ptrIiEEEESD_SD_SD_jNS0_19identity_decomposerENS1_16block_id_wrapperIjLb1EEEEE10hipError_tT1_PNSt15iterator_traitsISI_E10value_typeET2_T3_PNSJ_ISO_E10value_typeET4_T5_PST_SU_PNS1_23onesweep_lookback_stateEbbT6_jjT7_P12ihipStream_tbENKUlT_T0_SI_SN_E_clISD_PiSD_S15_EEDaS11_S12_SI_SN_EUlS11_E_NS1_11comp_targetILNS1_3genE9ELNS1_11target_archE1100ELNS1_3gpuE3ELNS1_3repE0EEENS1_47radix_sort_onesweep_sort_config_static_selectorELNS0_4arch9wavefront6targetE1EEEvSI_,@function
_ZN7rocprim17ROCPRIM_400000_NS6detail17trampoline_kernelINS0_14default_configENS1_35radix_sort_onesweep_config_selectorIiiEEZZNS1_29radix_sort_onesweep_iterationIS3_Lb1EN6thrust23THRUST_200600_302600_NS6detail15normal_iteratorINS8_10device_ptrIiEEEESD_SD_SD_jNS0_19identity_decomposerENS1_16block_id_wrapperIjLb1EEEEE10hipError_tT1_PNSt15iterator_traitsISI_E10value_typeET2_T3_PNSJ_ISO_E10value_typeET4_T5_PST_SU_PNS1_23onesweep_lookback_stateEbbT6_jjT7_P12ihipStream_tbENKUlT_T0_SI_SN_E_clISD_PiSD_S15_EEDaS11_S12_SI_SN_EUlS11_E_NS1_11comp_targetILNS1_3genE9ELNS1_11target_archE1100ELNS1_3gpuE3ELNS1_3repE0EEENS1_47radix_sort_onesweep_sort_config_static_selectorELNS0_4arch9wavefront6targetE1EEEvSI_: ; @_ZN7rocprim17ROCPRIM_400000_NS6detail17trampoline_kernelINS0_14default_configENS1_35radix_sort_onesweep_config_selectorIiiEEZZNS1_29radix_sort_onesweep_iterationIS3_Lb1EN6thrust23THRUST_200600_302600_NS6detail15normal_iteratorINS8_10device_ptrIiEEEESD_SD_SD_jNS0_19identity_decomposerENS1_16block_id_wrapperIjLb1EEEEE10hipError_tT1_PNSt15iterator_traitsISI_E10value_typeET2_T3_PNSJ_ISO_E10value_typeET4_T5_PST_SU_PNS1_23onesweep_lookback_stateEbbT6_jjT7_P12ihipStream_tbENKUlT_T0_SI_SN_E_clISD_PiSD_S15_EEDaS11_S12_SI_SN_EUlS11_E_NS1_11comp_targetILNS1_3genE9ELNS1_11target_archE1100ELNS1_3gpuE3ELNS1_3repE0EEENS1_47radix_sort_onesweep_sort_config_static_selectorELNS0_4arch9wavefront6targetE1EEEvSI_
; %bb.0:
	.section	.rodata,"a",@progbits
	.p2align	6, 0x0
	.amdhsa_kernel _ZN7rocprim17ROCPRIM_400000_NS6detail17trampoline_kernelINS0_14default_configENS1_35radix_sort_onesweep_config_selectorIiiEEZZNS1_29radix_sort_onesweep_iterationIS3_Lb1EN6thrust23THRUST_200600_302600_NS6detail15normal_iteratorINS8_10device_ptrIiEEEESD_SD_SD_jNS0_19identity_decomposerENS1_16block_id_wrapperIjLb1EEEEE10hipError_tT1_PNSt15iterator_traitsISI_E10value_typeET2_T3_PNSJ_ISO_E10value_typeET4_T5_PST_SU_PNS1_23onesweep_lookback_stateEbbT6_jjT7_P12ihipStream_tbENKUlT_T0_SI_SN_E_clISD_PiSD_S15_EEDaS11_S12_SI_SN_EUlS11_E_NS1_11comp_targetILNS1_3genE9ELNS1_11target_archE1100ELNS1_3gpuE3ELNS1_3repE0EEENS1_47radix_sort_onesweep_sort_config_static_selectorELNS0_4arch9wavefront6targetE1EEEvSI_
		.amdhsa_group_segment_fixed_size 0
		.amdhsa_private_segment_fixed_size 0
		.amdhsa_kernarg_size 88
		.amdhsa_user_sgpr_count 2
		.amdhsa_user_sgpr_dispatch_ptr 0
		.amdhsa_user_sgpr_queue_ptr 0
		.amdhsa_user_sgpr_kernarg_segment_ptr 1
		.amdhsa_user_sgpr_dispatch_id 0
		.amdhsa_user_sgpr_kernarg_preload_length 0
		.amdhsa_user_sgpr_kernarg_preload_offset 0
		.amdhsa_user_sgpr_private_segment_size 0
		.amdhsa_uses_dynamic_stack 0
		.amdhsa_enable_private_segment 0
		.amdhsa_system_sgpr_workgroup_id_x 1
		.amdhsa_system_sgpr_workgroup_id_y 0
		.amdhsa_system_sgpr_workgroup_id_z 0
		.amdhsa_system_sgpr_workgroup_info 0
		.amdhsa_system_vgpr_workitem_id 0
		.amdhsa_next_free_vgpr 1
		.amdhsa_next_free_sgpr 0
		.amdhsa_accum_offset 4
		.amdhsa_reserve_vcc 0
		.amdhsa_float_round_mode_32 0
		.amdhsa_float_round_mode_16_64 0
		.amdhsa_float_denorm_mode_32 3
		.amdhsa_float_denorm_mode_16_64 3
		.amdhsa_dx10_clamp 1
		.amdhsa_ieee_mode 1
		.amdhsa_fp16_overflow 0
		.amdhsa_tg_split 0
		.amdhsa_exception_fp_ieee_invalid_op 0
		.amdhsa_exception_fp_denorm_src 0
		.amdhsa_exception_fp_ieee_div_zero 0
		.amdhsa_exception_fp_ieee_overflow 0
		.amdhsa_exception_fp_ieee_underflow 0
		.amdhsa_exception_fp_ieee_inexact 0
		.amdhsa_exception_int_div_zero 0
	.end_amdhsa_kernel
	.section	.text._ZN7rocprim17ROCPRIM_400000_NS6detail17trampoline_kernelINS0_14default_configENS1_35radix_sort_onesweep_config_selectorIiiEEZZNS1_29radix_sort_onesweep_iterationIS3_Lb1EN6thrust23THRUST_200600_302600_NS6detail15normal_iteratorINS8_10device_ptrIiEEEESD_SD_SD_jNS0_19identity_decomposerENS1_16block_id_wrapperIjLb1EEEEE10hipError_tT1_PNSt15iterator_traitsISI_E10value_typeET2_T3_PNSJ_ISO_E10value_typeET4_T5_PST_SU_PNS1_23onesweep_lookback_stateEbbT6_jjT7_P12ihipStream_tbENKUlT_T0_SI_SN_E_clISD_PiSD_S15_EEDaS11_S12_SI_SN_EUlS11_E_NS1_11comp_targetILNS1_3genE9ELNS1_11target_archE1100ELNS1_3gpuE3ELNS1_3repE0EEENS1_47radix_sort_onesweep_sort_config_static_selectorELNS0_4arch9wavefront6targetE1EEEvSI_,"axG",@progbits,_ZN7rocprim17ROCPRIM_400000_NS6detail17trampoline_kernelINS0_14default_configENS1_35radix_sort_onesweep_config_selectorIiiEEZZNS1_29radix_sort_onesweep_iterationIS3_Lb1EN6thrust23THRUST_200600_302600_NS6detail15normal_iteratorINS8_10device_ptrIiEEEESD_SD_SD_jNS0_19identity_decomposerENS1_16block_id_wrapperIjLb1EEEEE10hipError_tT1_PNSt15iterator_traitsISI_E10value_typeET2_T3_PNSJ_ISO_E10value_typeET4_T5_PST_SU_PNS1_23onesweep_lookback_stateEbbT6_jjT7_P12ihipStream_tbENKUlT_T0_SI_SN_E_clISD_PiSD_S15_EEDaS11_S12_SI_SN_EUlS11_E_NS1_11comp_targetILNS1_3genE9ELNS1_11target_archE1100ELNS1_3gpuE3ELNS1_3repE0EEENS1_47radix_sort_onesweep_sort_config_static_selectorELNS0_4arch9wavefront6targetE1EEEvSI_,comdat
.Lfunc_end1015:
	.size	_ZN7rocprim17ROCPRIM_400000_NS6detail17trampoline_kernelINS0_14default_configENS1_35radix_sort_onesweep_config_selectorIiiEEZZNS1_29radix_sort_onesweep_iterationIS3_Lb1EN6thrust23THRUST_200600_302600_NS6detail15normal_iteratorINS8_10device_ptrIiEEEESD_SD_SD_jNS0_19identity_decomposerENS1_16block_id_wrapperIjLb1EEEEE10hipError_tT1_PNSt15iterator_traitsISI_E10value_typeET2_T3_PNSJ_ISO_E10value_typeET4_T5_PST_SU_PNS1_23onesweep_lookback_stateEbbT6_jjT7_P12ihipStream_tbENKUlT_T0_SI_SN_E_clISD_PiSD_S15_EEDaS11_S12_SI_SN_EUlS11_E_NS1_11comp_targetILNS1_3genE9ELNS1_11target_archE1100ELNS1_3gpuE3ELNS1_3repE0EEENS1_47radix_sort_onesweep_sort_config_static_selectorELNS0_4arch9wavefront6targetE1EEEvSI_, .Lfunc_end1015-_ZN7rocprim17ROCPRIM_400000_NS6detail17trampoline_kernelINS0_14default_configENS1_35radix_sort_onesweep_config_selectorIiiEEZZNS1_29radix_sort_onesweep_iterationIS3_Lb1EN6thrust23THRUST_200600_302600_NS6detail15normal_iteratorINS8_10device_ptrIiEEEESD_SD_SD_jNS0_19identity_decomposerENS1_16block_id_wrapperIjLb1EEEEE10hipError_tT1_PNSt15iterator_traitsISI_E10value_typeET2_T3_PNSJ_ISO_E10value_typeET4_T5_PST_SU_PNS1_23onesweep_lookback_stateEbbT6_jjT7_P12ihipStream_tbENKUlT_T0_SI_SN_E_clISD_PiSD_S15_EEDaS11_S12_SI_SN_EUlS11_E_NS1_11comp_targetILNS1_3genE9ELNS1_11target_archE1100ELNS1_3gpuE3ELNS1_3repE0EEENS1_47radix_sort_onesweep_sort_config_static_selectorELNS0_4arch9wavefront6targetE1EEEvSI_
                                        ; -- End function
	.set _ZN7rocprim17ROCPRIM_400000_NS6detail17trampoline_kernelINS0_14default_configENS1_35radix_sort_onesweep_config_selectorIiiEEZZNS1_29radix_sort_onesweep_iterationIS3_Lb1EN6thrust23THRUST_200600_302600_NS6detail15normal_iteratorINS8_10device_ptrIiEEEESD_SD_SD_jNS0_19identity_decomposerENS1_16block_id_wrapperIjLb1EEEEE10hipError_tT1_PNSt15iterator_traitsISI_E10value_typeET2_T3_PNSJ_ISO_E10value_typeET4_T5_PST_SU_PNS1_23onesweep_lookback_stateEbbT6_jjT7_P12ihipStream_tbENKUlT_T0_SI_SN_E_clISD_PiSD_S15_EEDaS11_S12_SI_SN_EUlS11_E_NS1_11comp_targetILNS1_3genE9ELNS1_11target_archE1100ELNS1_3gpuE3ELNS1_3repE0EEENS1_47radix_sort_onesweep_sort_config_static_selectorELNS0_4arch9wavefront6targetE1EEEvSI_.num_vgpr, 0
	.set _ZN7rocprim17ROCPRIM_400000_NS6detail17trampoline_kernelINS0_14default_configENS1_35radix_sort_onesweep_config_selectorIiiEEZZNS1_29radix_sort_onesweep_iterationIS3_Lb1EN6thrust23THRUST_200600_302600_NS6detail15normal_iteratorINS8_10device_ptrIiEEEESD_SD_SD_jNS0_19identity_decomposerENS1_16block_id_wrapperIjLb1EEEEE10hipError_tT1_PNSt15iterator_traitsISI_E10value_typeET2_T3_PNSJ_ISO_E10value_typeET4_T5_PST_SU_PNS1_23onesweep_lookback_stateEbbT6_jjT7_P12ihipStream_tbENKUlT_T0_SI_SN_E_clISD_PiSD_S15_EEDaS11_S12_SI_SN_EUlS11_E_NS1_11comp_targetILNS1_3genE9ELNS1_11target_archE1100ELNS1_3gpuE3ELNS1_3repE0EEENS1_47radix_sort_onesweep_sort_config_static_selectorELNS0_4arch9wavefront6targetE1EEEvSI_.num_agpr, 0
	.set _ZN7rocprim17ROCPRIM_400000_NS6detail17trampoline_kernelINS0_14default_configENS1_35radix_sort_onesweep_config_selectorIiiEEZZNS1_29radix_sort_onesweep_iterationIS3_Lb1EN6thrust23THRUST_200600_302600_NS6detail15normal_iteratorINS8_10device_ptrIiEEEESD_SD_SD_jNS0_19identity_decomposerENS1_16block_id_wrapperIjLb1EEEEE10hipError_tT1_PNSt15iterator_traitsISI_E10value_typeET2_T3_PNSJ_ISO_E10value_typeET4_T5_PST_SU_PNS1_23onesweep_lookback_stateEbbT6_jjT7_P12ihipStream_tbENKUlT_T0_SI_SN_E_clISD_PiSD_S15_EEDaS11_S12_SI_SN_EUlS11_E_NS1_11comp_targetILNS1_3genE9ELNS1_11target_archE1100ELNS1_3gpuE3ELNS1_3repE0EEENS1_47radix_sort_onesweep_sort_config_static_selectorELNS0_4arch9wavefront6targetE1EEEvSI_.numbered_sgpr, 0
	.set _ZN7rocprim17ROCPRIM_400000_NS6detail17trampoline_kernelINS0_14default_configENS1_35radix_sort_onesweep_config_selectorIiiEEZZNS1_29radix_sort_onesweep_iterationIS3_Lb1EN6thrust23THRUST_200600_302600_NS6detail15normal_iteratorINS8_10device_ptrIiEEEESD_SD_SD_jNS0_19identity_decomposerENS1_16block_id_wrapperIjLb1EEEEE10hipError_tT1_PNSt15iterator_traitsISI_E10value_typeET2_T3_PNSJ_ISO_E10value_typeET4_T5_PST_SU_PNS1_23onesweep_lookback_stateEbbT6_jjT7_P12ihipStream_tbENKUlT_T0_SI_SN_E_clISD_PiSD_S15_EEDaS11_S12_SI_SN_EUlS11_E_NS1_11comp_targetILNS1_3genE9ELNS1_11target_archE1100ELNS1_3gpuE3ELNS1_3repE0EEENS1_47radix_sort_onesweep_sort_config_static_selectorELNS0_4arch9wavefront6targetE1EEEvSI_.num_named_barrier, 0
	.set _ZN7rocprim17ROCPRIM_400000_NS6detail17trampoline_kernelINS0_14default_configENS1_35radix_sort_onesweep_config_selectorIiiEEZZNS1_29radix_sort_onesweep_iterationIS3_Lb1EN6thrust23THRUST_200600_302600_NS6detail15normal_iteratorINS8_10device_ptrIiEEEESD_SD_SD_jNS0_19identity_decomposerENS1_16block_id_wrapperIjLb1EEEEE10hipError_tT1_PNSt15iterator_traitsISI_E10value_typeET2_T3_PNSJ_ISO_E10value_typeET4_T5_PST_SU_PNS1_23onesweep_lookback_stateEbbT6_jjT7_P12ihipStream_tbENKUlT_T0_SI_SN_E_clISD_PiSD_S15_EEDaS11_S12_SI_SN_EUlS11_E_NS1_11comp_targetILNS1_3genE9ELNS1_11target_archE1100ELNS1_3gpuE3ELNS1_3repE0EEENS1_47radix_sort_onesweep_sort_config_static_selectorELNS0_4arch9wavefront6targetE1EEEvSI_.private_seg_size, 0
	.set _ZN7rocprim17ROCPRIM_400000_NS6detail17trampoline_kernelINS0_14default_configENS1_35radix_sort_onesweep_config_selectorIiiEEZZNS1_29radix_sort_onesweep_iterationIS3_Lb1EN6thrust23THRUST_200600_302600_NS6detail15normal_iteratorINS8_10device_ptrIiEEEESD_SD_SD_jNS0_19identity_decomposerENS1_16block_id_wrapperIjLb1EEEEE10hipError_tT1_PNSt15iterator_traitsISI_E10value_typeET2_T3_PNSJ_ISO_E10value_typeET4_T5_PST_SU_PNS1_23onesweep_lookback_stateEbbT6_jjT7_P12ihipStream_tbENKUlT_T0_SI_SN_E_clISD_PiSD_S15_EEDaS11_S12_SI_SN_EUlS11_E_NS1_11comp_targetILNS1_3genE9ELNS1_11target_archE1100ELNS1_3gpuE3ELNS1_3repE0EEENS1_47radix_sort_onesweep_sort_config_static_selectorELNS0_4arch9wavefront6targetE1EEEvSI_.uses_vcc, 0
	.set _ZN7rocprim17ROCPRIM_400000_NS6detail17trampoline_kernelINS0_14default_configENS1_35radix_sort_onesweep_config_selectorIiiEEZZNS1_29radix_sort_onesweep_iterationIS3_Lb1EN6thrust23THRUST_200600_302600_NS6detail15normal_iteratorINS8_10device_ptrIiEEEESD_SD_SD_jNS0_19identity_decomposerENS1_16block_id_wrapperIjLb1EEEEE10hipError_tT1_PNSt15iterator_traitsISI_E10value_typeET2_T3_PNSJ_ISO_E10value_typeET4_T5_PST_SU_PNS1_23onesweep_lookback_stateEbbT6_jjT7_P12ihipStream_tbENKUlT_T0_SI_SN_E_clISD_PiSD_S15_EEDaS11_S12_SI_SN_EUlS11_E_NS1_11comp_targetILNS1_3genE9ELNS1_11target_archE1100ELNS1_3gpuE3ELNS1_3repE0EEENS1_47radix_sort_onesweep_sort_config_static_selectorELNS0_4arch9wavefront6targetE1EEEvSI_.uses_flat_scratch, 0
	.set _ZN7rocprim17ROCPRIM_400000_NS6detail17trampoline_kernelINS0_14default_configENS1_35radix_sort_onesweep_config_selectorIiiEEZZNS1_29radix_sort_onesweep_iterationIS3_Lb1EN6thrust23THRUST_200600_302600_NS6detail15normal_iteratorINS8_10device_ptrIiEEEESD_SD_SD_jNS0_19identity_decomposerENS1_16block_id_wrapperIjLb1EEEEE10hipError_tT1_PNSt15iterator_traitsISI_E10value_typeET2_T3_PNSJ_ISO_E10value_typeET4_T5_PST_SU_PNS1_23onesweep_lookback_stateEbbT6_jjT7_P12ihipStream_tbENKUlT_T0_SI_SN_E_clISD_PiSD_S15_EEDaS11_S12_SI_SN_EUlS11_E_NS1_11comp_targetILNS1_3genE9ELNS1_11target_archE1100ELNS1_3gpuE3ELNS1_3repE0EEENS1_47radix_sort_onesweep_sort_config_static_selectorELNS0_4arch9wavefront6targetE1EEEvSI_.has_dyn_sized_stack, 0
	.set _ZN7rocprim17ROCPRIM_400000_NS6detail17trampoline_kernelINS0_14default_configENS1_35radix_sort_onesweep_config_selectorIiiEEZZNS1_29radix_sort_onesweep_iterationIS3_Lb1EN6thrust23THRUST_200600_302600_NS6detail15normal_iteratorINS8_10device_ptrIiEEEESD_SD_SD_jNS0_19identity_decomposerENS1_16block_id_wrapperIjLb1EEEEE10hipError_tT1_PNSt15iterator_traitsISI_E10value_typeET2_T3_PNSJ_ISO_E10value_typeET4_T5_PST_SU_PNS1_23onesweep_lookback_stateEbbT6_jjT7_P12ihipStream_tbENKUlT_T0_SI_SN_E_clISD_PiSD_S15_EEDaS11_S12_SI_SN_EUlS11_E_NS1_11comp_targetILNS1_3genE9ELNS1_11target_archE1100ELNS1_3gpuE3ELNS1_3repE0EEENS1_47radix_sort_onesweep_sort_config_static_selectorELNS0_4arch9wavefront6targetE1EEEvSI_.has_recursion, 0
	.set _ZN7rocprim17ROCPRIM_400000_NS6detail17trampoline_kernelINS0_14default_configENS1_35radix_sort_onesweep_config_selectorIiiEEZZNS1_29radix_sort_onesweep_iterationIS3_Lb1EN6thrust23THRUST_200600_302600_NS6detail15normal_iteratorINS8_10device_ptrIiEEEESD_SD_SD_jNS0_19identity_decomposerENS1_16block_id_wrapperIjLb1EEEEE10hipError_tT1_PNSt15iterator_traitsISI_E10value_typeET2_T3_PNSJ_ISO_E10value_typeET4_T5_PST_SU_PNS1_23onesweep_lookback_stateEbbT6_jjT7_P12ihipStream_tbENKUlT_T0_SI_SN_E_clISD_PiSD_S15_EEDaS11_S12_SI_SN_EUlS11_E_NS1_11comp_targetILNS1_3genE9ELNS1_11target_archE1100ELNS1_3gpuE3ELNS1_3repE0EEENS1_47radix_sort_onesweep_sort_config_static_selectorELNS0_4arch9wavefront6targetE1EEEvSI_.has_indirect_call, 0
	.section	.AMDGPU.csdata,"",@progbits
; Kernel info:
; codeLenInByte = 0
; TotalNumSgprs: 6
; NumVgprs: 0
; NumAgprs: 0
; TotalNumVgprs: 0
; ScratchSize: 0
; MemoryBound: 0
; FloatMode: 240
; IeeeMode: 1
; LDSByteSize: 0 bytes/workgroup (compile time only)
; SGPRBlocks: 0
; VGPRBlocks: 0
; NumSGPRsForWavesPerEU: 6
; NumVGPRsForWavesPerEU: 1
; AccumOffset: 4
; Occupancy: 8
; WaveLimiterHint : 0
; COMPUTE_PGM_RSRC2:SCRATCH_EN: 0
; COMPUTE_PGM_RSRC2:USER_SGPR: 2
; COMPUTE_PGM_RSRC2:TRAP_HANDLER: 0
; COMPUTE_PGM_RSRC2:TGID_X_EN: 1
; COMPUTE_PGM_RSRC2:TGID_Y_EN: 0
; COMPUTE_PGM_RSRC2:TGID_Z_EN: 0
; COMPUTE_PGM_RSRC2:TIDIG_COMP_CNT: 0
; COMPUTE_PGM_RSRC3_GFX90A:ACCUM_OFFSET: 0
; COMPUTE_PGM_RSRC3_GFX90A:TG_SPLIT: 0
	.section	.text._ZN7rocprim17ROCPRIM_400000_NS6detail17trampoline_kernelINS0_14default_configENS1_35radix_sort_onesweep_config_selectorIiiEEZZNS1_29radix_sort_onesweep_iterationIS3_Lb1EN6thrust23THRUST_200600_302600_NS6detail15normal_iteratorINS8_10device_ptrIiEEEESD_SD_SD_jNS0_19identity_decomposerENS1_16block_id_wrapperIjLb1EEEEE10hipError_tT1_PNSt15iterator_traitsISI_E10value_typeET2_T3_PNSJ_ISO_E10value_typeET4_T5_PST_SU_PNS1_23onesweep_lookback_stateEbbT6_jjT7_P12ihipStream_tbENKUlT_T0_SI_SN_E_clISD_PiSD_S15_EEDaS11_S12_SI_SN_EUlS11_E_NS1_11comp_targetILNS1_3genE8ELNS1_11target_archE1030ELNS1_3gpuE2ELNS1_3repE0EEENS1_47radix_sort_onesweep_sort_config_static_selectorELNS0_4arch9wavefront6targetE1EEEvSI_,"axG",@progbits,_ZN7rocprim17ROCPRIM_400000_NS6detail17trampoline_kernelINS0_14default_configENS1_35radix_sort_onesweep_config_selectorIiiEEZZNS1_29radix_sort_onesweep_iterationIS3_Lb1EN6thrust23THRUST_200600_302600_NS6detail15normal_iteratorINS8_10device_ptrIiEEEESD_SD_SD_jNS0_19identity_decomposerENS1_16block_id_wrapperIjLb1EEEEE10hipError_tT1_PNSt15iterator_traitsISI_E10value_typeET2_T3_PNSJ_ISO_E10value_typeET4_T5_PST_SU_PNS1_23onesweep_lookback_stateEbbT6_jjT7_P12ihipStream_tbENKUlT_T0_SI_SN_E_clISD_PiSD_S15_EEDaS11_S12_SI_SN_EUlS11_E_NS1_11comp_targetILNS1_3genE8ELNS1_11target_archE1030ELNS1_3gpuE2ELNS1_3repE0EEENS1_47radix_sort_onesweep_sort_config_static_selectorELNS0_4arch9wavefront6targetE1EEEvSI_,comdat
	.protected	_ZN7rocprim17ROCPRIM_400000_NS6detail17trampoline_kernelINS0_14default_configENS1_35radix_sort_onesweep_config_selectorIiiEEZZNS1_29radix_sort_onesweep_iterationIS3_Lb1EN6thrust23THRUST_200600_302600_NS6detail15normal_iteratorINS8_10device_ptrIiEEEESD_SD_SD_jNS0_19identity_decomposerENS1_16block_id_wrapperIjLb1EEEEE10hipError_tT1_PNSt15iterator_traitsISI_E10value_typeET2_T3_PNSJ_ISO_E10value_typeET4_T5_PST_SU_PNS1_23onesweep_lookback_stateEbbT6_jjT7_P12ihipStream_tbENKUlT_T0_SI_SN_E_clISD_PiSD_S15_EEDaS11_S12_SI_SN_EUlS11_E_NS1_11comp_targetILNS1_3genE8ELNS1_11target_archE1030ELNS1_3gpuE2ELNS1_3repE0EEENS1_47radix_sort_onesweep_sort_config_static_selectorELNS0_4arch9wavefront6targetE1EEEvSI_ ; -- Begin function _ZN7rocprim17ROCPRIM_400000_NS6detail17trampoline_kernelINS0_14default_configENS1_35radix_sort_onesweep_config_selectorIiiEEZZNS1_29radix_sort_onesweep_iterationIS3_Lb1EN6thrust23THRUST_200600_302600_NS6detail15normal_iteratorINS8_10device_ptrIiEEEESD_SD_SD_jNS0_19identity_decomposerENS1_16block_id_wrapperIjLb1EEEEE10hipError_tT1_PNSt15iterator_traitsISI_E10value_typeET2_T3_PNSJ_ISO_E10value_typeET4_T5_PST_SU_PNS1_23onesweep_lookback_stateEbbT6_jjT7_P12ihipStream_tbENKUlT_T0_SI_SN_E_clISD_PiSD_S15_EEDaS11_S12_SI_SN_EUlS11_E_NS1_11comp_targetILNS1_3genE8ELNS1_11target_archE1030ELNS1_3gpuE2ELNS1_3repE0EEENS1_47radix_sort_onesweep_sort_config_static_selectorELNS0_4arch9wavefront6targetE1EEEvSI_
	.globl	_ZN7rocprim17ROCPRIM_400000_NS6detail17trampoline_kernelINS0_14default_configENS1_35radix_sort_onesweep_config_selectorIiiEEZZNS1_29radix_sort_onesweep_iterationIS3_Lb1EN6thrust23THRUST_200600_302600_NS6detail15normal_iteratorINS8_10device_ptrIiEEEESD_SD_SD_jNS0_19identity_decomposerENS1_16block_id_wrapperIjLb1EEEEE10hipError_tT1_PNSt15iterator_traitsISI_E10value_typeET2_T3_PNSJ_ISO_E10value_typeET4_T5_PST_SU_PNS1_23onesweep_lookback_stateEbbT6_jjT7_P12ihipStream_tbENKUlT_T0_SI_SN_E_clISD_PiSD_S15_EEDaS11_S12_SI_SN_EUlS11_E_NS1_11comp_targetILNS1_3genE8ELNS1_11target_archE1030ELNS1_3gpuE2ELNS1_3repE0EEENS1_47radix_sort_onesweep_sort_config_static_selectorELNS0_4arch9wavefront6targetE1EEEvSI_
	.p2align	8
	.type	_ZN7rocprim17ROCPRIM_400000_NS6detail17trampoline_kernelINS0_14default_configENS1_35radix_sort_onesweep_config_selectorIiiEEZZNS1_29radix_sort_onesweep_iterationIS3_Lb1EN6thrust23THRUST_200600_302600_NS6detail15normal_iteratorINS8_10device_ptrIiEEEESD_SD_SD_jNS0_19identity_decomposerENS1_16block_id_wrapperIjLb1EEEEE10hipError_tT1_PNSt15iterator_traitsISI_E10value_typeET2_T3_PNSJ_ISO_E10value_typeET4_T5_PST_SU_PNS1_23onesweep_lookback_stateEbbT6_jjT7_P12ihipStream_tbENKUlT_T0_SI_SN_E_clISD_PiSD_S15_EEDaS11_S12_SI_SN_EUlS11_E_NS1_11comp_targetILNS1_3genE8ELNS1_11target_archE1030ELNS1_3gpuE2ELNS1_3repE0EEENS1_47radix_sort_onesweep_sort_config_static_selectorELNS0_4arch9wavefront6targetE1EEEvSI_,@function
_ZN7rocprim17ROCPRIM_400000_NS6detail17trampoline_kernelINS0_14default_configENS1_35radix_sort_onesweep_config_selectorIiiEEZZNS1_29radix_sort_onesweep_iterationIS3_Lb1EN6thrust23THRUST_200600_302600_NS6detail15normal_iteratorINS8_10device_ptrIiEEEESD_SD_SD_jNS0_19identity_decomposerENS1_16block_id_wrapperIjLb1EEEEE10hipError_tT1_PNSt15iterator_traitsISI_E10value_typeET2_T3_PNSJ_ISO_E10value_typeET4_T5_PST_SU_PNS1_23onesweep_lookback_stateEbbT6_jjT7_P12ihipStream_tbENKUlT_T0_SI_SN_E_clISD_PiSD_S15_EEDaS11_S12_SI_SN_EUlS11_E_NS1_11comp_targetILNS1_3genE8ELNS1_11target_archE1030ELNS1_3gpuE2ELNS1_3repE0EEENS1_47radix_sort_onesweep_sort_config_static_selectorELNS0_4arch9wavefront6targetE1EEEvSI_: ; @_ZN7rocprim17ROCPRIM_400000_NS6detail17trampoline_kernelINS0_14default_configENS1_35radix_sort_onesweep_config_selectorIiiEEZZNS1_29radix_sort_onesweep_iterationIS3_Lb1EN6thrust23THRUST_200600_302600_NS6detail15normal_iteratorINS8_10device_ptrIiEEEESD_SD_SD_jNS0_19identity_decomposerENS1_16block_id_wrapperIjLb1EEEEE10hipError_tT1_PNSt15iterator_traitsISI_E10value_typeET2_T3_PNSJ_ISO_E10value_typeET4_T5_PST_SU_PNS1_23onesweep_lookback_stateEbbT6_jjT7_P12ihipStream_tbENKUlT_T0_SI_SN_E_clISD_PiSD_S15_EEDaS11_S12_SI_SN_EUlS11_E_NS1_11comp_targetILNS1_3genE8ELNS1_11target_archE1030ELNS1_3gpuE2ELNS1_3repE0EEENS1_47radix_sort_onesweep_sort_config_static_selectorELNS0_4arch9wavefront6targetE1EEEvSI_
; %bb.0:
	.section	.rodata,"a",@progbits
	.p2align	6, 0x0
	.amdhsa_kernel _ZN7rocprim17ROCPRIM_400000_NS6detail17trampoline_kernelINS0_14default_configENS1_35radix_sort_onesweep_config_selectorIiiEEZZNS1_29radix_sort_onesweep_iterationIS3_Lb1EN6thrust23THRUST_200600_302600_NS6detail15normal_iteratorINS8_10device_ptrIiEEEESD_SD_SD_jNS0_19identity_decomposerENS1_16block_id_wrapperIjLb1EEEEE10hipError_tT1_PNSt15iterator_traitsISI_E10value_typeET2_T3_PNSJ_ISO_E10value_typeET4_T5_PST_SU_PNS1_23onesweep_lookback_stateEbbT6_jjT7_P12ihipStream_tbENKUlT_T0_SI_SN_E_clISD_PiSD_S15_EEDaS11_S12_SI_SN_EUlS11_E_NS1_11comp_targetILNS1_3genE8ELNS1_11target_archE1030ELNS1_3gpuE2ELNS1_3repE0EEENS1_47radix_sort_onesweep_sort_config_static_selectorELNS0_4arch9wavefront6targetE1EEEvSI_
		.amdhsa_group_segment_fixed_size 0
		.amdhsa_private_segment_fixed_size 0
		.amdhsa_kernarg_size 88
		.amdhsa_user_sgpr_count 2
		.amdhsa_user_sgpr_dispatch_ptr 0
		.amdhsa_user_sgpr_queue_ptr 0
		.amdhsa_user_sgpr_kernarg_segment_ptr 1
		.amdhsa_user_sgpr_dispatch_id 0
		.amdhsa_user_sgpr_kernarg_preload_length 0
		.amdhsa_user_sgpr_kernarg_preload_offset 0
		.amdhsa_user_sgpr_private_segment_size 0
		.amdhsa_uses_dynamic_stack 0
		.amdhsa_enable_private_segment 0
		.amdhsa_system_sgpr_workgroup_id_x 1
		.amdhsa_system_sgpr_workgroup_id_y 0
		.amdhsa_system_sgpr_workgroup_id_z 0
		.amdhsa_system_sgpr_workgroup_info 0
		.amdhsa_system_vgpr_workitem_id 0
		.amdhsa_next_free_vgpr 1
		.amdhsa_next_free_sgpr 0
		.amdhsa_accum_offset 4
		.amdhsa_reserve_vcc 0
		.amdhsa_float_round_mode_32 0
		.amdhsa_float_round_mode_16_64 0
		.amdhsa_float_denorm_mode_32 3
		.amdhsa_float_denorm_mode_16_64 3
		.amdhsa_dx10_clamp 1
		.amdhsa_ieee_mode 1
		.amdhsa_fp16_overflow 0
		.amdhsa_tg_split 0
		.amdhsa_exception_fp_ieee_invalid_op 0
		.amdhsa_exception_fp_denorm_src 0
		.amdhsa_exception_fp_ieee_div_zero 0
		.amdhsa_exception_fp_ieee_overflow 0
		.amdhsa_exception_fp_ieee_underflow 0
		.amdhsa_exception_fp_ieee_inexact 0
		.amdhsa_exception_int_div_zero 0
	.end_amdhsa_kernel
	.section	.text._ZN7rocprim17ROCPRIM_400000_NS6detail17trampoline_kernelINS0_14default_configENS1_35radix_sort_onesweep_config_selectorIiiEEZZNS1_29radix_sort_onesweep_iterationIS3_Lb1EN6thrust23THRUST_200600_302600_NS6detail15normal_iteratorINS8_10device_ptrIiEEEESD_SD_SD_jNS0_19identity_decomposerENS1_16block_id_wrapperIjLb1EEEEE10hipError_tT1_PNSt15iterator_traitsISI_E10value_typeET2_T3_PNSJ_ISO_E10value_typeET4_T5_PST_SU_PNS1_23onesweep_lookback_stateEbbT6_jjT7_P12ihipStream_tbENKUlT_T0_SI_SN_E_clISD_PiSD_S15_EEDaS11_S12_SI_SN_EUlS11_E_NS1_11comp_targetILNS1_3genE8ELNS1_11target_archE1030ELNS1_3gpuE2ELNS1_3repE0EEENS1_47radix_sort_onesweep_sort_config_static_selectorELNS0_4arch9wavefront6targetE1EEEvSI_,"axG",@progbits,_ZN7rocprim17ROCPRIM_400000_NS6detail17trampoline_kernelINS0_14default_configENS1_35radix_sort_onesweep_config_selectorIiiEEZZNS1_29radix_sort_onesweep_iterationIS3_Lb1EN6thrust23THRUST_200600_302600_NS6detail15normal_iteratorINS8_10device_ptrIiEEEESD_SD_SD_jNS0_19identity_decomposerENS1_16block_id_wrapperIjLb1EEEEE10hipError_tT1_PNSt15iterator_traitsISI_E10value_typeET2_T3_PNSJ_ISO_E10value_typeET4_T5_PST_SU_PNS1_23onesweep_lookback_stateEbbT6_jjT7_P12ihipStream_tbENKUlT_T0_SI_SN_E_clISD_PiSD_S15_EEDaS11_S12_SI_SN_EUlS11_E_NS1_11comp_targetILNS1_3genE8ELNS1_11target_archE1030ELNS1_3gpuE2ELNS1_3repE0EEENS1_47radix_sort_onesweep_sort_config_static_selectorELNS0_4arch9wavefront6targetE1EEEvSI_,comdat
.Lfunc_end1016:
	.size	_ZN7rocprim17ROCPRIM_400000_NS6detail17trampoline_kernelINS0_14default_configENS1_35radix_sort_onesweep_config_selectorIiiEEZZNS1_29radix_sort_onesweep_iterationIS3_Lb1EN6thrust23THRUST_200600_302600_NS6detail15normal_iteratorINS8_10device_ptrIiEEEESD_SD_SD_jNS0_19identity_decomposerENS1_16block_id_wrapperIjLb1EEEEE10hipError_tT1_PNSt15iterator_traitsISI_E10value_typeET2_T3_PNSJ_ISO_E10value_typeET4_T5_PST_SU_PNS1_23onesweep_lookback_stateEbbT6_jjT7_P12ihipStream_tbENKUlT_T0_SI_SN_E_clISD_PiSD_S15_EEDaS11_S12_SI_SN_EUlS11_E_NS1_11comp_targetILNS1_3genE8ELNS1_11target_archE1030ELNS1_3gpuE2ELNS1_3repE0EEENS1_47radix_sort_onesweep_sort_config_static_selectorELNS0_4arch9wavefront6targetE1EEEvSI_, .Lfunc_end1016-_ZN7rocprim17ROCPRIM_400000_NS6detail17trampoline_kernelINS0_14default_configENS1_35radix_sort_onesweep_config_selectorIiiEEZZNS1_29radix_sort_onesweep_iterationIS3_Lb1EN6thrust23THRUST_200600_302600_NS6detail15normal_iteratorINS8_10device_ptrIiEEEESD_SD_SD_jNS0_19identity_decomposerENS1_16block_id_wrapperIjLb1EEEEE10hipError_tT1_PNSt15iterator_traitsISI_E10value_typeET2_T3_PNSJ_ISO_E10value_typeET4_T5_PST_SU_PNS1_23onesweep_lookback_stateEbbT6_jjT7_P12ihipStream_tbENKUlT_T0_SI_SN_E_clISD_PiSD_S15_EEDaS11_S12_SI_SN_EUlS11_E_NS1_11comp_targetILNS1_3genE8ELNS1_11target_archE1030ELNS1_3gpuE2ELNS1_3repE0EEENS1_47radix_sort_onesweep_sort_config_static_selectorELNS0_4arch9wavefront6targetE1EEEvSI_
                                        ; -- End function
	.set _ZN7rocprim17ROCPRIM_400000_NS6detail17trampoline_kernelINS0_14default_configENS1_35radix_sort_onesweep_config_selectorIiiEEZZNS1_29radix_sort_onesweep_iterationIS3_Lb1EN6thrust23THRUST_200600_302600_NS6detail15normal_iteratorINS8_10device_ptrIiEEEESD_SD_SD_jNS0_19identity_decomposerENS1_16block_id_wrapperIjLb1EEEEE10hipError_tT1_PNSt15iterator_traitsISI_E10value_typeET2_T3_PNSJ_ISO_E10value_typeET4_T5_PST_SU_PNS1_23onesweep_lookback_stateEbbT6_jjT7_P12ihipStream_tbENKUlT_T0_SI_SN_E_clISD_PiSD_S15_EEDaS11_S12_SI_SN_EUlS11_E_NS1_11comp_targetILNS1_3genE8ELNS1_11target_archE1030ELNS1_3gpuE2ELNS1_3repE0EEENS1_47radix_sort_onesweep_sort_config_static_selectorELNS0_4arch9wavefront6targetE1EEEvSI_.num_vgpr, 0
	.set _ZN7rocprim17ROCPRIM_400000_NS6detail17trampoline_kernelINS0_14default_configENS1_35radix_sort_onesweep_config_selectorIiiEEZZNS1_29radix_sort_onesweep_iterationIS3_Lb1EN6thrust23THRUST_200600_302600_NS6detail15normal_iteratorINS8_10device_ptrIiEEEESD_SD_SD_jNS0_19identity_decomposerENS1_16block_id_wrapperIjLb1EEEEE10hipError_tT1_PNSt15iterator_traitsISI_E10value_typeET2_T3_PNSJ_ISO_E10value_typeET4_T5_PST_SU_PNS1_23onesweep_lookback_stateEbbT6_jjT7_P12ihipStream_tbENKUlT_T0_SI_SN_E_clISD_PiSD_S15_EEDaS11_S12_SI_SN_EUlS11_E_NS1_11comp_targetILNS1_3genE8ELNS1_11target_archE1030ELNS1_3gpuE2ELNS1_3repE0EEENS1_47radix_sort_onesweep_sort_config_static_selectorELNS0_4arch9wavefront6targetE1EEEvSI_.num_agpr, 0
	.set _ZN7rocprim17ROCPRIM_400000_NS6detail17trampoline_kernelINS0_14default_configENS1_35radix_sort_onesweep_config_selectorIiiEEZZNS1_29radix_sort_onesweep_iterationIS3_Lb1EN6thrust23THRUST_200600_302600_NS6detail15normal_iteratorINS8_10device_ptrIiEEEESD_SD_SD_jNS0_19identity_decomposerENS1_16block_id_wrapperIjLb1EEEEE10hipError_tT1_PNSt15iterator_traitsISI_E10value_typeET2_T3_PNSJ_ISO_E10value_typeET4_T5_PST_SU_PNS1_23onesweep_lookback_stateEbbT6_jjT7_P12ihipStream_tbENKUlT_T0_SI_SN_E_clISD_PiSD_S15_EEDaS11_S12_SI_SN_EUlS11_E_NS1_11comp_targetILNS1_3genE8ELNS1_11target_archE1030ELNS1_3gpuE2ELNS1_3repE0EEENS1_47radix_sort_onesweep_sort_config_static_selectorELNS0_4arch9wavefront6targetE1EEEvSI_.numbered_sgpr, 0
	.set _ZN7rocprim17ROCPRIM_400000_NS6detail17trampoline_kernelINS0_14default_configENS1_35radix_sort_onesweep_config_selectorIiiEEZZNS1_29radix_sort_onesweep_iterationIS3_Lb1EN6thrust23THRUST_200600_302600_NS6detail15normal_iteratorINS8_10device_ptrIiEEEESD_SD_SD_jNS0_19identity_decomposerENS1_16block_id_wrapperIjLb1EEEEE10hipError_tT1_PNSt15iterator_traitsISI_E10value_typeET2_T3_PNSJ_ISO_E10value_typeET4_T5_PST_SU_PNS1_23onesweep_lookback_stateEbbT6_jjT7_P12ihipStream_tbENKUlT_T0_SI_SN_E_clISD_PiSD_S15_EEDaS11_S12_SI_SN_EUlS11_E_NS1_11comp_targetILNS1_3genE8ELNS1_11target_archE1030ELNS1_3gpuE2ELNS1_3repE0EEENS1_47radix_sort_onesweep_sort_config_static_selectorELNS0_4arch9wavefront6targetE1EEEvSI_.num_named_barrier, 0
	.set _ZN7rocprim17ROCPRIM_400000_NS6detail17trampoline_kernelINS0_14default_configENS1_35radix_sort_onesweep_config_selectorIiiEEZZNS1_29radix_sort_onesweep_iterationIS3_Lb1EN6thrust23THRUST_200600_302600_NS6detail15normal_iteratorINS8_10device_ptrIiEEEESD_SD_SD_jNS0_19identity_decomposerENS1_16block_id_wrapperIjLb1EEEEE10hipError_tT1_PNSt15iterator_traitsISI_E10value_typeET2_T3_PNSJ_ISO_E10value_typeET4_T5_PST_SU_PNS1_23onesweep_lookback_stateEbbT6_jjT7_P12ihipStream_tbENKUlT_T0_SI_SN_E_clISD_PiSD_S15_EEDaS11_S12_SI_SN_EUlS11_E_NS1_11comp_targetILNS1_3genE8ELNS1_11target_archE1030ELNS1_3gpuE2ELNS1_3repE0EEENS1_47radix_sort_onesweep_sort_config_static_selectorELNS0_4arch9wavefront6targetE1EEEvSI_.private_seg_size, 0
	.set _ZN7rocprim17ROCPRIM_400000_NS6detail17trampoline_kernelINS0_14default_configENS1_35radix_sort_onesweep_config_selectorIiiEEZZNS1_29radix_sort_onesweep_iterationIS3_Lb1EN6thrust23THRUST_200600_302600_NS6detail15normal_iteratorINS8_10device_ptrIiEEEESD_SD_SD_jNS0_19identity_decomposerENS1_16block_id_wrapperIjLb1EEEEE10hipError_tT1_PNSt15iterator_traitsISI_E10value_typeET2_T3_PNSJ_ISO_E10value_typeET4_T5_PST_SU_PNS1_23onesweep_lookback_stateEbbT6_jjT7_P12ihipStream_tbENKUlT_T0_SI_SN_E_clISD_PiSD_S15_EEDaS11_S12_SI_SN_EUlS11_E_NS1_11comp_targetILNS1_3genE8ELNS1_11target_archE1030ELNS1_3gpuE2ELNS1_3repE0EEENS1_47radix_sort_onesweep_sort_config_static_selectorELNS0_4arch9wavefront6targetE1EEEvSI_.uses_vcc, 0
	.set _ZN7rocprim17ROCPRIM_400000_NS6detail17trampoline_kernelINS0_14default_configENS1_35radix_sort_onesweep_config_selectorIiiEEZZNS1_29radix_sort_onesweep_iterationIS3_Lb1EN6thrust23THRUST_200600_302600_NS6detail15normal_iteratorINS8_10device_ptrIiEEEESD_SD_SD_jNS0_19identity_decomposerENS1_16block_id_wrapperIjLb1EEEEE10hipError_tT1_PNSt15iterator_traitsISI_E10value_typeET2_T3_PNSJ_ISO_E10value_typeET4_T5_PST_SU_PNS1_23onesweep_lookback_stateEbbT6_jjT7_P12ihipStream_tbENKUlT_T0_SI_SN_E_clISD_PiSD_S15_EEDaS11_S12_SI_SN_EUlS11_E_NS1_11comp_targetILNS1_3genE8ELNS1_11target_archE1030ELNS1_3gpuE2ELNS1_3repE0EEENS1_47radix_sort_onesweep_sort_config_static_selectorELNS0_4arch9wavefront6targetE1EEEvSI_.uses_flat_scratch, 0
	.set _ZN7rocprim17ROCPRIM_400000_NS6detail17trampoline_kernelINS0_14default_configENS1_35radix_sort_onesweep_config_selectorIiiEEZZNS1_29radix_sort_onesweep_iterationIS3_Lb1EN6thrust23THRUST_200600_302600_NS6detail15normal_iteratorINS8_10device_ptrIiEEEESD_SD_SD_jNS0_19identity_decomposerENS1_16block_id_wrapperIjLb1EEEEE10hipError_tT1_PNSt15iterator_traitsISI_E10value_typeET2_T3_PNSJ_ISO_E10value_typeET4_T5_PST_SU_PNS1_23onesweep_lookback_stateEbbT6_jjT7_P12ihipStream_tbENKUlT_T0_SI_SN_E_clISD_PiSD_S15_EEDaS11_S12_SI_SN_EUlS11_E_NS1_11comp_targetILNS1_3genE8ELNS1_11target_archE1030ELNS1_3gpuE2ELNS1_3repE0EEENS1_47radix_sort_onesweep_sort_config_static_selectorELNS0_4arch9wavefront6targetE1EEEvSI_.has_dyn_sized_stack, 0
	.set _ZN7rocprim17ROCPRIM_400000_NS6detail17trampoline_kernelINS0_14default_configENS1_35radix_sort_onesweep_config_selectorIiiEEZZNS1_29radix_sort_onesweep_iterationIS3_Lb1EN6thrust23THRUST_200600_302600_NS6detail15normal_iteratorINS8_10device_ptrIiEEEESD_SD_SD_jNS0_19identity_decomposerENS1_16block_id_wrapperIjLb1EEEEE10hipError_tT1_PNSt15iterator_traitsISI_E10value_typeET2_T3_PNSJ_ISO_E10value_typeET4_T5_PST_SU_PNS1_23onesweep_lookback_stateEbbT6_jjT7_P12ihipStream_tbENKUlT_T0_SI_SN_E_clISD_PiSD_S15_EEDaS11_S12_SI_SN_EUlS11_E_NS1_11comp_targetILNS1_3genE8ELNS1_11target_archE1030ELNS1_3gpuE2ELNS1_3repE0EEENS1_47radix_sort_onesweep_sort_config_static_selectorELNS0_4arch9wavefront6targetE1EEEvSI_.has_recursion, 0
	.set _ZN7rocprim17ROCPRIM_400000_NS6detail17trampoline_kernelINS0_14default_configENS1_35radix_sort_onesweep_config_selectorIiiEEZZNS1_29radix_sort_onesweep_iterationIS3_Lb1EN6thrust23THRUST_200600_302600_NS6detail15normal_iteratorINS8_10device_ptrIiEEEESD_SD_SD_jNS0_19identity_decomposerENS1_16block_id_wrapperIjLb1EEEEE10hipError_tT1_PNSt15iterator_traitsISI_E10value_typeET2_T3_PNSJ_ISO_E10value_typeET4_T5_PST_SU_PNS1_23onesweep_lookback_stateEbbT6_jjT7_P12ihipStream_tbENKUlT_T0_SI_SN_E_clISD_PiSD_S15_EEDaS11_S12_SI_SN_EUlS11_E_NS1_11comp_targetILNS1_3genE8ELNS1_11target_archE1030ELNS1_3gpuE2ELNS1_3repE0EEENS1_47radix_sort_onesweep_sort_config_static_selectorELNS0_4arch9wavefront6targetE1EEEvSI_.has_indirect_call, 0
	.section	.AMDGPU.csdata,"",@progbits
; Kernel info:
; codeLenInByte = 0
; TotalNumSgprs: 6
; NumVgprs: 0
; NumAgprs: 0
; TotalNumVgprs: 0
; ScratchSize: 0
; MemoryBound: 0
; FloatMode: 240
; IeeeMode: 1
; LDSByteSize: 0 bytes/workgroup (compile time only)
; SGPRBlocks: 0
; VGPRBlocks: 0
; NumSGPRsForWavesPerEU: 6
; NumVGPRsForWavesPerEU: 1
; AccumOffset: 4
; Occupancy: 8
; WaveLimiterHint : 0
; COMPUTE_PGM_RSRC2:SCRATCH_EN: 0
; COMPUTE_PGM_RSRC2:USER_SGPR: 2
; COMPUTE_PGM_RSRC2:TRAP_HANDLER: 0
; COMPUTE_PGM_RSRC2:TGID_X_EN: 1
; COMPUTE_PGM_RSRC2:TGID_Y_EN: 0
; COMPUTE_PGM_RSRC2:TGID_Z_EN: 0
; COMPUTE_PGM_RSRC2:TIDIG_COMP_CNT: 0
; COMPUTE_PGM_RSRC3_GFX90A:ACCUM_OFFSET: 0
; COMPUTE_PGM_RSRC3_GFX90A:TG_SPLIT: 0
	.section	.text._ZN7rocprim17ROCPRIM_400000_NS6detail17trampoline_kernelINS0_14default_configENS1_35radix_sort_onesweep_config_selectorIiiEEZZNS1_29radix_sort_onesweep_iterationIS3_Lb1EN6thrust23THRUST_200600_302600_NS6detail15normal_iteratorINS8_10device_ptrIiEEEESD_SD_SD_jNS0_19identity_decomposerENS1_16block_id_wrapperIjLb1EEEEE10hipError_tT1_PNSt15iterator_traitsISI_E10value_typeET2_T3_PNSJ_ISO_E10value_typeET4_T5_PST_SU_PNS1_23onesweep_lookback_stateEbbT6_jjT7_P12ihipStream_tbENKUlT_T0_SI_SN_E_clIPiSD_S15_SD_EEDaS11_S12_SI_SN_EUlS11_E_NS1_11comp_targetILNS1_3genE0ELNS1_11target_archE4294967295ELNS1_3gpuE0ELNS1_3repE0EEENS1_47radix_sort_onesweep_sort_config_static_selectorELNS0_4arch9wavefront6targetE1EEEvSI_,"axG",@progbits,_ZN7rocprim17ROCPRIM_400000_NS6detail17trampoline_kernelINS0_14default_configENS1_35radix_sort_onesweep_config_selectorIiiEEZZNS1_29radix_sort_onesweep_iterationIS3_Lb1EN6thrust23THRUST_200600_302600_NS6detail15normal_iteratorINS8_10device_ptrIiEEEESD_SD_SD_jNS0_19identity_decomposerENS1_16block_id_wrapperIjLb1EEEEE10hipError_tT1_PNSt15iterator_traitsISI_E10value_typeET2_T3_PNSJ_ISO_E10value_typeET4_T5_PST_SU_PNS1_23onesweep_lookback_stateEbbT6_jjT7_P12ihipStream_tbENKUlT_T0_SI_SN_E_clIPiSD_S15_SD_EEDaS11_S12_SI_SN_EUlS11_E_NS1_11comp_targetILNS1_3genE0ELNS1_11target_archE4294967295ELNS1_3gpuE0ELNS1_3repE0EEENS1_47radix_sort_onesweep_sort_config_static_selectorELNS0_4arch9wavefront6targetE1EEEvSI_,comdat
	.protected	_ZN7rocprim17ROCPRIM_400000_NS6detail17trampoline_kernelINS0_14default_configENS1_35radix_sort_onesweep_config_selectorIiiEEZZNS1_29radix_sort_onesweep_iterationIS3_Lb1EN6thrust23THRUST_200600_302600_NS6detail15normal_iteratorINS8_10device_ptrIiEEEESD_SD_SD_jNS0_19identity_decomposerENS1_16block_id_wrapperIjLb1EEEEE10hipError_tT1_PNSt15iterator_traitsISI_E10value_typeET2_T3_PNSJ_ISO_E10value_typeET4_T5_PST_SU_PNS1_23onesweep_lookback_stateEbbT6_jjT7_P12ihipStream_tbENKUlT_T0_SI_SN_E_clIPiSD_S15_SD_EEDaS11_S12_SI_SN_EUlS11_E_NS1_11comp_targetILNS1_3genE0ELNS1_11target_archE4294967295ELNS1_3gpuE0ELNS1_3repE0EEENS1_47radix_sort_onesweep_sort_config_static_selectorELNS0_4arch9wavefront6targetE1EEEvSI_ ; -- Begin function _ZN7rocprim17ROCPRIM_400000_NS6detail17trampoline_kernelINS0_14default_configENS1_35radix_sort_onesweep_config_selectorIiiEEZZNS1_29radix_sort_onesweep_iterationIS3_Lb1EN6thrust23THRUST_200600_302600_NS6detail15normal_iteratorINS8_10device_ptrIiEEEESD_SD_SD_jNS0_19identity_decomposerENS1_16block_id_wrapperIjLb1EEEEE10hipError_tT1_PNSt15iterator_traitsISI_E10value_typeET2_T3_PNSJ_ISO_E10value_typeET4_T5_PST_SU_PNS1_23onesweep_lookback_stateEbbT6_jjT7_P12ihipStream_tbENKUlT_T0_SI_SN_E_clIPiSD_S15_SD_EEDaS11_S12_SI_SN_EUlS11_E_NS1_11comp_targetILNS1_3genE0ELNS1_11target_archE4294967295ELNS1_3gpuE0ELNS1_3repE0EEENS1_47radix_sort_onesweep_sort_config_static_selectorELNS0_4arch9wavefront6targetE1EEEvSI_
	.globl	_ZN7rocprim17ROCPRIM_400000_NS6detail17trampoline_kernelINS0_14default_configENS1_35radix_sort_onesweep_config_selectorIiiEEZZNS1_29radix_sort_onesweep_iterationIS3_Lb1EN6thrust23THRUST_200600_302600_NS6detail15normal_iteratorINS8_10device_ptrIiEEEESD_SD_SD_jNS0_19identity_decomposerENS1_16block_id_wrapperIjLb1EEEEE10hipError_tT1_PNSt15iterator_traitsISI_E10value_typeET2_T3_PNSJ_ISO_E10value_typeET4_T5_PST_SU_PNS1_23onesweep_lookback_stateEbbT6_jjT7_P12ihipStream_tbENKUlT_T0_SI_SN_E_clIPiSD_S15_SD_EEDaS11_S12_SI_SN_EUlS11_E_NS1_11comp_targetILNS1_3genE0ELNS1_11target_archE4294967295ELNS1_3gpuE0ELNS1_3repE0EEENS1_47radix_sort_onesweep_sort_config_static_selectorELNS0_4arch9wavefront6targetE1EEEvSI_
	.p2align	8
	.type	_ZN7rocprim17ROCPRIM_400000_NS6detail17trampoline_kernelINS0_14default_configENS1_35radix_sort_onesweep_config_selectorIiiEEZZNS1_29radix_sort_onesweep_iterationIS3_Lb1EN6thrust23THRUST_200600_302600_NS6detail15normal_iteratorINS8_10device_ptrIiEEEESD_SD_SD_jNS0_19identity_decomposerENS1_16block_id_wrapperIjLb1EEEEE10hipError_tT1_PNSt15iterator_traitsISI_E10value_typeET2_T3_PNSJ_ISO_E10value_typeET4_T5_PST_SU_PNS1_23onesweep_lookback_stateEbbT6_jjT7_P12ihipStream_tbENKUlT_T0_SI_SN_E_clIPiSD_S15_SD_EEDaS11_S12_SI_SN_EUlS11_E_NS1_11comp_targetILNS1_3genE0ELNS1_11target_archE4294967295ELNS1_3gpuE0ELNS1_3repE0EEENS1_47radix_sort_onesweep_sort_config_static_selectorELNS0_4arch9wavefront6targetE1EEEvSI_,@function
_ZN7rocprim17ROCPRIM_400000_NS6detail17trampoline_kernelINS0_14default_configENS1_35radix_sort_onesweep_config_selectorIiiEEZZNS1_29radix_sort_onesweep_iterationIS3_Lb1EN6thrust23THRUST_200600_302600_NS6detail15normal_iteratorINS8_10device_ptrIiEEEESD_SD_SD_jNS0_19identity_decomposerENS1_16block_id_wrapperIjLb1EEEEE10hipError_tT1_PNSt15iterator_traitsISI_E10value_typeET2_T3_PNSJ_ISO_E10value_typeET4_T5_PST_SU_PNS1_23onesweep_lookback_stateEbbT6_jjT7_P12ihipStream_tbENKUlT_T0_SI_SN_E_clIPiSD_S15_SD_EEDaS11_S12_SI_SN_EUlS11_E_NS1_11comp_targetILNS1_3genE0ELNS1_11target_archE4294967295ELNS1_3gpuE0ELNS1_3repE0EEENS1_47radix_sort_onesweep_sort_config_static_selectorELNS0_4arch9wavefront6targetE1EEEvSI_: ; @_ZN7rocprim17ROCPRIM_400000_NS6detail17trampoline_kernelINS0_14default_configENS1_35radix_sort_onesweep_config_selectorIiiEEZZNS1_29radix_sort_onesweep_iterationIS3_Lb1EN6thrust23THRUST_200600_302600_NS6detail15normal_iteratorINS8_10device_ptrIiEEEESD_SD_SD_jNS0_19identity_decomposerENS1_16block_id_wrapperIjLb1EEEEE10hipError_tT1_PNSt15iterator_traitsISI_E10value_typeET2_T3_PNSJ_ISO_E10value_typeET4_T5_PST_SU_PNS1_23onesweep_lookback_stateEbbT6_jjT7_P12ihipStream_tbENKUlT_T0_SI_SN_E_clIPiSD_S15_SD_EEDaS11_S12_SI_SN_EUlS11_E_NS1_11comp_targetILNS1_3genE0ELNS1_11target_archE4294967295ELNS1_3gpuE0ELNS1_3repE0EEENS1_47radix_sort_onesweep_sort_config_static_selectorELNS0_4arch9wavefront6targetE1EEEvSI_
; %bb.0:
	.section	.rodata,"a",@progbits
	.p2align	6, 0x0
	.amdhsa_kernel _ZN7rocprim17ROCPRIM_400000_NS6detail17trampoline_kernelINS0_14default_configENS1_35radix_sort_onesweep_config_selectorIiiEEZZNS1_29radix_sort_onesweep_iterationIS3_Lb1EN6thrust23THRUST_200600_302600_NS6detail15normal_iteratorINS8_10device_ptrIiEEEESD_SD_SD_jNS0_19identity_decomposerENS1_16block_id_wrapperIjLb1EEEEE10hipError_tT1_PNSt15iterator_traitsISI_E10value_typeET2_T3_PNSJ_ISO_E10value_typeET4_T5_PST_SU_PNS1_23onesweep_lookback_stateEbbT6_jjT7_P12ihipStream_tbENKUlT_T0_SI_SN_E_clIPiSD_S15_SD_EEDaS11_S12_SI_SN_EUlS11_E_NS1_11comp_targetILNS1_3genE0ELNS1_11target_archE4294967295ELNS1_3gpuE0ELNS1_3repE0EEENS1_47radix_sort_onesweep_sort_config_static_selectorELNS0_4arch9wavefront6targetE1EEEvSI_
		.amdhsa_group_segment_fixed_size 0
		.amdhsa_private_segment_fixed_size 0
		.amdhsa_kernarg_size 88
		.amdhsa_user_sgpr_count 2
		.amdhsa_user_sgpr_dispatch_ptr 0
		.amdhsa_user_sgpr_queue_ptr 0
		.amdhsa_user_sgpr_kernarg_segment_ptr 1
		.amdhsa_user_sgpr_dispatch_id 0
		.amdhsa_user_sgpr_kernarg_preload_length 0
		.amdhsa_user_sgpr_kernarg_preload_offset 0
		.amdhsa_user_sgpr_private_segment_size 0
		.amdhsa_uses_dynamic_stack 0
		.amdhsa_enable_private_segment 0
		.amdhsa_system_sgpr_workgroup_id_x 1
		.amdhsa_system_sgpr_workgroup_id_y 0
		.amdhsa_system_sgpr_workgroup_id_z 0
		.amdhsa_system_sgpr_workgroup_info 0
		.amdhsa_system_vgpr_workitem_id 0
		.amdhsa_next_free_vgpr 1
		.amdhsa_next_free_sgpr 0
		.amdhsa_accum_offset 4
		.amdhsa_reserve_vcc 0
		.amdhsa_float_round_mode_32 0
		.amdhsa_float_round_mode_16_64 0
		.amdhsa_float_denorm_mode_32 3
		.amdhsa_float_denorm_mode_16_64 3
		.amdhsa_dx10_clamp 1
		.amdhsa_ieee_mode 1
		.amdhsa_fp16_overflow 0
		.amdhsa_tg_split 0
		.amdhsa_exception_fp_ieee_invalid_op 0
		.amdhsa_exception_fp_denorm_src 0
		.amdhsa_exception_fp_ieee_div_zero 0
		.amdhsa_exception_fp_ieee_overflow 0
		.amdhsa_exception_fp_ieee_underflow 0
		.amdhsa_exception_fp_ieee_inexact 0
		.amdhsa_exception_int_div_zero 0
	.end_amdhsa_kernel
	.section	.text._ZN7rocprim17ROCPRIM_400000_NS6detail17trampoline_kernelINS0_14default_configENS1_35radix_sort_onesweep_config_selectorIiiEEZZNS1_29radix_sort_onesweep_iterationIS3_Lb1EN6thrust23THRUST_200600_302600_NS6detail15normal_iteratorINS8_10device_ptrIiEEEESD_SD_SD_jNS0_19identity_decomposerENS1_16block_id_wrapperIjLb1EEEEE10hipError_tT1_PNSt15iterator_traitsISI_E10value_typeET2_T3_PNSJ_ISO_E10value_typeET4_T5_PST_SU_PNS1_23onesweep_lookback_stateEbbT6_jjT7_P12ihipStream_tbENKUlT_T0_SI_SN_E_clIPiSD_S15_SD_EEDaS11_S12_SI_SN_EUlS11_E_NS1_11comp_targetILNS1_3genE0ELNS1_11target_archE4294967295ELNS1_3gpuE0ELNS1_3repE0EEENS1_47radix_sort_onesweep_sort_config_static_selectorELNS0_4arch9wavefront6targetE1EEEvSI_,"axG",@progbits,_ZN7rocprim17ROCPRIM_400000_NS6detail17trampoline_kernelINS0_14default_configENS1_35radix_sort_onesweep_config_selectorIiiEEZZNS1_29radix_sort_onesweep_iterationIS3_Lb1EN6thrust23THRUST_200600_302600_NS6detail15normal_iteratorINS8_10device_ptrIiEEEESD_SD_SD_jNS0_19identity_decomposerENS1_16block_id_wrapperIjLb1EEEEE10hipError_tT1_PNSt15iterator_traitsISI_E10value_typeET2_T3_PNSJ_ISO_E10value_typeET4_T5_PST_SU_PNS1_23onesweep_lookback_stateEbbT6_jjT7_P12ihipStream_tbENKUlT_T0_SI_SN_E_clIPiSD_S15_SD_EEDaS11_S12_SI_SN_EUlS11_E_NS1_11comp_targetILNS1_3genE0ELNS1_11target_archE4294967295ELNS1_3gpuE0ELNS1_3repE0EEENS1_47radix_sort_onesweep_sort_config_static_selectorELNS0_4arch9wavefront6targetE1EEEvSI_,comdat
.Lfunc_end1017:
	.size	_ZN7rocprim17ROCPRIM_400000_NS6detail17trampoline_kernelINS0_14default_configENS1_35radix_sort_onesweep_config_selectorIiiEEZZNS1_29radix_sort_onesweep_iterationIS3_Lb1EN6thrust23THRUST_200600_302600_NS6detail15normal_iteratorINS8_10device_ptrIiEEEESD_SD_SD_jNS0_19identity_decomposerENS1_16block_id_wrapperIjLb1EEEEE10hipError_tT1_PNSt15iterator_traitsISI_E10value_typeET2_T3_PNSJ_ISO_E10value_typeET4_T5_PST_SU_PNS1_23onesweep_lookback_stateEbbT6_jjT7_P12ihipStream_tbENKUlT_T0_SI_SN_E_clIPiSD_S15_SD_EEDaS11_S12_SI_SN_EUlS11_E_NS1_11comp_targetILNS1_3genE0ELNS1_11target_archE4294967295ELNS1_3gpuE0ELNS1_3repE0EEENS1_47radix_sort_onesweep_sort_config_static_selectorELNS0_4arch9wavefront6targetE1EEEvSI_, .Lfunc_end1017-_ZN7rocprim17ROCPRIM_400000_NS6detail17trampoline_kernelINS0_14default_configENS1_35radix_sort_onesweep_config_selectorIiiEEZZNS1_29radix_sort_onesweep_iterationIS3_Lb1EN6thrust23THRUST_200600_302600_NS6detail15normal_iteratorINS8_10device_ptrIiEEEESD_SD_SD_jNS0_19identity_decomposerENS1_16block_id_wrapperIjLb1EEEEE10hipError_tT1_PNSt15iterator_traitsISI_E10value_typeET2_T3_PNSJ_ISO_E10value_typeET4_T5_PST_SU_PNS1_23onesweep_lookback_stateEbbT6_jjT7_P12ihipStream_tbENKUlT_T0_SI_SN_E_clIPiSD_S15_SD_EEDaS11_S12_SI_SN_EUlS11_E_NS1_11comp_targetILNS1_3genE0ELNS1_11target_archE4294967295ELNS1_3gpuE0ELNS1_3repE0EEENS1_47radix_sort_onesweep_sort_config_static_selectorELNS0_4arch9wavefront6targetE1EEEvSI_
                                        ; -- End function
	.set _ZN7rocprim17ROCPRIM_400000_NS6detail17trampoline_kernelINS0_14default_configENS1_35radix_sort_onesweep_config_selectorIiiEEZZNS1_29radix_sort_onesweep_iterationIS3_Lb1EN6thrust23THRUST_200600_302600_NS6detail15normal_iteratorINS8_10device_ptrIiEEEESD_SD_SD_jNS0_19identity_decomposerENS1_16block_id_wrapperIjLb1EEEEE10hipError_tT1_PNSt15iterator_traitsISI_E10value_typeET2_T3_PNSJ_ISO_E10value_typeET4_T5_PST_SU_PNS1_23onesweep_lookback_stateEbbT6_jjT7_P12ihipStream_tbENKUlT_T0_SI_SN_E_clIPiSD_S15_SD_EEDaS11_S12_SI_SN_EUlS11_E_NS1_11comp_targetILNS1_3genE0ELNS1_11target_archE4294967295ELNS1_3gpuE0ELNS1_3repE0EEENS1_47radix_sort_onesweep_sort_config_static_selectorELNS0_4arch9wavefront6targetE1EEEvSI_.num_vgpr, 0
	.set _ZN7rocprim17ROCPRIM_400000_NS6detail17trampoline_kernelINS0_14default_configENS1_35radix_sort_onesweep_config_selectorIiiEEZZNS1_29radix_sort_onesweep_iterationIS3_Lb1EN6thrust23THRUST_200600_302600_NS6detail15normal_iteratorINS8_10device_ptrIiEEEESD_SD_SD_jNS0_19identity_decomposerENS1_16block_id_wrapperIjLb1EEEEE10hipError_tT1_PNSt15iterator_traitsISI_E10value_typeET2_T3_PNSJ_ISO_E10value_typeET4_T5_PST_SU_PNS1_23onesweep_lookback_stateEbbT6_jjT7_P12ihipStream_tbENKUlT_T0_SI_SN_E_clIPiSD_S15_SD_EEDaS11_S12_SI_SN_EUlS11_E_NS1_11comp_targetILNS1_3genE0ELNS1_11target_archE4294967295ELNS1_3gpuE0ELNS1_3repE0EEENS1_47radix_sort_onesweep_sort_config_static_selectorELNS0_4arch9wavefront6targetE1EEEvSI_.num_agpr, 0
	.set _ZN7rocprim17ROCPRIM_400000_NS6detail17trampoline_kernelINS0_14default_configENS1_35radix_sort_onesweep_config_selectorIiiEEZZNS1_29radix_sort_onesweep_iterationIS3_Lb1EN6thrust23THRUST_200600_302600_NS6detail15normal_iteratorINS8_10device_ptrIiEEEESD_SD_SD_jNS0_19identity_decomposerENS1_16block_id_wrapperIjLb1EEEEE10hipError_tT1_PNSt15iterator_traitsISI_E10value_typeET2_T3_PNSJ_ISO_E10value_typeET4_T5_PST_SU_PNS1_23onesweep_lookback_stateEbbT6_jjT7_P12ihipStream_tbENKUlT_T0_SI_SN_E_clIPiSD_S15_SD_EEDaS11_S12_SI_SN_EUlS11_E_NS1_11comp_targetILNS1_3genE0ELNS1_11target_archE4294967295ELNS1_3gpuE0ELNS1_3repE0EEENS1_47radix_sort_onesweep_sort_config_static_selectorELNS0_4arch9wavefront6targetE1EEEvSI_.numbered_sgpr, 0
	.set _ZN7rocprim17ROCPRIM_400000_NS6detail17trampoline_kernelINS0_14default_configENS1_35radix_sort_onesweep_config_selectorIiiEEZZNS1_29radix_sort_onesweep_iterationIS3_Lb1EN6thrust23THRUST_200600_302600_NS6detail15normal_iteratorINS8_10device_ptrIiEEEESD_SD_SD_jNS0_19identity_decomposerENS1_16block_id_wrapperIjLb1EEEEE10hipError_tT1_PNSt15iterator_traitsISI_E10value_typeET2_T3_PNSJ_ISO_E10value_typeET4_T5_PST_SU_PNS1_23onesweep_lookback_stateEbbT6_jjT7_P12ihipStream_tbENKUlT_T0_SI_SN_E_clIPiSD_S15_SD_EEDaS11_S12_SI_SN_EUlS11_E_NS1_11comp_targetILNS1_3genE0ELNS1_11target_archE4294967295ELNS1_3gpuE0ELNS1_3repE0EEENS1_47radix_sort_onesweep_sort_config_static_selectorELNS0_4arch9wavefront6targetE1EEEvSI_.num_named_barrier, 0
	.set _ZN7rocprim17ROCPRIM_400000_NS6detail17trampoline_kernelINS0_14default_configENS1_35radix_sort_onesweep_config_selectorIiiEEZZNS1_29radix_sort_onesweep_iterationIS3_Lb1EN6thrust23THRUST_200600_302600_NS6detail15normal_iteratorINS8_10device_ptrIiEEEESD_SD_SD_jNS0_19identity_decomposerENS1_16block_id_wrapperIjLb1EEEEE10hipError_tT1_PNSt15iterator_traitsISI_E10value_typeET2_T3_PNSJ_ISO_E10value_typeET4_T5_PST_SU_PNS1_23onesweep_lookback_stateEbbT6_jjT7_P12ihipStream_tbENKUlT_T0_SI_SN_E_clIPiSD_S15_SD_EEDaS11_S12_SI_SN_EUlS11_E_NS1_11comp_targetILNS1_3genE0ELNS1_11target_archE4294967295ELNS1_3gpuE0ELNS1_3repE0EEENS1_47radix_sort_onesweep_sort_config_static_selectorELNS0_4arch9wavefront6targetE1EEEvSI_.private_seg_size, 0
	.set _ZN7rocprim17ROCPRIM_400000_NS6detail17trampoline_kernelINS0_14default_configENS1_35radix_sort_onesweep_config_selectorIiiEEZZNS1_29radix_sort_onesweep_iterationIS3_Lb1EN6thrust23THRUST_200600_302600_NS6detail15normal_iteratorINS8_10device_ptrIiEEEESD_SD_SD_jNS0_19identity_decomposerENS1_16block_id_wrapperIjLb1EEEEE10hipError_tT1_PNSt15iterator_traitsISI_E10value_typeET2_T3_PNSJ_ISO_E10value_typeET4_T5_PST_SU_PNS1_23onesweep_lookback_stateEbbT6_jjT7_P12ihipStream_tbENKUlT_T0_SI_SN_E_clIPiSD_S15_SD_EEDaS11_S12_SI_SN_EUlS11_E_NS1_11comp_targetILNS1_3genE0ELNS1_11target_archE4294967295ELNS1_3gpuE0ELNS1_3repE0EEENS1_47radix_sort_onesweep_sort_config_static_selectorELNS0_4arch9wavefront6targetE1EEEvSI_.uses_vcc, 0
	.set _ZN7rocprim17ROCPRIM_400000_NS6detail17trampoline_kernelINS0_14default_configENS1_35radix_sort_onesweep_config_selectorIiiEEZZNS1_29radix_sort_onesweep_iterationIS3_Lb1EN6thrust23THRUST_200600_302600_NS6detail15normal_iteratorINS8_10device_ptrIiEEEESD_SD_SD_jNS0_19identity_decomposerENS1_16block_id_wrapperIjLb1EEEEE10hipError_tT1_PNSt15iterator_traitsISI_E10value_typeET2_T3_PNSJ_ISO_E10value_typeET4_T5_PST_SU_PNS1_23onesweep_lookback_stateEbbT6_jjT7_P12ihipStream_tbENKUlT_T0_SI_SN_E_clIPiSD_S15_SD_EEDaS11_S12_SI_SN_EUlS11_E_NS1_11comp_targetILNS1_3genE0ELNS1_11target_archE4294967295ELNS1_3gpuE0ELNS1_3repE0EEENS1_47radix_sort_onesweep_sort_config_static_selectorELNS0_4arch9wavefront6targetE1EEEvSI_.uses_flat_scratch, 0
	.set _ZN7rocprim17ROCPRIM_400000_NS6detail17trampoline_kernelINS0_14default_configENS1_35radix_sort_onesweep_config_selectorIiiEEZZNS1_29radix_sort_onesweep_iterationIS3_Lb1EN6thrust23THRUST_200600_302600_NS6detail15normal_iteratorINS8_10device_ptrIiEEEESD_SD_SD_jNS0_19identity_decomposerENS1_16block_id_wrapperIjLb1EEEEE10hipError_tT1_PNSt15iterator_traitsISI_E10value_typeET2_T3_PNSJ_ISO_E10value_typeET4_T5_PST_SU_PNS1_23onesweep_lookback_stateEbbT6_jjT7_P12ihipStream_tbENKUlT_T0_SI_SN_E_clIPiSD_S15_SD_EEDaS11_S12_SI_SN_EUlS11_E_NS1_11comp_targetILNS1_3genE0ELNS1_11target_archE4294967295ELNS1_3gpuE0ELNS1_3repE0EEENS1_47radix_sort_onesweep_sort_config_static_selectorELNS0_4arch9wavefront6targetE1EEEvSI_.has_dyn_sized_stack, 0
	.set _ZN7rocprim17ROCPRIM_400000_NS6detail17trampoline_kernelINS0_14default_configENS1_35radix_sort_onesweep_config_selectorIiiEEZZNS1_29radix_sort_onesweep_iterationIS3_Lb1EN6thrust23THRUST_200600_302600_NS6detail15normal_iteratorINS8_10device_ptrIiEEEESD_SD_SD_jNS0_19identity_decomposerENS1_16block_id_wrapperIjLb1EEEEE10hipError_tT1_PNSt15iterator_traitsISI_E10value_typeET2_T3_PNSJ_ISO_E10value_typeET4_T5_PST_SU_PNS1_23onesweep_lookback_stateEbbT6_jjT7_P12ihipStream_tbENKUlT_T0_SI_SN_E_clIPiSD_S15_SD_EEDaS11_S12_SI_SN_EUlS11_E_NS1_11comp_targetILNS1_3genE0ELNS1_11target_archE4294967295ELNS1_3gpuE0ELNS1_3repE0EEENS1_47radix_sort_onesweep_sort_config_static_selectorELNS0_4arch9wavefront6targetE1EEEvSI_.has_recursion, 0
	.set _ZN7rocprim17ROCPRIM_400000_NS6detail17trampoline_kernelINS0_14default_configENS1_35radix_sort_onesweep_config_selectorIiiEEZZNS1_29radix_sort_onesweep_iterationIS3_Lb1EN6thrust23THRUST_200600_302600_NS6detail15normal_iteratorINS8_10device_ptrIiEEEESD_SD_SD_jNS0_19identity_decomposerENS1_16block_id_wrapperIjLb1EEEEE10hipError_tT1_PNSt15iterator_traitsISI_E10value_typeET2_T3_PNSJ_ISO_E10value_typeET4_T5_PST_SU_PNS1_23onesweep_lookback_stateEbbT6_jjT7_P12ihipStream_tbENKUlT_T0_SI_SN_E_clIPiSD_S15_SD_EEDaS11_S12_SI_SN_EUlS11_E_NS1_11comp_targetILNS1_3genE0ELNS1_11target_archE4294967295ELNS1_3gpuE0ELNS1_3repE0EEENS1_47radix_sort_onesweep_sort_config_static_selectorELNS0_4arch9wavefront6targetE1EEEvSI_.has_indirect_call, 0
	.section	.AMDGPU.csdata,"",@progbits
; Kernel info:
; codeLenInByte = 0
; TotalNumSgprs: 6
; NumVgprs: 0
; NumAgprs: 0
; TotalNumVgprs: 0
; ScratchSize: 0
; MemoryBound: 0
; FloatMode: 240
; IeeeMode: 1
; LDSByteSize: 0 bytes/workgroup (compile time only)
; SGPRBlocks: 0
; VGPRBlocks: 0
; NumSGPRsForWavesPerEU: 6
; NumVGPRsForWavesPerEU: 1
; AccumOffset: 4
; Occupancy: 8
; WaveLimiterHint : 0
; COMPUTE_PGM_RSRC2:SCRATCH_EN: 0
; COMPUTE_PGM_RSRC2:USER_SGPR: 2
; COMPUTE_PGM_RSRC2:TRAP_HANDLER: 0
; COMPUTE_PGM_RSRC2:TGID_X_EN: 1
; COMPUTE_PGM_RSRC2:TGID_Y_EN: 0
; COMPUTE_PGM_RSRC2:TGID_Z_EN: 0
; COMPUTE_PGM_RSRC2:TIDIG_COMP_CNT: 0
; COMPUTE_PGM_RSRC3_GFX90A:ACCUM_OFFSET: 0
; COMPUTE_PGM_RSRC3_GFX90A:TG_SPLIT: 0
	.section	.text._ZN7rocprim17ROCPRIM_400000_NS6detail17trampoline_kernelINS0_14default_configENS1_35radix_sort_onesweep_config_selectorIiiEEZZNS1_29radix_sort_onesweep_iterationIS3_Lb1EN6thrust23THRUST_200600_302600_NS6detail15normal_iteratorINS8_10device_ptrIiEEEESD_SD_SD_jNS0_19identity_decomposerENS1_16block_id_wrapperIjLb1EEEEE10hipError_tT1_PNSt15iterator_traitsISI_E10value_typeET2_T3_PNSJ_ISO_E10value_typeET4_T5_PST_SU_PNS1_23onesweep_lookback_stateEbbT6_jjT7_P12ihipStream_tbENKUlT_T0_SI_SN_E_clIPiSD_S15_SD_EEDaS11_S12_SI_SN_EUlS11_E_NS1_11comp_targetILNS1_3genE6ELNS1_11target_archE950ELNS1_3gpuE13ELNS1_3repE0EEENS1_47radix_sort_onesweep_sort_config_static_selectorELNS0_4arch9wavefront6targetE1EEEvSI_,"axG",@progbits,_ZN7rocprim17ROCPRIM_400000_NS6detail17trampoline_kernelINS0_14default_configENS1_35radix_sort_onesweep_config_selectorIiiEEZZNS1_29radix_sort_onesweep_iterationIS3_Lb1EN6thrust23THRUST_200600_302600_NS6detail15normal_iteratorINS8_10device_ptrIiEEEESD_SD_SD_jNS0_19identity_decomposerENS1_16block_id_wrapperIjLb1EEEEE10hipError_tT1_PNSt15iterator_traitsISI_E10value_typeET2_T3_PNSJ_ISO_E10value_typeET4_T5_PST_SU_PNS1_23onesweep_lookback_stateEbbT6_jjT7_P12ihipStream_tbENKUlT_T0_SI_SN_E_clIPiSD_S15_SD_EEDaS11_S12_SI_SN_EUlS11_E_NS1_11comp_targetILNS1_3genE6ELNS1_11target_archE950ELNS1_3gpuE13ELNS1_3repE0EEENS1_47radix_sort_onesweep_sort_config_static_selectorELNS0_4arch9wavefront6targetE1EEEvSI_,comdat
	.protected	_ZN7rocprim17ROCPRIM_400000_NS6detail17trampoline_kernelINS0_14default_configENS1_35radix_sort_onesweep_config_selectorIiiEEZZNS1_29radix_sort_onesweep_iterationIS3_Lb1EN6thrust23THRUST_200600_302600_NS6detail15normal_iteratorINS8_10device_ptrIiEEEESD_SD_SD_jNS0_19identity_decomposerENS1_16block_id_wrapperIjLb1EEEEE10hipError_tT1_PNSt15iterator_traitsISI_E10value_typeET2_T3_PNSJ_ISO_E10value_typeET4_T5_PST_SU_PNS1_23onesweep_lookback_stateEbbT6_jjT7_P12ihipStream_tbENKUlT_T0_SI_SN_E_clIPiSD_S15_SD_EEDaS11_S12_SI_SN_EUlS11_E_NS1_11comp_targetILNS1_3genE6ELNS1_11target_archE950ELNS1_3gpuE13ELNS1_3repE0EEENS1_47radix_sort_onesweep_sort_config_static_selectorELNS0_4arch9wavefront6targetE1EEEvSI_ ; -- Begin function _ZN7rocprim17ROCPRIM_400000_NS6detail17trampoline_kernelINS0_14default_configENS1_35radix_sort_onesweep_config_selectorIiiEEZZNS1_29radix_sort_onesweep_iterationIS3_Lb1EN6thrust23THRUST_200600_302600_NS6detail15normal_iteratorINS8_10device_ptrIiEEEESD_SD_SD_jNS0_19identity_decomposerENS1_16block_id_wrapperIjLb1EEEEE10hipError_tT1_PNSt15iterator_traitsISI_E10value_typeET2_T3_PNSJ_ISO_E10value_typeET4_T5_PST_SU_PNS1_23onesweep_lookback_stateEbbT6_jjT7_P12ihipStream_tbENKUlT_T0_SI_SN_E_clIPiSD_S15_SD_EEDaS11_S12_SI_SN_EUlS11_E_NS1_11comp_targetILNS1_3genE6ELNS1_11target_archE950ELNS1_3gpuE13ELNS1_3repE0EEENS1_47radix_sort_onesweep_sort_config_static_selectorELNS0_4arch9wavefront6targetE1EEEvSI_
	.globl	_ZN7rocprim17ROCPRIM_400000_NS6detail17trampoline_kernelINS0_14default_configENS1_35radix_sort_onesweep_config_selectorIiiEEZZNS1_29radix_sort_onesweep_iterationIS3_Lb1EN6thrust23THRUST_200600_302600_NS6detail15normal_iteratorINS8_10device_ptrIiEEEESD_SD_SD_jNS0_19identity_decomposerENS1_16block_id_wrapperIjLb1EEEEE10hipError_tT1_PNSt15iterator_traitsISI_E10value_typeET2_T3_PNSJ_ISO_E10value_typeET4_T5_PST_SU_PNS1_23onesweep_lookback_stateEbbT6_jjT7_P12ihipStream_tbENKUlT_T0_SI_SN_E_clIPiSD_S15_SD_EEDaS11_S12_SI_SN_EUlS11_E_NS1_11comp_targetILNS1_3genE6ELNS1_11target_archE950ELNS1_3gpuE13ELNS1_3repE0EEENS1_47radix_sort_onesweep_sort_config_static_selectorELNS0_4arch9wavefront6targetE1EEEvSI_
	.p2align	8
	.type	_ZN7rocprim17ROCPRIM_400000_NS6detail17trampoline_kernelINS0_14default_configENS1_35radix_sort_onesweep_config_selectorIiiEEZZNS1_29radix_sort_onesweep_iterationIS3_Lb1EN6thrust23THRUST_200600_302600_NS6detail15normal_iteratorINS8_10device_ptrIiEEEESD_SD_SD_jNS0_19identity_decomposerENS1_16block_id_wrapperIjLb1EEEEE10hipError_tT1_PNSt15iterator_traitsISI_E10value_typeET2_T3_PNSJ_ISO_E10value_typeET4_T5_PST_SU_PNS1_23onesweep_lookback_stateEbbT6_jjT7_P12ihipStream_tbENKUlT_T0_SI_SN_E_clIPiSD_S15_SD_EEDaS11_S12_SI_SN_EUlS11_E_NS1_11comp_targetILNS1_3genE6ELNS1_11target_archE950ELNS1_3gpuE13ELNS1_3repE0EEENS1_47radix_sort_onesweep_sort_config_static_selectorELNS0_4arch9wavefront6targetE1EEEvSI_,@function
_ZN7rocprim17ROCPRIM_400000_NS6detail17trampoline_kernelINS0_14default_configENS1_35radix_sort_onesweep_config_selectorIiiEEZZNS1_29radix_sort_onesweep_iterationIS3_Lb1EN6thrust23THRUST_200600_302600_NS6detail15normal_iteratorINS8_10device_ptrIiEEEESD_SD_SD_jNS0_19identity_decomposerENS1_16block_id_wrapperIjLb1EEEEE10hipError_tT1_PNSt15iterator_traitsISI_E10value_typeET2_T3_PNSJ_ISO_E10value_typeET4_T5_PST_SU_PNS1_23onesweep_lookback_stateEbbT6_jjT7_P12ihipStream_tbENKUlT_T0_SI_SN_E_clIPiSD_S15_SD_EEDaS11_S12_SI_SN_EUlS11_E_NS1_11comp_targetILNS1_3genE6ELNS1_11target_archE950ELNS1_3gpuE13ELNS1_3repE0EEENS1_47radix_sort_onesweep_sort_config_static_selectorELNS0_4arch9wavefront6targetE1EEEvSI_: ; @_ZN7rocprim17ROCPRIM_400000_NS6detail17trampoline_kernelINS0_14default_configENS1_35radix_sort_onesweep_config_selectorIiiEEZZNS1_29radix_sort_onesweep_iterationIS3_Lb1EN6thrust23THRUST_200600_302600_NS6detail15normal_iteratorINS8_10device_ptrIiEEEESD_SD_SD_jNS0_19identity_decomposerENS1_16block_id_wrapperIjLb1EEEEE10hipError_tT1_PNSt15iterator_traitsISI_E10value_typeET2_T3_PNSJ_ISO_E10value_typeET4_T5_PST_SU_PNS1_23onesweep_lookback_stateEbbT6_jjT7_P12ihipStream_tbENKUlT_T0_SI_SN_E_clIPiSD_S15_SD_EEDaS11_S12_SI_SN_EUlS11_E_NS1_11comp_targetILNS1_3genE6ELNS1_11target_archE950ELNS1_3gpuE13ELNS1_3repE0EEENS1_47radix_sort_onesweep_sort_config_static_selectorELNS0_4arch9wavefront6targetE1EEEvSI_
; %bb.0:
	s_load_dwordx4 s[60:63], s[0:1], 0x28
	s_load_dwordx2 s[68:69], s[0:1], 0x38
	s_load_dwordx4 s[64:67], s[0:1], 0x44
	v_and_b32_e32 v2, 0x3ff, v0
	v_cmp_eq_u32_e64 s[44:45], 0, v2
	s_and_saveexec_b64 s[4:5], s[44:45]
	s_cbranch_execz .LBB1018_4
; %bb.1:
	s_mov_b64 s[8:9], exec
	v_mbcnt_lo_u32_b32 v1, s8, 0
	v_mbcnt_hi_u32_b32 v1, s9, v1
	v_cmp_eq_u32_e32 vcc, 0, v1
                                        ; implicit-def: $vgpr3
	s_and_saveexec_b64 s[6:7], vcc
	s_cbranch_execz .LBB1018_3
; %bb.2:
	s_load_dwordx2 s[10:11], s[0:1], 0x50
	s_bcnt1_i32_b64 s3, s[8:9]
	v_mov_b32_e32 v3, 0
	v_mov_b32_e32 v4, s3
	s_waitcnt lgkmcnt(0)
	global_atomic_add v3, v3, v4, s[10:11] sc0
.LBB1018_3:
	s_or_b64 exec, exec, s[6:7]
	s_waitcnt vmcnt(0)
	v_readfirstlane_b32 s3, v3
	v_mov_b32_e32 v3, 0
	s_nop 0
	v_add_u32_e32 v1, s3, v1
	ds_write_b32 v3, v1 offset:20544
.LBB1018_4:
	s_or_b64 exec, exec, s[4:5]
	v_mov_b32_e32 v5, 0
	s_load_dwordx8 s[52:59], s[0:1], 0x0
	s_load_dword s3, s[0:1], 0x20
	s_waitcnt lgkmcnt(0)
	s_barrier
	ds_read_b32 v1, v5 offset:20544
	s_mov_b64 s[4:5], -1
	v_mbcnt_lo_u32_b32 v3, -1, 0
	s_waitcnt lgkmcnt(0)
	s_barrier
	v_cmp_le_u32_e32 vcc, s66, v1
	v_readfirstlane_b32 s33, v1
	v_lshlrev_b32_e32 v1, 4, v2
	s_cbranch_vccz .LBB1018_208
; %bb.5:
	s_lshl_b32 s4, s66, 14
	s_sub_i32 s3, s3, s4
	s_lshl_b32 s4, s33, 14
	s_mov_b32 s5, 0
	s_lshl_b64 s[66:67], s[4:5], 2
	v_mbcnt_hi_u32_b32 v12, -1, v3
	s_add_u32 s4, s52, s66
	v_and_b32_e32 v10, 63, v12
	s_addc_u32 s5, s53, s67
	v_and_b32_e32 v11, 0x3c00, v1
	v_lshlrev_b32_e32 v4, 2, v10
	v_lshl_add_u64 v[8:9], s[4:5], 0, v[4:5]
	v_lshlrev_b32_e32 v6, 2, v11
	v_mov_b32_e32 v7, v5
	v_or_b32_e32 v10, v10, v11
	v_mov_b32_e32 v14, -1
	v_lshl_add_u64 v[8:9], v[8:9], 0, v[6:7]
	v_cmp_gt_u32_e32 vcc, s3, v10
	v_mov_b32_e32 v5, -1
	s_and_saveexec_b64 s[4:5], vcc
	s_cbranch_execz .LBB1018_7
; %bb.6:
	global_load_dword v5, v[8:9], off
	s_waitcnt vmcnt(0)
	v_xor_b32_e32 v5, 0x7fffffff, v5
.LBB1018_7:
	s_or_b64 exec, exec, s[4:5]
	v_or_b32_e32 v7, 64, v10
	v_cmp_gt_u32_e64 s[4:5], s3, v7
	s_and_saveexec_b64 s[6:7], s[4:5]
	s_cbranch_execz .LBB1018_9
; %bb.8:
	global_load_dword v7, v[8:9], off offset:256
	s_waitcnt vmcnt(0)
	v_xor_b32_e32 v14, 0x7fffffff, v7
.LBB1018_9:
	s_or_b64 exec, exec, s[6:7]
	v_or_b32_e32 v7, 0x80, v10
	v_cmp_gt_u32_e64 s[6:7], s3, v7
	v_mov_b32_e32 v7, -1
	v_mov_b32_e32 v15, -1
	s_and_saveexec_b64 s[8:9], s[6:7]
	s_cbranch_execz .LBB1018_11
; %bb.10:
	global_load_dword v11, v[8:9], off offset:512
	s_waitcnt vmcnt(0)
	v_xor_b32_e32 v15, 0x7fffffff, v11
.LBB1018_11:
	s_or_b64 exec, exec, s[8:9]
	v_or_b32_e32 v11, 0xc0, v10
	v_cmp_gt_u32_e64 s[8:9], s3, v11
	s_and_saveexec_b64 s[10:11], s[8:9]
	s_cbranch_execz .LBB1018_13
; %bb.12:
	global_load_dword v7, v[8:9], off offset:768
	s_waitcnt vmcnt(0)
	v_xor_b32_e32 v7, 0x7fffffff, v7
.LBB1018_13:
	s_or_b64 exec, exec, s[10:11]
	v_or_b32_e32 v11, 0x100, v10
	v_cmp_gt_u32_e64 s[10:11], s3, v11
	v_mov_b32_e32 v16, -1
	v_mov_b32_e32 v17, -1
	s_and_saveexec_b64 s[12:13], s[10:11]
	s_cbranch_execz .LBB1018_15
; %bb.14:
	global_load_dword v11, v[8:9], off offset:1024
	s_waitcnt vmcnt(0)
	v_xor_b32_e32 v17, 0x7fffffff, v11
.LBB1018_15:
	s_or_b64 exec, exec, s[12:13]
	v_or_b32_e32 v11, 0x140, v10
	v_cmp_gt_u32_e64 s[12:13], s3, v11
	s_and_saveexec_b64 s[14:15], s[12:13]
	s_cbranch_execz .LBB1018_17
; %bb.16:
	global_load_dword v11, v[8:9], off offset:1280
	s_waitcnt vmcnt(0)
	v_xor_b32_e32 v16, 0x7fffffff, v11
.LBB1018_17:
	s_or_b64 exec, exec, s[14:15]
	v_or_b32_e32 v11, 0x180, v10
	v_cmp_gt_u32_e64 s[14:15], s3, v11
	v_mov_b32_e32 v18, -1
	v_mov_b32_e32 v19, -1
	s_and_saveexec_b64 s[16:17], s[14:15]
	s_cbranch_execz .LBB1018_19
; %bb.18:
	global_load_dword v11, v[8:9], off offset:1536
	s_waitcnt vmcnt(0)
	v_xor_b32_e32 v19, 0x7fffffff, v11
.LBB1018_19:
	s_or_b64 exec, exec, s[16:17]
	v_or_b32_e32 v11, 0x1c0, v10
	v_cmp_gt_u32_e64 s[16:17], s3, v11
	s_and_saveexec_b64 s[18:19], s[16:17]
	s_cbranch_execz .LBB1018_21
; %bb.20:
	global_load_dword v11, v[8:9], off offset:1792
	s_waitcnt vmcnt(0)
	v_xor_b32_e32 v18, 0x7fffffff, v11
.LBB1018_21:
	s_or_b64 exec, exec, s[18:19]
	v_or_b32_e32 v11, 0x200, v10
	v_cmp_gt_u32_e64 s[18:19], s3, v11
	v_mov_b32_e32 v20, -1
	v_mov_b32_e32 v21, -1
	s_and_saveexec_b64 s[20:21], s[18:19]
	s_cbranch_execz .LBB1018_23
; %bb.22:
	global_load_dword v11, v[8:9], off offset:2048
	s_waitcnt vmcnt(0)
	v_xor_b32_e32 v21, 0x7fffffff, v11
.LBB1018_23:
	s_or_b64 exec, exec, s[20:21]
	v_or_b32_e32 v11, 0x240, v10
	v_cmp_gt_u32_e64 s[20:21], s3, v11
	s_and_saveexec_b64 s[22:23], s[20:21]
	s_cbranch_execz .LBB1018_25
; %bb.24:
	global_load_dword v11, v[8:9], off offset:2304
	s_waitcnt vmcnt(0)
	v_xor_b32_e32 v20, 0x7fffffff, v11
.LBB1018_25:
	s_or_b64 exec, exec, s[22:23]
	v_or_b32_e32 v11, 0x280, v10
	v_cmp_gt_u32_e64 s[22:23], s3, v11
	v_mov_b32_e32 v22, -1
	v_mov_b32_e32 v23, -1
	s_and_saveexec_b64 s[24:25], s[22:23]
	s_cbranch_execz .LBB1018_27
; %bb.26:
	global_load_dword v11, v[8:9], off offset:2560
	s_waitcnt vmcnt(0)
	v_xor_b32_e32 v23, 0x7fffffff, v11
.LBB1018_27:
	s_or_b64 exec, exec, s[24:25]
	v_or_b32_e32 v11, 0x2c0, v10
	v_cmp_gt_u32_e64 s[24:25], s3, v11
	s_and_saveexec_b64 s[26:27], s[24:25]
	s_cbranch_execz .LBB1018_29
; %bb.28:
	global_load_dword v11, v[8:9], off offset:2816
	s_waitcnt vmcnt(0)
	v_xor_b32_e32 v22, 0x7fffffff, v11
.LBB1018_29:
	s_or_b64 exec, exec, s[26:27]
	v_or_b32_e32 v11, 0x300, v10
	v_cmp_gt_u32_e64 s[26:27], s3, v11
	v_mov_b32_e32 v24, -1
	v_mov_b32_e32 v25, -1
	s_and_saveexec_b64 s[28:29], s[26:27]
	s_cbranch_execz .LBB1018_31
; %bb.30:
	global_load_dword v11, v[8:9], off offset:3072
	s_waitcnt vmcnt(0)
	v_xor_b32_e32 v25, 0x7fffffff, v11
.LBB1018_31:
	s_or_b64 exec, exec, s[28:29]
	v_or_b32_e32 v11, 0x340, v10
	v_cmp_gt_u32_e64 s[28:29], s3, v11
	s_and_saveexec_b64 s[30:31], s[28:29]
	s_cbranch_execz .LBB1018_33
; %bb.32:
	global_load_dword v11, v[8:9], off offset:3328
	s_waitcnt vmcnt(0)
	v_xor_b32_e32 v24, 0x7fffffff, v11
.LBB1018_33:
	s_or_b64 exec, exec, s[30:31]
	v_or_b32_e32 v11, 0x380, v10
	v_cmp_gt_u32_e64 s[30:31], s3, v11
	v_mov_b32_e32 v26, -1
	v_mov_b32_e32 v27, -1
	s_and_saveexec_b64 s[34:35], s[30:31]
	s_cbranch_execz .LBB1018_35
; %bb.34:
	global_load_dword v11, v[8:9], off offset:3584
	s_waitcnt vmcnt(0)
	v_xor_b32_e32 v27, 0x7fffffff, v11
.LBB1018_35:
	s_or_b64 exec, exec, s[34:35]
	v_or_b32_e32 v10, 0x3c0, v10
	v_cmp_gt_u32_e64 s[34:35], s3, v10
	s_and_saveexec_b64 s[36:37], s[34:35]
	s_cbranch_execz .LBB1018_37
; %bb.36:
	global_load_dword v8, v[8:9], off offset:3840
	s_waitcnt vmcnt(0)
	v_xor_b32_e32 v26, 0x7fffffff, v8
.LBB1018_37:
	s_or_b64 exec, exec, s[36:37]
	s_load_dword s36, s[0:1], 0x64
	s_load_dword s70, s[0:1], 0x58
	s_add_u32 s37, s0, 0x58
	s_addc_u32 s38, s1, 0
	v_mov_b32_e32 v9, 0
	s_waitcnt lgkmcnt(0)
	s_lshr_b32 s39, s36, 16
	s_cmp_lt_u32 s2, s70
	s_cselect_b32 s36, 12, 18
	s_add_u32 s36, s37, s36
	s_addc_u32 s37, s38, 0
	global_load_ushort v40, v9, s[36:37]
	v_lshrrev_b32_e32 v29, s64, v5
	s_lshl_b32 s36, -1, s65
	v_bfe_u32 v8, v0, 10, 10
	v_bfe_u32 v11, v0, 20, 10
	v_bitop3_b32 v38, v29, s36, v29 bitop3:0x30
	s_movk_i32 s72, 0x44
	v_mad_u32_u24 v42, v11, s39, v8
	v_and_b32_e32 v8, 1, v38
	v_lshlrev_b32_e32 v11, 30, v38
	v_mov_b32_e32 v10, v9
	v_mov_b32_e32 v30, v9
	s_not_b32 s71, s36
	v_mul_lo_u32 v43, v38, s72
	v_lshlrev_b32_e32 v29, 29, v38
	v_lshlrev_b32_e32 v31, 28, v38
	;; [unrolled: 1-line block ×6, first 2 shown]
	v_lshl_add_u64 v[38:39], v[8:9], 0, -1
	v_cmp_ne_u32_e64 s[36:37], 0, v8
	v_not_b32_e32 v8, v11
	v_mov_b32_e32 v28, v9
	v_mov_b32_e32 v32, v9
	v_cmp_gt_i64_e64 s[38:39], 0, v[10:11]
	v_not_b32_e32 v10, v29
	v_cmp_gt_i64_e64 s[42:43], 0, v[30:31]
	v_not_b32_e32 v11, v31
	v_xor_b32_e32 v31, s37, v39
	v_ashrrev_i32_e32 v8, 31, v8
	v_mov_b32_e32 v34, v9
	v_cmp_gt_i64_e64 s[40:41], 0, v[28:29]
	v_cmp_gt_i64_e64 s[46:47], 0, v[32:33]
	v_not_b32_e32 v28, v33
	v_xor_b32_e32 v32, s36, v38
	v_ashrrev_i32_e32 v10, 31, v10
	v_and_b32_e32 v31, exec_hi, v31
	v_xor_b32_e32 v33, s39, v8
	v_cmp_gt_i64_e64 s[48:49], 0, v[34:35]
	v_ashrrev_i32_e32 v11, 31, v11
	v_and_b32_e32 v32, exec_lo, v32
	v_xor_b32_e32 v8, s38, v8
	v_xor_b32_e32 v34, s41, v10
	v_and_b32_e32 v31, v31, v33
	v_mov_b32_e32 v36, v9
	v_not_b32_e32 v29, v35
	v_ashrrev_i32_e32 v28, 31, v28
	v_xor_b32_e32 v10, s40, v10
	v_xor_b32_e32 v35, s43, v11
	v_and_b32_e32 v8, v32, v8
	v_and_b32_e32 v31, v31, v34
	v_cmp_gt_i64_e64 s[50:51], 0, v[36:37]
	v_not_b32_e32 v30, v37
	v_ashrrev_i32_e32 v29, 31, v29
	v_xor_b32_e32 v36, s47, v28
	v_and_b32_e32 v8, v8, v10
	v_and_b32_e32 v10, v31, v35
	v_ashrrev_i32_e32 v30, 31, v30
	v_xor_b32_e32 v11, s42, v11
	v_xor_b32_e32 v37, s49, v29
	v_and_b32_e32 v10, v10, v36
	v_xor_b32_e32 v28, s46, v28
	v_xor_b32_e32 v38, s51, v30
	v_and_b32_e32 v8, v8, v11
	v_and_b32_e32 v10, v10, v37
	;; [unrolled: 1-line block ×4, first 2 shown]
	v_xor_b32_e32 v29, s48, v29
	v_xor_b32_e32 v30, s50, v30
	v_and_b32_e32 v8, v8, v29
	v_and_b32_e32 v8, v8, v30
	v_mul_u32_u24_e32 v13, 20, v2
	ds_write2_b32 v13, v9, v9 offset0:16 offset1:17
	ds_write2_b32 v13, v9, v9 offset0:18 offset1:19
	ds_write_b32 v13, v9 offset:80
	s_waitcnt lgkmcnt(0)
	s_barrier
	s_waitcnt vmcnt(0)
	; wave barrier
	v_mad_u64_u32 v[10:11], s[36:37], v42, v40, v[2:3]
	v_lshrrev_b32_e32 v39, 6, v10
	v_mov_b32_e32 v40, v9
	v_not_b32_e32 v10, v41
	v_cmp_gt_i64_e64 s[36:37], 0, v[40:41]
	v_ashrrev_i32_e32 v10, 31, v10
	v_lshl_add_u32 v32, v39, 2, v43
	v_xor_b32_e32 v11, s37, v10
	v_xor_b32_e32 v10, s36, v10
	v_and_b32_e32 v10, v8, v10
	v_and_b32_e32 v11, v28, v11
	v_mbcnt_lo_u32_b32 v8, v10, 0
	v_mbcnt_hi_u32_b32 v29, v11, v8
	v_cmp_eq_u32_e64 s[36:37], 0, v29
	v_cmp_ne_u64_e64 s[38:39], 0, v[10:11]
	s_and_b64 s[38:39], s[38:39], s[36:37]
	s_and_saveexec_b64 s[36:37], s[38:39]
; %bb.38:
	v_bcnt_u32_b32 v8, v10, 0
	v_bcnt_u32_b32 v8, v11, v8
	ds_write_b32 v32, v8 offset:64
; %bb.39:
	s_or_b64 exec, exec, s[36:37]
	v_lshrrev_b32_e32 v8, s64, v14
	v_and_b32_e32 v30, s71, v8
	v_mul_lo_u32 v8, v30, s72
	v_lshl_add_u32 v34, v39, 2, v8
	v_and_b32_e32 v8, 1, v30
	v_lshl_add_u64 v[10:11], v[8:9], 0, -1
	v_cmp_ne_u32_e64 s[36:37], 0, v8
	; wave barrier
	s_nop 1
	v_xor_b32_e32 v10, s36, v10
	v_xor_b32_e32 v8, s37, v11
	v_and_b32_e32 v31, exec_lo, v10
	v_lshlrev_b32_e32 v11, 30, v30
	v_mov_b32_e32 v10, v9
	v_cmp_gt_i64_e64 s[36:37], 0, v[10:11]
	v_not_b32_e32 v10, v11
	v_ashrrev_i32_e32 v10, 31, v10
	v_and_b32_e32 v8, exec_hi, v8
	v_xor_b32_e32 v11, s37, v10
	v_xor_b32_e32 v10, s36, v10
	v_and_b32_e32 v8, v8, v11
	v_and_b32_e32 v31, v31, v10
	v_lshlrev_b32_e32 v11, 29, v30
	v_mov_b32_e32 v10, v9
	v_cmp_gt_i64_e64 s[36:37], 0, v[10:11]
	v_not_b32_e32 v10, v11
	v_ashrrev_i32_e32 v10, 31, v10
	v_xor_b32_e32 v11, s37, v10
	v_xor_b32_e32 v10, s36, v10
	v_and_b32_e32 v8, v8, v11
	v_and_b32_e32 v31, v31, v10
	v_lshlrev_b32_e32 v11, 28, v30
	v_mov_b32_e32 v10, v9
	v_cmp_gt_i64_e64 s[36:37], 0, v[10:11]
	v_not_b32_e32 v10, v11
	v_ashrrev_i32_e32 v10, 31, v10
	;; [unrolled: 9-line block ×5, first 2 shown]
	v_xor_b32_e32 v11, s37, v10
	v_xor_b32_e32 v10, s36, v10
	v_and_b32_e32 v8, v8, v11
	v_lshlrev_b32_e32 v11, 24, v30
	v_and_b32_e32 v31, v31, v10
	v_mov_b32_e32 v10, v9
	v_not_b32_e32 v9, v11
	v_cmp_gt_i64_e64 s[36:37], 0, v[10:11]
	v_ashrrev_i32_e32 v9, 31, v9
	ds_read_b32 v28, v34 offset:64
	v_xor_b32_e32 v10, s37, v9
	v_xor_b32_e32 v11, s36, v9
	v_and_b32_e32 v9, v8, v10
	v_and_b32_e32 v8, v31, v11
	v_mbcnt_lo_u32_b32 v10, v8, 0
	v_mbcnt_hi_u32_b32 v30, v9, v10
	v_cmp_eq_u32_e64 s[36:37], 0, v30
	v_cmp_ne_u64_e64 s[38:39], 0, v[8:9]
	s_and_b64 s[38:39], s[38:39], s[36:37]
	; wave barrier
	s_and_saveexec_b64 s[36:37], s[38:39]
	s_cbranch_execz .LBB1018_41
; %bb.40:
	v_bcnt_u32_b32 v8, v8, 0
	v_bcnt_u32_b32 v8, v9, v8
	s_waitcnt lgkmcnt(0)
	v_add_u32_e32 v8, v28, v8
	ds_write_b32 v34, v8 offset:64
.LBB1018_41:
	s_or_b64 exec, exec, s[36:37]
	v_lshrrev_b32_e32 v8, s64, v15
	v_and_b32_e32 v33, s71, v8
	s_movk_i32 s40, 0x44
	v_mul_lo_u32 v8, v33, s40
	v_lshl_add_u32 v37, v39, 2, v8
	v_and_b32_e32 v8, 1, v33
	v_mov_b32_e32 v9, 0
	v_lshl_add_u64 v[10:11], v[8:9], 0, -1
	v_cmp_ne_u32_e64 s[36:37], 0, v8
	; wave barrier
	s_nop 1
	v_xor_b32_e32 v10, s36, v10
	v_xor_b32_e32 v8, s37, v11
	v_and_b32_e32 v35, exec_lo, v10
	v_lshlrev_b32_e32 v11, 30, v33
	v_mov_b32_e32 v10, v9
	v_cmp_gt_i64_e64 s[36:37], 0, v[10:11]
	v_not_b32_e32 v10, v11
	v_ashrrev_i32_e32 v10, 31, v10
	v_and_b32_e32 v8, exec_hi, v8
	v_xor_b32_e32 v11, s37, v10
	v_xor_b32_e32 v10, s36, v10
	v_and_b32_e32 v8, v8, v11
	v_and_b32_e32 v35, v35, v10
	v_lshlrev_b32_e32 v11, 29, v33
	v_mov_b32_e32 v10, v9
	v_cmp_gt_i64_e64 s[36:37], 0, v[10:11]
	v_not_b32_e32 v10, v11
	v_ashrrev_i32_e32 v10, 31, v10
	v_xor_b32_e32 v11, s37, v10
	v_xor_b32_e32 v10, s36, v10
	v_and_b32_e32 v8, v8, v11
	v_and_b32_e32 v35, v35, v10
	v_lshlrev_b32_e32 v11, 28, v33
	v_mov_b32_e32 v10, v9
	v_cmp_gt_i64_e64 s[36:37], 0, v[10:11]
	v_not_b32_e32 v10, v11
	v_ashrrev_i32_e32 v10, 31, v10
	;; [unrolled: 9-line block ×6, first 2 shown]
	v_xor_b32_e32 v11, s37, v10
	v_xor_b32_e32 v10, s36, v10
	ds_read_b32 v31, v37 offset:64
	v_and_b32_e32 v10, v35, v10
	v_and_b32_e32 v11, v8, v11
	v_mbcnt_lo_u32_b32 v8, v10, 0
	v_mbcnt_hi_u32_b32 v33, v11, v8
	v_cmp_eq_u32_e64 s[36:37], 0, v33
	v_cmp_ne_u64_e64 s[38:39], 0, v[10:11]
	s_and_b64 s[38:39], s[38:39], s[36:37]
	; wave barrier
	s_and_saveexec_b64 s[36:37], s[38:39]
	s_cbranch_execz .LBB1018_43
; %bb.42:
	v_bcnt_u32_b32 v8, v10, 0
	v_bcnt_u32_b32 v8, v11, v8
	s_waitcnt lgkmcnt(0)
	v_add_u32_e32 v8, v31, v8
	ds_write_b32 v37, v8 offset:64
.LBB1018_43:
	s_or_b64 exec, exec, s[36:37]
	v_lshrrev_b32_e32 v8, s64, v7
	v_and_b32_e32 v36, s71, v8
	v_mul_lo_u32 v8, v36, s40
	v_lshl_add_u32 v41, v39, 2, v8
	v_and_b32_e32 v8, 1, v36
	v_lshl_add_u64 v[10:11], v[8:9], 0, -1
	v_cmp_ne_u32_e64 s[36:37], 0, v8
	; wave barrier
	s_nop 1
	v_xor_b32_e32 v10, s36, v10
	v_xor_b32_e32 v8, s37, v11
	v_and_b32_e32 v38, exec_lo, v10
	v_lshlrev_b32_e32 v11, 30, v36
	v_mov_b32_e32 v10, v9
	v_cmp_gt_i64_e64 s[36:37], 0, v[10:11]
	v_not_b32_e32 v10, v11
	v_ashrrev_i32_e32 v10, 31, v10
	v_and_b32_e32 v8, exec_hi, v8
	v_xor_b32_e32 v11, s37, v10
	v_xor_b32_e32 v10, s36, v10
	v_and_b32_e32 v8, v8, v11
	v_and_b32_e32 v38, v38, v10
	v_lshlrev_b32_e32 v11, 29, v36
	v_mov_b32_e32 v10, v9
	v_cmp_gt_i64_e64 s[36:37], 0, v[10:11]
	v_not_b32_e32 v10, v11
	v_ashrrev_i32_e32 v10, 31, v10
	v_xor_b32_e32 v11, s37, v10
	v_xor_b32_e32 v10, s36, v10
	v_and_b32_e32 v8, v8, v11
	v_and_b32_e32 v38, v38, v10
	v_lshlrev_b32_e32 v11, 28, v36
	v_mov_b32_e32 v10, v9
	v_cmp_gt_i64_e64 s[36:37], 0, v[10:11]
	v_not_b32_e32 v10, v11
	v_ashrrev_i32_e32 v10, 31, v10
	;; [unrolled: 9-line block ×5, first 2 shown]
	v_xor_b32_e32 v11, s37, v10
	v_xor_b32_e32 v10, s36, v10
	v_and_b32_e32 v8, v8, v11
	v_lshlrev_b32_e32 v11, 24, v36
	v_and_b32_e32 v38, v38, v10
	v_mov_b32_e32 v10, v9
	v_not_b32_e32 v9, v11
	v_cmp_gt_i64_e64 s[36:37], 0, v[10:11]
	v_ashrrev_i32_e32 v9, 31, v9
	ds_read_b32 v35, v41 offset:64
	v_xor_b32_e32 v10, s37, v9
	v_xor_b32_e32 v11, s36, v9
	v_and_b32_e32 v9, v8, v10
	v_and_b32_e32 v8, v38, v11
	v_mbcnt_lo_u32_b32 v10, v8, 0
	v_mbcnt_hi_u32_b32 v36, v9, v10
	v_cmp_eq_u32_e64 s[36:37], 0, v36
	v_cmp_ne_u64_e64 s[38:39], 0, v[8:9]
	s_and_b64 s[38:39], s[38:39], s[36:37]
	; wave barrier
	s_and_saveexec_b64 s[36:37], s[38:39]
	s_cbranch_execz .LBB1018_45
; %bb.44:
	v_bcnt_u32_b32 v8, v8, 0
	v_bcnt_u32_b32 v8, v9, v8
	s_waitcnt lgkmcnt(0)
	v_add_u32_e32 v8, v35, v8
	ds_write_b32 v41, v8 offset:64
.LBB1018_45:
	s_or_b64 exec, exec, s[36:37]
	v_lshrrev_b32_e32 v8, s64, v17
	v_and_b32_e32 v40, s71, v8
	v_mul_lo_u32 v8, v40, s40
	v_lshl_add_u32 v44, v39, 2, v8
	v_and_b32_e32 v8, 1, v40
	v_mov_b32_e32 v9, 0
	v_lshl_add_u64 v[10:11], v[8:9], 0, -1
	v_cmp_ne_u32_e64 s[36:37], 0, v8
	; wave barrier
	s_nop 1
	v_xor_b32_e32 v10, s36, v10
	v_xor_b32_e32 v8, s37, v11
	v_and_b32_e32 v42, exec_lo, v10
	v_lshlrev_b32_e32 v11, 30, v40
	v_mov_b32_e32 v10, v9
	v_cmp_gt_i64_e64 s[36:37], 0, v[10:11]
	v_not_b32_e32 v10, v11
	v_ashrrev_i32_e32 v10, 31, v10
	v_and_b32_e32 v8, exec_hi, v8
	v_xor_b32_e32 v11, s37, v10
	v_xor_b32_e32 v10, s36, v10
	v_and_b32_e32 v8, v8, v11
	v_and_b32_e32 v42, v42, v10
	v_lshlrev_b32_e32 v11, 29, v40
	v_mov_b32_e32 v10, v9
	v_cmp_gt_i64_e64 s[36:37], 0, v[10:11]
	v_not_b32_e32 v10, v11
	v_ashrrev_i32_e32 v10, 31, v10
	v_xor_b32_e32 v11, s37, v10
	v_xor_b32_e32 v10, s36, v10
	v_and_b32_e32 v8, v8, v11
	v_and_b32_e32 v42, v42, v10
	v_lshlrev_b32_e32 v11, 28, v40
	v_mov_b32_e32 v10, v9
	v_cmp_gt_i64_e64 s[36:37], 0, v[10:11]
	v_not_b32_e32 v10, v11
	v_ashrrev_i32_e32 v10, 31, v10
	;; [unrolled: 9-line block ×6, first 2 shown]
	v_xor_b32_e32 v11, s37, v10
	v_xor_b32_e32 v10, s36, v10
	ds_read_b32 v38, v44 offset:64
	v_and_b32_e32 v10, v42, v10
	v_and_b32_e32 v11, v8, v11
	v_mbcnt_lo_u32_b32 v8, v10, 0
	v_mbcnt_hi_u32_b32 v40, v11, v8
	v_cmp_eq_u32_e64 s[36:37], 0, v40
	v_cmp_ne_u64_e64 s[38:39], 0, v[10:11]
	s_and_b64 s[38:39], s[38:39], s[36:37]
	; wave barrier
	s_and_saveexec_b64 s[36:37], s[38:39]
	s_cbranch_execz .LBB1018_47
; %bb.46:
	v_bcnt_u32_b32 v8, v10, 0
	v_bcnt_u32_b32 v8, v11, v8
	s_waitcnt lgkmcnt(0)
	v_add_u32_e32 v8, v38, v8
	ds_write_b32 v44, v8 offset:64
.LBB1018_47:
	s_or_b64 exec, exec, s[36:37]
	v_lshrrev_b32_e32 v8, s64, v16
	v_and_b32_e32 v43, s71, v8
	v_mul_lo_u32 v8, v43, s40
	v_lshl_add_u32 v46, v39, 2, v8
	v_and_b32_e32 v8, 1, v43
	v_lshl_add_u64 v[10:11], v[8:9], 0, -1
	v_cmp_ne_u32_e64 s[36:37], 0, v8
	; wave barrier
	s_nop 1
	v_xor_b32_e32 v10, s36, v10
	v_xor_b32_e32 v8, s37, v11
	v_and_b32_e32 v45, exec_lo, v10
	v_lshlrev_b32_e32 v11, 30, v43
	v_mov_b32_e32 v10, v9
	v_cmp_gt_i64_e64 s[36:37], 0, v[10:11]
	v_not_b32_e32 v10, v11
	v_ashrrev_i32_e32 v10, 31, v10
	v_and_b32_e32 v8, exec_hi, v8
	v_xor_b32_e32 v11, s37, v10
	v_xor_b32_e32 v10, s36, v10
	v_and_b32_e32 v8, v8, v11
	v_and_b32_e32 v45, v45, v10
	v_lshlrev_b32_e32 v11, 29, v43
	v_mov_b32_e32 v10, v9
	v_cmp_gt_i64_e64 s[36:37], 0, v[10:11]
	v_not_b32_e32 v10, v11
	v_ashrrev_i32_e32 v10, 31, v10
	v_xor_b32_e32 v11, s37, v10
	v_xor_b32_e32 v10, s36, v10
	v_and_b32_e32 v8, v8, v11
	v_and_b32_e32 v45, v45, v10
	v_lshlrev_b32_e32 v11, 28, v43
	v_mov_b32_e32 v10, v9
	v_cmp_gt_i64_e64 s[36:37], 0, v[10:11]
	v_not_b32_e32 v10, v11
	v_ashrrev_i32_e32 v10, 31, v10
	v_xor_b32_e32 v11, s37, v10
	v_xor_b32_e32 v10, s36, v10
	v_and_b32_e32 v8, v8, v11
	v_and_b32_e32 v45, v45, v10
	v_lshlrev_b32_e32 v11, 27, v43
	v_mov_b32_e32 v10, v9
	v_cmp_gt_i64_e64 s[36:37], 0, v[10:11]
	v_not_b32_e32 v10, v11
	v_ashrrev_i32_e32 v10, 31, v10
	v_xor_b32_e32 v11, s37, v10
	v_xor_b32_e32 v10, s36, v10
	v_and_b32_e32 v8, v8, v11
	v_and_b32_e32 v45, v45, v10
	v_lshlrev_b32_e32 v11, 26, v43
	v_mov_b32_e32 v10, v9
	v_cmp_gt_i64_e64 s[36:37], 0, v[10:11]
	v_not_b32_e32 v10, v11
	v_ashrrev_i32_e32 v10, 31, v10
	v_xor_b32_e32 v11, s37, v10
	v_xor_b32_e32 v10, s36, v10
	v_and_b32_e32 v8, v8, v11
	v_and_b32_e32 v45, v45, v10
	v_lshlrev_b32_e32 v11, 25, v43
	v_mov_b32_e32 v10, v9
	v_cmp_gt_i64_e64 s[36:37], 0, v[10:11]
	v_not_b32_e32 v10, v11
	v_ashrrev_i32_e32 v10, 31, v10
	v_xor_b32_e32 v11, s37, v10
	v_xor_b32_e32 v10, s36, v10
	v_and_b32_e32 v8, v8, v11
	v_lshlrev_b32_e32 v11, 24, v43
	v_and_b32_e32 v45, v45, v10
	v_mov_b32_e32 v10, v9
	v_not_b32_e32 v9, v11
	v_cmp_gt_i64_e64 s[36:37], 0, v[10:11]
	v_ashrrev_i32_e32 v9, 31, v9
	ds_read_b32 v42, v46 offset:64
	v_xor_b32_e32 v10, s37, v9
	v_xor_b32_e32 v11, s36, v9
	v_and_b32_e32 v9, v8, v10
	v_and_b32_e32 v8, v45, v11
	v_mbcnt_lo_u32_b32 v10, v8, 0
	v_mbcnt_hi_u32_b32 v43, v9, v10
	v_cmp_eq_u32_e64 s[36:37], 0, v43
	v_cmp_ne_u64_e64 s[38:39], 0, v[8:9]
	s_and_b64 s[38:39], s[38:39], s[36:37]
	; wave barrier
	s_and_saveexec_b64 s[36:37], s[38:39]
	s_cbranch_execz .LBB1018_49
; %bb.48:
	v_bcnt_u32_b32 v8, v8, 0
	v_bcnt_u32_b32 v8, v9, v8
	s_waitcnt lgkmcnt(0)
	v_add_u32_e32 v8, v42, v8
	ds_write_b32 v46, v8 offset:64
.LBB1018_49:
	s_or_b64 exec, exec, s[36:37]
	v_lshrrev_b32_e32 v8, s64, v19
	v_and_b32_e32 v47, s71, v8
	v_mul_lo_u32 v8, v47, s40
	v_lshl_add_u32 v49, v39, 2, v8
	v_and_b32_e32 v8, 1, v47
	v_mov_b32_e32 v9, 0
	v_lshl_add_u64 v[10:11], v[8:9], 0, -1
	v_cmp_ne_u32_e64 s[36:37], 0, v8
	; wave barrier
	s_nop 1
	v_xor_b32_e32 v10, s36, v10
	v_xor_b32_e32 v8, s37, v11
	v_and_b32_e32 v48, exec_lo, v10
	v_lshlrev_b32_e32 v11, 30, v47
	v_mov_b32_e32 v10, v9
	v_cmp_gt_i64_e64 s[36:37], 0, v[10:11]
	v_not_b32_e32 v10, v11
	v_ashrrev_i32_e32 v10, 31, v10
	v_and_b32_e32 v8, exec_hi, v8
	v_xor_b32_e32 v11, s37, v10
	v_xor_b32_e32 v10, s36, v10
	v_and_b32_e32 v8, v8, v11
	v_and_b32_e32 v48, v48, v10
	v_lshlrev_b32_e32 v11, 29, v47
	v_mov_b32_e32 v10, v9
	v_cmp_gt_i64_e64 s[36:37], 0, v[10:11]
	v_not_b32_e32 v10, v11
	v_ashrrev_i32_e32 v10, 31, v10
	v_xor_b32_e32 v11, s37, v10
	v_xor_b32_e32 v10, s36, v10
	v_and_b32_e32 v8, v8, v11
	v_and_b32_e32 v48, v48, v10
	v_lshlrev_b32_e32 v11, 28, v47
	v_mov_b32_e32 v10, v9
	v_cmp_gt_i64_e64 s[36:37], 0, v[10:11]
	v_not_b32_e32 v10, v11
	v_ashrrev_i32_e32 v10, 31, v10
	;; [unrolled: 9-line block ×6, first 2 shown]
	v_xor_b32_e32 v11, s37, v10
	v_xor_b32_e32 v10, s36, v10
	ds_read_b32 v45, v49 offset:64
	v_and_b32_e32 v10, v48, v10
	v_and_b32_e32 v11, v8, v11
	v_mbcnt_lo_u32_b32 v8, v10, 0
	v_mbcnt_hi_u32_b32 v47, v11, v8
	v_cmp_eq_u32_e64 s[36:37], 0, v47
	v_cmp_ne_u64_e64 s[38:39], 0, v[10:11]
	s_and_b64 s[38:39], s[38:39], s[36:37]
	; wave barrier
	s_and_saveexec_b64 s[36:37], s[38:39]
	s_cbranch_execz .LBB1018_51
; %bb.50:
	v_bcnt_u32_b32 v8, v10, 0
	v_bcnt_u32_b32 v8, v11, v8
	s_waitcnt lgkmcnt(0)
	v_add_u32_e32 v8, v45, v8
	ds_write_b32 v49, v8 offset:64
.LBB1018_51:
	s_or_b64 exec, exec, s[36:37]
	v_lshrrev_b32_e32 v8, s64, v18
	v_and_b32_e32 v50, s71, v8
	v_mul_lo_u32 v8, v50, s40
	v_lshl_add_u32 v52, v39, 2, v8
	v_and_b32_e32 v8, 1, v50
	v_lshl_add_u64 v[10:11], v[8:9], 0, -1
	v_cmp_ne_u32_e64 s[36:37], 0, v8
	; wave barrier
	s_nop 1
	v_xor_b32_e32 v10, s36, v10
	v_xor_b32_e32 v8, s37, v11
	v_and_b32_e32 v51, exec_lo, v10
	v_lshlrev_b32_e32 v11, 30, v50
	v_mov_b32_e32 v10, v9
	v_cmp_gt_i64_e64 s[36:37], 0, v[10:11]
	v_not_b32_e32 v10, v11
	v_ashrrev_i32_e32 v10, 31, v10
	v_and_b32_e32 v8, exec_hi, v8
	v_xor_b32_e32 v11, s37, v10
	v_xor_b32_e32 v10, s36, v10
	v_and_b32_e32 v8, v8, v11
	v_and_b32_e32 v51, v51, v10
	v_lshlrev_b32_e32 v11, 29, v50
	v_mov_b32_e32 v10, v9
	v_cmp_gt_i64_e64 s[36:37], 0, v[10:11]
	v_not_b32_e32 v10, v11
	v_ashrrev_i32_e32 v10, 31, v10
	v_xor_b32_e32 v11, s37, v10
	v_xor_b32_e32 v10, s36, v10
	v_and_b32_e32 v8, v8, v11
	v_and_b32_e32 v51, v51, v10
	v_lshlrev_b32_e32 v11, 28, v50
	v_mov_b32_e32 v10, v9
	v_cmp_gt_i64_e64 s[36:37], 0, v[10:11]
	v_not_b32_e32 v10, v11
	v_ashrrev_i32_e32 v10, 31, v10
	v_xor_b32_e32 v11, s37, v10
	v_xor_b32_e32 v10, s36, v10
	v_and_b32_e32 v8, v8, v11
	v_and_b32_e32 v51, v51, v10
	v_lshlrev_b32_e32 v11, 27, v50
	v_mov_b32_e32 v10, v9
	v_cmp_gt_i64_e64 s[36:37], 0, v[10:11]
	v_not_b32_e32 v10, v11
	v_ashrrev_i32_e32 v10, 31, v10
	v_xor_b32_e32 v11, s37, v10
	v_xor_b32_e32 v10, s36, v10
	v_and_b32_e32 v8, v8, v11
	v_and_b32_e32 v51, v51, v10
	v_lshlrev_b32_e32 v11, 26, v50
	v_mov_b32_e32 v10, v9
	v_cmp_gt_i64_e64 s[36:37], 0, v[10:11]
	v_not_b32_e32 v10, v11
	v_ashrrev_i32_e32 v10, 31, v10
	v_xor_b32_e32 v11, s37, v10
	v_xor_b32_e32 v10, s36, v10
	v_and_b32_e32 v8, v8, v11
	v_and_b32_e32 v51, v51, v10
	v_lshlrev_b32_e32 v11, 25, v50
	v_mov_b32_e32 v10, v9
	v_cmp_gt_i64_e64 s[36:37], 0, v[10:11]
	v_not_b32_e32 v10, v11
	v_ashrrev_i32_e32 v10, 31, v10
	v_xor_b32_e32 v11, s37, v10
	v_xor_b32_e32 v10, s36, v10
	v_and_b32_e32 v8, v8, v11
	v_lshlrev_b32_e32 v11, 24, v50
	v_and_b32_e32 v51, v51, v10
	v_mov_b32_e32 v10, v9
	v_not_b32_e32 v9, v11
	v_cmp_gt_i64_e64 s[36:37], 0, v[10:11]
	v_ashrrev_i32_e32 v9, 31, v9
	ds_read_b32 v48, v52 offset:64
	v_xor_b32_e32 v10, s37, v9
	v_xor_b32_e32 v11, s36, v9
	v_and_b32_e32 v9, v8, v10
	v_and_b32_e32 v8, v51, v11
	v_mbcnt_lo_u32_b32 v10, v8, 0
	v_mbcnt_hi_u32_b32 v50, v9, v10
	v_cmp_eq_u32_e64 s[36:37], 0, v50
	v_cmp_ne_u64_e64 s[38:39], 0, v[8:9]
	s_and_b64 s[38:39], s[38:39], s[36:37]
	; wave barrier
	s_and_saveexec_b64 s[36:37], s[38:39]
	s_cbranch_execz .LBB1018_53
; %bb.52:
	v_bcnt_u32_b32 v8, v8, 0
	v_bcnt_u32_b32 v8, v9, v8
	s_waitcnt lgkmcnt(0)
	v_add_u32_e32 v8, v48, v8
	ds_write_b32 v52, v8 offset:64
.LBB1018_53:
	s_or_b64 exec, exec, s[36:37]
	v_lshrrev_b32_e32 v8, s64, v21
	v_and_b32_e32 v53, s71, v8
	v_mul_lo_u32 v8, v53, s40
	v_lshl_add_u32 v55, v39, 2, v8
	v_and_b32_e32 v8, 1, v53
	v_mov_b32_e32 v9, 0
	v_lshl_add_u64 v[10:11], v[8:9], 0, -1
	v_cmp_ne_u32_e64 s[36:37], 0, v8
	; wave barrier
	s_nop 1
	v_xor_b32_e32 v10, s36, v10
	v_xor_b32_e32 v8, s37, v11
	v_and_b32_e32 v54, exec_lo, v10
	v_lshlrev_b32_e32 v11, 30, v53
	v_mov_b32_e32 v10, v9
	v_cmp_gt_i64_e64 s[36:37], 0, v[10:11]
	v_not_b32_e32 v10, v11
	v_ashrrev_i32_e32 v10, 31, v10
	v_and_b32_e32 v8, exec_hi, v8
	v_xor_b32_e32 v11, s37, v10
	v_xor_b32_e32 v10, s36, v10
	v_and_b32_e32 v8, v8, v11
	v_and_b32_e32 v54, v54, v10
	v_lshlrev_b32_e32 v11, 29, v53
	v_mov_b32_e32 v10, v9
	v_cmp_gt_i64_e64 s[36:37], 0, v[10:11]
	v_not_b32_e32 v10, v11
	v_ashrrev_i32_e32 v10, 31, v10
	v_xor_b32_e32 v11, s37, v10
	v_xor_b32_e32 v10, s36, v10
	v_and_b32_e32 v8, v8, v11
	v_and_b32_e32 v54, v54, v10
	v_lshlrev_b32_e32 v11, 28, v53
	v_mov_b32_e32 v10, v9
	v_cmp_gt_i64_e64 s[36:37], 0, v[10:11]
	v_not_b32_e32 v10, v11
	v_ashrrev_i32_e32 v10, 31, v10
	;; [unrolled: 9-line block ×6, first 2 shown]
	v_xor_b32_e32 v11, s37, v10
	v_xor_b32_e32 v10, s36, v10
	ds_read_b32 v51, v55 offset:64
	v_and_b32_e32 v10, v54, v10
	v_and_b32_e32 v11, v8, v11
	v_mbcnt_lo_u32_b32 v8, v10, 0
	v_mbcnt_hi_u32_b32 v53, v11, v8
	v_cmp_eq_u32_e64 s[36:37], 0, v53
	v_cmp_ne_u64_e64 s[38:39], 0, v[10:11]
	s_and_b64 s[38:39], s[38:39], s[36:37]
	; wave barrier
	s_and_saveexec_b64 s[36:37], s[38:39]
	s_cbranch_execz .LBB1018_55
; %bb.54:
	v_bcnt_u32_b32 v8, v10, 0
	v_bcnt_u32_b32 v8, v11, v8
	s_waitcnt lgkmcnt(0)
	v_add_u32_e32 v8, v51, v8
	ds_write_b32 v55, v8 offset:64
.LBB1018_55:
	s_or_b64 exec, exec, s[36:37]
	v_lshrrev_b32_e32 v8, s64, v20
	v_and_b32_e32 v56, s71, v8
	v_mul_lo_u32 v8, v56, s40
	v_lshl_add_u32 v58, v39, 2, v8
	v_and_b32_e32 v8, 1, v56
	v_lshl_add_u64 v[10:11], v[8:9], 0, -1
	v_cmp_ne_u32_e64 s[36:37], 0, v8
	; wave barrier
	s_nop 1
	v_xor_b32_e32 v10, s36, v10
	v_xor_b32_e32 v8, s37, v11
	v_and_b32_e32 v57, exec_lo, v10
	v_lshlrev_b32_e32 v11, 30, v56
	v_mov_b32_e32 v10, v9
	v_cmp_gt_i64_e64 s[36:37], 0, v[10:11]
	v_not_b32_e32 v10, v11
	v_ashrrev_i32_e32 v10, 31, v10
	v_and_b32_e32 v8, exec_hi, v8
	v_xor_b32_e32 v11, s37, v10
	v_xor_b32_e32 v10, s36, v10
	v_and_b32_e32 v8, v8, v11
	v_and_b32_e32 v57, v57, v10
	v_lshlrev_b32_e32 v11, 29, v56
	v_mov_b32_e32 v10, v9
	v_cmp_gt_i64_e64 s[36:37], 0, v[10:11]
	v_not_b32_e32 v10, v11
	v_ashrrev_i32_e32 v10, 31, v10
	v_xor_b32_e32 v11, s37, v10
	v_xor_b32_e32 v10, s36, v10
	v_and_b32_e32 v8, v8, v11
	v_and_b32_e32 v57, v57, v10
	v_lshlrev_b32_e32 v11, 28, v56
	v_mov_b32_e32 v10, v9
	v_cmp_gt_i64_e64 s[36:37], 0, v[10:11]
	v_not_b32_e32 v10, v11
	v_ashrrev_i32_e32 v10, 31, v10
	;; [unrolled: 9-line block ×5, first 2 shown]
	v_xor_b32_e32 v11, s37, v10
	v_xor_b32_e32 v10, s36, v10
	v_and_b32_e32 v8, v8, v11
	v_lshlrev_b32_e32 v11, 24, v56
	v_and_b32_e32 v57, v57, v10
	v_mov_b32_e32 v10, v9
	v_not_b32_e32 v9, v11
	v_cmp_gt_i64_e64 s[36:37], 0, v[10:11]
	v_ashrrev_i32_e32 v9, 31, v9
	ds_read_b32 v54, v58 offset:64
	v_xor_b32_e32 v10, s37, v9
	v_xor_b32_e32 v11, s36, v9
	v_and_b32_e32 v9, v8, v10
	v_and_b32_e32 v8, v57, v11
	v_mbcnt_lo_u32_b32 v10, v8, 0
	v_mbcnt_hi_u32_b32 v56, v9, v10
	v_cmp_eq_u32_e64 s[36:37], 0, v56
	v_cmp_ne_u64_e64 s[38:39], 0, v[8:9]
	s_and_b64 s[38:39], s[38:39], s[36:37]
	; wave barrier
	s_and_saveexec_b64 s[36:37], s[38:39]
	s_cbranch_execz .LBB1018_57
; %bb.56:
	v_bcnt_u32_b32 v8, v8, 0
	v_bcnt_u32_b32 v8, v9, v8
	s_waitcnt lgkmcnt(0)
	v_add_u32_e32 v8, v54, v8
	ds_write_b32 v58, v8 offset:64
.LBB1018_57:
	s_or_b64 exec, exec, s[36:37]
	v_lshrrev_b32_e32 v8, s64, v23
	v_and_b32_e32 v59, s71, v8
	v_mul_lo_u32 v8, v59, s40
	v_lshl_add_u32 v61, v39, 2, v8
	v_and_b32_e32 v8, 1, v59
	v_mov_b32_e32 v9, 0
	v_lshl_add_u64 v[10:11], v[8:9], 0, -1
	v_cmp_ne_u32_e64 s[36:37], 0, v8
	; wave barrier
	s_nop 1
	v_xor_b32_e32 v10, s36, v10
	v_xor_b32_e32 v8, s37, v11
	v_and_b32_e32 v60, exec_lo, v10
	v_lshlrev_b32_e32 v11, 30, v59
	v_mov_b32_e32 v10, v9
	v_cmp_gt_i64_e64 s[36:37], 0, v[10:11]
	v_not_b32_e32 v10, v11
	v_ashrrev_i32_e32 v10, 31, v10
	v_and_b32_e32 v8, exec_hi, v8
	v_xor_b32_e32 v11, s37, v10
	v_xor_b32_e32 v10, s36, v10
	v_and_b32_e32 v8, v8, v11
	v_and_b32_e32 v60, v60, v10
	v_lshlrev_b32_e32 v11, 29, v59
	v_mov_b32_e32 v10, v9
	v_cmp_gt_i64_e64 s[36:37], 0, v[10:11]
	v_not_b32_e32 v10, v11
	v_ashrrev_i32_e32 v10, 31, v10
	v_xor_b32_e32 v11, s37, v10
	v_xor_b32_e32 v10, s36, v10
	v_and_b32_e32 v8, v8, v11
	v_and_b32_e32 v60, v60, v10
	v_lshlrev_b32_e32 v11, 28, v59
	v_mov_b32_e32 v10, v9
	v_cmp_gt_i64_e64 s[36:37], 0, v[10:11]
	v_not_b32_e32 v10, v11
	v_ashrrev_i32_e32 v10, 31, v10
	;; [unrolled: 9-line block ×6, first 2 shown]
	v_xor_b32_e32 v11, s37, v10
	v_xor_b32_e32 v10, s36, v10
	ds_read_b32 v57, v61 offset:64
	v_and_b32_e32 v10, v60, v10
	v_and_b32_e32 v11, v8, v11
	v_mbcnt_lo_u32_b32 v8, v10, 0
	v_mbcnt_hi_u32_b32 v59, v11, v8
	v_cmp_eq_u32_e64 s[36:37], 0, v59
	v_cmp_ne_u64_e64 s[38:39], 0, v[10:11]
	s_and_b64 s[38:39], s[38:39], s[36:37]
	; wave barrier
	s_and_saveexec_b64 s[36:37], s[38:39]
	s_cbranch_execz .LBB1018_59
; %bb.58:
	v_bcnt_u32_b32 v8, v10, 0
	v_bcnt_u32_b32 v8, v11, v8
	s_waitcnt lgkmcnt(0)
	v_add_u32_e32 v8, v57, v8
	ds_write_b32 v61, v8 offset:64
.LBB1018_59:
	s_or_b64 exec, exec, s[36:37]
	v_lshrrev_b32_e32 v8, s64, v22
	v_and_b32_e32 v62, s71, v8
	v_mul_lo_u32 v8, v62, s40
	v_lshl_add_u32 v64, v39, 2, v8
	v_and_b32_e32 v8, 1, v62
	v_lshl_add_u64 v[10:11], v[8:9], 0, -1
	v_cmp_ne_u32_e64 s[36:37], 0, v8
	; wave barrier
	s_nop 1
	v_xor_b32_e32 v10, s36, v10
	v_xor_b32_e32 v8, s37, v11
	v_and_b32_e32 v63, exec_lo, v10
	v_lshlrev_b32_e32 v11, 30, v62
	v_mov_b32_e32 v10, v9
	v_cmp_gt_i64_e64 s[36:37], 0, v[10:11]
	v_not_b32_e32 v10, v11
	v_ashrrev_i32_e32 v10, 31, v10
	v_and_b32_e32 v8, exec_hi, v8
	v_xor_b32_e32 v11, s37, v10
	v_xor_b32_e32 v10, s36, v10
	v_and_b32_e32 v8, v8, v11
	v_and_b32_e32 v63, v63, v10
	v_lshlrev_b32_e32 v11, 29, v62
	v_mov_b32_e32 v10, v9
	v_cmp_gt_i64_e64 s[36:37], 0, v[10:11]
	v_not_b32_e32 v10, v11
	v_ashrrev_i32_e32 v10, 31, v10
	v_xor_b32_e32 v11, s37, v10
	v_xor_b32_e32 v10, s36, v10
	v_and_b32_e32 v8, v8, v11
	v_and_b32_e32 v63, v63, v10
	v_lshlrev_b32_e32 v11, 28, v62
	v_mov_b32_e32 v10, v9
	v_cmp_gt_i64_e64 s[36:37], 0, v[10:11]
	v_not_b32_e32 v10, v11
	v_ashrrev_i32_e32 v10, 31, v10
	;; [unrolled: 9-line block ×5, first 2 shown]
	v_xor_b32_e32 v11, s37, v10
	v_xor_b32_e32 v10, s36, v10
	v_and_b32_e32 v8, v8, v11
	v_lshlrev_b32_e32 v11, 24, v62
	v_and_b32_e32 v63, v63, v10
	v_mov_b32_e32 v10, v9
	v_not_b32_e32 v9, v11
	v_cmp_gt_i64_e64 s[36:37], 0, v[10:11]
	v_ashrrev_i32_e32 v9, 31, v9
	ds_read_b32 v60, v64 offset:64
	v_xor_b32_e32 v10, s37, v9
	v_xor_b32_e32 v11, s36, v9
	v_and_b32_e32 v9, v8, v10
	v_and_b32_e32 v8, v63, v11
	v_mbcnt_lo_u32_b32 v10, v8, 0
	v_mbcnt_hi_u32_b32 v62, v9, v10
	v_cmp_eq_u32_e64 s[36:37], 0, v62
	v_cmp_ne_u64_e64 s[38:39], 0, v[8:9]
	s_and_b64 s[38:39], s[38:39], s[36:37]
	; wave barrier
	s_and_saveexec_b64 s[36:37], s[38:39]
	s_cbranch_execz .LBB1018_61
; %bb.60:
	v_bcnt_u32_b32 v8, v8, 0
	v_bcnt_u32_b32 v8, v9, v8
	s_waitcnt lgkmcnt(0)
	v_add_u32_e32 v8, v60, v8
	ds_write_b32 v64, v8 offset:64
.LBB1018_61:
	s_or_b64 exec, exec, s[36:37]
	v_lshrrev_b32_e32 v8, s64, v25
	v_and_b32_e32 v65, s71, v8
	v_mul_lo_u32 v8, v65, s40
	v_lshl_add_u32 v67, v39, 2, v8
	v_and_b32_e32 v8, 1, v65
	v_mov_b32_e32 v9, 0
	v_lshl_add_u64 v[10:11], v[8:9], 0, -1
	v_cmp_ne_u32_e64 s[36:37], 0, v8
	; wave barrier
	s_nop 1
	v_xor_b32_e32 v10, s36, v10
	v_xor_b32_e32 v8, s37, v11
	v_and_b32_e32 v66, exec_lo, v10
	v_lshlrev_b32_e32 v11, 30, v65
	v_mov_b32_e32 v10, v9
	v_cmp_gt_i64_e64 s[36:37], 0, v[10:11]
	v_not_b32_e32 v10, v11
	v_ashrrev_i32_e32 v10, 31, v10
	v_and_b32_e32 v8, exec_hi, v8
	v_xor_b32_e32 v11, s37, v10
	v_xor_b32_e32 v10, s36, v10
	v_and_b32_e32 v8, v8, v11
	v_and_b32_e32 v66, v66, v10
	v_lshlrev_b32_e32 v11, 29, v65
	v_mov_b32_e32 v10, v9
	v_cmp_gt_i64_e64 s[36:37], 0, v[10:11]
	v_not_b32_e32 v10, v11
	v_ashrrev_i32_e32 v10, 31, v10
	v_xor_b32_e32 v11, s37, v10
	v_xor_b32_e32 v10, s36, v10
	v_and_b32_e32 v8, v8, v11
	v_and_b32_e32 v66, v66, v10
	v_lshlrev_b32_e32 v11, 28, v65
	v_mov_b32_e32 v10, v9
	v_cmp_gt_i64_e64 s[36:37], 0, v[10:11]
	v_not_b32_e32 v10, v11
	v_ashrrev_i32_e32 v10, 31, v10
	;; [unrolled: 9-line block ×6, first 2 shown]
	v_xor_b32_e32 v11, s37, v10
	v_xor_b32_e32 v10, s36, v10
	ds_read_b32 v63, v67 offset:64
	v_and_b32_e32 v10, v66, v10
	v_and_b32_e32 v11, v8, v11
	v_mbcnt_lo_u32_b32 v8, v10, 0
	v_mbcnt_hi_u32_b32 v65, v11, v8
	v_cmp_eq_u32_e64 s[36:37], 0, v65
	v_cmp_ne_u64_e64 s[38:39], 0, v[10:11]
	s_and_b64 s[38:39], s[38:39], s[36:37]
	; wave barrier
	s_and_saveexec_b64 s[36:37], s[38:39]
	s_cbranch_execz .LBB1018_63
; %bb.62:
	v_bcnt_u32_b32 v8, v10, 0
	v_bcnt_u32_b32 v8, v11, v8
	s_waitcnt lgkmcnt(0)
	v_add_u32_e32 v8, v63, v8
	ds_write_b32 v67, v8 offset:64
.LBB1018_63:
	s_or_b64 exec, exec, s[36:37]
	v_lshrrev_b32_e32 v8, s64, v24
	v_and_b32_e32 v68, s71, v8
	v_mul_lo_u32 v8, v68, s40
	v_lshl_add_u32 v70, v39, 2, v8
	v_and_b32_e32 v8, 1, v68
	v_lshl_add_u64 v[10:11], v[8:9], 0, -1
	v_cmp_ne_u32_e64 s[36:37], 0, v8
	; wave barrier
	s_nop 1
	v_xor_b32_e32 v10, s36, v10
	v_xor_b32_e32 v8, s37, v11
	v_and_b32_e32 v69, exec_lo, v10
	v_lshlrev_b32_e32 v11, 30, v68
	v_mov_b32_e32 v10, v9
	v_cmp_gt_i64_e64 s[36:37], 0, v[10:11]
	v_not_b32_e32 v10, v11
	v_ashrrev_i32_e32 v10, 31, v10
	v_and_b32_e32 v8, exec_hi, v8
	v_xor_b32_e32 v11, s37, v10
	v_xor_b32_e32 v10, s36, v10
	v_and_b32_e32 v8, v8, v11
	v_and_b32_e32 v69, v69, v10
	v_lshlrev_b32_e32 v11, 29, v68
	v_mov_b32_e32 v10, v9
	v_cmp_gt_i64_e64 s[36:37], 0, v[10:11]
	v_not_b32_e32 v10, v11
	v_ashrrev_i32_e32 v10, 31, v10
	v_xor_b32_e32 v11, s37, v10
	v_xor_b32_e32 v10, s36, v10
	v_and_b32_e32 v8, v8, v11
	v_and_b32_e32 v69, v69, v10
	v_lshlrev_b32_e32 v11, 28, v68
	v_mov_b32_e32 v10, v9
	v_cmp_gt_i64_e64 s[36:37], 0, v[10:11]
	v_not_b32_e32 v10, v11
	v_ashrrev_i32_e32 v10, 31, v10
	;; [unrolled: 9-line block ×5, first 2 shown]
	v_xor_b32_e32 v11, s37, v10
	v_xor_b32_e32 v10, s36, v10
	v_and_b32_e32 v8, v8, v11
	v_lshlrev_b32_e32 v11, 24, v68
	v_and_b32_e32 v69, v69, v10
	v_mov_b32_e32 v10, v9
	v_not_b32_e32 v9, v11
	v_cmp_gt_i64_e64 s[36:37], 0, v[10:11]
	v_ashrrev_i32_e32 v9, 31, v9
	ds_read_b32 v66, v70 offset:64
	v_xor_b32_e32 v10, s37, v9
	v_xor_b32_e32 v11, s36, v9
	v_and_b32_e32 v9, v8, v10
	v_and_b32_e32 v8, v69, v11
	v_mbcnt_lo_u32_b32 v10, v8, 0
	v_mbcnt_hi_u32_b32 v68, v9, v10
	v_cmp_eq_u32_e64 s[36:37], 0, v68
	v_cmp_ne_u64_e64 s[38:39], 0, v[8:9]
	s_and_b64 s[38:39], s[38:39], s[36:37]
	; wave barrier
	s_and_saveexec_b64 s[36:37], s[38:39]
	s_cbranch_execz .LBB1018_65
; %bb.64:
	v_bcnt_u32_b32 v8, v8, 0
	v_bcnt_u32_b32 v8, v9, v8
	s_waitcnt lgkmcnt(0)
	v_add_u32_e32 v8, v66, v8
	ds_write_b32 v70, v8 offset:64
.LBB1018_65:
	s_or_b64 exec, exec, s[36:37]
	v_lshrrev_b32_e32 v8, s64, v27
	v_and_b32_e32 v71, s71, v8
	v_mul_lo_u32 v8, v71, s40
	v_lshl_add_u32 v72, v39, 2, v8
	v_and_b32_e32 v8, 1, v71
	v_mov_b32_e32 v9, 0
	v_lshl_add_u64 v[10:11], v[8:9], 0, -1
	v_cmp_ne_u32_e64 s[36:37], 0, v8
	; wave barrier
	s_nop 1
	v_xor_b32_e32 v10, s36, v10
	v_xor_b32_e32 v8, s37, v11
	v_and_b32_e32 v73, exec_lo, v10
	v_lshlrev_b32_e32 v11, 30, v71
	v_mov_b32_e32 v10, v9
	v_cmp_gt_i64_e64 s[36:37], 0, v[10:11]
	v_not_b32_e32 v10, v11
	v_ashrrev_i32_e32 v10, 31, v10
	v_and_b32_e32 v8, exec_hi, v8
	v_xor_b32_e32 v11, s37, v10
	v_xor_b32_e32 v10, s36, v10
	v_and_b32_e32 v8, v8, v11
	v_and_b32_e32 v73, v73, v10
	v_lshlrev_b32_e32 v11, 29, v71
	v_mov_b32_e32 v10, v9
	v_cmp_gt_i64_e64 s[36:37], 0, v[10:11]
	v_not_b32_e32 v10, v11
	v_ashrrev_i32_e32 v10, 31, v10
	v_xor_b32_e32 v11, s37, v10
	v_xor_b32_e32 v10, s36, v10
	v_and_b32_e32 v8, v8, v11
	v_and_b32_e32 v73, v73, v10
	v_lshlrev_b32_e32 v11, 28, v71
	v_mov_b32_e32 v10, v9
	v_cmp_gt_i64_e64 s[36:37], 0, v[10:11]
	v_not_b32_e32 v10, v11
	v_ashrrev_i32_e32 v10, 31, v10
	;; [unrolled: 9-line block ×6, first 2 shown]
	v_xor_b32_e32 v11, s37, v10
	v_xor_b32_e32 v10, s36, v10
	ds_read_b32 v69, v72 offset:64
	v_and_b32_e32 v10, v73, v10
	v_and_b32_e32 v11, v8, v11
	v_mbcnt_lo_u32_b32 v8, v10, 0
	v_mbcnt_hi_u32_b32 v71, v11, v8
	v_cmp_eq_u32_e64 s[36:37], 0, v71
	v_cmp_ne_u64_e64 s[38:39], 0, v[10:11]
	s_and_b64 s[38:39], s[38:39], s[36:37]
	; wave barrier
	s_and_saveexec_b64 s[36:37], s[38:39]
	s_cbranch_execz .LBB1018_67
; %bb.66:
	v_bcnt_u32_b32 v8, v10, 0
	v_bcnt_u32_b32 v8, v11, v8
	s_waitcnt lgkmcnt(0)
	v_add_u32_e32 v8, v69, v8
	ds_write_b32 v72, v8 offset:64
.LBB1018_67:
	s_or_b64 exec, exec, s[36:37]
	v_lshrrev_b32_e32 v8, s64, v26
	v_and_b32_e32 v73, s71, v8
	v_mul_lo_u32 v8, v73, s40
	v_lshl_add_u32 v74, v39, 2, v8
	v_and_b32_e32 v8, 1, v73
	v_lshl_add_u64 v[10:11], v[8:9], 0, -1
	v_cmp_ne_u32_e64 s[36:37], 0, v8
	; wave barrier
	s_nop 1
	v_xor_b32_e32 v10, s36, v10
	v_xor_b32_e32 v8, s37, v11
	v_and_b32_e32 v75, exec_lo, v10
	v_lshlrev_b32_e32 v11, 30, v73
	v_mov_b32_e32 v10, v9
	v_cmp_gt_i64_e64 s[36:37], 0, v[10:11]
	v_not_b32_e32 v10, v11
	v_ashrrev_i32_e32 v10, 31, v10
	v_and_b32_e32 v8, exec_hi, v8
	v_xor_b32_e32 v11, s37, v10
	v_xor_b32_e32 v10, s36, v10
	v_and_b32_e32 v8, v8, v11
	v_and_b32_e32 v75, v75, v10
	v_lshlrev_b32_e32 v11, 29, v73
	v_mov_b32_e32 v10, v9
	v_cmp_gt_i64_e64 s[36:37], 0, v[10:11]
	v_not_b32_e32 v10, v11
	v_ashrrev_i32_e32 v10, 31, v10
	v_xor_b32_e32 v11, s37, v10
	v_xor_b32_e32 v10, s36, v10
	v_and_b32_e32 v8, v8, v11
	v_and_b32_e32 v75, v75, v10
	v_lshlrev_b32_e32 v11, 28, v73
	v_mov_b32_e32 v10, v9
	v_cmp_gt_i64_e64 s[36:37], 0, v[10:11]
	v_not_b32_e32 v10, v11
	v_ashrrev_i32_e32 v10, 31, v10
	;; [unrolled: 9-line block ×5, first 2 shown]
	v_xor_b32_e32 v11, s37, v10
	v_xor_b32_e32 v10, s36, v10
	v_and_b32_e32 v8, v8, v11
	v_lshlrev_b32_e32 v11, 24, v73
	v_and_b32_e32 v75, v75, v10
	v_mov_b32_e32 v10, v9
	v_not_b32_e32 v9, v11
	v_cmp_gt_i64_e64 s[36:37], 0, v[10:11]
	v_ashrrev_i32_e32 v9, 31, v9
	ds_read_b32 v39, v74 offset:64
	v_xor_b32_e32 v10, s37, v9
	v_xor_b32_e32 v11, s36, v9
	v_and_b32_e32 v9, v8, v10
	v_and_b32_e32 v8, v75, v11
	v_mbcnt_lo_u32_b32 v10, v8, 0
	v_mbcnt_hi_u32_b32 v73, v9, v10
	v_cmp_eq_u32_e64 s[36:37], 0, v73
	v_cmp_ne_u64_e64 s[38:39], 0, v[8:9]
	s_and_b64 s[38:39], s[38:39], s[36:37]
	; wave barrier
	s_and_saveexec_b64 s[36:37], s[38:39]
	s_cbranch_execz .LBB1018_69
; %bb.68:
	v_bcnt_u32_b32 v8, v8, 0
	v_bcnt_u32_b32 v8, v9, v8
	s_waitcnt lgkmcnt(0)
	v_add_u32_e32 v8, v39, v8
	ds_write_b32 v74, v8 offset:64
.LBB1018_69:
	s_or_b64 exec, exec, s[36:37]
	; wave barrier
	s_waitcnt lgkmcnt(0)
	s_barrier
	ds_read2_b32 v[10:11], v13 offset0:16 offset1:17
	ds_read2_b32 v[8:9], v13 offset0:18 offset1:19
	ds_read_b32 v75, v13 offset:80
	v_cmp_lt_u32_e64 s[46:47], 31, v12
	s_waitcnt lgkmcnt(1)
	v_add3_u32 v76, v11, v10, v8
	s_waitcnt lgkmcnt(0)
	v_add3_u32 v75, v76, v9, v75
	v_and_b32_e32 v76, 15, v12
	v_cmp_eq_u32_e64 s[36:37], 0, v76
	v_mov_b32_dpp v77, v75 row_shr:1 row_mask:0xf bank_mask:0xf
	v_cmp_lt_u32_e64 s[38:39], 1, v76
	v_cndmask_b32_e64 v77, v77, 0, s[36:37]
	v_add_u32_e32 v75, v77, v75
	v_cmp_lt_u32_e64 s[40:41], 3, v76
	v_cmp_lt_u32_e64 s[42:43], 7, v76
	v_mov_b32_dpp v77, v75 row_shr:2 row_mask:0xf bank_mask:0xf
	v_cndmask_b32_e64 v77, 0, v77, s[38:39]
	v_add_u32_e32 v75, v75, v77
	s_nop 1
	v_mov_b32_dpp v77, v75 row_shr:4 row_mask:0xf bank_mask:0xf
	v_cndmask_b32_e64 v77, 0, v77, s[40:41]
	v_add_u32_e32 v75, v75, v77
	s_nop 1
	v_mov_b32_dpp v77, v75 row_shr:8 row_mask:0xf bank_mask:0xf
	v_cndmask_b32_e64 v76, 0, v77, s[42:43]
	v_add_u32_e32 v75, v75, v76
	v_bfe_i32 v77, v12, 4, 1
	s_nop 0
	v_mov_b32_dpp v76, v75 row_bcast:15 row_mask:0xf bank_mask:0xf
	v_and_b32_e32 v76, v77, v76
	v_add_u32_e32 v75, v75, v76
	v_and_b32_e32 v77, 63, v2
	s_nop 0
	v_mov_b32_dpp v76, v75 row_bcast:31 row_mask:0xf bank_mask:0xf
	v_cndmask_b32_e64 v76, 0, v76, s[46:47]
	v_add_u32_e32 v75, v75, v76
	v_lshrrev_b32_e32 v76, 6, v2
	v_cmp_eq_u32_e64 s[46:47], 63, v77
	s_and_saveexec_b64 s[48:49], s[46:47]
; %bb.70:
	v_lshlrev_b32_e32 v77, 2, v76
	ds_write_b32 v77, v75
; %bb.71:
	s_or_b64 exec, exec, s[48:49]
	v_cmp_gt_u32_e64 s[46:47], 16, v2
	s_waitcnt lgkmcnt(0)
	s_barrier
	s_and_saveexec_b64 s[48:49], s[46:47]
	s_cbranch_execz .LBB1018_73
; %bb.72:
	v_lshlrev_b32_e32 v77, 2, v2
	ds_read_b32 v78, v77
	s_waitcnt lgkmcnt(0)
	s_nop 0
	v_mov_b32_dpp v79, v78 row_shr:1 row_mask:0xf bank_mask:0xf
	v_cndmask_b32_e64 v79, v79, 0, s[36:37]
	v_add_u32_e32 v78, v79, v78
	s_nop 1
	v_mov_b32_dpp v79, v78 row_shr:2 row_mask:0xf bank_mask:0xf
	v_cndmask_b32_e64 v79, 0, v79, s[38:39]
	v_add_u32_e32 v78, v78, v79
	;; [unrolled: 4-line block ×4, first 2 shown]
	ds_write_b32 v77, v78
.LBB1018_73:
	s_or_b64 exec, exec, s[48:49]
	v_cmp_lt_u32_e64 s[36:37], 63, v2
	v_mov_b32_e32 v77, 0
	s_waitcnt lgkmcnt(0)
	s_barrier
	s_and_saveexec_b64 s[38:39], s[36:37]
; %bb.74:
	v_lshl_add_u32 v76, v76, 2, -4
	ds_read_b32 v77, v76
; %bb.75:
	s_or_b64 exec, exec, s[38:39]
	v_subrev_co_u32_e64 v76, s[36:37], 1, v12
	v_and_b32_e32 v78, 64, v12
	v_cmp_lt_i32_e64 s[38:39], v76, v78
	s_waitcnt lgkmcnt(0)
	v_add_u32_e32 v75, v77, v75
	s_movk_i32 s40, 0x100
	v_cndmask_b32_e64 v12, v76, v12, s[38:39]
	v_lshlrev_b32_e32 v12, 2, v12
	ds_bpermute_b32 v12, v12, v75
	v_cmp_gt_u32_e64 s[38:39], s40, v2
	s_waitcnt lgkmcnt(0)
	v_cndmask_b32_e64 v12, v12, v77, s[36:37]
	v_cndmask_b32_e64 v12, v12, 0, s[44:45]
	v_add_u32_e32 v10, v12, v10
	v_add_u32_e32 v11, v10, v11
	;; [unrolled: 1-line block ×4, first 2 shown]
	ds_write2_b32 v13, v12, v10 offset0:16 offset1:17
	ds_write2_b32 v13, v11, v8 offset0:18 offset1:19
	ds_write_b32 v13, v9 offset:80
	s_waitcnt lgkmcnt(0)
	s_barrier
	ds_read_b32 v84, v32 offset:64
	ds_read_b32 v75, v34 offset:64
	;; [unrolled: 1-line block ×16, first 2 shown]
	s_movk_i32 s36, 0xff
	v_cmp_lt_u32_e64 s[36:37], s36, v2
                                        ; implicit-def: $vgpr32
                                        ; implicit-def: $vgpr34
	s_and_saveexec_b64 s[42:43], s[38:39]
	s_cbranch_execz .LBB1018_79
; %bb.76:
	v_mul_u32_u24_e32 v8, 0x44, v2
	ds_read_b32 v32, v8 offset:64
	v_add_u32_e32 v9, 1, v2
	v_cmp_ne_u32_e64 s[40:41], s40, v9
	v_mov_b32_e32 v8, 0x4000
	s_and_saveexec_b64 s[46:47], s[40:41]
; %bb.77:
	v_mul_u32_u24_e32 v8, 0x44, v9
	ds_read_b32 v8, v8 offset:64
; %bb.78:
	s_or_b64 exec, exec, s[46:47]
	s_waitcnt lgkmcnt(0)
	v_sub_u32_e32 v34, v8, v32
.LBB1018_79:
	s_or_b64 exec, exec, s[42:43]
	v_mov_b32_e32 v9, 0
	v_lshlrev_b32_e32 v37, 2, v2
	s_waitcnt lgkmcnt(0)
	s_barrier
	s_and_saveexec_b64 s[40:41], s[38:39]
	s_cbranch_execz .LBB1018_89
; %bb.80:
	v_lshl_add_u32 v8, s33, 8, v2
	v_lshl_add_u64 v[10:11], v[8:9], 2, s[68:69]
	v_or_b32_e32 v8, 2.0, v34
	s_mov_b64 s[42:43], 0
	s_brev_b32 s50, -4
	s_mov_b32 s51, s33
	v_mov_b32_e32 v55, 0
	global_store_dword v[10:11], v8, off sc1
                                        ; implicit-def: $sgpr38_sgpr39
	s_branch .LBB1018_83
.LBB1018_81:                            ;   in Loop: Header=BB1018_83 Depth=1
	s_or_b64 exec, exec, s[48:49]
.LBB1018_82:                            ;   in Loop: Header=BB1018_83 Depth=1
	s_or_b64 exec, exec, s[46:47]
	v_and_b32_e32 v12, 0x3fffffff, v8
	v_add_u32_e32 v55, v12, v55
	v_cmp_gt_i32_e64 s[38:39], -2.0, v8
	s_and_b64 s[46:47], exec, s[38:39]
	s_or_b64 s[42:43], s[46:47], s[42:43]
	s_andn2_b64 exec, exec, s[42:43]
	s_cbranch_execz .LBB1018_88
.LBB1018_83:                            ; =>This Loop Header: Depth=1
                                        ;     Child Loop BB1018_86 Depth 2
	s_or_b64 s[38:39], s[38:39], exec
	s_cmp_eq_u32 s51, 0
	s_cbranch_scc1 .LBB1018_87
; %bb.84:                               ;   in Loop: Header=BB1018_83 Depth=1
	s_add_i32 s51, s51, -1
	v_lshl_or_b32 v8, s51, 8, v2
	v_lshl_add_u64 v[12:13], v[8:9], 2, s[68:69]
	global_load_dword v8, v[12:13], off sc1
	s_waitcnt vmcnt(0)
	v_cmp_gt_u32_e64 s[38:39], 2.0, v8
	s_and_saveexec_b64 s[46:47], s[38:39]
	s_cbranch_execz .LBB1018_82
; %bb.85:                               ;   in Loop: Header=BB1018_83 Depth=1
	s_mov_b64 s[48:49], 0
.LBB1018_86:                            ;   Parent Loop BB1018_83 Depth=1
                                        ; =>  This Inner Loop Header: Depth=2
	global_load_dword v8, v[12:13], off sc1
	s_waitcnt vmcnt(0)
	v_cmp_lt_u32_e64 s[38:39], s50, v8
	s_or_b64 s[48:49], s[38:39], s[48:49]
	s_andn2_b64 exec, exec, s[48:49]
	s_cbranch_execnz .LBB1018_86
	s_branch .LBB1018_81
.LBB1018_87:                            ;   in Loop: Header=BB1018_83 Depth=1
                                        ; implicit-def: $sgpr51
	s_and_b64 s[46:47], exec, s[38:39]
	s_or_b64 s[42:43], s[46:47], s[42:43]
	s_andn2_b64 exec, exec, s[42:43]
	s_cbranch_execnz .LBB1018_83
.LBB1018_88:
	s_or_b64 exec, exec, s[42:43]
	v_add_u32_e32 v8, v55, v34
	v_or_b32_e32 v8, 0x80000000, v8
	global_store_dword v[10:11], v8, off sc1
	global_load_dword v8, v37, s[60:61]
	v_sub_u32_e32 v9, v55, v32
	s_waitcnt vmcnt(0)
	v_add_u32_e32 v8, v9, v8
	ds_write_b32 v37, v8
.LBB1018_89:
	s_or_b64 exec, exec, s[40:41]
	v_add_u32_e32 v10, v84, v29
	v_add3_u32 v8, v30, v28, v75
	v_add3_u32 v9, v33, v31, v76
	v_add3_u32 v61, v36, v35, v77
	v_add3_u32 v64, v40, v38, v78
	v_add3_u32 v67, v43, v42, v79
	v_add3_u32 v70, v47, v45, v80
	v_add3_u32 v72, v50, v48, v81
	v_add3_u32 v74, v53, v51, v82
	v_add3_u32 v84, v56, v54, v83
	v_add3_u32 v55, v59, v57, v58
	v_add3_u32 v85, v62, v60, v52
	v_add3_u32 v86, v65, v63, v46
	v_add3_u32 v87, v68, v66, v41
	v_add3_u32 v13, v71, v69, v44
	v_add3_u32 v11, v73, v39, v49
	v_mov_b32_e32 v88, 0x400
	s_movk_i32 s42, 0x400
	v_lshl_add_u32 v11, v11, 2, v88
	v_add3_u32 v12, v73, v49, v39
	v_lshl_add_u32 v13, v13, 2, v88
	v_add3_u32 v29, v71, v44, v69
	;; [unrolled: 2-line block ×15, first 2 shown]
	v_lshl_add_u32 v30, v10, 2, v88
	s_mov_b32 s43, 0
	s_mov_b32 s46, 0
	s_movk_i32 s47, 0x1000
	v_mov_b32_e32 v9, 0
	s_movk_i32 s48, 0x800
	s_movk_i32 s49, 0xc00
	v_mov_b32_e32 v59, v2
	s_mov_b32 s50, 0
	s_branch .LBB1018_91
.LBB1018_90:                            ;   in Loop: Header=BB1018_91 Depth=1
	s_or_b64 exec, exec, s[40:41]
	s_addk_i32 s50, 0xc000
	s_add_i32 s43, s43, 16
	s_addk_i32 s46, 0xf000
	s_cmp_eq_u32 s50, 0xffff0000
	v_add_u32_e32 v59, 0x1000, v59
	s_barrier
	s_cbranch_scc1 .LBB1018_131
.LBB1018_91:                            ; =>This Inner Loop Header: Depth=1
	v_add_u32_e32 v8, s46, v10
	v_cmp_gt_u32_e64 s[38:39], s47, v8
	s_and_saveexec_b64 s[40:41], s[38:39]
; %bb.92:                               ;   in Loop: Header=BB1018_91 Depth=1
	v_add_u32_e32 v8, s50, v30
	ds_write_b32 v8, v5
; %bb.93:                               ;   in Loop: Header=BB1018_91 Depth=1
	s_or_b64 exec, exec, s[40:41]
	v_add_u32_e32 v8, s46, v28
	v_cmp_gt_u32_e64 s[38:39], s47, v8
	s_and_saveexec_b64 s[40:41], s[38:39]
; %bb.94:                               ;   in Loop: Header=BB1018_91 Depth=1
	v_add_u32_e32 v8, s50, v33
	ds_write_b32 v8, v14
; %bb.95:                               ;   in Loop: Header=BB1018_91 Depth=1
	s_or_b64 exec, exec, s[40:41]
	;; [unrolled: 8-line block ×4, first 2 shown]
	v_add_u32_e32 v8, s46, v38
	v_cmp_gt_u32_e64 s[38:39], s47, v8
	s_and_saveexec_b64 s[40:41], s[38:39]
; %bb.100:                              ;   in Loop: Header=BB1018_91 Depth=1
	v_add_u32_e32 v8, s50, v43
	ds_write_b32 v8, v17
; %bb.101:                              ;   in Loop: Header=BB1018_91 Depth=1
	s_or_b64 exec, exec, s[40:41]
	v_add_u32_e32 v8, s46, v42
	v_cmp_gt_u32_e64 s[38:39], s47, v8
	s_and_saveexec_b64 s[40:41], s[38:39]
; %bb.102:                              ;   in Loop: Header=BB1018_91 Depth=1
	v_add_u32_e32 v8, s50, v47
	ds_write_b32 v8, v16
; %bb.103:                              ;   in Loop: Header=BB1018_91 Depth=1
	s_or_b64 exec, exec, s[40:41]
	;; [unrolled: 8-line block ×12, first 2 shown]
	v_cmp_gt_u32_e64 s[38:39], s3, v59
	s_waitcnt lgkmcnt(0)
	s_barrier
	s_and_saveexec_b64 s[40:41], s[38:39]
	s_cbranch_execz .LBB1018_125
; %bb.124:                              ;   in Loop: Header=BB1018_91 Depth=1
	ds_read_b32 v8, v37 offset:1024
	s_waitcnt lgkmcnt(0)
	v_lshrrev_b32_e32 v60, s64, v8
	v_and_b32_e32 v62, s71, v60
	v_lshlrev_b32_e32 v60, 2, v62
	ds_read_b32 v60, v60
	v_xor_b32_e32 v63, 0x7fffffff, v8
	s_waitcnt lgkmcnt(0)
	v_add_u32_e32 v8, v59, v60
	v_lshl_add_u64 v[60:61], v[8:9], 2, s[54:55]
	global_store_dword v[60:61], v63, off
	scratch_store_dword off, v62, s43
.LBB1018_125:                           ;   in Loop: Header=BB1018_91 Depth=1
	s_or_b64 exec, exec, s[40:41]
	v_add_u32_e32 v8, 0x400, v59
	v_cmp_gt_u32_e64 s[38:39], s3, v8
	s_and_saveexec_b64 s[40:41], s[38:39]
	s_cbranch_execz .LBB1018_127
; %bb.126:                              ;   in Loop: Header=BB1018_91 Depth=1
	ds_read_b32 v8, v37 offset:5120
	s_add_i32 s38, s43, 4
	s_waitcnt lgkmcnt(0)
	v_lshrrev_b32_e32 v60, s64, v8
	v_and_b32_e32 v62, s71, v60
	v_lshlrev_b32_e32 v60, 2, v62
	ds_read_b32 v60, v60
	v_xor_b32_e32 v63, 0x7fffffff, v8
	s_waitcnt lgkmcnt(0)
	v_add3_u32 v8, v59, v60, s42
	v_lshl_add_u64 v[60:61], v[8:9], 2, s[54:55]
	global_store_dword v[60:61], v63, off
	scratch_store_dword off, v62, s38
.LBB1018_127:                           ;   in Loop: Header=BB1018_91 Depth=1
	s_or_b64 exec, exec, s[40:41]
	v_add_u32_e32 v8, 0x800, v59
	v_cmp_gt_u32_e64 s[38:39], s3, v8
	s_and_saveexec_b64 s[40:41], s[38:39]
	s_cbranch_execz .LBB1018_129
; %bb.128:                              ;   in Loop: Header=BB1018_91 Depth=1
	ds_read_b32 v8, v37 offset:9216
	s_add_i32 s38, s43, 8
	s_waitcnt lgkmcnt(0)
	v_lshrrev_b32_e32 v60, s64, v8
	v_and_b32_e32 v62, s71, v60
	v_lshlrev_b32_e32 v60, 2, v62
	ds_read_b32 v60, v60
	v_xor_b32_e32 v63, 0x7fffffff, v8
	s_waitcnt lgkmcnt(0)
	v_add3_u32 v8, v59, v60, s48
	v_lshl_add_u64 v[60:61], v[8:9], 2, s[54:55]
	global_store_dword v[60:61], v63, off
	scratch_store_dword off, v62, s38
.LBB1018_129:                           ;   in Loop: Header=BB1018_91 Depth=1
	s_or_b64 exec, exec, s[40:41]
	v_add_u32_e32 v8, 0xc00, v59
	v_cmp_gt_u32_e64 s[38:39], s3, v8
	s_and_saveexec_b64 s[40:41], s[38:39]
	s_cbranch_execz .LBB1018_90
; %bb.130:                              ;   in Loop: Header=BB1018_91 Depth=1
	ds_read_b32 v8, v37 offset:13312
	s_add_i32 s38, s43, 12
	s_waitcnt lgkmcnt(0)
	v_lshrrev_b32_e32 v60, s64, v8
	v_and_b32_e32 v62, s71, v60
	v_lshlrev_b32_e32 v60, 2, v62
	ds_read_b32 v60, v60
	v_xor_b32_e32 v63, 0x7fffffff, v8
	s_waitcnt lgkmcnt(0)
	v_add3_u32 v8, v59, v60, s49
	v_lshl_add_u64 v[60:61], v[8:9], 2, s[54:55]
	global_store_dword v[60:61], v63, off
	scratch_store_dword off, v62, s38
	s_branch .LBB1018_90
.LBB1018_131:
	s_add_u32 s38, s56, s66
	s_addc_u32 s39, s57, s67
	v_mov_b32_e32 v5, 0
	v_lshl_add_u64 v[8:9], s[38:39], 0, v[4:5]
	v_mov_b32_e32 v7, v5
	v_lshl_add_u64 v[4:5], v[8:9], 0, v[6:7]
                                        ; implicit-def: $vgpr6
	s_and_saveexec_b64 s[38:39], vcc
	s_cbranch_execz .LBB1018_147
; %bb.132:
	global_load_dword v6, v[4:5], off
	s_or_b64 exec, exec, s[38:39]
                                        ; implicit-def: $vgpr7
	s_and_saveexec_b64 s[38:39], s[4:5]
	s_cbranch_execnz .LBB1018_148
.LBB1018_133:
	s_or_b64 exec, exec, s[38:39]
                                        ; implicit-def: $vgpr8
	s_and_saveexec_b64 s[4:5], s[6:7]
	s_cbranch_execz .LBB1018_149
.LBB1018_134:
	global_load_dword v8, v[4:5], off offset:512
	s_or_b64 exec, exec, s[4:5]
                                        ; implicit-def: $vgpr9
	s_and_saveexec_b64 s[4:5], s[8:9]
	s_cbranch_execnz .LBB1018_150
.LBB1018_135:
	s_or_b64 exec, exec, s[4:5]
                                        ; implicit-def: $vgpr14
	s_and_saveexec_b64 s[4:5], s[10:11]
	s_cbranch_execz .LBB1018_151
.LBB1018_136:
	global_load_dword v14, v[4:5], off offset:1024
	s_or_b64 exec, exec, s[4:5]
                                        ; implicit-def: $vgpr15
	s_and_saveexec_b64 s[4:5], s[12:13]
	s_cbranch_execnz .LBB1018_152
.LBB1018_137:
	s_or_b64 exec, exec, s[4:5]
                                        ; implicit-def: $vgpr16
	s_and_saveexec_b64 s[4:5], s[14:15]
	s_cbranch_execz .LBB1018_153
.LBB1018_138:
	global_load_dword v16, v[4:5], off offset:1536
	s_or_b64 exec, exec, s[4:5]
                                        ; implicit-def: $vgpr17
	s_and_saveexec_b64 s[4:5], s[16:17]
	s_cbranch_execnz .LBB1018_154
.LBB1018_139:
	s_or_b64 exec, exec, s[4:5]
                                        ; implicit-def: $vgpr18
	s_and_saveexec_b64 s[4:5], s[18:19]
	s_cbranch_execz .LBB1018_155
.LBB1018_140:
	global_load_dword v18, v[4:5], off offset:2048
	s_or_b64 exec, exec, s[4:5]
                                        ; implicit-def: $vgpr19
	s_and_saveexec_b64 s[4:5], s[20:21]
	s_cbranch_execnz .LBB1018_156
.LBB1018_141:
	s_or_b64 exec, exec, s[4:5]
                                        ; implicit-def: $vgpr20
	s_and_saveexec_b64 s[4:5], s[22:23]
	s_cbranch_execz .LBB1018_157
.LBB1018_142:
	global_load_dword v20, v[4:5], off offset:2560
	s_or_b64 exec, exec, s[4:5]
                                        ; implicit-def: $vgpr21
	s_and_saveexec_b64 s[4:5], s[24:25]
	s_cbranch_execnz .LBB1018_158
.LBB1018_143:
	s_or_b64 exec, exec, s[4:5]
                                        ; implicit-def: $vgpr22
	s_and_saveexec_b64 s[4:5], s[26:27]
	s_cbranch_execz .LBB1018_159
.LBB1018_144:
	global_load_dword v22, v[4:5], off offset:3072
	s_or_b64 exec, exec, s[4:5]
                                        ; implicit-def: $vgpr23
	s_and_saveexec_b64 s[4:5], s[28:29]
	s_cbranch_execnz .LBB1018_160
.LBB1018_145:
	s_or_b64 exec, exec, s[4:5]
                                        ; implicit-def: $vgpr24
	s_and_saveexec_b64 s[4:5], s[30:31]
	s_cbranch_execz .LBB1018_161
.LBB1018_146:
	global_load_dword v24, v[4:5], off offset:3584
	s_or_b64 exec, exec, s[4:5]
                                        ; implicit-def: $vgpr25
	s_and_saveexec_b64 s[4:5], s[34:35]
	s_cbranch_execnz .LBB1018_162
	s_branch .LBB1018_163
.LBB1018_147:
	s_or_b64 exec, exec, s[38:39]
                                        ; implicit-def: $vgpr7
	s_and_saveexec_b64 s[38:39], s[4:5]
	s_cbranch_execz .LBB1018_133
.LBB1018_148:
	global_load_dword v7, v[4:5], off offset:256
	s_or_b64 exec, exec, s[38:39]
                                        ; implicit-def: $vgpr8
	s_and_saveexec_b64 s[4:5], s[6:7]
	s_cbranch_execnz .LBB1018_134
.LBB1018_149:
	s_or_b64 exec, exec, s[4:5]
                                        ; implicit-def: $vgpr9
	s_and_saveexec_b64 s[4:5], s[8:9]
	s_cbranch_execz .LBB1018_135
.LBB1018_150:
	global_load_dword v9, v[4:5], off offset:768
	s_or_b64 exec, exec, s[4:5]
                                        ; implicit-def: $vgpr14
	s_and_saveexec_b64 s[4:5], s[10:11]
	s_cbranch_execnz .LBB1018_136
.LBB1018_151:
	s_or_b64 exec, exec, s[4:5]
                                        ; implicit-def: $vgpr15
	s_and_saveexec_b64 s[4:5], s[12:13]
	s_cbranch_execz .LBB1018_137
.LBB1018_152:
	global_load_dword v15, v[4:5], off offset:1280
	s_or_b64 exec, exec, s[4:5]
                                        ; implicit-def: $vgpr16
	s_and_saveexec_b64 s[4:5], s[14:15]
	s_cbranch_execnz .LBB1018_138
.LBB1018_153:
	s_or_b64 exec, exec, s[4:5]
                                        ; implicit-def: $vgpr17
	s_and_saveexec_b64 s[4:5], s[16:17]
	s_cbranch_execz .LBB1018_139
.LBB1018_154:
	global_load_dword v17, v[4:5], off offset:1792
	s_or_b64 exec, exec, s[4:5]
                                        ; implicit-def: $vgpr18
	s_and_saveexec_b64 s[4:5], s[18:19]
	s_cbranch_execnz .LBB1018_140
.LBB1018_155:
	s_or_b64 exec, exec, s[4:5]
                                        ; implicit-def: $vgpr19
	s_and_saveexec_b64 s[4:5], s[20:21]
	s_cbranch_execz .LBB1018_141
.LBB1018_156:
	global_load_dword v19, v[4:5], off offset:2304
	s_or_b64 exec, exec, s[4:5]
                                        ; implicit-def: $vgpr20
	s_and_saveexec_b64 s[4:5], s[22:23]
	s_cbranch_execnz .LBB1018_142
.LBB1018_157:
	s_or_b64 exec, exec, s[4:5]
                                        ; implicit-def: $vgpr21
	s_and_saveexec_b64 s[4:5], s[24:25]
	s_cbranch_execz .LBB1018_143
.LBB1018_158:
	global_load_dword v21, v[4:5], off offset:2816
	s_or_b64 exec, exec, s[4:5]
                                        ; implicit-def: $vgpr22
	s_and_saveexec_b64 s[4:5], s[26:27]
	s_cbranch_execnz .LBB1018_144
.LBB1018_159:
	s_or_b64 exec, exec, s[4:5]
                                        ; implicit-def: $vgpr23
	s_and_saveexec_b64 s[4:5], s[28:29]
	s_cbranch_execz .LBB1018_145
.LBB1018_160:
	global_load_dword v23, v[4:5], off offset:3328
	s_or_b64 exec, exec, s[4:5]
                                        ; implicit-def: $vgpr24
	s_and_saveexec_b64 s[4:5], s[30:31]
	s_cbranch_execnz .LBB1018_146
.LBB1018_161:
	s_or_b64 exec, exec, s[4:5]
                                        ; implicit-def: $vgpr25
	s_and_saveexec_b64 s[4:5], s[34:35]
	s_cbranch_execz .LBB1018_163
.LBB1018_162:
	global_load_dword v25, v[4:5], off offset:3840
.LBB1018_163:
	s_or_b64 exec, exec, s[4:5]
	s_mov_b32 s6, 0
	s_mov_b32 s7, 0
	s_movk_i32 s8, 0x1000
	v_mov_b32_e32 v5, 0
	s_movk_i32 s9, 0x400
	s_movk_i32 s10, 0x800
	;; [unrolled: 1-line block ×3, first 2 shown]
	s_mov_b32 s12, 0
	v_mov_b32_e32 v26, v2
	s_branch .LBB1018_165
.LBB1018_164:                           ;   in Loop: Header=BB1018_165 Depth=1
	s_or_b64 exec, exec, s[4:5]
	s_addk_i32 s12, 0xc000
	s_addk_i32 s7, 0xf000
	s_add_i32 s6, s6, 16
	s_cmp_eq_u32 s12, 0xffff0000
	v_add_u32_e32 v26, 0x1000, v26
	s_barrier
	s_cbranch_scc1 .LBB1018_205
.LBB1018_165:                           ; =>This Inner Loop Header: Depth=1
	v_add_u32_e32 v4, s7, v10
	v_cmp_gt_u32_e32 vcc, s8, v4
	s_and_saveexec_b64 s[4:5], vcc
	s_cbranch_execz .LBB1018_167
; %bb.166:                              ;   in Loop: Header=BB1018_165 Depth=1
	v_add_u32_e32 v4, s12, v30
	s_waitcnt vmcnt(0)
	ds_write_b32 v4, v6
.LBB1018_167:                           ;   in Loop: Header=BB1018_165 Depth=1
	s_or_b64 exec, exec, s[4:5]
	v_add_u32_e32 v4, s7, v28
	v_cmp_gt_u32_e32 vcc, s8, v4
	s_and_saveexec_b64 s[4:5], vcc
	s_cbranch_execz .LBB1018_169
; %bb.168:                              ;   in Loop: Header=BB1018_165 Depth=1
	v_add_u32_e32 v4, s12, v33
	s_waitcnt vmcnt(0)
	ds_write_b32 v4, v7
.LBB1018_169:                           ;   in Loop: Header=BB1018_165 Depth=1
	s_or_b64 exec, exec, s[4:5]
	;; [unrolled: 10-line block ×16, first 2 shown]
	v_cmp_gt_u32_e32 vcc, s3, v26
	s_waitcnt lgkmcnt(0)
	s_barrier
	s_and_saveexec_b64 s[4:5], vcc
	s_cbranch_execz .LBB1018_199
; %bb.198:                              ;   in Loop: Header=BB1018_165 Depth=1
	scratch_load_dword v4, off, s6
	s_waitcnt vmcnt(0)
	v_lshlrev_b32_e32 v4, 2, v4
	ds_read_b32 v4, v4
	ds_read_b32 v27, v37 offset:1024
	s_waitcnt lgkmcnt(1)
	v_add_u32_e32 v4, v26, v4
	v_lshl_add_u64 v[60:61], v[4:5], 2, s[58:59]
	s_waitcnt lgkmcnt(0)
	global_store_dword v[60:61], v27, off
.LBB1018_199:                           ;   in Loop: Header=BB1018_165 Depth=1
	s_or_b64 exec, exec, s[4:5]
	v_add_u32_e32 v4, 0x400, v26
	v_cmp_gt_u32_e32 vcc, s3, v4
	s_and_saveexec_b64 s[4:5], vcc
	s_cbranch_execz .LBB1018_201
; %bb.200:                              ;   in Loop: Header=BB1018_165 Depth=1
	s_add_i32 s13, s6, 4
	scratch_load_dword v4, off, s13
	s_waitcnt vmcnt(0)
	v_lshlrev_b32_e32 v4, 2, v4
	ds_read_b32 v4, v4
	ds_read_b32 v27, v37 offset:5120
	s_waitcnt lgkmcnt(1)
	v_add3_u32 v4, v26, v4, s9
	v_lshl_add_u64 v[60:61], v[4:5], 2, s[58:59]
	s_waitcnt lgkmcnt(0)
	global_store_dword v[60:61], v27, off
.LBB1018_201:                           ;   in Loop: Header=BB1018_165 Depth=1
	s_or_b64 exec, exec, s[4:5]
	v_add_u32_e32 v4, 0x800, v26
	v_cmp_gt_u32_e32 vcc, s3, v4
	s_and_saveexec_b64 s[4:5], vcc
	s_cbranch_execz .LBB1018_203
; %bb.202:                              ;   in Loop: Header=BB1018_165 Depth=1
	s_add_i32 s13, s6, 8
	scratch_load_dword v4, off, s13
	s_waitcnt vmcnt(0)
	v_lshlrev_b32_e32 v4, 2, v4
	ds_read_b32 v4, v4
	ds_read_b32 v27, v37 offset:9216
	s_waitcnt lgkmcnt(1)
	v_add3_u32 v4, v26, v4, s10
	v_lshl_add_u64 v[60:61], v[4:5], 2, s[58:59]
	s_waitcnt lgkmcnt(0)
	global_store_dword v[60:61], v27, off
.LBB1018_203:                           ;   in Loop: Header=BB1018_165 Depth=1
	s_or_b64 exec, exec, s[4:5]
	v_add_u32_e32 v4, 0xc00, v26
	v_cmp_gt_u32_e32 vcc, s3, v4
	s_and_saveexec_b64 s[4:5], vcc
	s_cbranch_execz .LBB1018_164
; %bb.204:                              ;   in Loop: Header=BB1018_165 Depth=1
	s_add_i32 s13, s6, 12
	scratch_load_dword v4, off, s13
	s_waitcnt vmcnt(0)
	v_lshlrev_b32_e32 v4, 2, v4
	ds_read_b32 v4, v4
	ds_read_b32 v27, v37 offset:13312
	s_waitcnt lgkmcnt(1)
	v_add3_u32 v4, v26, v4, s11
	v_lshl_add_u64 v[60:61], v[4:5], 2, s[58:59]
	s_waitcnt lgkmcnt(0)
	global_store_dword v[60:61], v27, off
	s_branch .LBB1018_164
.LBB1018_205:
	s_add_i32 s70, s70, -1
	s_cmp_eq_u32 s33, s70
	s_cselect_b64 s[4:5], -1, 0
	s_xor_b64 s[6:7], s[36:37], -1
	s_and_b64 s[6:7], s[6:7], s[4:5]
	s_and_saveexec_b64 s[4:5], s[6:7]
	s_cbranch_execz .LBB1018_207
; %bb.206:
	ds_read_b32 v4, v37
	s_waitcnt lgkmcnt(0)
	v_add3_u32 v4, v32, v34, v4
	global_store_dword v37, v4, s[62:63]
.LBB1018_207:
	s_or_b64 exec, exec, s[4:5]
	s_mov_b64 s[4:5], 0
.LBB1018_208:
	s_and_b64 vcc, exec, s[4:5]
	s_cbranch_vccz .LBB1018_331
; %bb.209:
	s_lshl_b32 s4, s33, 14
	s_mov_b32 s5, 0
	s_load_dword s12, s[0:1], 0x58
	s_load_dword s3, s[0:1], 0x64
	s_lshl_b64 s[8:9], s[4:5], 2
	v_mbcnt_hi_u32_b32 v10, -1, v3
	s_add_u32 s4, s52, s8
	v_and_b32_e32 v3, 63, v10
	s_waitcnt vmcnt(0)
	v_and_b32_e32 v6, 0x3c00, v1
	v_mov_b32_e32 v1, 0
	s_addc_u32 s5, s53, s9
	v_lshlrev_b32_e32 v4, 2, v3
	v_mov_b32_e32 v5, v1
	v_lshl_add_u64 v[8:9], s[4:5], 0, v[4:5]
	v_lshlrev_b32_e32 v6, 2, v6
	v_mov_b32_e32 v7, v1
	s_add_u32 s0, s0, 0x58
	v_lshl_add_u64 v[8:9], v[8:9], 0, v[6:7]
	s_addc_u32 s1, s1, 0
	s_waitcnt lgkmcnt(0)
	s_lshr_b32 s3, s3, 16
	global_load_dword v3, v[8:9], off
	s_cmp_lt_u32 s2, s12
	s_cselect_b32 s2, 12, 18
	s_add_u32 s0, s0, s2
	s_addc_u32 s1, s1, 0
	global_load_ushort v13, v1, s[0:1]
	v_mul_u32_u24_e32 v11, 20, v2
	ds_write2_b32 v11, v1, v1 offset0:16 offset1:17
	ds_write2_b32 v11, v1, v1 offset0:18 offset1:19
	ds_write_b32 v11, v1 offset:80
	global_load_dword v5, v[8:9], off offset:256
	global_load_dword v7, v[8:9], off offset:512
	;; [unrolled: 1-line block ×15, first 2 shown]
	v_bfe_u32 v14, v0, 10, 10
	v_bfe_u32 v0, v0, 20, 10
	v_mad_u32_u24 v8, v0, s3, v14
	s_lshl_b32 s0, -1, s65
	v_mov_b32_e32 v16, v1
	v_mov_b32_e32 v26, v1
	s_not_b32 s13, s0
	v_mov_b32_e32 v20, v1
	s_movk_i32 s6, 0x44
	s_waitcnt lgkmcnt(0)
	s_barrier
	s_waitcnt vmcnt(16)
	; wave barrier
	v_xor_b32_e32 v3, 0x7fffffff, v3
	v_lshrrev_b32_e32 v0, s64, v3
	v_bitop3_b32 v14, v0, s0, v0 bitop3:0x30
	v_and_b32_e32 v0, 1, v14
	v_lshlrev_b32_e32 v17, 30, v14
	v_lshlrev_b32_e32 v21, 29, v14
	;; [unrolled: 1-line block ×3, first 2 shown]
	s_waitcnt vmcnt(15)
	v_mad_u64_u32 v[8:9], s[0:1], v8, v13, v[2:3]
	v_lshl_add_u64 v[32:33], v[0:1], 0, -1
	v_cmp_ne_u32_e32 vcc, 0, v0
	v_not_b32_e32 v0, v17
	v_cmp_gt_i64_e64 s[0:1], 0, v[16:17]
	v_not_b32_e32 v9, v21
	v_cmp_gt_i64_e64 s[4:5], 0, v[26:27]
	v_not_b32_e32 v13, v27
	v_lshrrev_b32_e32 v27, 6, v8
	v_xor_b32_e32 v8, vcc_hi, v33
	v_ashrrev_i32_e32 v0, 31, v0
	v_cmp_gt_i64_e64 s[2:3], 0, v[20:21]
	v_xor_b32_e32 v16, vcc_lo, v32
	v_ashrrev_i32_e32 v9, 31, v9
	v_and_b32_e32 v8, exec_hi, v8
	v_xor_b32_e32 v17, s1, v0
	v_ashrrev_i32_e32 v13, 31, v13
	v_and_b32_e32 v16, exec_lo, v16
	v_xor_b32_e32 v0, s0, v0
	v_xor_b32_e32 v20, s3, v9
	v_and_b32_e32 v8, v8, v17
	v_xor_b32_e32 v9, s2, v9
	v_xor_b32_e32 v21, s5, v13
	v_and_b32_e32 v0, v16, v0
	v_and_b32_e32 v8, v8, v20
	v_and_b32_e32 v0, v0, v9
	v_and_b32_e32 v16, v8, v21
	v_lshlrev_b32_e32 v9, 27, v14
	v_mov_b32_e32 v8, v1
	v_cmp_gt_i64_e32 vcc, 0, v[8:9]
	v_not_b32_e32 v8, v9
	v_xor_b32_e32 v13, s4, v13
	v_ashrrev_i32_e32 v8, 31, v8
	v_and_b32_e32 v0, v0, v13
	v_xor_b32_e32 v9, vcc_hi, v8
	v_xor_b32_e32 v8, vcc_lo, v8
	v_and_b32_e32 v13, v16, v9
	v_and_b32_e32 v0, v0, v8
	v_lshlrev_b32_e32 v9, 26, v14
	v_mov_b32_e32 v8, v1
	v_cmp_gt_i64_e32 vcc, 0, v[8:9]
	v_not_b32_e32 v8, v9
	v_ashrrev_i32_e32 v8, 31, v8
	v_xor_b32_e32 v9, vcc_hi, v8
	v_xor_b32_e32 v8, vcc_lo, v8
	v_and_b32_e32 v13, v13, v9
	v_and_b32_e32 v0, v0, v8
	v_lshlrev_b32_e32 v9, 25, v14
	v_mov_b32_e32 v8, v1
	v_cmp_gt_i64_e32 vcc, 0, v[8:9]
	v_not_b32_e32 v8, v9
	v_ashrrev_i32_e32 v8, 31, v8
	;; [unrolled: 9-line block ×3, first 2 shown]
	v_xor_b32_e32 v9, vcc_hi, v8
	v_xor_b32_e32 v8, vcc_lo, v8
	v_and_b32_e32 v8, v0, v8
	v_and_b32_e32 v9, v13, v9
	v_mbcnt_lo_u32_b32 v0, v8, 0
	v_mul_lo_u32 v18, v14, s6
	v_mbcnt_hi_u32_b32 v14, v9, v0
	v_cmp_eq_u32_e32 vcc, 0, v14
	v_cmp_ne_u64_e64 s[0:1], 0, v[8:9]
	v_lshl_add_u32 v18, v27, 2, v18
	s_and_b64 s[2:3], s[0:1], vcc
	s_and_saveexec_b64 s[0:1], s[2:3]
; %bb.210:
	v_bcnt_u32_b32 v0, v8, 0
	v_bcnt_u32_b32 v0, v9, v0
	ds_write_b32 v18, v0 offset:64
; %bb.211:
	s_or_b64 exec, exec, s[0:1]
	s_waitcnt vmcnt(14)
	v_xor_b32_e32 v5, 0x7fffffff, v5
	v_lshrrev_b32_e32 v0, s64, v5
	v_and_b32_e32 v16, s13, v0
	v_mul_lo_u32 v0, v16, s6
	v_lshl_add_u32 v21, v27, 2, v0
	v_and_b32_e32 v0, 1, v16
	v_lshl_add_u64 v[8:9], v[0:1], 0, -1
	v_cmp_ne_u32_e32 vcc, 0, v0
	; wave barrier
	s_nop 1
	v_xor_b32_e32 v8, vcc_lo, v8
	v_xor_b32_e32 v0, vcc_hi, v9
	v_and_b32_e32 v17, exec_lo, v8
	v_lshlrev_b32_e32 v9, 30, v16
	v_mov_b32_e32 v8, v1
	v_cmp_gt_i64_e32 vcc, 0, v[8:9]
	v_not_b32_e32 v8, v9
	v_ashrrev_i32_e32 v8, 31, v8
	v_and_b32_e32 v0, exec_hi, v0
	v_xor_b32_e32 v9, vcc_hi, v8
	v_xor_b32_e32 v8, vcc_lo, v8
	v_and_b32_e32 v0, v0, v9
	v_and_b32_e32 v17, v17, v8
	v_lshlrev_b32_e32 v9, 29, v16
	v_mov_b32_e32 v8, v1
	v_cmp_gt_i64_e32 vcc, 0, v[8:9]
	v_not_b32_e32 v8, v9
	v_ashrrev_i32_e32 v8, 31, v8
	v_xor_b32_e32 v9, vcc_hi, v8
	v_xor_b32_e32 v8, vcc_lo, v8
	v_and_b32_e32 v0, v0, v9
	v_and_b32_e32 v17, v17, v8
	v_lshlrev_b32_e32 v9, 28, v16
	v_mov_b32_e32 v8, v1
	v_cmp_gt_i64_e32 vcc, 0, v[8:9]
	v_not_b32_e32 v8, v9
	v_ashrrev_i32_e32 v8, 31, v8
	;; [unrolled: 9-line block ×5, first 2 shown]
	v_xor_b32_e32 v9, vcc_hi, v8
	v_xor_b32_e32 v8, vcc_lo, v8
	v_and_b32_e32 v0, v0, v9
	v_lshlrev_b32_e32 v9, 24, v16
	v_and_b32_e32 v17, v17, v8
	v_mov_b32_e32 v8, v1
	v_not_b32_e32 v1, v9
	v_cmp_gt_i64_e32 vcc, 0, v[8:9]
	v_ashrrev_i32_e32 v1, 31, v1
	ds_read_b32 v13, v21 offset:64
	v_xor_b32_e32 v8, vcc_hi, v1
	v_xor_b32_e32 v9, vcc_lo, v1
	v_and_b32_e32 v1, v0, v8
	v_and_b32_e32 v0, v17, v9
	v_mbcnt_lo_u32_b32 v8, v0, 0
	v_mbcnt_hi_u32_b32 v16, v1, v8
	v_cmp_eq_u32_e32 vcc, 0, v16
	v_cmp_ne_u64_e64 s[0:1], 0, v[0:1]
	s_and_b64 s[2:3], s[0:1], vcc
	; wave barrier
	s_and_saveexec_b64 s[0:1], s[2:3]
	s_cbranch_execz .LBB1018_213
; %bb.212:
	v_bcnt_u32_b32 v0, v0, 0
	v_bcnt_u32_b32 v0, v1, v0
	s_waitcnt lgkmcnt(0)
	v_add_u32_e32 v0, v13, v0
	ds_write_b32 v21, v0 offset:64
.LBB1018_213:
	s_or_b64 exec, exec, s[0:1]
	s_waitcnt vmcnt(13)
	v_xor_b32_e32 v7, 0x7fffffff, v7
	v_lshrrev_b32_e32 v0, s64, v7
	v_and_b32_e32 v20, s13, v0
	s_movk_i32 s2, 0x44
	v_mul_lo_u32 v0, v20, s2
	v_lshl_add_u32 v26, v27, 2, v0
	v_and_b32_e32 v0, 1, v20
	v_mov_b32_e32 v1, 0
	v_lshl_add_u64 v[8:9], v[0:1], 0, -1
	v_cmp_ne_u32_e32 vcc, 0, v0
	; wave barrier
	s_nop 1
	v_xor_b32_e32 v8, vcc_lo, v8
	v_xor_b32_e32 v0, vcc_hi, v9
	v_and_b32_e32 v22, exec_lo, v8
	v_lshlrev_b32_e32 v9, 30, v20
	v_mov_b32_e32 v8, v1
	v_cmp_gt_i64_e32 vcc, 0, v[8:9]
	v_not_b32_e32 v8, v9
	v_ashrrev_i32_e32 v8, 31, v8
	v_and_b32_e32 v0, exec_hi, v0
	v_xor_b32_e32 v9, vcc_hi, v8
	v_xor_b32_e32 v8, vcc_lo, v8
	v_and_b32_e32 v0, v0, v9
	v_and_b32_e32 v22, v22, v8
	v_lshlrev_b32_e32 v9, 29, v20
	v_mov_b32_e32 v8, v1
	v_cmp_gt_i64_e32 vcc, 0, v[8:9]
	v_not_b32_e32 v8, v9
	v_ashrrev_i32_e32 v8, 31, v8
	v_xor_b32_e32 v9, vcc_hi, v8
	v_xor_b32_e32 v8, vcc_lo, v8
	v_and_b32_e32 v0, v0, v9
	v_and_b32_e32 v22, v22, v8
	v_lshlrev_b32_e32 v9, 28, v20
	v_mov_b32_e32 v8, v1
	v_cmp_gt_i64_e32 vcc, 0, v[8:9]
	v_not_b32_e32 v8, v9
	v_ashrrev_i32_e32 v8, 31, v8
	v_xor_b32_e32 v9, vcc_hi, v8
	v_xor_b32_e32 v8, vcc_lo, v8
	v_and_b32_e32 v0, v0, v9
	v_and_b32_e32 v22, v22, v8
	v_lshlrev_b32_e32 v9, 27, v20
	v_mov_b32_e32 v8, v1
	v_cmp_gt_i64_e32 vcc, 0, v[8:9]
	v_not_b32_e32 v8, v9
	v_ashrrev_i32_e32 v8, 31, v8
	v_xor_b32_e32 v9, vcc_hi, v8
	v_xor_b32_e32 v8, vcc_lo, v8
	v_and_b32_e32 v0, v0, v9
	v_and_b32_e32 v22, v22, v8
	v_lshlrev_b32_e32 v9, 26, v20
	v_mov_b32_e32 v8, v1
	v_cmp_gt_i64_e32 vcc, 0, v[8:9]
	v_not_b32_e32 v8, v9
	v_ashrrev_i32_e32 v8, 31, v8
	v_xor_b32_e32 v9, vcc_hi, v8
	v_xor_b32_e32 v8, vcc_lo, v8
	v_and_b32_e32 v0, v0, v9
	v_and_b32_e32 v22, v22, v8
	v_lshlrev_b32_e32 v9, 25, v20
	v_mov_b32_e32 v8, v1
	v_cmp_gt_i64_e32 vcc, 0, v[8:9]
	v_not_b32_e32 v8, v9
	v_ashrrev_i32_e32 v8, 31, v8
	v_xor_b32_e32 v9, vcc_hi, v8
	v_xor_b32_e32 v8, vcc_lo, v8
	v_and_b32_e32 v0, v0, v9
	v_and_b32_e32 v22, v22, v8
	v_lshlrev_b32_e32 v9, 24, v20
	v_mov_b32_e32 v8, v1
	v_cmp_gt_i64_e32 vcc, 0, v[8:9]
	v_not_b32_e32 v8, v9
	v_ashrrev_i32_e32 v8, 31, v8
	v_xor_b32_e32 v9, vcc_hi, v8
	v_xor_b32_e32 v8, vcc_lo, v8
	ds_read_b32 v17, v26 offset:64
	v_and_b32_e32 v8, v22, v8
	v_and_b32_e32 v9, v0, v9
	v_mbcnt_lo_u32_b32 v0, v8, 0
	v_mbcnt_hi_u32_b32 v20, v9, v0
	v_cmp_eq_u32_e32 vcc, 0, v20
	v_cmp_ne_u64_e64 s[0:1], 0, v[8:9]
	s_and_b64 s[4:5], s[0:1], vcc
	; wave barrier
	s_and_saveexec_b64 s[0:1], s[4:5]
	s_cbranch_execz .LBB1018_215
; %bb.214:
	v_bcnt_u32_b32 v0, v8, 0
	v_bcnt_u32_b32 v0, v9, v0
	s_waitcnt lgkmcnt(0)
	v_add_u32_e32 v0, v17, v0
	ds_write_b32 v26, v0 offset:64
.LBB1018_215:
	s_or_b64 exec, exec, s[0:1]
	s_waitcnt vmcnt(12)
	v_xor_b32_e32 v12, 0x7fffffff, v12
	v_lshrrev_b32_e32 v0, s64, v12
	v_and_b32_e32 v24, s13, v0
	v_mul_lo_u32 v0, v24, s2
	v_lshl_add_u32 v32, v27, 2, v0
	v_and_b32_e32 v0, 1, v24
	v_lshl_add_u64 v[8:9], v[0:1], 0, -1
	v_cmp_ne_u32_e32 vcc, 0, v0
	; wave barrier
	s_nop 1
	v_xor_b32_e32 v8, vcc_lo, v8
	v_xor_b32_e32 v0, vcc_hi, v9
	v_and_b32_e32 v28, exec_lo, v8
	v_lshlrev_b32_e32 v9, 30, v24
	v_mov_b32_e32 v8, v1
	v_cmp_gt_i64_e32 vcc, 0, v[8:9]
	v_not_b32_e32 v8, v9
	v_ashrrev_i32_e32 v8, 31, v8
	v_and_b32_e32 v0, exec_hi, v0
	v_xor_b32_e32 v9, vcc_hi, v8
	v_xor_b32_e32 v8, vcc_lo, v8
	v_and_b32_e32 v0, v0, v9
	v_and_b32_e32 v28, v28, v8
	v_lshlrev_b32_e32 v9, 29, v24
	v_mov_b32_e32 v8, v1
	v_cmp_gt_i64_e32 vcc, 0, v[8:9]
	v_not_b32_e32 v8, v9
	v_ashrrev_i32_e32 v8, 31, v8
	v_xor_b32_e32 v9, vcc_hi, v8
	v_xor_b32_e32 v8, vcc_lo, v8
	v_and_b32_e32 v0, v0, v9
	v_and_b32_e32 v28, v28, v8
	v_lshlrev_b32_e32 v9, 28, v24
	v_mov_b32_e32 v8, v1
	v_cmp_gt_i64_e32 vcc, 0, v[8:9]
	v_not_b32_e32 v8, v9
	v_ashrrev_i32_e32 v8, 31, v8
	;; [unrolled: 9-line block ×5, first 2 shown]
	v_xor_b32_e32 v9, vcc_hi, v8
	v_xor_b32_e32 v8, vcc_lo, v8
	v_and_b32_e32 v0, v0, v9
	v_lshlrev_b32_e32 v9, 24, v24
	v_and_b32_e32 v28, v28, v8
	v_mov_b32_e32 v8, v1
	v_not_b32_e32 v1, v9
	v_cmp_gt_i64_e32 vcc, 0, v[8:9]
	v_ashrrev_i32_e32 v1, 31, v1
	ds_read_b32 v22, v32 offset:64
	v_xor_b32_e32 v8, vcc_hi, v1
	v_xor_b32_e32 v9, vcc_lo, v1
	v_and_b32_e32 v1, v0, v8
	v_and_b32_e32 v0, v28, v9
	v_mbcnt_lo_u32_b32 v8, v0, 0
	v_mbcnt_hi_u32_b32 v24, v1, v8
	v_cmp_eq_u32_e32 vcc, 0, v24
	v_cmp_ne_u64_e64 s[0:1], 0, v[0:1]
	s_and_b64 s[2:3], s[0:1], vcc
	; wave barrier
	s_and_saveexec_b64 s[0:1], s[2:3]
	s_cbranch_execz .LBB1018_217
; %bb.216:
	v_bcnt_u32_b32 v0, v0, 0
	v_bcnt_u32_b32 v0, v1, v0
	s_waitcnt lgkmcnt(0)
	v_add_u32_e32 v0, v22, v0
	ds_write_b32 v32, v0 offset:64
.LBB1018_217:
	s_or_b64 exec, exec, s[0:1]
	s_waitcnt vmcnt(11)
	v_xor_b32_e32 v15, 0x7fffffff, v15
	v_lshrrev_b32_e32 v0, s64, v15
	v_and_b32_e32 v30, s13, v0
	s_movk_i32 s2, 0x44
	v_mul_lo_u32 v0, v30, s2
	v_lshl_add_u32 v37, v27, 2, v0
	v_and_b32_e32 v0, 1, v30
	v_mov_b32_e32 v1, 0
	v_lshl_add_u64 v[8:9], v[0:1], 0, -1
	v_cmp_ne_u32_e32 vcc, 0, v0
	; wave barrier
	s_nop 1
	v_xor_b32_e32 v8, vcc_lo, v8
	v_xor_b32_e32 v0, vcc_hi, v9
	v_and_b32_e32 v33, exec_lo, v8
	v_lshlrev_b32_e32 v9, 30, v30
	v_mov_b32_e32 v8, v1
	v_cmp_gt_i64_e32 vcc, 0, v[8:9]
	v_not_b32_e32 v8, v9
	v_ashrrev_i32_e32 v8, 31, v8
	v_and_b32_e32 v0, exec_hi, v0
	v_xor_b32_e32 v9, vcc_hi, v8
	v_xor_b32_e32 v8, vcc_lo, v8
	v_and_b32_e32 v0, v0, v9
	v_and_b32_e32 v33, v33, v8
	v_lshlrev_b32_e32 v9, 29, v30
	v_mov_b32_e32 v8, v1
	v_cmp_gt_i64_e32 vcc, 0, v[8:9]
	v_not_b32_e32 v8, v9
	v_ashrrev_i32_e32 v8, 31, v8
	v_xor_b32_e32 v9, vcc_hi, v8
	v_xor_b32_e32 v8, vcc_lo, v8
	v_and_b32_e32 v0, v0, v9
	v_and_b32_e32 v33, v33, v8
	v_lshlrev_b32_e32 v9, 28, v30
	v_mov_b32_e32 v8, v1
	v_cmp_gt_i64_e32 vcc, 0, v[8:9]
	v_not_b32_e32 v8, v9
	v_ashrrev_i32_e32 v8, 31, v8
	;; [unrolled: 9-line block ×6, first 2 shown]
	v_xor_b32_e32 v9, vcc_hi, v8
	v_xor_b32_e32 v8, vcc_lo, v8
	ds_read_b32 v28, v37 offset:64
	v_and_b32_e32 v8, v33, v8
	v_and_b32_e32 v9, v0, v9
	v_mbcnt_lo_u32_b32 v0, v8, 0
	v_mbcnt_hi_u32_b32 v30, v9, v0
	v_cmp_eq_u32_e32 vcc, 0, v30
	v_cmp_ne_u64_e64 s[0:1], 0, v[8:9]
	s_and_b64 s[4:5], s[0:1], vcc
	; wave barrier
	s_and_saveexec_b64 s[0:1], s[4:5]
	s_cbranch_execz .LBB1018_219
; %bb.218:
	v_bcnt_u32_b32 v0, v8, 0
	v_bcnt_u32_b32 v0, v9, v0
	s_waitcnt lgkmcnt(0)
	v_add_u32_e32 v0, v28, v0
	ds_write_b32 v37, v0 offset:64
.LBB1018_219:
	s_or_b64 exec, exec, s[0:1]
	s_waitcnt vmcnt(10)
	v_xor_b32_e32 v19, 0x7fffffff, v19
	v_lshrrev_b32_e32 v0, s64, v19
	v_and_b32_e32 v35, s13, v0
	v_mul_lo_u32 v0, v35, s2
	v_lshl_add_u32 v41, v27, 2, v0
	v_and_b32_e32 v0, 1, v35
	v_lshl_add_u64 v[8:9], v[0:1], 0, -1
	v_cmp_ne_u32_e32 vcc, 0, v0
	; wave barrier
	s_nop 1
	v_xor_b32_e32 v8, vcc_lo, v8
	v_xor_b32_e32 v0, vcc_hi, v9
	v_and_b32_e32 v38, exec_lo, v8
	v_lshlrev_b32_e32 v9, 30, v35
	v_mov_b32_e32 v8, v1
	v_cmp_gt_i64_e32 vcc, 0, v[8:9]
	v_not_b32_e32 v8, v9
	v_ashrrev_i32_e32 v8, 31, v8
	v_and_b32_e32 v0, exec_hi, v0
	v_xor_b32_e32 v9, vcc_hi, v8
	v_xor_b32_e32 v8, vcc_lo, v8
	v_and_b32_e32 v0, v0, v9
	v_and_b32_e32 v38, v38, v8
	v_lshlrev_b32_e32 v9, 29, v35
	v_mov_b32_e32 v8, v1
	v_cmp_gt_i64_e32 vcc, 0, v[8:9]
	v_not_b32_e32 v8, v9
	v_ashrrev_i32_e32 v8, 31, v8
	v_xor_b32_e32 v9, vcc_hi, v8
	v_xor_b32_e32 v8, vcc_lo, v8
	v_and_b32_e32 v0, v0, v9
	v_and_b32_e32 v38, v38, v8
	v_lshlrev_b32_e32 v9, 28, v35
	v_mov_b32_e32 v8, v1
	v_cmp_gt_i64_e32 vcc, 0, v[8:9]
	v_not_b32_e32 v8, v9
	v_ashrrev_i32_e32 v8, 31, v8
	;; [unrolled: 9-line block ×5, first 2 shown]
	v_xor_b32_e32 v9, vcc_hi, v8
	v_xor_b32_e32 v8, vcc_lo, v8
	v_and_b32_e32 v0, v0, v9
	v_lshlrev_b32_e32 v9, 24, v35
	v_and_b32_e32 v38, v38, v8
	v_mov_b32_e32 v8, v1
	v_not_b32_e32 v1, v9
	v_cmp_gt_i64_e32 vcc, 0, v[8:9]
	v_ashrrev_i32_e32 v1, 31, v1
	ds_read_b32 v33, v41 offset:64
	v_xor_b32_e32 v8, vcc_hi, v1
	v_xor_b32_e32 v9, vcc_lo, v1
	v_and_b32_e32 v1, v0, v8
	v_and_b32_e32 v0, v38, v9
	v_mbcnt_lo_u32_b32 v8, v0, 0
	v_mbcnt_hi_u32_b32 v35, v1, v8
	v_cmp_eq_u32_e32 vcc, 0, v35
	v_cmp_ne_u64_e64 s[0:1], 0, v[0:1]
	s_and_b64 s[2:3], s[0:1], vcc
	; wave barrier
	s_and_saveexec_b64 s[0:1], s[2:3]
	s_cbranch_execz .LBB1018_221
; %bb.220:
	v_bcnt_u32_b32 v0, v0, 0
	v_bcnt_u32_b32 v0, v1, v0
	s_waitcnt lgkmcnt(0)
	v_add_u32_e32 v0, v33, v0
	ds_write_b32 v41, v0 offset:64
.LBB1018_221:
	s_or_b64 exec, exec, s[0:1]
	s_waitcnt vmcnt(9)
	v_xor_b32_e32 v23, 0x7fffffff, v23
	v_lshrrev_b32_e32 v0, s64, v23
	v_and_b32_e32 v42, s13, v0
	s_movk_i32 s2, 0x44
	v_mul_lo_u32 v0, v42, s2
	v_lshl_add_u32 v46, v27, 2, v0
	v_and_b32_e32 v0, 1, v42
	v_mov_b32_e32 v1, 0
	v_lshl_add_u64 v[8:9], v[0:1], 0, -1
	v_cmp_ne_u32_e32 vcc, 0, v0
	; wave barrier
	s_nop 1
	v_xor_b32_e32 v8, vcc_lo, v8
	v_xor_b32_e32 v0, vcc_hi, v9
	v_and_b32_e32 v43, exec_lo, v8
	v_lshlrev_b32_e32 v9, 30, v42
	v_mov_b32_e32 v8, v1
	v_cmp_gt_i64_e32 vcc, 0, v[8:9]
	v_not_b32_e32 v8, v9
	v_ashrrev_i32_e32 v8, 31, v8
	v_and_b32_e32 v0, exec_hi, v0
	v_xor_b32_e32 v9, vcc_hi, v8
	v_xor_b32_e32 v8, vcc_lo, v8
	v_and_b32_e32 v0, v0, v9
	v_and_b32_e32 v43, v43, v8
	v_lshlrev_b32_e32 v9, 29, v42
	v_mov_b32_e32 v8, v1
	v_cmp_gt_i64_e32 vcc, 0, v[8:9]
	v_not_b32_e32 v8, v9
	v_ashrrev_i32_e32 v8, 31, v8
	v_xor_b32_e32 v9, vcc_hi, v8
	v_xor_b32_e32 v8, vcc_lo, v8
	v_and_b32_e32 v0, v0, v9
	v_and_b32_e32 v43, v43, v8
	v_lshlrev_b32_e32 v9, 28, v42
	v_mov_b32_e32 v8, v1
	v_cmp_gt_i64_e32 vcc, 0, v[8:9]
	v_not_b32_e32 v8, v9
	v_ashrrev_i32_e32 v8, 31, v8
	;; [unrolled: 9-line block ×6, first 2 shown]
	v_xor_b32_e32 v9, vcc_hi, v8
	v_xor_b32_e32 v8, vcc_lo, v8
	ds_read_b32 v38, v46 offset:64
	v_and_b32_e32 v8, v43, v8
	v_and_b32_e32 v9, v0, v9
	v_mbcnt_lo_u32_b32 v0, v8, 0
	v_mbcnt_hi_u32_b32 v42, v9, v0
	v_cmp_eq_u32_e32 vcc, 0, v42
	v_cmp_ne_u64_e64 s[0:1], 0, v[8:9]
	s_and_b64 s[4:5], s[0:1], vcc
	; wave barrier
	s_and_saveexec_b64 s[0:1], s[4:5]
	s_cbranch_execz .LBB1018_223
; %bb.222:
	v_bcnt_u32_b32 v0, v8, 0
	v_bcnt_u32_b32 v0, v9, v0
	s_waitcnt lgkmcnt(0)
	v_add_u32_e32 v0, v38, v0
	ds_write_b32 v46, v0 offset:64
.LBB1018_223:
	s_or_b64 exec, exec, s[0:1]
	s_waitcnt vmcnt(8)
	v_xor_b32_e32 v29, 0x7fffffff, v29
	v_lshrrev_b32_e32 v0, s64, v29
	v_and_b32_e32 v47, s13, v0
	v_mul_lo_u32 v0, v47, s2
	v_lshl_add_u32 v49, v27, 2, v0
	v_and_b32_e32 v0, 1, v47
	v_lshl_add_u64 v[8:9], v[0:1], 0, -1
	v_cmp_ne_u32_e32 vcc, 0, v0
	; wave barrier
	s_nop 1
	v_xor_b32_e32 v8, vcc_lo, v8
	v_xor_b32_e32 v0, vcc_hi, v9
	v_and_b32_e32 v48, exec_lo, v8
	v_lshlrev_b32_e32 v9, 30, v47
	v_mov_b32_e32 v8, v1
	v_cmp_gt_i64_e32 vcc, 0, v[8:9]
	v_not_b32_e32 v8, v9
	v_ashrrev_i32_e32 v8, 31, v8
	v_and_b32_e32 v0, exec_hi, v0
	v_xor_b32_e32 v9, vcc_hi, v8
	v_xor_b32_e32 v8, vcc_lo, v8
	v_and_b32_e32 v0, v0, v9
	v_and_b32_e32 v48, v48, v8
	v_lshlrev_b32_e32 v9, 29, v47
	v_mov_b32_e32 v8, v1
	v_cmp_gt_i64_e32 vcc, 0, v[8:9]
	v_not_b32_e32 v8, v9
	v_ashrrev_i32_e32 v8, 31, v8
	v_xor_b32_e32 v9, vcc_hi, v8
	v_xor_b32_e32 v8, vcc_lo, v8
	v_and_b32_e32 v0, v0, v9
	v_and_b32_e32 v48, v48, v8
	v_lshlrev_b32_e32 v9, 28, v47
	v_mov_b32_e32 v8, v1
	v_cmp_gt_i64_e32 vcc, 0, v[8:9]
	v_not_b32_e32 v8, v9
	v_ashrrev_i32_e32 v8, 31, v8
	;; [unrolled: 9-line block ×5, first 2 shown]
	v_xor_b32_e32 v9, vcc_hi, v8
	v_xor_b32_e32 v8, vcc_lo, v8
	v_and_b32_e32 v0, v0, v9
	v_lshlrev_b32_e32 v9, 24, v47
	v_and_b32_e32 v48, v48, v8
	v_mov_b32_e32 v8, v1
	v_not_b32_e32 v1, v9
	v_cmp_gt_i64_e32 vcc, 0, v[8:9]
	v_ashrrev_i32_e32 v1, 31, v1
	ds_read_b32 v43, v49 offset:64
	v_xor_b32_e32 v8, vcc_hi, v1
	v_xor_b32_e32 v9, vcc_lo, v1
	v_and_b32_e32 v1, v0, v8
	v_and_b32_e32 v0, v48, v9
	v_mbcnt_lo_u32_b32 v8, v0, 0
	v_mbcnt_hi_u32_b32 v47, v1, v8
	v_cmp_eq_u32_e32 vcc, 0, v47
	v_cmp_ne_u64_e64 s[0:1], 0, v[0:1]
	s_and_b64 s[2:3], s[0:1], vcc
	; wave barrier
	s_and_saveexec_b64 s[0:1], s[2:3]
	s_cbranch_execz .LBB1018_225
; %bb.224:
	v_bcnt_u32_b32 v0, v0, 0
	v_bcnt_u32_b32 v0, v1, v0
	s_waitcnt lgkmcnt(0)
	v_add_u32_e32 v0, v43, v0
	ds_write_b32 v49, v0 offset:64
.LBB1018_225:
	s_or_b64 exec, exec, s[0:1]
	s_waitcnt vmcnt(7)
	v_xor_b32_e32 v34, 0x7fffffff, v34
	v_lshrrev_b32_e32 v0, s64, v34
	v_and_b32_e32 v50, s13, v0
	s_movk_i32 s2, 0x44
	v_mul_lo_u32 v0, v50, s2
	v_lshl_add_u32 v52, v27, 2, v0
	v_and_b32_e32 v0, 1, v50
	v_mov_b32_e32 v1, 0
	v_lshl_add_u64 v[8:9], v[0:1], 0, -1
	v_cmp_ne_u32_e32 vcc, 0, v0
	; wave barrier
	s_nop 1
	v_xor_b32_e32 v8, vcc_lo, v8
	v_xor_b32_e32 v0, vcc_hi, v9
	v_and_b32_e32 v51, exec_lo, v8
	v_lshlrev_b32_e32 v9, 30, v50
	v_mov_b32_e32 v8, v1
	v_cmp_gt_i64_e32 vcc, 0, v[8:9]
	v_not_b32_e32 v8, v9
	v_ashrrev_i32_e32 v8, 31, v8
	v_and_b32_e32 v0, exec_hi, v0
	v_xor_b32_e32 v9, vcc_hi, v8
	v_xor_b32_e32 v8, vcc_lo, v8
	v_and_b32_e32 v0, v0, v9
	v_and_b32_e32 v51, v51, v8
	v_lshlrev_b32_e32 v9, 29, v50
	v_mov_b32_e32 v8, v1
	v_cmp_gt_i64_e32 vcc, 0, v[8:9]
	v_not_b32_e32 v8, v9
	v_ashrrev_i32_e32 v8, 31, v8
	v_xor_b32_e32 v9, vcc_hi, v8
	v_xor_b32_e32 v8, vcc_lo, v8
	v_and_b32_e32 v0, v0, v9
	v_and_b32_e32 v51, v51, v8
	v_lshlrev_b32_e32 v9, 28, v50
	v_mov_b32_e32 v8, v1
	v_cmp_gt_i64_e32 vcc, 0, v[8:9]
	v_not_b32_e32 v8, v9
	v_ashrrev_i32_e32 v8, 31, v8
	;; [unrolled: 9-line block ×6, first 2 shown]
	v_xor_b32_e32 v9, vcc_hi, v8
	v_xor_b32_e32 v8, vcc_lo, v8
	ds_read_b32 v48, v52 offset:64
	v_and_b32_e32 v8, v51, v8
	v_and_b32_e32 v9, v0, v9
	v_mbcnt_lo_u32_b32 v0, v8, 0
	v_mbcnt_hi_u32_b32 v50, v9, v0
	v_cmp_eq_u32_e32 vcc, 0, v50
	v_cmp_ne_u64_e64 s[0:1], 0, v[8:9]
	s_and_b64 s[4:5], s[0:1], vcc
	; wave barrier
	s_and_saveexec_b64 s[0:1], s[4:5]
	s_cbranch_execz .LBB1018_227
; %bb.226:
	v_bcnt_u32_b32 v0, v8, 0
	v_bcnt_u32_b32 v0, v9, v0
	s_waitcnt lgkmcnt(0)
	v_add_u32_e32 v0, v48, v0
	ds_write_b32 v52, v0 offset:64
.LBB1018_227:
	s_or_b64 exec, exec, s[0:1]
	s_waitcnt vmcnt(6)
	v_xor_b32_e32 v39, 0x7fffffff, v39
	v_lshrrev_b32_e32 v0, s64, v39
	v_and_b32_e32 v53, s13, v0
	v_mul_lo_u32 v0, v53, s2
	v_lshl_add_u32 v55, v27, 2, v0
	v_and_b32_e32 v0, 1, v53
	v_lshl_add_u64 v[8:9], v[0:1], 0, -1
	v_cmp_ne_u32_e32 vcc, 0, v0
	; wave barrier
	s_nop 1
	v_xor_b32_e32 v8, vcc_lo, v8
	v_xor_b32_e32 v0, vcc_hi, v9
	v_and_b32_e32 v54, exec_lo, v8
	v_lshlrev_b32_e32 v9, 30, v53
	v_mov_b32_e32 v8, v1
	v_cmp_gt_i64_e32 vcc, 0, v[8:9]
	v_not_b32_e32 v8, v9
	v_ashrrev_i32_e32 v8, 31, v8
	v_and_b32_e32 v0, exec_hi, v0
	v_xor_b32_e32 v9, vcc_hi, v8
	v_xor_b32_e32 v8, vcc_lo, v8
	v_and_b32_e32 v0, v0, v9
	v_and_b32_e32 v54, v54, v8
	v_lshlrev_b32_e32 v9, 29, v53
	v_mov_b32_e32 v8, v1
	v_cmp_gt_i64_e32 vcc, 0, v[8:9]
	v_not_b32_e32 v8, v9
	v_ashrrev_i32_e32 v8, 31, v8
	v_xor_b32_e32 v9, vcc_hi, v8
	v_xor_b32_e32 v8, vcc_lo, v8
	v_and_b32_e32 v0, v0, v9
	v_and_b32_e32 v54, v54, v8
	v_lshlrev_b32_e32 v9, 28, v53
	v_mov_b32_e32 v8, v1
	v_cmp_gt_i64_e32 vcc, 0, v[8:9]
	v_not_b32_e32 v8, v9
	v_ashrrev_i32_e32 v8, 31, v8
	;; [unrolled: 9-line block ×5, first 2 shown]
	v_xor_b32_e32 v9, vcc_hi, v8
	v_xor_b32_e32 v8, vcc_lo, v8
	v_and_b32_e32 v0, v0, v9
	v_lshlrev_b32_e32 v9, 24, v53
	v_and_b32_e32 v54, v54, v8
	v_mov_b32_e32 v8, v1
	v_not_b32_e32 v1, v9
	v_cmp_gt_i64_e32 vcc, 0, v[8:9]
	v_ashrrev_i32_e32 v1, 31, v1
	ds_read_b32 v51, v55 offset:64
	v_xor_b32_e32 v8, vcc_hi, v1
	v_xor_b32_e32 v9, vcc_lo, v1
	v_and_b32_e32 v1, v0, v8
	v_and_b32_e32 v0, v54, v9
	v_mbcnt_lo_u32_b32 v8, v0, 0
	v_mbcnt_hi_u32_b32 v53, v1, v8
	v_cmp_eq_u32_e32 vcc, 0, v53
	v_cmp_ne_u64_e64 s[0:1], 0, v[0:1]
	s_and_b64 s[2:3], s[0:1], vcc
	; wave barrier
	s_and_saveexec_b64 s[0:1], s[2:3]
	s_cbranch_execz .LBB1018_229
; %bb.228:
	v_bcnt_u32_b32 v0, v0, 0
	v_bcnt_u32_b32 v0, v1, v0
	s_waitcnt lgkmcnt(0)
	v_add_u32_e32 v0, v51, v0
	ds_write_b32 v55, v0 offset:64
.LBB1018_229:
	s_or_b64 exec, exec, s[0:1]
	s_waitcnt vmcnt(5)
	v_xor_b32_e32 v44, 0x7fffffff, v44
	v_lshrrev_b32_e32 v0, s64, v44
	v_and_b32_e32 v56, s13, v0
	s_movk_i32 s2, 0x44
	v_mul_lo_u32 v0, v56, s2
	v_lshl_add_u32 v58, v27, 2, v0
	v_and_b32_e32 v0, 1, v56
	v_mov_b32_e32 v1, 0
	v_lshl_add_u64 v[8:9], v[0:1], 0, -1
	v_cmp_ne_u32_e32 vcc, 0, v0
	; wave barrier
	s_nop 1
	v_xor_b32_e32 v8, vcc_lo, v8
	v_xor_b32_e32 v0, vcc_hi, v9
	v_and_b32_e32 v57, exec_lo, v8
	v_lshlrev_b32_e32 v9, 30, v56
	v_mov_b32_e32 v8, v1
	v_cmp_gt_i64_e32 vcc, 0, v[8:9]
	v_not_b32_e32 v8, v9
	v_ashrrev_i32_e32 v8, 31, v8
	v_and_b32_e32 v0, exec_hi, v0
	v_xor_b32_e32 v9, vcc_hi, v8
	v_xor_b32_e32 v8, vcc_lo, v8
	v_and_b32_e32 v0, v0, v9
	v_and_b32_e32 v57, v57, v8
	v_lshlrev_b32_e32 v9, 29, v56
	v_mov_b32_e32 v8, v1
	v_cmp_gt_i64_e32 vcc, 0, v[8:9]
	v_not_b32_e32 v8, v9
	v_ashrrev_i32_e32 v8, 31, v8
	v_xor_b32_e32 v9, vcc_hi, v8
	v_xor_b32_e32 v8, vcc_lo, v8
	v_and_b32_e32 v0, v0, v9
	v_and_b32_e32 v57, v57, v8
	v_lshlrev_b32_e32 v9, 28, v56
	v_mov_b32_e32 v8, v1
	v_cmp_gt_i64_e32 vcc, 0, v[8:9]
	v_not_b32_e32 v8, v9
	v_ashrrev_i32_e32 v8, 31, v8
	;; [unrolled: 9-line block ×6, first 2 shown]
	v_xor_b32_e32 v9, vcc_hi, v8
	v_xor_b32_e32 v8, vcc_lo, v8
	ds_read_b32 v54, v58 offset:64
	v_and_b32_e32 v8, v57, v8
	v_and_b32_e32 v9, v0, v9
	v_mbcnt_lo_u32_b32 v0, v8, 0
	v_mbcnt_hi_u32_b32 v56, v9, v0
	v_cmp_eq_u32_e32 vcc, 0, v56
	v_cmp_ne_u64_e64 s[0:1], 0, v[8:9]
	s_and_b64 s[4:5], s[0:1], vcc
	; wave barrier
	s_and_saveexec_b64 s[0:1], s[4:5]
	s_cbranch_execz .LBB1018_231
; %bb.230:
	v_bcnt_u32_b32 v0, v8, 0
	v_bcnt_u32_b32 v0, v9, v0
	s_waitcnt lgkmcnt(0)
	v_add_u32_e32 v0, v54, v0
	ds_write_b32 v58, v0 offset:64
.LBB1018_231:
	s_or_b64 exec, exec, s[0:1]
	s_waitcnt vmcnt(4)
	v_xor_b32_e32 v45, 0x7fffffff, v45
	v_lshrrev_b32_e32 v0, s64, v45
	v_and_b32_e32 v59, s13, v0
	v_mul_lo_u32 v0, v59, s2
	v_lshl_add_u32 v62, v27, 2, v0
	v_and_b32_e32 v0, 1, v59
	v_lshl_add_u64 v[8:9], v[0:1], 0, -1
	v_cmp_ne_u32_e32 vcc, 0, v0
	; wave barrier
	s_nop 1
	v_xor_b32_e32 v8, vcc_lo, v8
	v_xor_b32_e32 v0, vcc_hi, v9
	v_and_b32_e32 v60, exec_lo, v8
	v_lshlrev_b32_e32 v9, 30, v59
	v_mov_b32_e32 v8, v1
	v_cmp_gt_i64_e32 vcc, 0, v[8:9]
	v_not_b32_e32 v8, v9
	v_ashrrev_i32_e32 v8, 31, v8
	v_and_b32_e32 v0, exec_hi, v0
	v_xor_b32_e32 v9, vcc_hi, v8
	v_xor_b32_e32 v8, vcc_lo, v8
	v_and_b32_e32 v0, v0, v9
	v_and_b32_e32 v60, v60, v8
	v_lshlrev_b32_e32 v9, 29, v59
	v_mov_b32_e32 v8, v1
	v_cmp_gt_i64_e32 vcc, 0, v[8:9]
	v_not_b32_e32 v8, v9
	v_ashrrev_i32_e32 v8, 31, v8
	v_xor_b32_e32 v9, vcc_hi, v8
	v_xor_b32_e32 v8, vcc_lo, v8
	v_and_b32_e32 v0, v0, v9
	v_and_b32_e32 v60, v60, v8
	v_lshlrev_b32_e32 v9, 28, v59
	v_mov_b32_e32 v8, v1
	v_cmp_gt_i64_e32 vcc, 0, v[8:9]
	v_not_b32_e32 v8, v9
	v_ashrrev_i32_e32 v8, 31, v8
	;; [unrolled: 9-line block ×5, first 2 shown]
	v_xor_b32_e32 v9, vcc_hi, v8
	v_xor_b32_e32 v8, vcc_lo, v8
	v_and_b32_e32 v0, v0, v9
	v_lshlrev_b32_e32 v9, 24, v59
	v_and_b32_e32 v60, v60, v8
	v_mov_b32_e32 v8, v1
	v_not_b32_e32 v1, v9
	v_cmp_gt_i64_e32 vcc, 0, v[8:9]
	v_ashrrev_i32_e32 v1, 31, v1
	ds_read_b32 v57, v62 offset:64
	v_xor_b32_e32 v8, vcc_hi, v1
	v_xor_b32_e32 v9, vcc_lo, v1
	v_and_b32_e32 v1, v0, v8
	v_and_b32_e32 v0, v60, v9
	v_mbcnt_lo_u32_b32 v8, v0, 0
	v_mbcnt_hi_u32_b32 v59, v1, v8
	v_cmp_eq_u32_e32 vcc, 0, v59
	v_cmp_ne_u64_e64 s[0:1], 0, v[0:1]
	s_and_b64 s[2:3], s[0:1], vcc
	; wave barrier
	s_and_saveexec_b64 s[0:1], s[2:3]
	s_cbranch_execz .LBB1018_233
; %bb.232:
	v_bcnt_u32_b32 v0, v0, 0
	v_bcnt_u32_b32 v0, v1, v0
	s_waitcnt lgkmcnt(0)
	v_add_u32_e32 v0, v57, v0
	ds_write_b32 v62, v0 offset:64
.LBB1018_233:
	s_or_b64 exec, exec, s[0:1]
	s_waitcnt vmcnt(3)
	v_xor_b32_e32 v40, 0x7fffffff, v40
	v_lshrrev_b32_e32 v0, s64, v40
	v_and_b32_e32 v61, s13, v0
	s_movk_i32 s2, 0x44
	v_mul_lo_u32 v0, v61, s2
	v_lshl_add_u32 v65, v27, 2, v0
	v_and_b32_e32 v0, 1, v61
	v_mov_b32_e32 v1, 0
	v_lshl_add_u64 v[8:9], v[0:1], 0, -1
	v_cmp_ne_u32_e32 vcc, 0, v0
	; wave barrier
	s_nop 1
	v_xor_b32_e32 v8, vcc_lo, v8
	v_xor_b32_e32 v0, vcc_hi, v9
	v_and_b32_e32 v63, exec_lo, v8
	v_lshlrev_b32_e32 v9, 30, v61
	v_mov_b32_e32 v8, v1
	v_cmp_gt_i64_e32 vcc, 0, v[8:9]
	v_not_b32_e32 v8, v9
	v_ashrrev_i32_e32 v8, 31, v8
	v_and_b32_e32 v0, exec_hi, v0
	v_xor_b32_e32 v9, vcc_hi, v8
	v_xor_b32_e32 v8, vcc_lo, v8
	v_and_b32_e32 v0, v0, v9
	v_and_b32_e32 v63, v63, v8
	v_lshlrev_b32_e32 v9, 29, v61
	v_mov_b32_e32 v8, v1
	v_cmp_gt_i64_e32 vcc, 0, v[8:9]
	v_not_b32_e32 v8, v9
	v_ashrrev_i32_e32 v8, 31, v8
	v_xor_b32_e32 v9, vcc_hi, v8
	v_xor_b32_e32 v8, vcc_lo, v8
	v_and_b32_e32 v0, v0, v9
	v_and_b32_e32 v63, v63, v8
	v_lshlrev_b32_e32 v9, 28, v61
	v_mov_b32_e32 v8, v1
	v_cmp_gt_i64_e32 vcc, 0, v[8:9]
	v_not_b32_e32 v8, v9
	v_ashrrev_i32_e32 v8, 31, v8
	;; [unrolled: 9-line block ×6, first 2 shown]
	v_xor_b32_e32 v9, vcc_hi, v8
	v_xor_b32_e32 v8, vcc_lo, v8
	ds_read_b32 v60, v65 offset:64
	v_and_b32_e32 v8, v63, v8
	v_and_b32_e32 v9, v0, v9
	v_mbcnt_lo_u32_b32 v0, v8, 0
	v_mbcnt_hi_u32_b32 v63, v9, v0
	v_cmp_eq_u32_e32 vcc, 0, v63
	v_cmp_ne_u64_e64 s[0:1], 0, v[8:9]
	s_and_b64 s[4:5], s[0:1], vcc
	; wave barrier
	s_and_saveexec_b64 s[0:1], s[4:5]
	s_cbranch_execz .LBB1018_235
; %bb.234:
	v_bcnt_u32_b32 v0, v8, 0
	v_bcnt_u32_b32 v0, v9, v0
	s_waitcnt lgkmcnt(0)
	v_add_u32_e32 v0, v60, v0
	ds_write_b32 v65, v0 offset:64
.LBB1018_235:
	s_or_b64 exec, exec, s[0:1]
	s_waitcnt vmcnt(2)
	v_xor_b32_e32 v36, 0x7fffffff, v36
	v_lshrrev_b32_e32 v0, s64, v36
	v_and_b32_e32 v61, s13, v0
	v_mul_lo_u32 v0, v61, s2
	v_lshl_add_u32 v68, v27, 2, v0
	v_and_b32_e32 v0, 1, v61
	v_lshl_add_u64 v[8:9], v[0:1], 0, -1
	v_cmp_ne_u32_e32 vcc, 0, v0
	; wave barrier
	s_nop 1
	v_xor_b32_e32 v8, vcc_lo, v8
	v_xor_b32_e32 v0, vcc_hi, v9
	v_and_b32_e32 v66, exec_lo, v8
	v_lshlrev_b32_e32 v9, 30, v61
	v_mov_b32_e32 v8, v1
	v_cmp_gt_i64_e32 vcc, 0, v[8:9]
	v_not_b32_e32 v8, v9
	v_ashrrev_i32_e32 v8, 31, v8
	v_and_b32_e32 v0, exec_hi, v0
	v_xor_b32_e32 v9, vcc_hi, v8
	v_xor_b32_e32 v8, vcc_lo, v8
	v_and_b32_e32 v0, v0, v9
	v_and_b32_e32 v66, v66, v8
	v_lshlrev_b32_e32 v9, 29, v61
	v_mov_b32_e32 v8, v1
	v_cmp_gt_i64_e32 vcc, 0, v[8:9]
	v_not_b32_e32 v8, v9
	v_ashrrev_i32_e32 v8, 31, v8
	v_xor_b32_e32 v9, vcc_hi, v8
	v_xor_b32_e32 v8, vcc_lo, v8
	v_and_b32_e32 v0, v0, v9
	v_and_b32_e32 v66, v66, v8
	v_lshlrev_b32_e32 v9, 28, v61
	v_mov_b32_e32 v8, v1
	v_cmp_gt_i64_e32 vcc, 0, v[8:9]
	v_not_b32_e32 v8, v9
	v_ashrrev_i32_e32 v8, 31, v8
	;; [unrolled: 9-line block ×5, first 2 shown]
	v_xor_b32_e32 v9, vcc_hi, v8
	v_xor_b32_e32 v8, vcc_lo, v8
	v_and_b32_e32 v0, v0, v9
	v_lshlrev_b32_e32 v9, 24, v61
	v_and_b32_e32 v66, v66, v8
	v_mov_b32_e32 v8, v1
	v_not_b32_e32 v1, v9
	v_cmp_gt_i64_e32 vcc, 0, v[8:9]
	v_ashrrev_i32_e32 v1, 31, v1
	ds_read_b32 v64, v68 offset:64
	v_xor_b32_e32 v8, vcc_hi, v1
	v_xor_b32_e32 v9, vcc_lo, v1
	v_and_b32_e32 v1, v0, v8
	v_and_b32_e32 v0, v66, v9
	v_mbcnt_lo_u32_b32 v8, v0, 0
	v_mbcnt_hi_u32_b32 v66, v1, v8
	v_cmp_eq_u32_e32 vcc, 0, v66
	v_cmp_ne_u64_e64 s[0:1], 0, v[0:1]
	s_and_b64 s[2:3], s[0:1], vcc
	; wave barrier
	s_and_saveexec_b64 s[0:1], s[2:3]
	s_cbranch_execz .LBB1018_237
; %bb.236:
	v_bcnt_u32_b32 v0, v0, 0
	v_bcnt_u32_b32 v0, v1, v0
	s_waitcnt lgkmcnt(0)
	v_add_u32_e32 v0, v64, v0
	ds_write_b32 v68, v0 offset:64
.LBB1018_237:
	s_or_b64 exec, exec, s[0:1]
	s_waitcnt vmcnt(1)
	v_xor_b32_e32 v31, 0x7fffffff, v31
	v_lshrrev_b32_e32 v0, s64, v31
	v_and_b32_e32 v61, s13, v0
	s_movk_i32 s2, 0x44
	v_mul_lo_u32 v0, v61, s2
	v_lshl_add_u32 v70, v27, 2, v0
	v_and_b32_e32 v0, 1, v61
	v_mov_b32_e32 v1, 0
	v_lshl_add_u64 v[8:9], v[0:1], 0, -1
	v_cmp_ne_u32_e32 vcc, 0, v0
	; wave barrier
	s_nop 1
	v_xor_b32_e32 v8, vcc_lo, v8
	v_xor_b32_e32 v0, vcc_hi, v9
	v_and_b32_e32 v69, exec_lo, v8
	v_lshlrev_b32_e32 v9, 30, v61
	v_mov_b32_e32 v8, v1
	v_cmp_gt_i64_e32 vcc, 0, v[8:9]
	v_not_b32_e32 v8, v9
	v_ashrrev_i32_e32 v8, 31, v8
	v_and_b32_e32 v0, exec_hi, v0
	v_xor_b32_e32 v9, vcc_hi, v8
	v_xor_b32_e32 v8, vcc_lo, v8
	v_and_b32_e32 v0, v0, v9
	v_and_b32_e32 v69, v69, v8
	v_lshlrev_b32_e32 v9, 29, v61
	v_mov_b32_e32 v8, v1
	v_cmp_gt_i64_e32 vcc, 0, v[8:9]
	v_not_b32_e32 v8, v9
	v_ashrrev_i32_e32 v8, 31, v8
	v_xor_b32_e32 v9, vcc_hi, v8
	v_xor_b32_e32 v8, vcc_lo, v8
	v_and_b32_e32 v0, v0, v9
	v_and_b32_e32 v69, v69, v8
	v_lshlrev_b32_e32 v9, 28, v61
	v_mov_b32_e32 v8, v1
	v_cmp_gt_i64_e32 vcc, 0, v[8:9]
	v_not_b32_e32 v8, v9
	v_ashrrev_i32_e32 v8, 31, v8
	;; [unrolled: 9-line block ×6, first 2 shown]
	v_xor_b32_e32 v9, vcc_hi, v8
	v_xor_b32_e32 v8, vcc_lo, v8
	ds_read_b32 v67, v70 offset:64
	v_and_b32_e32 v8, v69, v8
	v_and_b32_e32 v9, v0, v9
	v_mbcnt_lo_u32_b32 v0, v8, 0
	v_mbcnt_hi_u32_b32 v69, v9, v0
	v_cmp_eq_u32_e32 vcc, 0, v69
	v_cmp_ne_u64_e64 s[0:1], 0, v[8:9]
	s_and_b64 s[4:5], s[0:1], vcc
	; wave barrier
	s_and_saveexec_b64 s[0:1], s[4:5]
	s_cbranch_execz .LBB1018_239
; %bb.238:
	v_bcnt_u32_b32 v0, v8, 0
	v_bcnt_u32_b32 v0, v9, v0
	s_waitcnt lgkmcnt(0)
	v_add_u32_e32 v0, v67, v0
	ds_write_b32 v70, v0 offset:64
.LBB1018_239:
	s_or_b64 exec, exec, s[0:1]
	s_waitcnt vmcnt(0)
	v_xor_b32_e32 v61, 0x7fffffff, v25
	v_lshrrev_b32_e32 v0, s64, v61
	v_and_b32_e32 v25, s13, v0
	v_mul_lo_u32 v0, v25, s2
	v_lshl_add_u32 v72, v27, 2, v0
	v_and_b32_e32 v0, 1, v25
	v_lshl_add_u64 v[8:9], v[0:1], 0, -1
	v_cmp_ne_u32_e32 vcc, 0, v0
	; wave barrier
	s_nop 1
	v_xor_b32_e32 v8, vcc_lo, v8
	v_xor_b32_e32 v0, vcc_hi, v9
	v_and_b32_e32 v71, exec_lo, v8
	v_lshlrev_b32_e32 v9, 30, v25
	v_mov_b32_e32 v8, v1
	v_cmp_gt_i64_e32 vcc, 0, v[8:9]
	v_not_b32_e32 v8, v9
	v_ashrrev_i32_e32 v8, 31, v8
	v_and_b32_e32 v0, exec_hi, v0
	v_xor_b32_e32 v9, vcc_hi, v8
	v_xor_b32_e32 v8, vcc_lo, v8
	v_and_b32_e32 v0, v0, v9
	v_and_b32_e32 v71, v71, v8
	v_lshlrev_b32_e32 v9, 29, v25
	v_mov_b32_e32 v8, v1
	v_cmp_gt_i64_e32 vcc, 0, v[8:9]
	v_not_b32_e32 v8, v9
	v_ashrrev_i32_e32 v8, 31, v8
	v_xor_b32_e32 v9, vcc_hi, v8
	v_xor_b32_e32 v8, vcc_lo, v8
	v_and_b32_e32 v0, v0, v9
	v_and_b32_e32 v71, v71, v8
	v_lshlrev_b32_e32 v9, 28, v25
	v_mov_b32_e32 v8, v1
	v_cmp_gt_i64_e32 vcc, 0, v[8:9]
	v_not_b32_e32 v8, v9
	v_ashrrev_i32_e32 v8, 31, v8
	;; [unrolled: 9-line block ×5, first 2 shown]
	v_xor_b32_e32 v9, vcc_hi, v8
	v_xor_b32_e32 v8, vcc_lo, v8
	v_and_b32_e32 v0, v0, v9
	v_lshlrev_b32_e32 v9, 24, v25
	v_and_b32_e32 v71, v71, v8
	v_mov_b32_e32 v8, v1
	v_not_b32_e32 v1, v9
	v_cmp_gt_i64_e32 vcc, 0, v[8:9]
	v_ashrrev_i32_e32 v1, 31, v1
	ds_read_b32 v27, v72 offset:64
	v_xor_b32_e32 v8, vcc_hi, v1
	v_xor_b32_e32 v9, vcc_lo, v1
	v_and_b32_e32 v1, v0, v8
	v_and_b32_e32 v0, v71, v9
	v_mbcnt_lo_u32_b32 v8, v0, 0
	v_mbcnt_hi_u32_b32 v71, v1, v8
	v_cmp_eq_u32_e32 vcc, 0, v71
	v_cmp_ne_u64_e64 s[0:1], 0, v[0:1]
	s_and_b64 s[2:3], s[0:1], vcc
	; wave barrier
	s_and_saveexec_b64 s[0:1], s[2:3]
	s_cbranch_execz .LBB1018_241
; %bb.240:
	v_bcnt_u32_b32 v0, v0, 0
	v_bcnt_u32_b32 v0, v1, v0
	s_waitcnt lgkmcnt(0)
	v_add_u32_e32 v0, v27, v0
	ds_write_b32 v72, v0 offset:64
.LBB1018_241:
	s_or_b64 exec, exec, s[0:1]
	; wave barrier
	s_waitcnt lgkmcnt(0)
	s_barrier
	ds_read2_b32 v[8:9], v11 offset0:16 offset1:17
	ds_read2_b32 v[0:1], v11 offset0:18 offset1:19
	ds_read_b32 v25, v11 offset:80
	v_cmp_lt_u32_e64 s[2:3], 31, v10
	s_waitcnt lgkmcnt(1)
	v_add3_u32 v73, v9, v8, v0
	s_waitcnt lgkmcnt(0)
	v_add3_u32 v25, v73, v1, v25
	v_and_b32_e32 v73, 15, v10
	v_cmp_eq_u32_e32 vcc, 0, v73
	v_mov_b32_dpp v74, v25 row_shr:1 row_mask:0xf bank_mask:0xf
	v_cmp_lt_u32_e64 s[0:1], 1, v73
	v_cndmask_b32_e64 v74, v74, 0, vcc
	v_add_u32_e32 v25, v74, v25
	v_cmp_lt_u32_e64 s[4:5], 3, v73
	v_cmp_lt_u32_e64 s[6:7], 7, v73
	v_mov_b32_dpp v74, v25 row_shr:2 row_mask:0xf bank_mask:0xf
	v_cndmask_b32_e64 v74, 0, v74, s[0:1]
	v_add_u32_e32 v25, v25, v74
	s_nop 1
	v_mov_b32_dpp v74, v25 row_shr:4 row_mask:0xf bank_mask:0xf
	v_cndmask_b32_e64 v74, 0, v74, s[4:5]
	v_add_u32_e32 v25, v25, v74
	s_nop 1
	v_mov_b32_dpp v74, v25 row_shr:8 row_mask:0xf bank_mask:0xf
	v_cndmask_b32_e64 v73, 0, v74, s[6:7]
	v_add_u32_e32 v25, v25, v73
	v_bfe_i32 v74, v10, 4, 1
	s_nop 0
	v_mov_b32_dpp v73, v25 row_bcast:15 row_mask:0xf bank_mask:0xf
	v_and_b32_e32 v73, v74, v73
	v_add_u32_e32 v25, v25, v73
	v_lshrrev_b32_e32 v74, 6, v2
	s_nop 0
	v_mov_b32_dpp v73, v25 row_bcast:31 row_mask:0xf bank_mask:0xf
	v_cndmask_b32_e64 v73, 0, v73, s[2:3]
	v_add_u32_e32 v73, v25, v73
	v_and_b32_e32 v25, 63, v2
	v_cmp_eq_u32_e64 s[2:3], 63, v25
	s_and_saveexec_b64 s[10:11], s[2:3]
; %bb.242:
	v_lshlrev_b32_e32 v25, 2, v74
	ds_write_b32 v25, v73
; %bb.243:
	s_or_b64 exec, exec, s[10:11]
	v_cmp_gt_u32_e64 s[2:3], 16, v2
	v_lshlrev_b32_e32 v25, 2, v2
	s_waitcnt lgkmcnt(0)
	s_barrier
	s_and_saveexec_b64 s[10:11], s[2:3]
	s_cbranch_execz .LBB1018_245
; %bb.244:
	ds_read_b32 v75, v25
	s_waitcnt lgkmcnt(0)
	s_nop 0
	v_mov_b32_dpp v76, v75 row_shr:1 row_mask:0xf bank_mask:0xf
	v_cndmask_b32_e64 v76, v76, 0, vcc
	v_add_u32_e32 v75, v76, v75
	s_nop 1
	v_mov_b32_dpp v76, v75 row_shr:2 row_mask:0xf bank_mask:0xf
	v_cndmask_b32_e64 v76, 0, v76, s[0:1]
	v_add_u32_e32 v75, v75, v76
	s_nop 1
	v_mov_b32_dpp v76, v75 row_shr:4 row_mask:0xf bank_mask:0xf
	v_cndmask_b32_e64 v76, 0, v76, s[4:5]
	;; [unrolled: 4-line block ×3, first 2 shown]
	v_add_u32_e32 v75, v75, v76
	ds_write_b32 v25, v75
.LBB1018_245:
	s_or_b64 exec, exec, s[10:11]
	v_cmp_lt_u32_e32 vcc, 63, v2
	v_mov_b32_e32 v75, 0
	s_waitcnt lgkmcnt(0)
	s_barrier
	s_and_saveexec_b64 s[0:1], vcc
; %bb.246:
	v_lshl_add_u32 v74, v74, 2, -4
	ds_read_b32 v75, v74
; %bb.247:
	s_or_b64 exec, exec, s[0:1]
	v_subrev_co_u32_e32 v74, vcc, 1, v10
	v_and_b32_e32 v76, 64, v10
	v_cmp_lt_i32_e64 s[0:1], v74, v76
	s_waitcnt lgkmcnt(0)
	v_add_u32_e32 v73, v75, v73
	s_movk_i32 s2, 0x100
	v_cndmask_b32_e64 v10, v74, v10, s[0:1]
	v_lshlrev_b32_e32 v10, 2, v10
	ds_bpermute_b32 v10, v10, v73
	s_movk_i32 s0, 0xff
	s_waitcnt lgkmcnt(0)
	v_cndmask_b32_e32 v10, v10, v75, vcc
	v_cndmask_b32_e64 v10, v10, 0, s[44:45]
	v_add_u32_e32 v8, v10, v8
	v_add_u32_e32 v9, v8, v9
	;; [unrolled: 1-line block ×4, first 2 shown]
	ds_write2_b32 v11, v10, v8 offset0:16 offset1:17
	ds_write2_b32 v11, v9, v0 offset0:18 offset1:19
	ds_write_b32 v11, v1 offset:80
	s_waitcnt lgkmcnt(0)
	s_barrier
	ds_read_b32 v81, v18 offset:64
	ds_read_b32 v73, v21 offset:64
	ds_read_b32 v74, v26 offset:64
	ds_read_b32 v75, v32 offset:64
	ds_read_b32 v76, v37 offset:64
	ds_read_b32 v77, v41 offset:64
	ds_read_b32 v78, v46 offset:64
	ds_read_b32 v79, v49 offset:64
	ds_read_b32 v80, v52 offset:64
	ds_read_b32 v55, v55 offset:64
	ds_read_b32 v52, v58 offset:64
	ds_read_b32 v46, v62 offset:64
	ds_read_b32 v37, v65 offset:64
	ds_read_b32 v32, v68 offset:64
	ds_read_b32 v26, v70 offset:64
	ds_read_b32 v41, v72 offset:64
	v_cmp_lt_u32_e32 vcc, s0, v2
	v_cmp_gt_u32_e64 s[0:1], s2, v2
                                        ; implicit-def: $vgpr18
                                        ; implicit-def: $vgpr21
	s_and_saveexec_b64 s[4:5], s[0:1]
	s_cbranch_execz .LBB1018_251
; %bb.248:
	v_mul_u32_u24_e32 v0, 0x44, v2
	ds_read_b32 v18, v0 offset:64
	v_add_u32_e32 v1, 1, v2
	v_cmp_ne_u32_e64 s[2:3], s2, v1
	v_mov_b32_e32 v0, 0x4000
	s_and_saveexec_b64 s[6:7], s[2:3]
; %bb.249:
	v_mul_u32_u24_e32 v0, 0x44, v1
	ds_read_b32 v0, v0 offset:64
; %bb.250:
	s_or_b64 exec, exec, s[6:7]
	s_waitcnt lgkmcnt(0)
	v_sub_u32_e32 v21, v0, v18
.LBB1018_251:
	s_or_b64 exec, exec, s[4:5]
	v_mov_b32_e32 v1, 0
	s_waitcnt lgkmcnt(0)
	s_barrier
	s_and_saveexec_b64 s[2:3], s[0:1]
	s_cbranch_execz .LBB1018_261
; %bb.252:
	v_lshl_add_u32 v0, s33, 8, v2
	v_lshl_add_u64 v[8:9], v[0:1], 2, s[68:69]
	v_or_b32_e32 v0, 2.0, v21
	s_mov_b64 s[4:5], 0
	s_brev_b32 s14, -4
	s_mov_b32 s15, s33
	v_mov_b32_e32 v49, 0
	global_store_dword v[8:9], v0, off sc1
                                        ; implicit-def: $sgpr0_sgpr1
	s_branch .LBB1018_255
.LBB1018_253:                           ;   in Loop: Header=BB1018_255 Depth=1
	s_or_b64 exec, exec, s[10:11]
.LBB1018_254:                           ;   in Loop: Header=BB1018_255 Depth=1
	s_or_b64 exec, exec, s[6:7]
	v_and_b32_e32 v10, 0x3fffffff, v0
	v_add_u32_e32 v49, v10, v49
	v_cmp_gt_i32_e64 s[0:1], -2.0, v0
	s_and_b64 s[6:7], exec, s[0:1]
	s_or_b64 s[4:5], s[6:7], s[4:5]
	s_andn2_b64 exec, exec, s[4:5]
	s_cbranch_execz .LBB1018_260
.LBB1018_255:                           ; =>This Loop Header: Depth=1
                                        ;     Child Loop BB1018_258 Depth 2
	s_or_b64 s[0:1], s[0:1], exec
	s_cmp_eq_u32 s15, 0
	s_cbranch_scc1 .LBB1018_259
; %bb.256:                              ;   in Loop: Header=BB1018_255 Depth=1
	s_add_i32 s15, s15, -1
	v_lshl_or_b32 v0, s15, 8, v2
	v_lshl_add_u64 v[10:11], v[0:1], 2, s[68:69]
	global_load_dword v0, v[10:11], off sc1
	s_waitcnt vmcnt(0)
	v_cmp_gt_u32_e64 s[0:1], 2.0, v0
	s_and_saveexec_b64 s[6:7], s[0:1]
	s_cbranch_execz .LBB1018_254
; %bb.257:                              ;   in Loop: Header=BB1018_255 Depth=1
	s_mov_b64 s[10:11], 0
.LBB1018_258:                           ;   Parent Loop BB1018_255 Depth=1
                                        ; =>  This Inner Loop Header: Depth=2
	global_load_dword v0, v[10:11], off sc1
	s_waitcnt vmcnt(0)
	v_cmp_lt_u32_e64 s[0:1], s14, v0
	s_or_b64 s[10:11], s[0:1], s[10:11]
	s_andn2_b64 exec, exec, s[10:11]
	s_cbranch_execnz .LBB1018_258
	s_branch .LBB1018_253
.LBB1018_259:                           ;   in Loop: Header=BB1018_255 Depth=1
                                        ; implicit-def: $sgpr15
	s_and_b64 s[6:7], exec, s[0:1]
	s_or_b64 s[4:5], s[6:7], s[4:5]
	s_andn2_b64 exec, exec, s[4:5]
	s_cbranch_execnz .LBB1018_255
.LBB1018_260:
	s_or_b64 exec, exec, s[4:5]
	v_add_u32_e32 v0, v49, v21
	v_or_b32_e32 v0, 0x80000000, v0
	global_store_dword v[8:9], v0, off sc1
	global_load_dword v0, v25, s[60:61]
	v_sub_u32_e32 v1, v49, v18
	s_waitcnt vmcnt(0)
	v_add_u32_e32 v0, v1, v0
	ds_write_b32 v25, v0
.LBB1018_261:
	s_or_b64 exec, exec, s[2:3]
	v_add_u32_e32 v8, v81, v14
	v_add3_u32 v0, v16, v13, v73
	v_add3_u32 v1, v20, v17, v74
	;; [unrolled: 1-line block ×15, first 2 shown]
	v_mov_b32_e32 v85, 0x400
	s_mov_b32 s4, s64
	s_mov_b32 s5, s13
	s_movk_i32 s6, 0x400
	v_lshl_add_u32 v9, v9, 2, v85
	v_add3_u32 v10, v71, v41, v27
	v_lshl_add_u32 v11, v11, 2, v85
	v_add3_u32 v14, v69, v26, v67
	;; [unrolled: 2-line block ×15, first 2 shown]
	v_lshl_add_u32 v16, v8, 2, v85
	s_mov_b32 s7, 0
	s_mov_b32 s10, 0
	s_movk_i32 s11, 0x1000
	v_mov_b32_e32 v1, 0
	s_movk_i32 s14, 0x800
	s_movk_i32 s15, 0xc00
	v_mov_b32_e32 v55, v2
	s_mov_b32 s16, 0
	s_branch .LBB1018_263
.LBB1018_262:                           ;   in Loop: Header=BB1018_263 Depth=1
	s_or_b64 exec, exec, s[2:3]
	s_waitcnt lgkmcnt(0)
	s_barrier
	ds_read2st64_b32 v[56:57], v25 offset0:4 offset1:20
	ds_read2st64_b32 v[62:63], v25 offset0:36 offset1:52
	s_addk_i32 s16, 0xc000
	s_addk_i32 s10, 0xf000
	s_waitcnt lgkmcnt(1)
	v_xor_b32_e32 v60, 0x7fffffff, v56
	v_lshrrev_b32_e32 v56, s64, v56
	v_lshrrev_b32_e32 v0, s4, v57
	v_and_b32_e32 v56, s13, v56
	v_xor_b32_e32 v66, 0x7fffffff, v57
	v_and_b32_e32 v57, s5, v0
	v_lshlrev_b32_e32 v0, 2, v56
	ds_read_b32 v0, v0
	s_waitcnt lgkmcnt(1)
	v_lshrrev_b32_e32 v58, s4, v63
	v_lshrrev_b32_e32 v65, s64, v62
	v_and_b32_e32 v59, s5, v58
	v_lshlrev_b32_e32 v64, 2, v57
	v_and_b32_e32 v58, s13, v65
	v_lshlrev_b32_e32 v67, 2, v59
	v_lshlrev_b32_e32 v65, 2, v58
	ds_read_b32 v68, v64
	ds_read_b32 v69, v65
	ds_read_b32 v67, v67
	s_waitcnt lgkmcnt(3)
	v_add_u32_e32 v0, v55, v0
	v_lshl_add_u64 v[64:65], v[0:1], 2, s[54:55]
	s_waitcnt lgkmcnt(2)
	v_add3_u32 v0, v55, v68, s6
	global_store_dword v[64:65], v60, off
	v_lshl_add_u64 v[64:65], v[0:1], 2, s[54:55]
	s_waitcnt lgkmcnt(1)
	v_add3_u32 v0, v55, v69, s14
	global_store_dword v[64:65], v66, off
	v_xor_b32_e32 v60, 0x7fffffff, v62
	v_xor_b32_e32 v64, 0x7fffffff, v63
	v_lshl_add_u64 v[62:63], v[0:1], 2, s[54:55]
	s_waitcnt lgkmcnt(0)
	v_add3_u32 v0, v55, v67, s15
	global_store_dword v[62:63], v60, off
	v_lshl_add_u64 v[62:63], v[0:1], 2, s[54:55]
	global_store_dword v[62:63], v64, off
	scratch_store_dwordx4 off, v[56:59], s7
	s_add_i32 s7, s7, 16
	s_cmp_eq_u32 s16, 0xffff0000
	v_add_u32_e32 v55, 0x1000, v55
	s_barrier
	s_cbranch_scc1 .LBB1018_295
.LBB1018_263:                           ; =>This Inner Loop Header: Depth=1
	v_add_u32_e32 v0, s10, v8
	v_cmp_gt_u32_e64 s[0:1], s11, v0
	s_and_saveexec_b64 s[2:3], s[0:1]
; %bb.264:                              ;   in Loop: Header=BB1018_263 Depth=1
	v_add_u32_e32 v0, s16, v16
	ds_write_b32 v0, v3
; %bb.265:                              ;   in Loop: Header=BB1018_263 Depth=1
	s_or_b64 exec, exec, s[2:3]
	v_add_u32_e32 v0, s10, v13
	v_cmp_gt_u32_e64 s[0:1], s11, v0
	s_and_saveexec_b64 s[2:3], s[0:1]
; %bb.266:                              ;   in Loop: Header=BB1018_263 Depth=1
	v_add_u32_e32 v0, s16, v20
	ds_write_b32 v0, v5
; %bb.267:                              ;   in Loop: Header=BB1018_263 Depth=1
	s_or_b64 exec, exec, s[2:3]
	;; [unrolled: 8-line block ×15, first 2 shown]
	v_add_u32_e32 v0, s10, v10
	v_cmp_gt_u32_e64 s[0:1], s11, v0
	s_and_saveexec_b64 s[2:3], s[0:1]
	s_cbranch_execz .LBB1018_262
; %bb.294:                              ;   in Loop: Header=BB1018_263 Depth=1
	v_add_u32_e32 v0, s16, v9
	ds_write_b32 v0, v61
	s_branch .LBB1018_262
.LBB1018_295:
	s_add_u32 s0, s56, s8
	s_addc_u32 s1, s57, s9
	v_mov_b32_e32 v5, 0
	v_lshl_add_u64 v[0:1], s[0:1], 0, v[4:5]
	v_mov_b32_e32 v7, v5
	v_lshl_add_u64 v[44:45], v[0:1], 0, v[6:7]
	global_load_dword v0, v[44:45], off
	global_load_dword v1, v[44:45], off offset:256
	global_load_dword v3, v[44:45], off offset:512
	;; [unrolled: 1-line block ×14, first 2 shown]
	s_nop 0
	global_load_dword v44, v[44:45], off offset:3840
	s_mov_b32 s4, 0
	s_mov_b32 s5, 0
	s_movk_i32 s6, 0x1000
	s_movk_i32 s7, 0x400
	;; [unrolled: 1-line block ×4, first 2 shown]
	s_mov_b32 s10, 0
	s_branch .LBB1018_297
.LBB1018_296:                           ;   in Loop: Header=BB1018_297 Depth=1
	s_or_b64 exec, exec, s[2:3]
	s_waitcnt lgkmcnt(0)
	s_barrier
	scratch_load_dwordx4 v[56:59], off, s4
	ds_read2st64_b32 v[60:61], v25 offset0:4 offset1:20
	ds_read2st64_b32 v[62:63], v25 offset0:36 offset1:52
	s_addk_i32 s10, 0xc000
	s_addk_i32 s5, 0xf000
	s_add_i32 s4, s4, 16
	s_cmp_eq_u32 s10, 0xffff0000
	s_waitcnt vmcnt(0)
	v_lshlrev_b32_e32 v4, 2, v56
	ds_read_b32 v4, v4
	v_lshlrev_b32_e32 v45, 2, v57
	v_lshlrev_b32_e32 v55, 2, v58
	v_lshlrev_b32_e32 v56, 2, v59
	ds_read_b32 v45, v45
	ds_read_b32 v55, v55
	;; [unrolled: 1-line block ×3, first 2 shown]
	s_waitcnt lgkmcnt(3)
	v_add_u32_e32 v4, v2, v4
	v_lshl_add_u64 v[56:57], v[4:5], 2, s[58:59]
	s_waitcnt lgkmcnt(2)
	v_add3_u32 v4, v2, v45, s7
	global_store_dword v[56:57], v60, off
	v_lshl_add_u64 v[56:57], v[4:5], 2, s[58:59]
	s_waitcnt lgkmcnt(1)
	v_add3_u32 v4, v2, v55, s8
	global_store_dword v[56:57], v61, off
	;; [unrolled: 4-line block ×3, first 2 shown]
	v_lshl_add_u64 v[56:57], v[4:5], 2, s[58:59]
	v_add_u32_e32 v2, 0x1000, v2
	global_store_dword v[56:57], v63, off
	s_barrier
	s_cbranch_scc1 .LBB1018_329
.LBB1018_297:                           ; =>This Inner Loop Header: Depth=1
	v_add_u32_e32 v4, s5, v8
	v_cmp_gt_u32_e64 s[0:1], s6, v4
	s_and_saveexec_b64 s[2:3], s[0:1]
	s_cbranch_execz .LBB1018_299
; %bb.298:                              ;   in Loop: Header=BB1018_297 Depth=1
	v_add_u32_e32 v4, s10, v16
	s_waitcnt vmcnt(15)
	ds_write_b32 v4, v0
.LBB1018_299:                           ;   in Loop: Header=BB1018_297 Depth=1
	s_or_b64 exec, exec, s[2:3]
	v_add_u32_e32 v4, s5, v13
	v_cmp_gt_u32_e64 s[0:1], s6, v4
	s_and_saveexec_b64 s[2:3], s[0:1]
	s_cbranch_execz .LBB1018_301
; %bb.300:                              ;   in Loop: Header=BB1018_297 Depth=1
	v_add_u32_e32 v4, s10, v20
	s_waitcnt vmcnt(14)
	ds_write_b32 v4, v1
.LBB1018_301:                           ;   in Loop: Header=BB1018_297 Depth=1
	s_or_b64 exec, exec, s[2:3]
	;; [unrolled: 10-line block ×15, first 2 shown]
	v_add_u32_e32 v4, s5, v10
	v_cmp_gt_u32_e64 s[0:1], s6, v4
	s_and_saveexec_b64 s[2:3], s[0:1]
	s_cbranch_execz .LBB1018_296
; %bb.328:                              ;   in Loop: Header=BB1018_297 Depth=1
	v_add_u32_e32 v4, s10, v9
	s_waitcnt vmcnt(0)
	ds_write_b32 v4, v44
	s_branch .LBB1018_296
.LBB1018_329:
	s_add_i32 s12, s12, -1
	s_cmp_eq_u32 s33, s12
	s_cselect_b64 s[0:1], -1, 0
	s_xor_b64 s[2:3], vcc, -1
	s_and_b64 s[0:1], s[2:3], s[0:1]
	s_and_saveexec_b64 s[2:3], s[0:1]
	s_cbranch_execz .LBB1018_331
; %bb.330:
	ds_read_b32 v0, v25
	s_waitcnt lgkmcnt(0)
	v_add3_u32 v0, v18, v21, v0
	global_store_dword v25, v0, s[62:63]
.LBB1018_331:
	s_endpgm
	.section	.rodata,"a",@progbits
	.p2align	6, 0x0
	.amdhsa_kernel _ZN7rocprim17ROCPRIM_400000_NS6detail17trampoline_kernelINS0_14default_configENS1_35radix_sort_onesweep_config_selectorIiiEEZZNS1_29radix_sort_onesweep_iterationIS3_Lb1EN6thrust23THRUST_200600_302600_NS6detail15normal_iteratorINS8_10device_ptrIiEEEESD_SD_SD_jNS0_19identity_decomposerENS1_16block_id_wrapperIjLb1EEEEE10hipError_tT1_PNSt15iterator_traitsISI_E10value_typeET2_T3_PNSJ_ISO_E10value_typeET4_T5_PST_SU_PNS1_23onesweep_lookback_stateEbbT6_jjT7_P12ihipStream_tbENKUlT_T0_SI_SN_E_clIPiSD_S15_SD_EEDaS11_S12_SI_SN_EUlS11_E_NS1_11comp_targetILNS1_3genE6ELNS1_11target_archE950ELNS1_3gpuE13ELNS1_3repE0EEENS1_47radix_sort_onesweep_sort_config_static_selectorELNS0_4arch9wavefront6targetE1EEEvSI_
		.amdhsa_group_segment_fixed_size 20552
		.amdhsa_private_segment_fixed_size 80
		.amdhsa_kernarg_size 344
		.amdhsa_user_sgpr_count 2
		.amdhsa_user_sgpr_dispatch_ptr 0
		.amdhsa_user_sgpr_queue_ptr 0
		.amdhsa_user_sgpr_kernarg_segment_ptr 1
		.amdhsa_user_sgpr_dispatch_id 0
		.amdhsa_user_sgpr_kernarg_preload_length 0
		.amdhsa_user_sgpr_kernarg_preload_offset 0
		.amdhsa_user_sgpr_private_segment_size 0
		.amdhsa_uses_dynamic_stack 0
		.amdhsa_enable_private_segment 1
		.amdhsa_system_sgpr_workgroup_id_x 1
		.amdhsa_system_sgpr_workgroup_id_y 0
		.amdhsa_system_sgpr_workgroup_id_z 0
		.amdhsa_system_sgpr_workgroup_info 0
		.amdhsa_system_vgpr_workitem_id 2
		.amdhsa_next_free_vgpr 89
		.amdhsa_next_free_sgpr 73
		.amdhsa_accum_offset 92
		.amdhsa_reserve_vcc 1
		.amdhsa_float_round_mode_32 0
		.amdhsa_float_round_mode_16_64 0
		.amdhsa_float_denorm_mode_32 3
		.amdhsa_float_denorm_mode_16_64 3
		.amdhsa_dx10_clamp 1
		.amdhsa_ieee_mode 1
		.amdhsa_fp16_overflow 0
		.amdhsa_tg_split 0
		.amdhsa_exception_fp_ieee_invalid_op 0
		.amdhsa_exception_fp_denorm_src 0
		.amdhsa_exception_fp_ieee_div_zero 0
		.amdhsa_exception_fp_ieee_overflow 0
		.amdhsa_exception_fp_ieee_underflow 0
		.amdhsa_exception_fp_ieee_inexact 0
		.amdhsa_exception_int_div_zero 0
	.end_amdhsa_kernel
	.section	.text._ZN7rocprim17ROCPRIM_400000_NS6detail17trampoline_kernelINS0_14default_configENS1_35radix_sort_onesweep_config_selectorIiiEEZZNS1_29radix_sort_onesweep_iterationIS3_Lb1EN6thrust23THRUST_200600_302600_NS6detail15normal_iteratorINS8_10device_ptrIiEEEESD_SD_SD_jNS0_19identity_decomposerENS1_16block_id_wrapperIjLb1EEEEE10hipError_tT1_PNSt15iterator_traitsISI_E10value_typeET2_T3_PNSJ_ISO_E10value_typeET4_T5_PST_SU_PNS1_23onesweep_lookback_stateEbbT6_jjT7_P12ihipStream_tbENKUlT_T0_SI_SN_E_clIPiSD_S15_SD_EEDaS11_S12_SI_SN_EUlS11_E_NS1_11comp_targetILNS1_3genE6ELNS1_11target_archE950ELNS1_3gpuE13ELNS1_3repE0EEENS1_47radix_sort_onesweep_sort_config_static_selectorELNS0_4arch9wavefront6targetE1EEEvSI_,"axG",@progbits,_ZN7rocprim17ROCPRIM_400000_NS6detail17trampoline_kernelINS0_14default_configENS1_35radix_sort_onesweep_config_selectorIiiEEZZNS1_29radix_sort_onesweep_iterationIS3_Lb1EN6thrust23THRUST_200600_302600_NS6detail15normal_iteratorINS8_10device_ptrIiEEEESD_SD_SD_jNS0_19identity_decomposerENS1_16block_id_wrapperIjLb1EEEEE10hipError_tT1_PNSt15iterator_traitsISI_E10value_typeET2_T3_PNSJ_ISO_E10value_typeET4_T5_PST_SU_PNS1_23onesweep_lookback_stateEbbT6_jjT7_P12ihipStream_tbENKUlT_T0_SI_SN_E_clIPiSD_S15_SD_EEDaS11_S12_SI_SN_EUlS11_E_NS1_11comp_targetILNS1_3genE6ELNS1_11target_archE950ELNS1_3gpuE13ELNS1_3repE0EEENS1_47radix_sort_onesweep_sort_config_static_selectorELNS0_4arch9wavefront6targetE1EEEvSI_,comdat
.Lfunc_end1018:
	.size	_ZN7rocprim17ROCPRIM_400000_NS6detail17trampoline_kernelINS0_14default_configENS1_35radix_sort_onesweep_config_selectorIiiEEZZNS1_29radix_sort_onesweep_iterationIS3_Lb1EN6thrust23THRUST_200600_302600_NS6detail15normal_iteratorINS8_10device_ptrIiEEEESD_SD_SD_jNS0_19identity_decomposerENS1_16block_id_wrapperIjLb1EEEEE10hipError_tT1_PNSt15iterator_traitsISI_E10value_typeET2_T3_PNSJ_ISO_E10value_typeET4_T5_PST_SU_PNS1_23onesweep_lookback_stateEbbT6_jjT7_P12ihipStream_tbENKUlT_T0_SI_SN_E_clIPiSD_S15_SD_EEDaS11_S12_SI_SN_EUlS11_E_NS1_11comp_targetILNS1_3genE6ELNS1_11target_archE950ELNS1_3gpuE13ELNS1_3repE0EEENS1_47radix_sort_onesweep_sort_config_static_selectorELNS0_4arch9wavefront6targetE1EEEvSI_, .Lfunc_end1018-_ZN7rocprim17ROCPRIM_400000_NS6detail17trampoline_kernelINS0_14default_configENS1_35radix_sort_onesweep_config_selectorIiiEEZZNS1_29radix_sort_onesweep_iterationIS3_Lb1EN6thrust23THRUST_200600_302600_NS6detail15normal_iteratorINS8_10device_ptrIiEEEESD_SD_SD_jNS0_19identity_decomposerENS1_16block_id_wrapperIjLb1EEEEE10hipError_tT1_PNSt15iterator_traitsISI_E10value_typeET2_T3_PNSJ_ISO_E10value_typeET4_T5_PST_SU_PNS1_23onesweep_lookback_stateEbbT6_jjT7_P12ihipStream_tbENKUlT_T0_SI_SN_E_clIPiSD_S15_SD_EEDaS11_S12_SI_SN_EUlS11_E_NS1_11comp_targetILNS1_3genE6ELNS1_11target_archE950ELNS1_3gpuE13ELNS1_3repE0EEENS1_47radix_sort_onesweep_sort_config_static_selectorELNS0_4arch9wavefront6targetE1EEEvSI_
                                        ; -- End function
	.set _ZN7rocprim17ROCPRIM_400000_NS6detail17trampoline_kernelINS0_14default_configENS1_35radix_sort_onesweep_config_selectorIiiEEZZNS1_29radix_sort_onesweep_iterationIS3_Lb1EN6thrust23THRUST_200600_302600_NS6detail15normal_iteratorINS8_10device_ptrIiEEEESD_SD_SD_jNS0_19identity_decomposerENS1_16block_id_wrapperIjLb1EEEEE10hipError_tT1_PNSt15iterator_traitsISI_E10value_typeET2_T3_PNSJ_ISO_E10value_typeET4_T5_PST_SU_PNS1_23onesweep_lookback_stateEbbT6_jjT7_P12ihipStream_tbENKUlT_T0_SI_SN_E_clIPiSD_S15_SD_EEDaS11_S12_SI_SN_EUlS11_E_NS1_11comp_targetILNS1_3genE6ELNS1_11target_archE950ELNS1_3gpuE13ELNS1_3repE0EEENS1_47radix_sort_onesweep_sort_config_static_selectorELNS0_4arch9wavefront6targetE1EEEvSI_.num_vgpr, 89
	.set _ZN7rocprim17ROCPRIM_400000_NS6detail17trampoline_kernelINS0_14default_configENS1_35radix_sort_onesweep_config_selectorIiiEEZZNS1_29radix_sort_onesweep_iterationIS3_Lb1EN6thrust23THRUST_200600_302600_NS6detail15normal_iteratorINS8_10device_ptrIiEEEESD_SD_SD_jNS0_19identity_decomposerENS1_16block_id_wrapperIjLb1EEEEE10hipError_tT1_PNSt15iterator_traitsISI_E10value_typeET2_T3_PNSJ_ISO_E10value_typeET4_T5_PST_SU_PNS1_23onesweep_lookback_stateEbbT6_jjT7_P12ihipStream_tbENKUlT_T0_SI_SN_E_clIPiSD_S15_SD_EEDaS11_S12_SI_SN_EUlS11_E_NS1_11comp_targetILNS1_3genE6ELNS1_11target_archE950ELNS1_3gpuE13ELNS1_3repE0EEENS1_47radix_sort_onesweep_sort_config_static_selectorELNS0_4arch9wavefront6targetE1EEEvSI_.num_agpr, 0
	.set _ZN7rocprim17ROCPRIM_400000_NS6detail17trampoline_kernelINS0_14default_configENS1_35radix_sort_onesweep_config_selectorIiiEEZZNS1_29radix_sort_onesweep_iterationIS3_Lb1EN6thrust23THRUST_200600_302600_NS6detail15normal_iteratorINS8_10device_ptrIiEEEESD_SD_SD_jNS0_19identity_decomposerENS1_16block_id_wrapperIjLb1EEEEE10hipError_tT1_PNSt15iterator_traitsISI_E10value_typeET2_T3_PNSJ_ISO_E10value_typeET4_T5_PST_SU_PNS1_23onesweep_lookback_stateEbbT6_jjT7_P12ihipStream_tbENKUlT_T0_SI_SN_E_clIPiSD_S15_SD_EEDaS11_S12_SI_SN_EUlS11_E_NS1_11comp_targetILNS1_3genE6ELNS1_11target_archE950ELNS1_3gpuE13ELNS1_3repE0EEENS1_47radix_sort_onesweep_sort_config_static_selectorELNS0_4arch9wavefront6targetE1EEEvSI_.numbered_sgpr, 73
	.set _ZN7rocprim17ROCPRIM_400000_NS6detail17trampoline_kernelINS0_14default_configENS1_35radix_sort_onesweep_config_selectorIiiEEZZNS1_29radix_sort_onesweep_iterationIS3_Lb1EN6thrust23THRUST_200600_302600_NS6detail15normal_iteratorINS8_10device_ptrIiEEEESD_SD_SD_jNS0_19identity_decomposerENS1_16block_id_wrapperIjLb1EEEEE10hipError_tT1_PNSt15iterator_traitsISI_E10value_typeET2_T3_PNSJ_ISO_E10value_typeET4_T5_PST_SU_PNS1_23onesweep_lookback_stateEbbT6_jjT7_P12ihipStream_tbENKUlT_T0_SI_SN_E_clIPiSD_S15_SD_EEDaS11_S12_SI_SN_EUlS11_E_NS1_11comp_targetILNS1_3genE6ELNS1_11target_archE950ELNS1_3gpuE13ELNS1_3repE0EEENS1_47radix_sort_onesweep_sort_config_static_selectorELNS0_4arch9wavefront6targetE1EEEvSI_.num_named_barrier, 0
	.set _ZN7rocprim17ROCPRIM_400000_NS6detail17trampoline_kernelINS0_14default_configENS1_35radix_sort_onesweep_config_selectorIiiEEZZNS1_29radix_sort_onesweep_iterationIS3_Lb1EN6thrust23THRUST_200600_302600_NS6detail15normal_iteratorINS8_10device_ptrIiEEEESD_SD_SD_jNS0_19identity_decomposerENS1_16block_id_wrapperIjLb1EEEEE10hipError_tT1_PNSt15iterator_traitsISI_E10value_typeET2_T3_PNSJ_ISO_E10value_typeET4_T5_PST_SU_PNS1_23onesweep_lookback_stateEbbT6_jjT7_P12ihipStream_tbENKUlT_T0_SI_SN_E_clIPiSD_S15_SD_EEDaS11_S12_SI_SN_EUlS11_E_NS1_11comp_targetILNS1_3genE6ELNS1_11target_archE950ELNS1_3gpuE13ELNS1_3repE0EEENS1_47radix_sort_onesweep_sort_config_static_selectorELNS0_4arch9wavefront6targetE1EEEvSI_.private_seg_size, 80
	.set _ZN7rocprim17ROCPRIM_400000_NS6detail17trampoline_kernelINS0_14default_configENS1_35radix_sort_onesweep_config_selectorIiiEEZZNS1_29radix_sort_onesweep_iterationIS3_Lb1EN6thrust23THRUST_200600_302600_NS6detail15normal_iteratorINS8_10device_ptrIiEEEESD_SD_SD_jNS0_19identity_decomposerENS1_16block_id_wrapperIjLb1EEEEE10hipError_tT1_PNSt15iterator_traitsISI_E10value_typeET2_T3_PNSJ_ISO_E10value_typeET4_T5_PST_SU_PNS1_23onesweep_lookback_stateEbbT6_jjT7_P12ihipStream_tbENKUlT_T0_SI_SN_E_clIPiSD_S15_SD_EEDaS11_S12_SI_SN_EUlS11_E_NS1_11comp_targetILNS1_3genE6ELNS1_11target_archE950ELNS1_3gpuE13ELNS1_3repE0EEENS1_47radix_sort_onesweep_sort_config_static_selectorELNS0_4arch9wavefront6targetE1EEEvSI_.uses_vcc, 1
	.set _ZN7rocprim17ROCPRIM_400000_NS6detail17trampoline_kernelINS0_14default_configENS1_35radix_sort_onesweep_config_selectorIiiEEZZNS1_29radix_sort_onesweep_iterationIS3_Lb1EN6thrust23THRUST_200600_302600_NS6detail15normal_iteratorINS8_10device_ptrIiEEEESD_SD_SD_jNS0_19identity_decomposerENS1_16block_id_wrapperIjLb1EEEEE10hipError_tT1_PNSt15iterator_traitsISI_E10value_typeET2_T3_PNSJ_ISO_E10value_typeET4_T5_PST_SU_PNS1_23onesweep_lookback_stateEbbT6_jjT7_P12ihipStream_tbENKUlT_T0_SI_SN_E_clIPiSD_S15_SD_EEDaS11_S12_SI_SN_EUlS11_E_NS1_11comp_targetILNS1_3genE6ELNS1_11target_archE950ELNS1_3gpuE13ELNS1_3repE0EEENS1_47radix_sort_onesweep_sort_config_static_selectorELNS0_4arch9wavefront6targetE1EEEvSI_.uses_flat_scratch, 0
	.set _ZN7rocprim17ROCPRIM_400000_NS6detail17trampoline_kernelINS0_14default_configENS1_35radix_sort_onesweep_config_selectorIiiEEZZNS1_29radix_sort_onesweep_iterationIS3_Lb1EN6thrust23THRUST_200600_302600_NS6detail15normal_iteratorINS8_10device_ptrIiEEEESD_SD_SD_jNS0_19identity_decomposerENS1_16block_id_wrapperIjLb1EEEEE10hipError_tT1_PNSt15iterator_traitsISI_E10value_typeET2_T3_PNSJ_ISO_E10value_typeET4_T5_PST_SU_PNS1_23onesweep_lookback_stateEbbT6_jjT7_P12ihipStream_tbENKUlT_T0_SI_SN_E_clIPiSD_S15_SD_EEDaS11_S12_SI_SN_EUlS11_E_NS1_11comp_targetILNS1_3genE6ELNS1_11target_archE950ELNS1_3gpuE13ELNS1_3repE0EEENS1_47radix_sort_onesweep_sort_config_static_selectorELNS0_4arch9wavefront6targetE1EEEvSI_.has_dyn_sized_stack, 0
	.set _ZN7rocprim17ROCPRIM_400000_NS6detail17trampoline_kernelINS0_14default_configENS1_35radix_sort_onesweep_config_selectorIiiEEZZNS1_29radix_sort_onesweep_iterationIS3_Lb1EN6thrust23THRUST_200600_302600_NS6detail15normal_iteratorINS8_10device_ptrIiEEEESD_SD_SD_jNS0_19identity_decomposerENS1_16block_id_wrapperIjLb1EEEEE10hipError_tT1_PNSt15iterator_traitsISI_E10value_typeET2_T3_PNSJ_ISO_E10value_typeET4_T5_PST_SU_PNS1_23onesweep_lookback_stateEbbT6_jjT7_P12ihipStream_tbENKUlT_T0_SI_SN_E_clIPiSD_S15_SD_EEDaS11_S12_SI_SN_EUlS11_E_NS1_11comp_targetILNS1_3genE6ELNS1_11target_archE950ELNS1_3gpuE13ELNS1_3repE0EEENS1_47radix_sort_onesweep_sort_config_static_selectorELNS0_4arch9wavefront6targetE1EEEvSI_.has_recursion, 0
	.set _ZN7rocprim17ROCPRIM_400000_NS6detail17trampoline_kernelINS0_14default_configENS1_35radix_sort_onesweep_config_selectorIiiEEZZNS1_29radix_sort_onesweep_iterationIS3_Lb1EN6thrust23THRUST_200600_302600_NS6detail15normal_iteratorINS8_10device_ptrIiEEEESD_SD_SD_jNS0_19identity_decomposerENS1_16block_id_wrapperIjLb1EEEEE10hipError_tT1_PNSt15iterator_traitsISI_E10value_typeET2_T3_PNSJ_ISO_E10value_typeET4_T5_PST_SU_PNS1_23onesweep_lookback_stateEbbT6_jjT7_P12ihipStream_tbENKUlT_T0_SI_SN_E_clIPiSD_S15_SD_EEDaS11_S12_SI_SN_EUlS11_E_NS1_11comp_targetILNS1_3genE6ELNS1_11target_archE950ELNS1_3gpuE13ELNS1_3repE0EEENS1_47radix_sort_onesweep_sort_config_static_selectorELNS0_4arch9wavefront6targetE1EEEvSI_.has_indirect_call, 0
	.section	.AMDGPU.csdata,"",@progbits
; Kernel info:
; codeLenInByte = 22700
; TotalNumSgprs: 79
; NumVgprs: 89
; NumAgprs: 0
; TotalNumVgprs: 89
; ScratchSize: 80
; MemoryBound: 0
; FloatMode: 240
; IeeeMode: 1
; LDSByteSize: 20552 bytes/workgroup (compile time only)
; SGPRBlocks: 9
; VGPRBlocks: 11
; NumSGPRsForWavesPerEU: 79
; NumVGPRsForWavesPerEU: 89
; AccumOffset: 92
; Occupancy: 5
; WaveLimiterHint : 1
; COMPUTE_PGM_RSRC2:SCRATCH_EN: 1
; COMPUTE_PGM_RSRC2:USER_SGPR: 2
; COMPUTE_PGM_RSRC2:TRAP_HANDLER: 0
; COMPUTE_PGM_RSRC2:TGID_X_EN: 1
; COMPUTE_PGM_RSRC2:TGID_Y_EN: 0
; COMPUTE_PGM_RSRC2:TGID_Z_EN: 0
; COMPUTE_PGM_RSRC2:TIDIG_COMP_CNT: 2
; COMPUTE_PGM_RSRC3_GFX90A:ACCUM_OFFSET: 22
; COMPUTE_PGM_RSRC3_GFX90A:TG_SPLIT: 0
	.section	.text._ZN7rocprim17ROCPRIM_400000_NS6detail17trampoline_kernelINS0_14default_configENS1_35radix_sort_onesweep_config_selectorIiiEEZZNS1_29radix_sort_onesweep_iterationIS3_Lb1EN6thrust23THRUST_200600_302600_NS6detail15normal_iteratorINS8_10device_ptrIiEEEESD_SD_SD_jNS0_19identity_decomposerENS1_16block_id_wrapperIjLb1EEEEE10hipError_tT1_PNSt15iterator_traitsISI_E10value_typeET2_T3_PNSJ_ISO_E10value_typeET4_T5_PST_SU_PNS1_23onesweep_lookback_stateEbbT6_jjT7_P12ihipStream_tbENKUlT_T0_SI_SN_E_clIPiSD_S15_SD_EEDaS11_S12_SI_SN_EUlS11_E_NS1_11comp_targetILNS1_3genE5ELNS1_11target_archE942ELNS1_3gpuE9ELNS1_3repE0EEENS1_47radix_sort_onesweep_sort_config_static_selectorELNS0_4arch9wavefront6targetE1EEEvSI_,"axG",@progbits,_ZN7rocprim17ROCPRIM_400000_NS6detail17trampoline_kernelINS0_14default_configENS1_35radix_sort_onesweep_config_selectorIiiEEZZNS1_29radix_sort_onesweep_iterationIS3_Lb1EN6thrust23THRUST_200600_302600_NS6detail15normal_iteratorINS8_10device_ptrIiEEEESD_SD_SD_jNS0_19identity_decomposerENS1_16block_id_wrapperIjLb1EEEEE10hipError_tT1_PNSt15iterator_traitsISI_E10value_typeET2_T3_PNSJ_ISO_E10value_typeET4_T5_PST_SU_PNS1_23onesweep_lookback_stateEbbT6_jjT7_P12ihipStream_tbENKUlT_T0_SI_SN_E_clIPiSD_S15_SD_EEDaS11_S12_SI_SN_EUlS11_E_NS1_11comp_targetILNS1_3genE5ELNS1_11target_archE942ELNS1_3gpuE9ELNS1_3repE0EEENS1_47radix_sort_onesweep_sort_config_static_selectorELNS0_4arch9wavefront6targetE1EEEvSI_,comdat
	.protected	_ZN7rocprim17ROCPRIM_400000_NS6detail17trampoline_kernelINS0_14default_configENS1_35radix_sort_onesweep_config_selectorIiiEEZZNS1_29radix_sort_onesweep_iterationIS3_Lb1EN6thrust23THRUST_200600_302600_NS6detail15normal_iteratorINS8_10device_ptrIiEEEESD_SD_SD_jNS0_19identity_decomposerENS1_16block_id_wrapperIjLb1EEEEE10hipError_tT1_PNSt15iterator_traitsISI_E10value_typeET2_T3_PNSJ_ISO_E10value_typeET4_T5_PST_SU_PNS1_23onesweep_lookback_stateEbbT6_jjT7_P12ihipStream_tbENKUlT_T0_SI_SN_E_clIPiSD_S15_SD_EEDaS11_S12_SI_SN_EUlS11_E_NS1_11comp_targetILNS1_3genE5ELNS1_11target_archE942ELNS1_3gpuE9ELNS1_3repE0EEENS1_47radix_sort_onesweep_sort_config_static_selectorELNS0_4arch9wavefront6targetE1EEEvSI_ ; -- Begin function _ZN7rocprim17ROCPRIM_400000_NS6detail17trampoline_kernelINS0_14default_configENS1_35radix_sort_onesweep_config_selectorIiiEEZZNS1_29radix_sort_onesweep_iterationIS3_Lb1EN6thrust23THRUST_200600_302600_NS6detail15normal_iteratorINS8_10device_ptrIiEEEESD_SD_SD_jNS0_19identity_decomposerENS1_16block_id_wrapperIjLb1EEEEE10hipError_tT1_PNSt15iterator_traitsISI_E10value_typeET2_T3_PNSJ_ISO_E10value_typeET4_T5_PST_SU_PNS1_23onesweep_lookback_stateEbbT6_jjT7_P12ihipStream_tbENKUlT_T0_SI_SN_E_clIPiSD_S15_SD_EEDaS11_S12_SI_SN_EUlS11_E_NS1_11comp_targetILNS1_3genE5ELNS1_11target_archE942ELNS1_3gpuE9ELNS1_3repE0EEENS1_47radix_sort_onesweep_sort_config_static_selectorELNS0_4arch9wavefront6targetE1EEEvSI_
	.globl	_ZN7rocprim17ROCPRIM_400000_NS6detail17trampoline_kernelINS0_14default_configENS1_35radix_sort_onesweep_config_selectorIiiEEZZNS1_29radix_sort_onesweep_iterationIS3_Lb1EN6thrust23THRUST_200600_302600_NS6detail15normal_iteratorINS8_10device_ptrIiEEEESD_SD_SD_jNS0_19identity_decomposerENS1_16block_id_wrapperIjLb1EEEEE10hipError_tT1_PNSt15iterator_traitsISI_E10value_typeET2_T3_PNSJ_ISO_E10value_typeET4_T5_PST_SU_PNS1_23onesweep_lookback_stateEbbT6_jjT7_P12ihipStream_tbENKUlT_T0_SI_SN_E_clIPiSD_S15_SD_EEDaS11_S12_SI_SN_EUlS11_E_NS1_11comp_targetILNS1_3genE5ELNS1_11target_archE942ELNS1_3gpuE9ELNS1_3repE0EEENS1_47radix_sort_onesweep_sort_config_static_selectorELNS0_4arch9wavefront6targetE1EEEvSI_
	.p2align	8
	.type	_ZN7rocprim17ROCPRIM_400000_NS6detail17trampoline_kernelINS0_14default_configENS1_35radix_sort_onesweep_config_selectorIiiEEZZNS1_29radix_sort_onesweep_iterationIS3_Lb1EN6thrust23THRUST_200600_302600_NS6detail15normal_iteratorINS8_10device_ptrIiEEEESD_SD_SD_jNS0_19identity_decomposerENS1_16block_id_wrapperIjLb1EEEEE10hipError_tT1_PNSt15iterator_traitsISI_E10value_typeET2_T3_PNSJ_ISO_E10value_typeET4_T5_PST_SU_PNS1_23onesweep_lookback_stateEbbT6_jjT7_P12ihipStream_tbENKUlT_T0_SI_SN_E_clIPiSD_S15_SD_EEDaS11_S12_SI_SN_EUlS11_E_NS1_11comp_targetILNS1_3genE5ELNS1_11target_archE942ELNS1_3gpuE9ELNS1_3repE0EEENS1_47radix_sort_onesweep_sort_config_static_selectorELNS0_4arch9wavefront6targetE1EEEvSI_,@function
_ZN7rocprim17ROCPRIM_400000_NS6detail17trampoline_kernelINS0_14default_configENS1_35radix_sort_onesweep_config_selectorIiiEEZZNS1_29radix_sort_onesweep_iterationIS3_Lb1EN6thrust23THRUST_200600_302600_NS6detail15normal_iteratorINS8_10device_ptrIiEEEESD_SD_SD_jNS0_19identity_decomposerENS1_16block_id_wrapperIjLb1EEEEE10hipError_tT1_PNSt15iterator_traitsISI_E10value_typeET2_T3_PNSJ_ISO_E10value_typeET4_T5_PST_SU_PNS1_23onesweep_lookback_stateEbbT6_jjT7_P12ihipStream_tbENKUlT_T0_SI_SN_E_clIPiSD_S15_SD_EEDaS11_S12_SI_SN_EUlS11_E_NS1_11comp_targetILNS1_3genE5ELNS1_11target_archE942ELNS1_3gpuE9ELNS1_3repE0EEENS1_47radix_sort_onesweep_sort_config_static_selectorELNS0_4arch9wavefront6targetE1EEEvSI_: ; @_ZN7rocprim17ROCPRIM_400000_NS6detail17trampoline_kernelINS0_14default_configENS1_35radix_sort_onesweep_config_selectorIiiEEZZNS1_29radix_sort_onesweep_iterationIS3_Lb1EN6thrust23THRUST_200600_302600_NS6detail15normal_iteratorINS8_10device_ptrIiEEEESD_SD_SD_jNS0_19identity_decomposerENS1_16block_id_wrapperIjLb1EEEEE10hipError_tT1_PNSt15iterator_traitsISI_E10value_typeET2_T3_PNSJ_ISO_E10value_typeET4_T5_PST_SU_PNS1_23onesweep_lookback_stateEbbT6_jjT7_P12ihipStream_tbENKUlT_T0_SI_SN_E_clIPiSD_S15_SD_EEDaS11_S12_SI_SN_EUlS11_E_NS1_11comp_targetILNS1_3genE5ELNS1_11target_archE942ELNS1_3gpuE9ELNS1_3repE0EEENS1_47radix_sort_onesweep_sort_config_static_selectorELNS0_4arch9wavefront6targetE1EEEvSI_
; %bb.0:
	.section	.rodata,"a",@progbits
	.p2align	6, 0x0
	.amdhsa_kernel _ZN7rocprim17ROCPRIM_400000_NS6detail17trampoline_kernelINS0_14default_configENS1_35radix_sort_onesweep_config_selectorIiiEEZZNS1_29radix_sort_onesweep_iterationIS3_Lb1EN6thrust23THRUST_200600_302600_NS6detail15normal_iteratorINS8_10device_ptrIiEEEESD_SD_SD_jNS0_19identity_decomposerENS1_16block_id_wrapperIjLb1EEEEE10hipError_tT1_PNSt15iterator_traitsISI_E10value_typeET2_T3_PNSJ_ISO_E10value_typeET4_T5_PST_SU_PNS1_23onesweep_lookback_stateEbbT6_jjT7_P12ihipStream_tbENKUlT_T0_SI_SN_E_clIPiSD_S15_SD_EEDaS11_S12_SI_SN_EUlS11_E_NS1_11comp_targetILNS1_3genE5ELNS1_11target_archE942ELNS1_3gpuE9ELNS1_3repE0EEENS1_47radix_sort_onesweep_sort_config_static_selectorELNS0_4arch9wavefront6targetE1EEEvSI_
		.amdhsa_group_segment_fixed_size 0
		.amdhsa_private_segment_fixed_size 0
		.amdhsa_kernarg_size 88
		.amdhsa_user_sgpr_count 2
		.amdhsa_user_sgpr_dispatch_ptr 0
		.amdhsa_user_sgpr_queue_ptr 0
		.amdhsa_user_sgpr_kernarg_segment_ptr 1
		.amdhsa_user_sgpr_dispatch_id 0
		.amdhsa_user_sgpr_kernarg_preload_length 0
		.amdhsa_user_sgpr_kernarg_preload_offset 0
		.amdhsa_user_sgpr_private_segment_size 0
		.amdhsa_uses_dynamic_stack 0
		.amdhsa_enable_private_segment 0
		.amdhsa_system_sgpr_workgroup_id_x 1
		.amdhsa_system_sgpr_workgroup_id_y 0
		.amdhsa_system_sgpr_workgroup_id_z 0
		.amdhsa_system_sgpr_workgroup_info 0
		.amdhsa_system_vgpr_workitem_id 0
		.amdhsa_next_free_vgpr 1
		.amdhsa_next_free_sgpr 0
		.amdhsa_accum_offset 4
		.amdhsa_reserve_vcc 0
		.amdhsa_float_round_mode_32 0
		.amdhsa_float_round_mode_16_64 0
		.amdhsa_float_denorm_mode_32 3
		.amdhsa_float_denorm_mode_16_64 3
		.amdhsa_dx10_clamp 1
		.amdhsa_ieee_mode 1
		.amdhsa_fp16_overflow 0
		.amdhsa_tg_split 0
		.amdhsa_exception_fp_ieee_invalid_op 0
		.amdhsa_exception_fp_denorm_src 0
		.amdhsa_exception_fp_ieee_div_zero 0
		.amdhsa_exception_fp_ieee_overflow 0
		.amdhsa_exception_fp_ieee_underflow 0
		.amdhsa_exception_fp_ieee_inexact 0
		.amdhsa_exception_int_div_zero 0
	.end_amdhsa_kernel
	.section	.text._ZN7rocprim17ROCPRIM_400000_NS6detail17trampoline_kernelINS0_14default_configENS1_35radix_sort_onesweep_config_selectorIiiEEZZNS1_29radix_sort_onesweep_iterationIS3_Lb1EN6thrust23THRUST_200600_302600_NS6detail15normal_iteratorINS8_10device_ptrIiEEEESD_SD_SD_jNS0_19identity_decomposerENS1_16block_id_wrapperIjLb1EEEEE10hipError_tT1_PNSt15iterator_traitsISI_E10value_typeET2_T3_PNSJ_ISO_E10value_typeET4_T5_PST_SU_PNS1_23onesweep_lookback_stateEbbT6_jjT7_P12ihipStream_tbENKUlT_T0_SI_SN_E_clIPiSD_S15_SD_EEDaS11_S12_SI_SN_EUlS11_E_NS1_11comp_targetILNS1_3genE5ELNS1_11target_archE942ELNS1_3gpuE9ELNS1_3repE0EEENS1_47radix_sort_onesweep_sort_config_static_selectorELNS0_4arch9wavefront6targetE1EEEvSI_,"axG",@progbits,_ZN7rocprim17ROCPRIM_400000_NS6detail17trampoline_kernelINS0_14default_configENS1_35radix_sort_onesweep_config_selectorIiiEEZZNS1_29radix_sort_onesweep_iterationIS3_Lb1EN6thrust23THRUST_200600_302600_NS6detail15normal_iteratorINS8_10device_ptrIiEEEESD_SD_SD_jNS0_19identity_decomposerENS1_16block_id_wrapperIjLb1EEEEE10hipError_tT1_PNSt15iterator_traitsISI_E10value_typeET2_T3_PNSJ_ISO_E10value_typeET4_T5_PST_SU_PNS1_23onesweep_lookback_stateEbbT6_jjT7_P12ihipStream_tbENKUlT_T0_SI_SN_E_clIPiSD_S15_SD_EEDaS11_S12_SI_SN_EUlS11_E_NS1_11comp_targetILNS1_3genE5ELNS1_11target_archE942ELNS1_3gpuE9ELNS1_3repE0EEENS1_47radix_sort_onesweep_sort_config_static_selectorELNS0_4arch9wavefront6targetE1EEEvSI_,comdat
.Lfunc_end1019:
	.size	_ZN7rocprim17ROCPRIM_400000_NS6detail17trampoline_kernelINS0_14default_configENS1_35radix_sort_onesweep_config_selectorIiiEEZZNS1_29radix_sort_onesweep_iterationIS3_Lb1EN6thrust23THRUST_200600_302600_NS6detail15normal_iteratorINS8_10device_ptrIiEEEESD_SD_SD_jNS0_19identity_decomposerENS1_16block_id_wrapperIjLb1EEEEE10hipError_tT1_PNSt15iterator_traitsISI_E10value_typeET2_T3_PNSJ_ISO_E10value_typeET4_T5_PST_SU_PNS1_23onesweep_lookback_stateEbbT6_jjT7_P12ihipStream_tbENKUlT_T0_SI_SN_E_clIPiSD_S15_SD_EEDaS11_S12_SI_SN_EUlS11_E_NS1_11comp_targetILNS1_3genE5ELNS1_11target_archE942ELNS1_3gpuE9ELNS1_3repE0EEENS1_47radix_sort_onesweep_sort_config_static_selectorELNS0_4arch9wavefront6targetE1EEEvSI_, .Lfunc_end1019-_ZN7rocprim17ROCPRIM_400000_NS6detail17trampoline_kernelINS0_14default_configENS1_35radix_sort_onesweep_config_selectorIiiEEZZNS1_29radix_sort_onesweep_iterationIS3_Lb1EN6thrust23THRUST_200600_302600_NS6detail15normal_iteratorINS8_10device_ptrIiEEEESD_SD_SD_jNS0_19identity_decomposerENS1_16block_id_wrapperIjLb1EEEEE10hipError_tT1_PNSt15iterator_traitsISI_E10value_typeET2_T3_PNSJ_ISO_E10value_typeET4_T5_PST_SU_PNS1_23onesweep_lookback_stateEbbT6_jjT7_P12ihipStream_tbENKUlT_T0_SI_SN_E_clIPiSD_S15_SD_EEDaS11_S12_SI_SN_EUlS11_E_NS1_11comp_targetILNS1_3genE5ELNS1_11target_archE942ELNS1_3gpuE9ELNS1_3repE0EEENS1_47radix_sort_onesweep_sort_config_static_selectorELNS0_4arch9wavefront6targetE1EEEvSI_
                                        ; -- End function
	.set _ZN7rocprim17ROCPRIM_400000_NS6detail17trampoline_kernelINS0_14default_configENS1_35radix_sort_onesweep_config_selectorIiiEEZZNS1_29radix_sort_onesweep_iterationIS3_Lb1EN6thrust23THRUST_200600_302600_NS6detail15normal_iteratorINS8_10device_ptrIiEEEESD_SD_SD_jNS0_19identity_decomposerENS1_16block_id_wrapperIjLb1EEEEE10hipError_tT1_PNSt15iterator_traitsISI_E10value_typeET2_T3_PNSJ_ISO_E10value_typeET4_T5_PST_SU_PNS1_23onesweep_lookback_stateEbbT6_jjT7_P12ihipStream_tbENKUlT_T0_SI_SN_E_clIPiSD_S15_SD_EEDaS11_S12_SI_SN_EUlS11_E_NS1_11comp_targetILNS1_3genE5ELNS1_11target_archE942ELNS1_3gpuE9ELNS1_3repE0EEENS1_47radix_sort_onesweep_sort_config_static_selectorELNS0_4arch9wavefront6targetE1EEEvSI_.num_vgpr, 0
	.set _ZN7rocprim17ROCPRIM_400000_NS6detail17trampoline_kernelINS0_14default_configENS1_35radix_sort_onesweep_config_selectorIiiEEZZNS1_29radix_sort_onesweep_iterationIS3_Lb1EN6thrust23THRUST_200600_302600_NS6detail15normal_iteratorINS8_10device_ptrIiEEEESD_SD_SD_jNS0_19identity_decomposerENS1_16block_id_wrapperIjLb1EEEEE10hipError_tT1_PNSt15iterator_traitsISI_E10value_typeET2_T3_PNSJ_ISO_E10value_typeET4_T5_PST_SU_PNS1_23onesweep_lookback_stateEbbT6_jjT7_P12ihipStream_tbENKUlT_T0_SI_SN_E_clIPiSD_S15_SD_EEDaS11_S12_SI_SN_EUlS11_E_NS1_11comp_targetILNS1_3genE5ELNS1_11target_archE942ELNS1_3gpuE9ELNS1_3repE0EEENS1_47radix_sort_onesweep_sort_config_static_selectorELNS0_4arch9wavefront6targetE1EEEvSI_.num_agpr, 0
	.set _ZN7rocprim17ROCPRIM_400000_NS6detail17trampoline_kernelINS0_14default_configENS1_35radix_sort_onesweep_config_selectorIiiEEZZNS1_29radix_sort_onesweep_iterationIS3_Lb1EN6thrust23THRUST_200600_302600_NS6detail15normal_iteratorINS8_10device_ptrIiEEEESD_SD_SD_jNS0_19identity_decomposerENS1_16block_id_wrapperIjLb1EEEEE10hipError_tT1_PNSt15iterator_traitsISI_E10value_typeET2_T3_PNSJ_ISO_E10value_typeET4_T5_PST_SU_PNS1_23onesweep_lookback_stateEbbT6_jjT7_P12ihipStream_tbENKUlT_T0_SI_SN_E_clIPiSD_S15_SD_EEDaS11_S12_SI_SN_EUlS11_E_NS1_11comp_targetILNS1_3genE5ELNS1_11target_archE942ELNS1_3gpuE9ELNS1_3repE0EEENS1_47radix_sort_onesweep_sort_config_static_selectorELNS0_4arch9wavefront6targetE1EEEvSI_.numbered_sgpr, 0
	.set _ZN7rocprim17ROCPRIM_400000_NS6detail17trampoline_kernelINS0_14default_configENS1_35radix_sort_onesweep_config_selectorIiiEEZZNS1_29radix_sort_onesweep_iterationIS3_Lb1EN6thrust23THRUST_200600_302600_NS6detail15normal_iteratorINS8_10device_ptrIiEEEESD_SD_SD_jNS0_19identity_decomposerENS1_16block_id_wrapperIjLb1EEEEE10hipError_tT1_PNSt15iterator_traitsISI_E10value_typeET2_T3_PNSJ_ISO_E10value_typeET4_T5_PST_SU_PNS1_23onesweep_lookback_stateEbbT6_jjT7_P12ihipStream_tbENKUlT_T0_SI_SN_E_clIPiSD_S15_SD_EEDaS11_S12_SI_SN_EUlS11_E_NS1_11comp_targetILNS1_3genE5ELNS1_11target_archE942ELNS1_3gpuE9ELNS1_3repE0EEENS1_47radix_sort_onesweep_sort_config_static_selectorELNS0_4arch9wavefront6targetE1EEEvSI_.num_named_barrier, 0
	.set _ZN7rocprim17ROCPRIM_400000_NS6detail17trampoline_kernelINS0_14default_configENS1_35radix_sort_onesweep_config_selectorIiiEEZZNS1_29radix_sort_onesweep_iterationIS3_Lb1EN6thrust23THRUST_200600_302600_NS6detail15normal_iteratorINS8_10device_ptrIiEEEESD_SD_SD_jNS0_19identity_decomposerENS1_16block_id_wrapperIjLb1EEEEE10hipError_tT1_PNSt15iterator_traitsISI_E10value_typeET2_T3_PNSJ_ISO_E10value_typeET4_T5_PST_SU_PNS1_23onesweep_lookback_stateEbbT6_jjT7_P12ihipStream_tbENKUlT_T0_SI_SN_E_clIPiSD_S15_SD_EEDaS11_S12_SI_SN_EUlS11_E_NS1_11comp_targetILNS1_3genE5ELNS1_11target_archE942ELNS1_3gpuE9ELNS1_3repE0EEENS1_47radix_sort_onesweep_sort_config_static_selectorELNS0_4arch9wavefront6targetE1EEEvSI_.private_seg_size, 0
	.set _ZN7rocprim17ROCPRIM_400000_NS6detail17trampoline_kernelINS0_14default_configENS1_35radix_sort_onesweep_config_selectorIiiEEZZNS1_29radix_sort_onesweep_iterationIS3_Lb1EN6thrust23THRUST_200600_302600_NS6detail15normal_iteratorINS8_10device_ptrIiEEEESD_SD_SD_jNS0_19identity_decomposerENS1_16block_id_wrapperIjLb1EEEEE10hipError_tT1_PNSt15iterator_traitsISI_E10value_typeET2_T3_PNSJ_ISO_E10value_typeET4_T5_PST_SU_PNS1_23onesweep_lookback_stateEbbT6_jjT7_P12ihipStream_tbENKUlT_T0_SI_SN_E_clIPiSD_S15_SD_EEDaS11_S12_SI_SN_EUlS11_E_NS1_11comp_targetILNS1_3genE5ELNS1_11target_archE942ELNS1_3gpuE9ELNS1_3repE0EEENS1_47radix_sort_onesweep_sort_config_static_selectorELNS0_4arch9wavefront6targetE1EEEvSI_.uses_vcc, 0
	.set _ZN7rocprim17ROCPRIM_400000_NS6detail17trampoline_kernelINS0_14default_configENS1_35radix_sort_onesweep_config_selectorIiiEEZZNS1_29radix_sort_onesweep_iterationIS3_Lb1EN6thrust23THRUST_200600_302600_NS6detail15normal_iteratorINS8_10device_ptrIiEEEESD_SD_SD_jNS0_19identity_decomposerENS1_16block_id_wrapperIjLb1EEEEE10hipError_tT1_PNSt15iterator_traitsISI_E10value_typeET2_T3_PNSJ_ISO_E10value_typeET4_T5_PST_SU_PNS1_23onesweep_lookback_stateEbbT6_jjT7_P12ihipStream_tbENKUlT_T0_SI_SN_E_clIPiSD_S15_SD_EEDaS11_S12_SI_SN_EUlS11_E_NS1_11comp_targetILNS1_3genE5ELNS1_11target_archE942ELNS1_3gpuE9ELNS1_3repE0EEENS1_47radix_sort_onesweep_sort_config_static_selectorELNS0_4arch9wavefront6targetE1EEEvSI_.uses_flat_scratch, 0
	.set _ZN7rocprim17ROCPRIM_400000_NS6detail17trampoline_kernelINS0_14default_configENS1_35radix_sort_onesweep_config_selectorIiiEEZZNS1_29radix_sort_onesweep_iterationIS3_Lb1EN6thrust23THRUST_200600_302600_NS6detail15normal_iteratorINS8_10device_ptrIiEEEESD_SD_SD_jNS0_19identity_decomposerENS1_16block_id_wrapperIjLb1EEEEE10hipError_tT1_PNSt15iterator_traitsISI_E10value_typeET2_T3_PNSJ_ISO_E10value_typeET4_T5_PST_SU_PNS1_23onesweep_lookback_stateEbbT6_jjT7_P12ihipStream_tbENKUlT_T0_SI_SN_E_clIPiSD_S15_SD_EEDaS11_S12_SI_SN_EUlS11_E_NS1_11comp_targetILNS1_3genE5ELNS1_11target_archE942ELNS1_3gpuE9ELNS1_3repE0EEENS1_47radix_sort_onesweep_sort_config_static_selectorELNS0_4arch9wavefront6targetE1EEEvSI_.has_dyn_sized_stack, 0
	.set _ZN7rocprim17ROCPRIM_400000_NS6detail17trampoline_kernelINS0_14default_configENS1_35radix_sort_onesweep_config_selectorIiiEEZZNS1_29radix_sort_onesweep_iterationIS3_Lb1EN6thrust23THRUST_200600_302600_NS6detail15normal_iteratorINS8_10device_ptrIiEEEESD_SD_SD_jNS0_19identity_decomposerENS1_16block_id_wrapperIjLb1EEEEE10hipError_tT1_PNSt15iterator_traitsISI_E10value_typeET2_T3_PNSJ_ISO_E10value_typeET4_T5_PST_SU_PNS1_23onesweep_lookback_stateEbbT6_jjT7_P12ihipStream_tbENKUlT_T0_SI_SN_E_clIPiSD_S15_SD_EEDaS11_S12_SI_SN_EUlS11_E_NS1_11comp_targetILNS1_3genE5ELNS1_11target_archE942ELNS1_3gpuE9ELNS1_3repE0EEENS1_47radix_sort_onesweep_sort_config_static_selectorELNS0_4arch9wavefront6targetE1EEEvSI_.has_recursion, 0
	.set _ZN7rocprim17ROCPRIM_400000_NS6detail17trampoline_kernelINS0_14default_configENS1_35radix_sort_onesweep_config_selectorIiiEEZZNS1_29radix_sort_onesweep_iterationIS3_Lb1EN6thrust23THRUST_200600_302600_NS6detail15normal_iteratorINS8_10device_ptrIiEEEESD_SD_SD_jNS0_19identity_decomposerENS1_16block_id_wrapperIjLb1EEEEE10hipError_tT1_PNSt15iterator_traitsISI_E10value_typeET2_T3_PNSJ_ISO_E10value_typeET4_T5_PST_SU_PNS1_23onesweep_lookback_stateEbbT6_jjT7_P12ihipStream_tbENKUlT_T0_SI_SN_E_clIPiSD_S15_SD_EEDaS11_S12_SI_SN_EUlS11_E_NS1_11comp_targetILNS1_3genE5ELNS1_11target_archE942ELNS1_3gpuE9ELNS1_3repE0EEENS1_47radix_sort_onesweep_sort_config_static_selectorELNS0_4arch9wavefront6targetE1EEEvSI_.has_indirect_call, 0
	.section	.AMDGPU.csdata,"",@progbits
; Kernel info:
; codeLenInByte = 0
; TotalNumSgprs: 6
; NumVgprs: 0
; NumAgprs: 0
; TotalNumVgprs: 0
; ScratchSize: 0
; MemoryBound: 0
; FloatMode: 240
; IeeeMode: 1
; LDSByteSize: 0 bytes/workgroup (compile time only)
; SGPRBlocks: 0
; VGPRBlocks: 0
; NumSGPRsForWavesPerEU: 6
; NumVGPRsForWavesPerEU: 1
; AccumOffset: 4
; Occupancy: 8
; WaveLimiterHint : 0
; COMPUTE_PGM_RSRC2:SCRATCH_EN: 0
; COMPUTE_PGM_RSRC2:USER_SGPR: 2
; COMPUTE_PGM_RSRC2:TRAP_HANDLER: 0
; COMPUTE_PGM_RSRC2:TGID_X_EN: 1
; COMPUTE_PGM_RSRC2:TGID_Y_EN: 0
; COMPUTE_PGM_RSRC2:TGID_Z_EN: 0
; COMPUTE_PGM_RSRC2:TIDIG_COMP_CNT: 0
; COMPUTE_PGM_RSRC3_GFX90A:ACCUM_OFFSET: 0
; COMPUTE_PGM_RSRC3_GFX90A:TG_SPLIT: 0
	.section	.text._ZN7rocprim17ROCPRIM_400000_NS6detail17trampoline_kernelINS0_14default_configENS1_35radix_sort_onesweep_config_selectorIiiEEZZNS1_29radix_sort_onesweep_iterationIS3_Lb1EN6thrust23THRUST_200600_302600_NS6detail15normal_iteratorINS8_10device_ptrIiEEEESD_SD_SD_jNS0_19identity_decomposerENS1_16block_id_wrapperIjLb1EEEEE10hipError_tT1_PNSt15iterator_traitsISI_E10value_typeET2_T3_PNSJ_ISO_E10value_typeET4_T5_PST_SU_PNS1_23onesweep_lookback_stateEbbT6_jjT7_P12ihipStream_tbENKUlT_T0_SI_SN_E_clIPiSD_S15_SD_EEDaS11_S12_SI_SN_EUlS11_E_NS1_11comp_targetILNS1_3genE2ELNS1_11target_archE906ELNS1_3gpuE6ELNS1_3repE0EEENS1_47radix_sort_onesweep_sort_config_static_selectorELNS0_4arch9wavefront6targetE1EEEvSI_,"axG",@progbits,_ZN7rocprim17ROCPRIM_400000_NS6detail17trampoline_kernelINS0_14default_configENS1_35radix_sort_onesweep_config_selectorIiiEEZZNS1_29radix_sort_onesweep_iterationIS3_Lb1EN6thrust23THRUST_200600_302600_NS6detail15normal_iteratorINS8_10device_ptrIiEEEESD_SD_SD_jNS0_19identity_decomposerENS1_16block_id_wrapperIjLb1EEEEE10hipError_tT1_PNSt15iterator_traitsISI_E10value_typeET2_T3_PNSJ_ISO_E10value_typeET4_T5_PST_SU_PNS1_23onesweep_lookback_stateEbbT6_jjT7_P12ihipStream_tbENKUlT_T0_SI_SN_E_clIPiSD_S15_SD_EEDaS11_S12_SI_SN_EUlS11_E_NS1_11comp_targetILNS1_3genE2ELNS1_11target_archE906ELNS1_3gpuE6ELNS1_3repE0EEENS1_47radix_sort_onesweep_sort_config_static_selectorELNS0_4arch9wavefront6targetE1EEEvSI_,comdat
	.protected	_ZN7rocprim17ROCPRIM_400000_NS6detail17trampoline_kernelINS0_14default_configENS1_35radix_sort_onesweep_config_selectorIiiEEZZNS1_29radix_sort_onesweep_iterationIS3_Lb1EN6thrust23THRUST_200600_302600_NS6detail15normal_iteratorINS8_10device_ptrIiEEEESD_SD_SD_jNS0_19identity_decomposerENS1_16block_id_wrapperIjLb1EEEEE10hipError_tT1_PNSt15iterator_traitsISI_E10value_typeET2_T3_PNSJ_ISO_E10value_typeET4_T5_PST_SU_PNS1_23onesweep_lookback_stateEbbT6_jjT7_P12ihipStream_tbENKUlT_T0_SI_SN_E_clIPiSD_S15_SD_EEDaS11_S12_SI_SN_EUlS11_E_NS1_11comp_targetILNS1_3genE2ELNS1_11target_archE906ELNS1_3gpuE6ELNS1_3repE0EEENS1_47radix_sort_onesweep_sort_config_static_selectorELNS0_4arch9wavefront6targetE1EEEvSI_ ; -- Begin function _ZN7rocprim17ROCPRIM_400000_NS6detail17trampoline_kernelINS0_14default_configENS1_35radix_sort_onesweep_config_selectorIiiEEZZNS1_29radix_sort_onesweep_iterationIS3_Lb1EN6thrust23THRUST_200600_302600_NS6detail15normal_iteratorINS8_10device_ptrIiEEEESD_SD_SD_jNS0_19identity_decomposerENS1_16block_id_wrapperIjLb1EEEEE10hipError_tT1_PNSt15iterator_traitsISI_E10value_typeET2_T3_PNSJ_ISO_E10value_typeET4_T5_PST_SU_PNS1_23onesweep_lookback_stateEbbT6_jjT7_P12ihipStream_tbENKUlT_T0_SI_SN_E_clIPiSD_S15_SD_EEDaS11_S12_SI_SN_EUlS11_E_NS1_11comp_targetILNS1_3genE2ELNS1_11target_archE906ELNS1_3gpuE6ELNS1_3repE0EEENS1_47radix_sort_onesweep_sort_config_static_selectorELNS0_4arch9wavefront6targetE1EEEvSI_
	.globl	_ZN7rocprim17ROCPRIM_400000_NS6detail17trampoline_kernelINS0_14default_configENS1_35radix_sort_onesweep_config_selectorIiiEEZZNS1_29radix_sort_onesweep_iterationIS3_Lb1EN6thrust23THRUST_200600_302600_NS6detail15normal_iteratorINS8_10device_ptrIiEEEESD_SD_SD_jNS0_19identity_decomposerENS1_16block_id_wrapperIjLb1EEEEE10hipError_tT1_PNSt15iterator_traitsISI_E10value_typeET2_T3_PNSJ_ISO_E10value_typeET4_T5_PST_SU_PNS1_23onesweep_lookback_stateEbbT6_jjT7_P12ihipStream_tbENKUlT_T0_SI_SN_E_clIPiSD_S15_SD_EEDaS11_S12_SI_SN_EUlS11_E_NS1_11comp_targetILNS1_3genE2ELNS1_11target_archE906ELNS1_3gpuE6ELNS1_3repE0EEENS1_47radix_sort_onesweep_sort_config_static_selectorELNS0_4arch9wavefront6targetE1EEEvSI_
	.p2align	8
	.type	_ZN7rocprim17ROCPRIM_400000_NS6detail17trampoline_kernelINS0_14default_configENS1_35radix_sort_onesweep_config_selectorIiiEEZZNS1_29radix_sort_onesweep_iterationIS3_Lb1EN6thrust23THRUST_200600_302600_NS6detail15normal_iteratorINS8_10device_ptrIiEEEESD_SD_SD_jNS0_19identity_decomposerENS1_16block_id_wrapperIjLb1EEEEE10hipError_tT1_PNSt15iterator_traitsISI_E10value_typeET2_T3_PNSJ_ISO_E10value_typeET4_T5_PST_SU_PNS1_23onesweep_lookback_stateEbbT6_jjT7_P12ihipStream_tbENKUlT_T0_SI_SN_E_clIPiSD_S15_SD_EEDaS11_S12_SI_SN_EUlS11_E_NS1_11comp_targetILNS1_3genE2ELNS1_11target_archE906ELNS1_3gpuE6ELNS1_3repE0EEENS1_47radix_sort_onesweep_sort_config_static_selectorELNS0_4arch9wavefront6targetE1EEEvSI_,@function
_ZN7rocprim17ROCPRIM_400000_NS6detail17trampoline_kernelINS0_14default_configENS1_35radix_sort_onesweep_config_selectorIiiEEZZNS1_29radix_sort_onesweep_iterationIS3_Lb1EN6thrust23THRUST_200600_302600_NS6detail15normal_iteratorINS8_10device_ptrIiEEEESD_SD_SD_jNS0_19identity_decomposerENS1_16block_id_wrapperIjLb1EEEEE10hipError_tT1_PNSt15iterator_traitsISI_E10value_typeET2_T3_PNSJ_ISO_E10value_typeET4_T5_PST_SU_PNS1_23onesweep_lookback_stateEbbT6_jjT7_P12ihipStream_tbENKUlT_T0_SI_SN_E_clIPiSD_S15_SD_EEDaS11_S12_SI_SN_EUlS11_E_NS1_11comp_targetILNS1_3genE2ELNS1_11target_archE906ELNS1_3gpuE6ELNS1_3repE0EEENS1_47radix_sort_onesweep_sort_config_static_selectorELNS0_4arch9wavefront6targetE1EEEvSI_: ; @_ZN7rocprim17ROCPRIM_400000_NS6detail17trampoline_kernelINS0_14default_configENS1_35radix_sort_onesweep_config_selectorIiiEEZZNS1_29radix_sort_onesweep_iterationIS3_Lb1EN6thrust23THRUST_200600_302600_NS6detail15normal_iteratorINS8_10device_ptrIiEEEESD_SD_SD_jNS0_19identity_decomposerENS1_16block_id_wrapperIjLb1EEEEE10hipError_tT1_PNSt15iterator_traitsISI_E10value_typeET2_T3_PNSJ_ISO_E10value_typeET4_T5_PST_SU_PNS1_23onesweep_lookback_stateEbbT6_jjT7_P12ihipStream_tbENKUlT_T0_SI_SN_E_clIPiSD_S15_SD_EEDaS11_S12_SI_SN_EUlS11_E_NS1_11comp_targetILNS1_3genE2ELNS1_11target_archE906ELNS1_3gpuE6ELNS1_3repE0EEENS1_47radix_sort_onesweep_sort_config_static_selectorELNS0_4arch9wavefront6targetE1EEEvSI_
; %bb.0:
	.section	.rodata,"a",@progbits
	.p2align	6, 0x0
	.amdhsa_kernel _ZN7rocprim17ROCPRIM_400000_NS6detail17trampoline_kernelINS0_14default_configENS1_35radix_sort_onesweep_config_selectorIiiEEZZNS1_29radix_sort_onesweep_iterationIS3_Lb1EN6thrust23THRUST_200600_302600_NS6detail15normal_iteratorINS8_10device_ptrIiEEEESD_SD_SD_jNS0_19identity_decomposerENS1_16block_id_wrapperIjLb1EEEEE10hipError_tT1_PNSt15iterator_traitsISI_E10value_typeET2_T3_PNSJ_ISO_E10value_typeET4_T5_PST_SU_PNS1_23onesweep_lookback_stateEbbT6_jjT7_P12ihipStream_tbENKUlT_T0_SI_SN_E_clIPiSD_S15_SD_EEDaS11_S12_SI_SN_EUlS11_E_NS1_11comp_targetILNS1_3genE2ELNS1_11target_archE906ELNS1_3gpuE6ELNS1_3repE0EEENS1_47radix_sort_onesweep_sort_config_static_selectorELNS0_4arch9wavefront6targetE1EEEvSI_
		.amdhsa_group_segment_fixed_size 0
		.amdhsa_private_segment_fixed_size 0
		.amdhsa_kernarg_size 88
		.amdhsa_user_sgpr_count 2
		.amdhsa_user_sgpr_dispatch_ptr 0
		.amdhsa_user_sgpr_queue_ptr 0
		.amdhsa_user_sgpr_kernarg_segment_ptr 1
		.amdhsa_user_sgpr_dispatch_id 0
		.amdhsa_user_sgpr_kernarg_preload_length 0
		.amdhsa_user_sgpr_kernarg_preload_offset 0
		.amdhsa_user_sgpr_private_segment_size 0
		.amdhsa_uses_dynamic_stack 0
		.amdhsa_enable_private_segment 0
		.amdhsa_system_sgpr_workgroup_id_x 1
		.amdhsa_system_sgpr_workgroup_id_y 0
		.amdhsa_system_sgpr_workgroup_id_z 0
		.amdhsa_system_sgpr_workgroup_info 0
		.amdhsa_system_vgpr_workitem_id 0
		.amdhsa_next_free_vgpr 1
		.amdhsa_next_free_sgpr 0
		.amdhsa_accum_offset 4
		.amdhsa_reserve_vcc 0
		.amdhsa_float_round_mode_32 0
		.amdhsa_float_round_mode_16_64 0
		.amdhsa_float_denorm_mode_32 3
		.amdhsa_float_denorm_mode_16_64 3
		.amdhsa_dx10_clamp 1
		.amdhsa_ieee_mode 1
		.amdhsa_fp16_overflow 0
		.amdhsa_tg_split 0
		.amdhsa_exception_fp_ieee_invalid_op 0
		.amdhsa_exception_fp_denorm_src 0
		.amdhsa_exception_fp_ieee_div_zero 0
		.amdhsa_exception_fp_ieee_overflow 0
		.amdhsa_exception_fp_ieee_underflow 0
		.amdhsa_exception_fp_ieee_inexact 0
		.amdhsa_exception_int_div_zero 0
	.end_amdhsa_kernel
	.section	.text._ZN7rocprim17ROCPRIM_400000_NS6detail17trampoline_kernelINS0_14default_configENS1_35radix_sort_onesweep_config_selectorIiiEEZZNS1_29radix_sort_onesweep_iterationIS3_Lb1EN6thrust23THRUST_200600_302600_NS6detail15normal_iteratorINS8_10device_ptrIiEEEESD_SD_SD_jNS0_19identity_decomposerENS1_16block_id_wrapperIjLb1EEEEE10hipError_tT1_PNSt15iterator_traitsISI_E10value_typeET2_T3_PNSJ_ISO_E10value_typeET4_T5_PST_SU_PNS1_23onesweep_lookback_stateEbbT6_jjT7_P12ihipStream_tbENKUlT_T0_SI_SN_E_clIPiSD_S15_SD_EEDaS11_S12_SI_SN_EUlS11_E_NS1_11comp_targetILNS1_3genE2ELNS1_11target_archE906ELNS1_3gpuE6ELNS1_3repE0EEENS1_47radix_sort_onesweep_sort_config_static_selectorELNS0_4arch9wavefront6targetE1EEEvSI_,"axG",@progbits,_ZN7rocprim17ROCPRIM_400000_NS6detail17trampoline_kernelINS0_14default_configENS1_35radix_sort_onesweep_config_selectorIiiEEZZNS1_29radix_sort_onesweep_iterationIS3_Lb1EN6thrust23THRUST_200600_302600_NS6detail15normal_iteratorINS8_10device_ptrIiEEEESD_SD_SD_jNS0_19identity_decomposerENS1_16block_id_wrapperIjLb1EEEEE10hipError_tT1_PNSt15iterator_traitsISI_E10value_typeET2_T3_PNSJ_ISO_E10value_typeET4_T5_PST_SU_PNS1_23onesweep_lookback_stateEbbT6_jjT7_P12ihipStream_tbENKUlT_T0_SI_SN_E_clIPiSD_S15_SD_EEDaS11_S12_SI_SN_EUlS11_E_NS1_11comp_targetILNS1_3genE2ELNS1_11target_archE906ELNS1_3gpuE6ELNS1_3repE0EEENS1_47radix_sort_onesweep_sort_config_static_selectorELNS0_4arch9wavefront6targetE1EEEvSI_,comdat
.Lfunc_end1020:
	.size	_ZN7rocprim17ROCPRIM_400000_NS6detail17trampoline_kernelINS0_14default_configENS1_35radix_sort_onesweep_config_selectorIiiEEZZNS1_29radix_sort_onesweep_iterationIS3_Lb1EN6thrust23THRUST_200600_302600_NS6detail15normal_iteratorINS8_10device_ptrIiEEEESD_SD_SD_jNS0_19identity_decomposerENS1_16block_id_wrapperIjLb1EEEEE10hipError_tT1_PNSt15iterator_traitsISI_E10value_typeET2_T3_PNSJ_ISO_E10value_typeET4_T5_PST_SU_PNS1_23onesweep_lookback_stateEbbT6_jjT7_P12ihipStream_tbENKUlT_T0_SI_SN_E_clIPiSD_S15_SD_EEDaS11_S12_SI_SN_EUlS11_E_NS1_11comp_targetILNS1_3genE2ELNS1_11target_archE906ELNS1_3gpuE6ELNS1_3repE0EEENS1_47radix_sort_onesweep_sort_config_static_selectorELNS0_4arch9wavefront6targetE1EEEvSI_, .Lfunc_end1020-_ZN7rocprim17ROCPRIM_400000_NS6detail17trampoline_kernelINS0_14default_configENS1_35radix_sort_onesweep_config_selectorIiiEEZZNS1_29radix_sort_onesweep_iterationIS3_Lb1EN6thrust23THRUST_200600_302600_NS6detail15normal_iteratorINS8_10device_ptrIiEEEESD_SD_SD_jNS0_19identity_decomposerENS1_16block_id_wrapperIjLb1EEEEE10hipError_tT1_PNSt15iterator_traitsISI_E10value_typeET2_T3_PNSJ_ISO_E10value_typeET4_T5_PST_SU_PNS1_23onesweep_lookback_stateEbbT6_jjT7_P12ihipStream_tbENKUlT_T0_SI_SN_E_clIPiSD_S15_SD_EEDaS11_S12_SI_SN_EUlS11_E_NS1_11comp_targetILNS1_3genE2ELNS1_11target_archE906ELNS1_3gpuE6ELNS1_3repE0EEENS1_47radix_sort_onesweep_sort_config_static_selectorELNS0_4arch9wavefront6targetE1EEEvSI_
                                        ; -- End function
	.set _ZN7rocprim17ROCPRIM_400000_NS6detail17trampoline_kernelINS0_14default_configENS1_35radix_sort_onesweep_config_selectorIiiEEZZNS1_29radix_sort_onesweep_iterationIS3_Lb1EN6thrust23THRUST_200600_302600_NS6detail15normal_iteratorINS8_10device_ptrIiEEEESD_SD_SD_jNS0_19identity_decomposerENS1_16block_id_wrapperIjLb1EEEEE10hipError_tT1_PNSt15iterator_traitsISI_E10value_typeET2_T3_PNSJ_ISO_E10value_typeET4_T5_PST_SU_PNS1_23onesweep_lookback_stateEbbT6_jjT7_P12ihipStream_tbENKUlT_T0_SI_SN_E_clIPiSD_S15_SD_EEDaS11_S12_SI_SN_EUlS11_E_NS1_11comp_targetILNS1_3genE2ELNS1_11target_archE906ELNS1_3gpuE6ELNS1_3repE0EEENS1_47radix_sort_onesweep_sort_config_static_selectorELNS0_4arch9wavefront6targetE1EEEvSI_.num_vgpr, 0
	.set _ZN7rocprim17ROCPRIM_400000_NS6detail17trampoline_kernelINS0_14default_configENS1_35radix_sort_onesweep_config_selectorIiiEEZZNS1_29radix_sort_onesweep_iterationIS3_Lb1EN6thrust23THRUST_200600_302600_NS6detail15normal_iteratorINS8_10device_ptrIiEEEESD_SD_SD_jNS0_19identity_decomposerENS1_16block_id_wrapperIjLb1EEEEE10hipError_tT1_PNSt15iterator_traitsISI_E10value_typeET2_T3_PNSJ_ISO_E10value_typeET4_T5_PST_SU_PNS1_23onesweep_lookback_stateEbbT6_jjT7_P12ihipStream_tbENKUlT_T0_SI_SN_E_clIPiSD_S15_SD_EEDaS11_S12_SI_SN_EUlS11_E_NS1_11comp_targetILNS1_3genE2ELNS1_11target_archE906ELNS1_3gpuE6ELNS1_3repE0EEENS1_47radix_sort_onesweep_sort_config_static_selectorELNS0_4arch9wavefront6targetE1EEEvSI_.num_agpr, 0
	.set _ZN7rocprim17ROCPRIM_400000_NS6detail17trampoline_kernelINS0_14default_configENS1_35radix_sort_onesweep_config_selectorIiiEEZZNS1_29radix_sort_onesweep_iterationIS3_Lb1EN6thrust23THRUST_200600_302600_NS6detail15normal_iteratorINS8_10device_ptrIiEEEESD_SD_SD_jNS0_19identity_decomposerENS1_16block_id_wrapperIjLb1EEEEE10hipError_tT1_PNSt15iterator_traitsISI_E10value_typeET2_T3_PNSJ_ISO_E10value_typeET4_T5_PST_SU_PNS1_23onesweep_lookback_stateEbbT6_jjT7_P12ihipStream_tbENKUlT_T0_SI_SN_E_clIPiSD_S15_SD_EEDaS11_S12_SI_SN_EUlS11_E_NS1_11comp_targetILNS1_3genE2ELNS1_11target_archE906ELNS1_3gpuE6ELNS1_3repE0EEENS1_47radix_sort_onesweep_sort_config_static_selectorELNS0_4arch9wavefront6targetE1EEEvSI_.numbered_sgpr, 0
	.set _ZN7rocprim17ROCPRIM_400000_NS6detail17trampoline_kernelINS0_14default_configENS1_35radix_sort_onesweep_config_selectorIiiEEZZNS1_29radix_sort_onesweep_iterationIS3_Lb1EN6thrust23THRUST_200600_302600_NS6detail15normal_iteratorINS8_10device_ptrIiEEEESD_SD_SD_jNS0_19identity_decomposerENS1_16block_id_wrapperIjLb1EEEEE10hipError_tT1_PNSt15iterator_traitsISI_E10value_typeET2_T3_PNSJ_ISO_E10value_typeET4_T5_PST_SU_PNS1_23onesweep_lookback_stateEbbT6_jjT7_P12ihipStream_tbENKUlT_T0_SI_SN_E_clIPiSD_S15_SD_EEDaS11_S12_SI_SN_EUlS11_E_NS1_11comp_targetILNS1_3genE2ELNS1_11target_archE906ELNS1_3gpuE6ELNS1_3repE0EEENS1_47radix_sort_onesweep_sort_config_static_selectorELNS0_4arch9wavefront6targetE1EEEvSI_.num_named_barrier, 0
	.set _ZN7rocprim17ROCPRIM_400000_NS6detail17trampoline_kernelINS0_14default_configENS1_35radix_sort_onesweep_config_selectorIiiEEZZNS1_29radix_sort_onesweep_iterationIS3_Lb1EN6thrust23THRUST_200600_302600_NS6detail15normal_iteratorINS8_10device_ptrIiEEEESD_SD_SD_jNS0_19identity_decomposerENS1_16block_id_wrapperIjLb1EEEEE10hipError_tT1_PNSt15iterator_traitsISI_E10value_typeET2_T3_PNSJ_ISO_E10value_typeET4_T5_PST_SU_PNS1_23onesweep_lookback_stateEbbT6_jjT7_P12ihipStream_tbENKUlT_T0_SI_SN_E_clIPiSD_S15_SD_EEDaS11_S12_SI_SN_EUlS11_E_NS1_11comp_targetILNS1_3genE2ELNS1_11target_archE906ELNS1_3gpuE6ELNS1_3repE0EEENS1_47radix_sort_onesweep_sort_config_static_selectorELNS0_4arch9wavefront6targetE1EEEvSI_.private_seg_size, 0
	.set _ZN7rocprim17ROCPRIM_400000_NS6detail17trampoline_kernelINS0_14default_configENS1_35radix_sort_onesweep_config_selectorIiiEEZZNS1_29radix_sort_onesweep_iterationIS3_Lb1EN6thrust23THRUST_200600_302600_NS6detail15normal_iteratorINS8_10device_ptrIiEEEESD_SD_SD_jNS0_19identity_decomposerENS1_16block_id_wrapperIjLb1EEEEE10hipError_tT1_PNSt15iterator_traitsISI_E10value_typeET2_T3_PNSJ_ISO_E10value_typeET4_T5_PST_SU_PNS1_23onesweep_lookback_stateEbbT6_jjT7_P12ihipStream_tbENKUlT_T0_SI_SN_E_clIPiSD_S15_SD_EEDaS11_S12_SI_SN_EUlS11_E_NS1_11comp_targetILNS1_3genE2ELNS1_11target_archE906ELNS1_3gpuE6ELNS1_3repE0EEENS1_47radix_sort_onesweep_sort_config_static_selectorELNS0_4arch9wavefront6targetE1EEEvSI_.uses_vcc, 0
	.set _ZN7rocprim17ROCPRIM_400000_NS6detail17trampoline_kernelINS0_14default_configENS1_35radix_sort_onesweep_config_selectorIiiEEZZNS1_29radix_sort_onesweep_iterationIS3_Lb1EN6thrust23THRUST_200600_302600_NS6detail15normal_iteratorINS8_10device_ptrIiEEEESD_SD_SD_jNS0_19identity_decomposerENS1_16block_id_wrapperIjLb1EEEEE10hipError_tT1_PNSt15iterator_traitsISI_E10value_typeET2_T3_PNSJ_ISO_E10value_typeET4_T5_PST_SU_PNS1_23onesweep_lookback_stateEbbT6_jjT7_P12ihipStream_tbENKUlT_T0_SI_SN_E_clIPiSD_S15_SD_EEDaS11_S12_SI_SN_EUlS11_E_NS1_11comp_targetILNS1_3genE2ELNS1_11target_archE906ELNS1_3gpuE6ELNS1_3repE0EEENS1_47radix_sort_onesweep_sort_config_static_selectorELNS0_4arch9wavefront6targetE1EEEvSI_.uses_flat_scratch, 0
	.set _ZN7rocprim17ROCPRIM_400000_NS6detail17trampoline_kernelINS0_14default_configENS1_35radix_sort_onesweep_config_selectorIiiEEZZNS1_29radix_sort_onesweep_iterationIS3_Lb1EN6thrust23THRUST_200600_302600_NS6detail15normal_iteratorINS8_10device_ptrIiEEEESD_SD_SD_jNS0_19identity_decomposerENS1_16block_id_wrapperIjLb1EEEEE10hipError_tT1_PNSt15iterator_traitsISI_E10value_typeET2_T3_PNSJ_ISO_E10value_typeET4_T5_PST_SU_PNS1_23onesweep_lookback_stateEbbT6_jjT7_P12ihipStream_tbENKUlT_T0_SI_SN_E_clIPiSD_S15_SD_EEDaS11_S12_SI_SN_EUlS11_E_NS1_11comp_targetILNS1_3genE2ELNS1_11target_archE906ELNS1_3gpuE6ELNS1_3repE0EEENS1_47radix_sort_onesweep_sort_config_static_selectorELNS0_4arch9wavefront6targetE1EEEvSI_.has_dyn_sized_stack, 0
	.set _ZN7rocprim17ROCPRIM_400000_NS6detail17trampoline_kernelINS0_14default_configENS1_35radix_sort_onesweep_config_selectorIiiEEZZNS1_29radix_sort_onesweep_iterationIS3_Lb1EN6thrust23THRUST_200600_302600_NS6detail15normal_iteratorINS8_10device_ptrIiEEEESD_SD_SD_jNS0_19identity_decomposerENS1_16block_id_wrapperIjLb1EEEEE10hipError_tT1_PNSt15iterator_traitsISI_E10value_typeET2_T3_PNSJ_ISO_E10value_typeET4_T5_PST_SU_PNS1_23onesweep_lookback_stateEbbT6_jjT7_P12ihipStream_tbENKUlT_T0_SI_SN_E_clIPiSD_S15_SD_EEDaS11_S12_SI_SN_EUlS11_E_NS1_11comp_targetILNS1_3genE2ELNS1_11target_archE906ELNS1_3gpuE6ELNS1_3repE0EEENS1_47radix_sort_onesweep_sort_config_static_selectorELNS0_4arch9wavefront6targetE1EEEvSI_.has_recursion, 0
	.set _ZN7rocprim17ROCPRIM_400000_NS6detail17trampoline_kernelINS0_14default_configENS1_35radix_sort_onesweep_config_selectorIiiEEZZNS1_29radix_sort_onesweep_iterationIS3_Lb1EN6thrust23THRUST_200600_302600_NS6detail15normal_iteratorINS8_10device_ptrIiEEEESD_SD_SD_jNS0_19identity_decomposerENS1_16block_id_wrapperIjLb1EEEEE10hipError_tT1_PNSt15iterator_traitsISI_E10value_typeET2_T3_PNSJ_ISO_E10value_typeET4_T5_PST_SU_PNS1_23onesweep_lookback_stateEbbT6_jjT7_P12ihipStream_tbENKUlT_T0_SI_SN_E_clIPiSD_S15_SD_EEDaS11_S12_SI_SN_EUlS11_E_NS1_11comp_targetILNS1_3genE2ELNS1_11target_archE906ELNS1_3gpuE6ELNS1_3repE0EEENS1_47radix_sort_onesweep_sort_config_static_selectorELNS0_4arch9wavefront6targetE1EEEvSI_.has_indirect_call, 0
	.section	.AMDGPU.csdata,"",@progbits
; Kernel info:
; codeLenInByte = 0
; TotalNumSgprs: 6
; NumVgprs: 0
; NumAgprs: 0
; TotalNumVgprs: 0
; ScratchSize: 0
; MemoryBound: 0
; FloatMode: 240
; IeeeMode: 1
; LDSByteSize: 0 bytes/workgroup (compile time only)
; SGPRBlocks: 0
; VGPRBlocks: 0
; NumSGPRsForWavesPerEU: 6
; NumVGPRsForWavesPerEU: 1
; AccumOffset: 4
; Occupancy: 8
; WaveLimiterHint : 0
; COMPUTE_PGM_RSRC2:SCRATCH_EN: 0
; COMPUTE_PGM_RSRC2:USER_SGPR: 2
; COMPUTE_PGM_RSRC2:TRAP_HANDLER: 0
; COMPUTE_PGM_RSRC2:TGID_X_EN: 1
; COMPUTE_PGM_RSRC2:TGID_Y_EN: 0
; COMPUTE_PGM_RSRC2:TGID_Z_EN: 0
; COMPUTE_PGM_RSRC2:TIDIG_COMP_CNT: 0
; COMPUTE_PGM_RSRC3_GFX90A:ACCUM_OFFSET: 0
; COMPUTE_PGM_RSRC3_GFX90A:TG_SPLIT: 0
	.section	.text._ZN7rocprim17ROCPRIM_400000_NS6detail17trampoline_kernelINS0_14default_configENS1_35radix_sort_onesweep_config_selectorIiiEEZZNS1_29radix_sort_onesweep_iterationIS3_Lb1EN6thrust23THRUST_200600_302600_NS6detail15normal_iteratorINS8_10device_ptrIiEEEESD_SD_SD_jNS0_19identity_decomposerENS1_16block_id_wrapperIjLb1EEEEE10hipError_tT1_PNSt15iterator_traitsISI_E10value_typeET2_T3_PNSJ_ISO_E10value_typeET4_T5_PST_SU_PNS1_23onesweep_lookback_stateEbbT6_jjT7_P12ihipStream_tbENKUlT_T0_SI_SN_E_clIPiSD_S15_SD_EEDaS11_S12_SI_SN_EUlS11_E_NS1_11comp_targetILNS1_3genE4ELNS1_11target_archE910ELNS1_3gpuE8ELNS1_3repE0EEENS1_47radix_sort_onesweep_sort_config_static_selectorELNS0_4arch9wavefront6targetE1EEEvSI_,"axG",@progbits,_ZN7rocprim17ROCPRIM_400000_NS6detail17trampoline_kernelINS0_14default_configENS1_35radix_sort_onesweep_config_selectorIiiEEZZNS1_29radix_sort_onesweep_iterationIS3_Lb1EN6thrust23THRUST_200600_302600_NS6detail15normal_iteratorINS8_10device_ptrIiEEEESD_SD_SD_jNS0_19identity_decomposerENS1_16block_id_wrapperIjLb1EEEEE10hipError_tT1_PNSt15iterator_traitsISI_E10value_typeET2_T3_PNSJ_ISO_E10value_typeET4_T5_PST_SU_PNS1_23onesweep_lookback_stateEbbT6_jjT7_P12ihipStream_tbENKUlT_T0_SI_SN_E_clIPiSD_S15_SD_EEDaS11_S12_SI_SN_EUlS11_E_NS1_11comp_targetILNS1_3genE4ELNS1_11target_archE910ELNS1_3gpuE8ELNS1_3repE0EEENS1_47radix_sort_onesweep_sort_config_static_selectorELNS0_4arch9wavefront6targetE1EEEvSI_,comdat
	.protected	_ZN7rocprim17ROCPRIM_400000_NS6detail17trampoline_kernelINS0_14default_configENS1_35radix_sort_onesweep_config_selectorIiiEEZZNS1_29radix_sort_onesweep_iterationIS3_Lb1EN6thrust23THRUST_200600_302600_NS6detail15normal_iteratorINS8_10device_ptrIiEEEESD_SD_SD_jNS0_19identity_decomposerENS1_16block_id_wrapperIjLb1EEEEE10hipError_tT1_PNSt15iterator_traitsISI_E10value_typeET2_T3_PNSJ_ISO_E10value_typeET4_T5_PST_SU_PNS1_23onesweep_lookback_stateEbbT6_jjT7_P12ihipStream_tbENKUlT_T0_SI_SN_E_clIPiSD_S15_SD_EEDaS11_S12_SI_SN_EUlS11_E_NS1_11comp_targetILNS1_3genE4ELNS1_11target_archE910ELNS1_3gpuE8ELNS1_3repE0EEENS1_47radix_sort_onesweep_sort_config_static_selectorELNS0_4arch9wavefront6targetE1EEEvSI_ ; -- Begin function _ZN7rocprim17ROCPRIM_400000_NS6detail17trampoline_kernelINS0_14default_configENS1_35radix_sort_onesweep_config_selectorIiiEEZZNS1_29radix_sort_onesweep_iterationIS3_Lb1EN6thrust23THRUST_200600_302600_NS6detail15normal_iteratorINS8_10device_ptrIiEEEESD_SD_SD_jNS0_19identity_decomposerENS1_16block_id_wrapperIjLb1EEEEE10hipError_tT1_PNSt15iterator_traitsISI_E10value_typeET2_T3_PNSJ_ISO_E10value_typeET4_T5_PST_SU_PNS1_23onesweep_lookback_stateEbbT6_jjT7_P12ihipStream_tbENKUlT_T0_SI_SN_E_clIPiSD_S15_SD_EEDaS11_S12_SI_SN_EUlS11_E_NS1_11comp_targetILNS1_3genE4ELNS1_11target_archE910ELNS1_3gpuE8ELNS1_3repE0EEENS1_47radix_sort_onesweep_sort_config_static_selectorELNS0_4arch9wavefront6targetE1EEEvSI_
	.globl	_ZN7rocprim17ROCPRIM_400000_NS6detail17trampoline_kernelINS0_14default_configENS1_35radix_sort_onesweep_config_selectorIiiEEZZNS1_29radix_sort_onesweep_iterationIS3_Lb1EN6thrust23THRUST_200600_302600_NS6detail15normal_iteratorINS8_10device_ptrIiEEEESD_SD_SD_jNS0_19identity_decomposerENS1_16block_id_wrapperIjLb1EEEEE10hipError_tT1_PNSt15iterator_traitsISI_E10value_typeET2_T3_PNSJ_ISO_E10value_typeET4_T5_PST_SU_PNS1_23onesweep_lookback_stateEbbT6_jjT7_P12ihipStream_tbENKUlT_T0_SI_SN_E_clIPiSD_S15_SD_EEDaS11_S12_SI_SN_EUlS11_E_NS1_11comp_targetILNS1_3genE4ELNS1_11target_archE910ELNS1_3gpuE8ELNS1_3repE0EEENS1_47radix_sort_onesweep_sort_config_static_selectorELNS0_4arch9wavefront6targetE1EEEvSI_
	.p2align	8
	.type	_ZN7rocprim17ROCPRIM_400000_NS6detail17trampoline_kernelINS0_14default_configENS1_35radix_sort_onesweep_config_selectorIiiEEZZNS1_29radix_sort_onesweep_iterationIS3_Lb1EN6thrust23THRUST_200600_302600_NS6detail15normal_iteratorINS8_10device_ptrIiEEEESD_SD_SD_jNS0_19identity_decomposerENS1_16block_id_wrapperIjLb1EEEEE10hipError_tT1_PNSt15iterator_traitsISI_E10value_typeET2_T3_PNSJ_ISO_E10value_typeET4_T5_PST_SU_PNS1_23onesweep_lookback_stateEbbT6_jjT7_P12ihipStream_tbENKUlT_T0_SI_SN_E_clIPiSD_S15_SD_EEDaS11_S12_SI_SN_EUlS11_E_NS1_11comp_targetILNS1_3genE4ELNS1_11target_archE910ELNS1_3gpuE8ELNS1_3repE0EEENS1_47radix_sort_onesweep_sort_config_static_selectorELNS0_4arch9wavefront6targetE1EEEvSI_,@function
_ZN7rocprim17ROCPRIM_400000_NS6detail17trampoline_kernelINS0_14default_configENS1_35radix_sort_onesweep_config_selectorIiiEEZZNS1_29radix_sort_onesweep_iterationIS3_Lb1EN6thrust23THRUST_200600_302600_NS6detail15normal_iteratorINS8_10device_ptrIiEEEESD_SD_SD_jNS0_19identity_decomposerENS1_16block_id_wrapperIjLb1EEEEE10hipError_tT1_PNSt15iterator_traitsISI_E10value_typeET2_T3_PNSJ_ISO_E10value_typeET4_T5_PST_SU_PNS1_23onesweep_lookback_stateEbbT6_jjT7_P12ihipStream_tbENKUlT_T0_SI_SN_E_clIPiSD_S15_SD_EEDaS11_S12_SI_SN_EUlS11_E_NS1_11comp_targetILNS1_3genE4ELNS1_11target_archE910ELNS1_3gpuE8ELNS1_3repE0EEENS1_47radix_sort_onesweep_sort_config_static_selectorELNS0_4arch9wavefront6targetE1EEEvSI_: ; @_ZN7rocprim17ROCPRIM_400000_NS6detail17trampoline_kernelINS0_14default_configENS1_35radix_sort_onesweep_config_selectorIiiEEZZNS1_29radix_sort_onesweep_iterationIS3_Lb1EN6thrust23THRUST_200600_302600_NS6detail15normal_iteratorINS8_10device_ptrIiEEEESD_SD_SD_jNS0_19identity_decomposerENS1_16block_id_wrapperIjLb1EEEEE10hipError_tT1_PNSt15iterator_traitsISI_E10value_typeET2_T3_PNSJ_ISO_E10value_typeET4_T5_PST_SU_PNS1_23onesweep_lookback_stateEbbT6_jjT7_P12ihipStream_tbENKUlT_T0_SI_SN_E_clIPiSD_S15_SD_EEDaS11_S12_SI_SN_EUlS11_E_NS1_11comp_targetILNS1_3genE4ELNS1_11target_archE910ELNS1_3gpuE8ELNS1_3repE0EEENS1_47radix_sort_onesweep_sort_config_static_selectorELNS0_4arch9wavefront6targetE1EEEvSI_
; %bb.0:
	.section	.rodata,"a",@progbits
	.p2align	6, 0x0
	.amdhsa_kernel _ZN7rocprim17ROCPRIM_400000_NS6detail17trampoline_kernelINS0_14default_configENS1_35radix_sort_onesweep_config_selectorIiiEEZZNS1_29radix_sort_onesweep_iterationIS3_Lb1EN6thrust23THRUST_200600_302600_NS6detail15normal_iteratorINS8_10device_ptrIiEEEESD_SD_SD_jNS0_19identity_decomposerENS1_16block_id_wrapperIjLb1EEEEE10hipError_tT1_PNSt15iterator_traitsISI_E10value_typeET2_T3_PNSJ_ISO_E10value_typeET4_T5_PST_SU_PNS1_23onesweep_lookback_stateEbbT6_jjT7_P12ihipStream_tbENKUlT_T0_SI_SN_E_clIPiSD_S15_SD_EEDaS11_S12_SI_SN_EUlS11_E_NS1_11comp_targetILNS1_3genE4ELNS1_11target_archE910ELNS1_3gpuE8ELNS1_3repE0EEENS1_47radix_sort_onesweep_sort_config_static_selectorELNS0_4arch9wavefront6targetE1EEEvSI_
		.amdhsa_group_segment_fixed_size 0
		.amdhsa_private_segment_fixed_size 0
		.amdhsa_kernarg_size 88
		.amdhsa_user_sgpr_count 2
		.amdhsa_user_sgpr_dispatch_ptr 0
		.amdhsa_user_sgpr_queue_ptr 0
		.amdhsa_user_sgpr_kernarg_segment_ptr 1
		.amdhsa_user_sgpr_dispatch_id 0
		.amdhsa_user_sgpr_kernarg_preload_length 0
		.amdhsa_user_sgpr_kernarg_preload_offset 0
		.amdhsa_user_sgpr_private_segment_size 0
		.amdhsa_uses_dynamic_stack 0
		.amdhsa_enable_private_segment 0
		.amdhsa_system_sgpr_workgroup_id_x 1
		.amdhsa_system_sgpr_workgroup_id_y 0
		.amdhsa_system_sgpr_workgroup_id_z 0
		.amdhsa_system_sgpr_workgroup_info 0
		.amdhsa_system_vgpr_workitem_id 0
		.amdhsa_next_free_vgpr 1
		.amdhsa_next_free_sgpr 0
		.amdhsa_accum_offset 4
		.amdhsa_reserve_vcc 0
		.amdhsa_float_round_mode_32 0
		.amdhsa_float_round_mode_16_64 0
		.amdhsa_float_denorm_mode_32 3
		.amdhsa_float_denorm_mode_16_64 3
		.amdhsa_dx10_clamp 1
		.amdhsa_ieee_mode 1
		.amdhsa_fp16_overflow 0
		.amdhsa_tg_split 0
		.amdhsa_exception_fp_ieee_invalid_op 0
		.amdhsa_exception_fp_denorm_src 0
		.amdhsa_exception_fp_ieee_div_zero 0
		.amdhsa_exception_fp_ieee_overflow 0
		.amdhsa_exception_fp_ieee_underflow 0
		.amdhsa_exception_fp_ieee_inexact 0
		.amdhsa_exception_int_div_zero 0
	.end_amdhsa_kernel
	.section	.text._ZN7rocprim17ROCPRIM_400000_NS6detail17trampoline_kernelINS0_14default_configENS1_35radix_sort_onesweep_config_selectorIiiEEZZNS1_29radix_sort_onesweep_iterationIS3_Lb1EN6thrust23THRUST_200600_302600_NS6detail15normal_iteratorINS8_10device_ptrIiEEEESD_SD_SD_jNS0_19identity_decomposerENS1_16block_id_wrapperIjLb1EEEEE10hipError_tT1_PNSt15iterator_traitsISI_E10value_typeET2_T3_PNSJ_ISO_E10value_typeET4_T5_PST_SU_PNS1_23onesweep_lookback_stateEbbT6_jjT7_P12ihipStream_tbENKUlT_T0_SI_SN_E_clIPiSD_S15_SD_EEDaS11_S12_SI_SN_EUlS11_E_NS1_11comp_targetILNS1_3genE4ELNS1_11target_archE910ELNS1_3gpuE8ELNS1_3repE0EEENS1_47radix_sort_onesweep_sort_config_static_selectorELNS0_4arch9wavefront6targetE1EEEvSI_,"axG",@progbits,_ZN7rocprim17ROCPRIM_400000_NS6detail17trampoline_kernelINS0_14default_configENS1_35radix_sort_onesweep_config_selectorIiiEEZZNS1_29radix_sort_onesweep_iterationIS3_Lb1EN6thrust23THRUST_200600_302600_NS6detail15normal_iteratorINS8_10device_ptrIiEEEESD_SD_SD_jNS0_19identity_decomposerENS1_16block_id_wrapperIjLb1EEEEE10hipError_tT1_PNSt15iterator_traitsISI_E10value_typeET2_T3_PNSJ_ISO_E10value_typeET4_T5_PST_SU_PNS1_23onesweep_lookback_stateEbbT6_jjT7_P12ihipStream_tbENKUlT_T0_SI_SN_E_clIPiSD_S15_SD_EEDaS11_S12_SI_SN_EUlS11_E_NS1_11comp_targetILNS1_3genE4ELNS1_11target_archE910ELNS1_3gpuE8ELNS1_3repE0EEENS1_47radix_sort_onesweep_sort_config_static_selectorELNS0_4arch9wavefront6targetE1EEEvSI_,comdat
.Lfunc_end1021:
	.size	_ZN7rocprim17ROCPRIM_400000_NS6detail17trampoline_kernelINS0_14default_configENS1_35radix_sort_onesweep_config_selectorIiiEEZZNS1_29radix_sort_onesweep_iterationIS3_Lb1EN6thrust23THRUST_200600_302600_NS6detail15normal_iteratorINS8_10device_ptrIiEEEESD_SD_SD_jNS0_19identity_decomposerENS1_16block_id_wrapperIjLb1EEEEE10hipError_tT1_PNSt15iterator_traitsISI_E10value_typeET2_T3_PNSJ_ISO_E10value_typeET4_T5_PST_SU_PNS1_23onesweep_lookback_stateEbbT6_jjT7_P12ihipStream_tbENKUlT_T0_SI_SN_E_clIPiSD_S15_SD_EEDaS11_S12_SI_SN_EUlS11_E_NS1_11comp_targetILNS1_3genE4ELNS1_11target_archE910ELNS1_3gpuE8ELNS1_3repE0EEENS1_47radix_sort_onesweep_sort_config_static_selectorELNS0_4arch9wavefront6targetE1EEEvSI_, .Lfunc_end1021-_ZN7rocprim17ROCPRIM_400000_NS6detail17trampoline_kernelINS0_14default_configENS1_35radix_sort_onesweep_config_selectorIiiEEZZNS1_29radix_sort_onesweep_iterationIS3_Lb1EN6thrust23THRUST_200600_302600_NS6detail15normal_iteratorINS8_10device_ptrIiEEEESD_SD_SD_jNS0_19identity_decomposerENS1_16block_id_wrapperIjLb1EEEEE10hipError_tT1_PNSt15iterator_traitsISI_E10value_typeET2_T3_PNSJ_ISO_E10value_typeET4_T5_PST_SU_PNS1_23onesweep_lookback_stateEbbT6_jjT7_P12ihipStream_tbENKUlT_T0_SI_SN_E_clIPiSD_S15_SD_EEDaS11_S12_SI_SN_EUlS11_E_NS1_11comp_targetILNS1_3genE4ELNS1_11target_archE910ELNS1_3gpuE8ELNS1_3repE0EEENS1_47radix_sort_onesweep_sort_config_static_selectorELNS0_4arch9wavefront6targetE1EEEvSI_
                                        ; -- End function
	.set _ZN7rocprim17ROCPRIM_400000_NS6detail17trampoline_kernelINS0_14default_configENS1_35radix_sort_onesweep_config_selectorIiiEEZZNS1_29radix_sort_onesweep_iterationIS3_Lb1EN6thrust23THRUST_200600_302600_NS6detail15normal_iteratorINS8_10device_ptrIiEEEESD_SD_SD_jNS0_19identity_decomposerENS1_16block_id_wrapperIjLb1EEEEE10hipError_tT1_PNSt15iterator_traitsISI_E10value_typeET2_T3_PNSJ_ISO_E10value_typeET4_T5_PST_SU_PNS1_23onesweep_lookback_stateEbbT6_jjT7_P12ihipStream_tbENKUlT_T0_SI_SN_E_clIPiSD_S15_SD_EEDaS11_S12_SI_SN_EUlS11_E_NS1_11comp_targetILNS1_3genE4ELNS1_11target_archE910ELNS1_3gpuE8ELNS1_3repE0EEENS1_47radix_sort_onesweep_sort_config_static_selectorELNS0_4arch9wavefront6targetE1EEEvSI_.num_vgpr, 0
	.set _ZN7rocprim17ROCPRIM_400000_NS6detail17trampoline_kernelINS0_14default_configENS1_35radix_sort_onesweep_config_selectorIiiEEZZNS1_29radix_sort_onesweep_iterationIS3_Lb1EN6thrust23THRUST_200600_302600_NS6detail15normal_iteratorINS8_10device_ptrIiEEEESD_SD_SD_jNS0_19identity_decomposerENS1_16block_id_wrapperIjLb1EEEEE10hipError_tT1_PNSt15iterator_traitsISI_E10value_typeET2_T3_PNSJ_ISO_E10value_typeET4_T5_PST_SU_PNS1_23onesweep_lookback_stateEbbT6_jjT7_P12ihipStream_tbENKUlT_T0_SI_SN_E_clIPiSD_S15_SD_EEDaS11_S12_SI_SN_EUlS11_E_NS1_11comp_targetILNS1_3genE4ELNS1_11target_archE910ELNS1_3gpuE8ELNS1_3repE0EEENS1_47radix_sort_onesweep_sort_config_static_selectorELNS0_4arch9wavefront6targetE1EEEvSI_.num_agpr, 0
	.set _ZN7rocprim17ROCPRIM_400000_NS6detail17trampoline_kernelINS0_14default_configENS1_35radix_sort_onesweep_config_selectorIiiEEZZNS1_29radix_sort_onesweep_iterationIS3_Lb1EN6thrust23THRUST_200600_302600_NS6detail15normal_iteratorINS8_10device_ptrIiEEEESD_SD_SD_jNS0_19identity_decomposerENS1_16block_id_wrapperIjLb1EEEEE10hipError_tT1_PNSt15iterator_traitsISI_E10value_typeET2_T3_PNSJ_ISO_E10value_typeET4_T5_PST_SU_PNS1_23onesweep_lookback_stateEbbT6_jjT7_P12ihipStream_tbENKUlT_T0_SI_SN_E_clIPiSD_S15_SD_EEDaS11_S12_SI_SN_EUlS11_E_NS1_11comp_targetILNS1_3genE4ELNS1_11target_archE910ELNS1_3gpuE8ELNS1_3repE0EEENS1_47radix_sort_onesweep_sort_config_static_selectorELNS0_4arch9wavefront6targetE1EEEvSI_.numbered_sgpr, 0
	.set _ZN7rocprim17ROCPRIM_400000_NS6detail17trampoline_kernelINS0_14default_configENS1_35radix_sort_onesweep_config_selectorIiiEEZZNS1_29radix_sort_onesweep_iterationIS3_Lb1EN6thrust23THRUST_200600_302600_NS6detail15normal_iteratorINS8_10device_ptrIiEEEESD_SD_SD_jNS0_19identity_decomposerENS1_16block_id_wrapperIjLb1EEEEE10hipError_tT1_PNSt15iterator_traitsISI_E10value_typeET2_T3_PNSJ_ISO_E10value_typeET4_T5_PST_SU_PNS1_23onesweep_lookback_stateEbbT6_jjT7_P12ihipStream_tbENKUlT_T0_SI_SN_E_clIPiSD_S15_SD_EEDaS11_S12_SI_SN_EUlS11_E_NS1_11comp_targetILNS1_3genE4ELNS1_11target_archE910ELNS1_3gpuE8ELNS1_3repE0EEENS1_47radix_sort_onesweep_sort_config_static_selectorELNS0_4arch9wavefront6targetE1EEEvSI_.num_named_barrier, 0
	.set _ZN7rocprim17ROCPRIM_400000_NS6detail17trampoline_kernelINS0_14default_configENS1_35radix_sort_onesweep_config_selectorIiiEEZZNS1_29radix_sort_onesweep_iterationIS3_Lb1EN6thrust23THRUST_200600_302600_NS6detail15normal_iteratorINS8_10device_ptrIiEEEESD_SD_SD_jNS0_19identity_decomposerENS1_16block_id_wrapperIjLb1EEEEE10hipError_tT1_PNSt15iterator_traitsISI_E10value_typeET2_T3_PNSJ_ISO_E10value_typeET4_T5_PST_SU_PNS1_23onesweep_lookback_stateEbbT6_jjT7_P12ihipStream_tbENKUlT_T0_SI_SN_E_clIPiSD_S15_SD_EEDaS11_S12_SI_SN_EUlS11_E_NS1_11comp_targetILNS1_3genE4ELNS1_11target_archE910ELNS1_3gpuE8ELNS1_3repE0EEENS1_47radix_sort_onesweep_sort_config_static_selectorELNS0_4arch9wavefront6targetE1EEEvSI_.private_seg_size, 0
	.set _ZN7rocprim17ROCPRIM_400000_NS6detail17trampoline_kernelINS0_14default_configENS1_35radix_sort_onesweep_config_selectorIiiEEZZNS1_29radix_sort_onesweep_iterationIS3_Lb1EN6thrust23THRUST_200600_302600_NS6detail15normal_iteratorINS8_10device_ptrIiEEEESD_SD_SD_jNS0_19identity_decomposerENS1_16block_id_wrapperIjLb1EEEEE10hipError_tT1_PNSt15iterator_traitsISI_E10value_typeET2_T3_PNSJ_ISO_E10value_typeET4_T5_PST_SU_PNS1_23onesweep_lookback_stateEbbT6_jjT7_P12ihipStream_tbENKUlT_T0_SI_SN_E_clIPiSD_S15_SD_EEDaS11_S12_SI_SN_EUlS11_E_NS1_11comp_targetILNS1_3genE4ELNS1_11target_archE910ELNS1_3gpuE8ELNS1_3repE0EEENS1_47radix_sort_onesweep_sort_config_static_selectorELNS0_4arch9wavefront6targetE1EEEvSI_.uses_vcc, 0
	.set _ZN7rocprim17ROCPRIM_400000_NS6detail17trampoline_kernelINS0_14default_configENS1_35radix_sort_onesweep_config_selectorIiiEEZZNS1_29radix_sort_onesweep_iterationIS3_Lb1EN6thrust23THRUST_200600_302600_NS6detail15normal_iteratorINS8_10device_ptrIiEEEESD_SD_SD_jNS0_19identity_decomposerENS1_16block_id_wrapperIjLb1EEEEE10hipError_tT1_PNSt15iterator_traitsISI_E10value_typeET2_T3_PNSJ_ISO_E10value_typeET4_T5_PST_SU_PNS1_23onesweep_lookback_stateEbbT6_jjT7_P12ihipStream_tbENKUlT_T0_SI_SN_E_clIPiSD_S15_SD_EEDaS11_S12_SI_SN_EUlS11_E_NS1_11comp_targetILNS1_3genE4ELNS1_11target_archE910ELNS1_3gpuE8ELNS1_3repE0EEENS1_47radix_sort_onesweep_sort_config_static_selectorELNS0_4arch9wavefront6targetE1EEEvSI_.uses_flat_scratch, 0
	.set _ZN7rocprim17ROCPRIM_400000_NS6detail17trampoline_kernelINS0_14default_configENS1_35radix_sort_onesweep_config_selectorIiiEEZZNS1_29radix_sort_onesweep_iterationIS3_Lb1EN6thrust23THRUST_200600_302600_NS6detail15normal_iteratorINS8_10device_ptrIiEEEESD_SD_SD_jNS0_19identity_decomposerENS1_16block_id_wrapperIjLb1EEEEE10hipError_tT1_PNSt15iterator_traitsISI_E10value_typeET2_T3_PNSJ_ISO_E10value_typeET4_T5_PST_SU_PNS1_23onesweep_lookback_stateEbbT6_jjT7_P12ihipStream_tbENKUlT_T0_SI_SN_E_clIPiSD_S15_SD_EEDaS11_S12_SI_SN_EUlS11_E_NS1_11comp_targetILNS1_3genE4ELNS1_11target_archE910ELNS1_3gpuE8ELNS1_3repE0EEENS1_47radix_sort_onesweep_sort_config_static_selectorELNS0_4arch9wavefront6targetE1EEEvSI_.has_dyn_sized_stack, 0
	.set _ZN7rocprim17ROCPRIM_400000_NS6detail17trampoline_kernelINS0_14default_configENS1_35radix_sort_onesweep_config_selectorIiiEEZZNS1_29radix_sort_onesweep_iterationIS3_Lb1EN6thrust23THRUST_200600_302600_NS6detail15normal_iteratorINS8_10device_ptrIiEEEESD_SD_SD_jNS0_19identity_decomposerENS1_16block_id_wrapperIjLb1EEEEE10hipError_tT1_PNSt15iterator_traitsISI_E10value_typeET2_T3_PNSJ_ISO_E10value_typeET4_T5_PST_SU_PNS1_23onesweep_lookback_stateEbbT6_jjT7_P12ihipStream_tbENKUlT_T0_SI_SN_E_clIPiSD_S15_SD_EEDaS11_S12_SI_SN_EUlS11_E_NS1_11comp_targetILNS1_3genE4ELNS1_11target_archE910ELNS1_3gpuE8ELNS1_3repE0EEENS1_47radix_sort_onesweep_sort_config_static_selectorELNS0_4arch9wavefront6targetE1EEEvSI_.has_recursion, 0
	.set _ZN7rocprim17ROCPRIM_400000_NS6detail17trampoline_kernelINS0_14default_configENS1_35radix_sort_onesweep_config_selectorIiiEEZZNS1_29radix_sort_onesweep_iterationIS3_Lb1EN6thrust23THRUST_200600_302600_NS6detail15normal_iteratorINS8_10device_ptrIiEEEESD_SD_SD_jNS0_19identity_decomposerENS1_16block_id_wrapperIjLb1EEEEE10hipError_tT1_PNSt15iterator_traitsISI_E10value_typeET2_T3_PNSJ_ISO_E10value_typeET4_T5_PST_SU_PNS1_23onesweep_lookback_stateEbbT6_jjT7_P12ihipStream_tbENKUlT_T0_SI_SN_E_clIPiSD_S15_SD_EEDaS11_S12_SI_SN_EUlS11_E_NS1_11comp_targetILNS1_3genE4ELNS1_11target_archE910ELNS1_3gpuE8ELNS1_3repE0EEENS1_47radix_sort_onesweep_sort_config_static_selectorELNS0_4arch9wavefront6targetE1EEEvSI_.has_indirect_call, 0
	.section	.AMDGPU.csdata,"",@progbits
; Kernel info:
; codeLenInByte = 0
; TotalNumSgprs: 6
; NumVgprs: 0
; NumAgprs: 0
; TotalNumVgprs: 0
; ScratchSize: 0
; MemoryBound: 0
; FloatMode: 240
; IeeeMode: 1
; LDSByteSize: 0 bytes/workgroup (compile time only)
; SGPRBlocks: 0
; VGPRBlocks: 0
; NumSGPRsForWavesPerEU: 6
; NumVGPRsForWavesPerEU: 1
; AccumOffset: 4
; Occupancy: 8
; WaveLimiterHint : 0
; COMPUTE_PGM_RSRC2:SCRATCH_EN: 0
; COMPUTE_PGM_RSRC2:USER_SGPR: 2
; COMPUTE_PGM_RSRC2:TRAP_HANDLER: 0
; COMPUTE_PGM_RSRC2:TGID_X_EN: 1
; COMPUTE_PGM_RSRC2:TGID_Y_EN: 0
; COMPUTE_PGM_RSRC2:TGID_Z_EN: 0
; COMPUTE_PGM_RSRC2:TIDIG_COMP_CNT: 0
; COMPUTE_PGM_RSRC3_GFX90A:ACCUM_OFFSET: 0
; COMPUTE_PGM_RSRC3_GFX90A:TG_SPLIT: 0
	.section	.text._ZN7rocprim17ROCPRIM_400000_NS6detail17trampoline_kernelINS0_14default_configENS1_35radix_sort_onesweep_config_selectorIiiEEZZNS1_29radix_sort_onesweep_iterationIS3_Lb1EN6thrust23THRUST_200600_302600_NS6detail15normal_iteratorINS8_10device_ptrIiEEEESD_SD_SD_jNS0_19identity_decomposerENS1_16block_id_wrapperIjLb1EEEEE10hipError_tT1_PNSt15iterator_traitsISI_E10value_typeET2_T3_PNSJ_ISO_E10value_typeET4_T5_PST_SU_PNS1_23onesweep_lookback_stateEbbT6_jjT7_P12ihipStream_tbENKUlT_T0_SI_SN_E_clIPiSD_S15_SD_EEDaS11_S12_SI_SN_EUlS11_E_NS1_11comp_targetILNS1_3genE3ELNS1_11target_archE908ELNS1_3gpuE7ELNS1_3repE0EEENS1_47radix_sort_onesweep_sort_config_static_selectorELNS0_4arch9wavefront6targetE1EEEvSI_,"axG",@progbits,_ZN7rocprim17ROCPRIM_400000_NS6detail17trampoline_kernelINS0_14default_configENS1_35radix_sort_onesweep_config_selectorIiiEEZZNS1_29radix_sort_onesweep_iterationIS3_Lb1EN6thrust23THRUST_200600_302600_NS6detail15normal_iteratorINS8_10device_ptrIiEEEESD_SD_SD_jNS0_19identity_decomposerENS1_16block_id_wrapperIjLb1EEEEE10hipError_tT1_PNSt15iterator_traitsISI_E10value_typeET2_T3_PNSJ_ISO_E10value_typeET4_T5_PST_SU_PNS1_23onesweep_lookback_stateEbbT6_jjT7_P12ihipStream_tbENKUlT_T0_SI_SN_E_clIPiSD_S15_SD_EEDaS11_S12_SI_SN_EUlS11_E_NS1_11comp_targetILNS1_3genE3ELNS1_11target_archE908ELNS1_3gpuE7ELNS1_3repE0EEENS1_47radix_sort_onesweep_sort_config_static_selectorELNS0_4arch9wavefront6targetE1EEEvSI_,comdat
	.protected	_ZN7rocprim17ROCPRIM_400000_NS6detail17trampoline_kernelINS0_14default_configENS1_35radix_sort_onesweep_config_selectorIiiEEZZNS1_29radix_sort_onesweep_iterationIS3_Lb1EN6thrust23THRUST_200600_302600_NS6detail15normal_iteratorINS8_10device_ptrIiEEEESD_SD_SD_jNS0_19identity_decomposerENS1_16block_id_wrapperIjLb1EEEEE10hipError_tT1_PNSt15iterator_traitsISI_E10value_typeET2_T3_PNSJ_ISO_E10value_typeET4_T5_PST_SU_PNS1_23onesweep_lookback_stateEbbT6_jjT7_P12ihipStream_tbENKUlT_T0_SI_SN_E_clIPiSD_S15_SD_EEDaS11_S12_SI_SN_EUlS11_E_NS1_11comp_targetILNS1_3genE3ELNS1_11target_archE908ELNS1_3gpuE7ELNS1_3repE0EEENS1_47radix_sort_onesweep_sort_config_static_selectorELNS0_4arch9wavefront6targetE1EEEvSI_ ; -- Begin function _ZN7rocprim17ROCPRIM_400000_NS6detail17trampoline_kernelINS0_14default_configENS1_35radix_sort_onesweep_config_selectorIiiEEZZNS1_29radix_sort_onesweep_iterationIS3_Lb1EN6thrust23THRUST_200600_302600_NS6detail15normal_iteratorINS8_10device_ptrIiEEEESD_SD_SD_jNS0_19identity_decomposerENS1_16block_id_wrapperIjLb1EEEEE10hipError_tT1_PNSt15iterator_traitsISI_E10value_typeET2_T3_PNSJ_ISO_E10value_typeET4_T5_PST_SU_PNS1_23onesweep_lookback_stateEbbT6_jjT7_P12ihipStream_tbENKUlT_T0_SI_SN_E_clIPiSD_S15_SD_EEDaS11_S12_SI_SN_EUlS11_E_NS1_11comp_targetILNS1_3genE3ELNS1_11target_archE908ELNS1_3gpuE7ELNS1_3repE0EEENS1_47radix_sort_onesweep_sort_config_static_selectorELNS0_4arch9wavefront6targetE1EEEvSI_
	.globl	_ZN7rocprim17ROCPRIM_400000_NS6detail17trampoline_kernelINS0_14default_configENS1_35radix_sort_onesweep_config_selectorIiiEEZZNS1_29radix_sort_onesweep_iterationIS3_Lb1EN6thrust23THRUST_200600_302600_NS6detail15normal_iteratorINS8_10device_ptrIiEEEESD_SD_SD_jNS0_19identity_decomposerENS1_16block_id_wrapperIjLb1EEEEE10hipError_tT1_PNSt15iterator_traitsISI_E10value_typeET2_T3_PNSJ_ISO_E10value_typeET4_T5_PST_SU_PNS1_23onesweep_lookback_stateEbbT6_jjT7_P12ihipStream_tbENKUlT_T0_SI_SN_E_clIPiSD_S15_SD_EEDaS11_S12_SI_SN_EUlS11_E_NS1_11comp_targetILNS1_3genE3ELNS1_11target_archE908ELNS1_3gpuE7ELNS1_3repE0EEENS1_47radix_sort_onesweep_sort_config_static_selectorELNS0_4arch9wavefront6targetE1EEEvSI_
	.p2align	8
	.type	_ZN7rocprim17ROCPRIM_400000_NS6detail17trampoline_kernelINS0_14default_configENS1_35radix_sort_onesweep_config_selectorIiiEEZZNS1_29radix_sort_onesweep_iterationIS3_Lb1EN6thrust23THRUST_200600_302600_NS6detail15normal_iteratorINS8_10device_ptrIiEEEESD_SD_SD_jNS0_19identity_decomposerENS1_16block_id_wrapperIjLb1EEEEE10hipError_tT1_PNSt15iterator_traitsISI_E10value_typeET2_T3_PNSJ_ISO_E10value_typeET4_T5_PST_SU_PNS1_23onesweep_lookback_stateEbbT6_jjT7_P12ihipStream_tbENKUlT_T0_SI_SN_E_clIPiSD_S15_SD_EEDaS11_S12_SI_SN_EUlS11_E_NS1_11comp_targetILNS1_3genE3ELNS1_11target_archE908ELNS1_3gpuE7ELNS1_3repE0EEENS1_47radix_sort_onesweep_sort_config_static_selectorELNS0_4arch9wavefront6targetE1EEEvSI_,@function
_ZN7rocprim17ROCPRIM_400000_NS6detail17trampoline_kernelINS0_14default_configENS1_35radix_sort_onesweep_config_selectorIiiEEZZNS1_29radix_sort_onesweep_iterationIS3_Lb1EN6thrust23THRUST_200600_302600_NS6detail15normal_iteratorINS8_10device_ptrIiEEEESD_SD_SD_jNS0_19identity_decomposerENS1_16block_id_wrapperIjLb1EEEEE10hipError_tT1_PNSt15iterator_traitsISI_E10value_typeET2_T3_PNSJ_ISO_E10value_typeET4_T5_PST_SU_PNS1_23onesweep_lookback_stateEbbT6_jjT7_P12ihipStream_tbENKUlT_T0_SI_SN_E_clIPiSD_S15_SD_EEDaS11_S12_SI_SN_EUlS11_E_NS1_11comp_targetILNS1_3genE3ELNS1_11target_archE908ELNS1_3gpuE7ELNS1_3repE0EEENS1_47radix_sort_onesweep_sort_config_static_selectorELNS0_4arch9wavefront6targetE1EEEvSI_: ; @_ZN7rocprim17ROCPRIM_400000_NS6detail17trampoline_kernelINS0_14default_configENS1_35radix_sort_onesweep_config_selectorIiiEEZZNS1_29radix_sort_onesweep_iterationIS3_Lb1EN6thrust23THRUST_200600_302600_NS6detail15normal_iteratorINS8_10device_ptrIiEEEESD_SD_SD_jNS0_19identity_decomposerENS1_16block_id_wrapperIjLb1EEEEE10hipError_tT1_PNSt15iterator_traitsISI_E10value_typeET2_T3_PNSJ_ISO_E10value_typeET4_T5_PST_SU_PNS1_23onesweep_lookback_stateEbbT6_jjT7_P12ihipStream_tbENKUlT_T0_SI_SN_E_clIPiSD_S15_SD_EEDaS11_S12_SI_SN_EUlS11_E_NS1_11comp_targetILNS1_3genE3ELNS1_11target_archE908ELNS1_3gpuE7ELNS1_3repE0EEENS1_47radix_sort_onesweep_sort_config_static_selectorELNS0_4arch9wavefront6targetE1EEEvSI_
; %bb.0:
	.section	.rodata,"a",@progbits
	.p2align	6, 0x0
	.amdhsa_kernel _ZN7rocprim17ROCPRIM_400000_NS6detail17trampoline_kernelINS0_14default_configENS1_35radix_sort_onesweep_config_selectorIiiEEZZNS1_29radix_sort_onesweep_iterationIS3_Lb1EN6thrust23THRUST_200600_302600_NS6detail15normal_iteratorINS8_10device_ptrIiEEEESD_SD_SD_jNS0_19identity_decomposerENS1_16block_id_wrapperIjLb1EEEEE10hipError_tT1_PNSt15iterator_traitsISI_E10value_typeET2_T3_PNSJ_ISO_E10value_typeET4_T5_PST_SU_PNS1_23onesweep_lookback_stateEbbT6_jjT7_P12ihipStream_tbENKUlT_T0_SI_SN_E_clIPiSD_S15_SD_EEDaS11_S12_SI_SN_EUlS11_E_NS1_11comp_targetILNS1_3genE3ELNS1_11target_archE908ELNS1_3gpuE7ELNS1_3repE0EEENS1_47radix_sort_onesweep_sort_config_static_selectorELNS0_4arch9wavefront6targetE1EEEvSI_
		.amdhsa_group_segment_fixed_size 0
		.amdhsa_private_segment_fixed_size 0
		.amdhsa_kernarg_size 88
		.amdhsa_user_sgpr_count 2
		.amdhsa_user_sgpr_dispatch_ptr 0
		.amdhsa_user_sgpr_queue_ptr 0
		.amdhsa_user_sgpr_kernarg_segment_ptr 1
		.amdhsa_user_sgpr_dispatch_id 0
		.amdhsa_user_sgpr_kernarg_preload_length 0
		.amdhsa_user_sgpr_kernarg_preload_offset 0
		.amdhsa_user_sgpr_private_segment_size 0
		.amdhsa_uses_dynamic_stack 0
		.amdhsa_enable_private_segment 0
		.amdhsa_system_sgpr_workgroup_id_x 1
		.amdhsa_system_sgpr_workgroup_id_y 0
		.amdhsa_system_sgpr_workgroup_id_z 0
		.amdhsa_system_sgpr_workgroup_info 0
		.amdhsa_system_vgpr_workitem_id 0
		.amdhsa_next_free_vgpr 1
		.amdhsa_next_free_sgpr 0
		.amdhsa_accum_offset 4
		.amdhsa_reserve_vcc 0
		.amdhsa_float_round_mode_32 0
		.amdhsa_float_round_mode_16_64 0
		.amdhsa_float_denorm_mode_32 3
		.amdhsa_float_denorm_mode_16_64 3
		.amdhsa_dx10_clamp 1
		.amdhsa_ieee_mode 1
		.amdhsa_fp16_overflow 0
		.amdhsa_tg_split 0
		.amdhsa_exception_fp_ieee_invalid_op 0
		.amdhsa_exception_fp_denorm_src 0
		.amdhsa_exception_fp_ieee_div_zero 0
		.amdhsa_exception_fp_ieee_overflow 0
		.amdhsa_exception_fp_ieee_underflow 0
		.amdhsa_exception_fp_ieee_inexact 0
		.amdhsa_exception_int_div_zero 0
	.end_amdhsa_kernel
	.section	.text._ZN7rocprim17ROCPRIM_400000_NS6detail17trampoline_kernelINS0_14default_configENS1_35radix_sort_onesweep_config_selectorIiiEEZZNS1_29radix_sort_onesweep_iterationIS3_Lb1EN6thrust23THRUST_200600_302600_NS6detail15normal_iteratorINS8_10device_ptrIiEEEESD_SD_SD_jNS0_19identity_decomposerENS1_16block_id_wrapperIjLb1EEEEE10hipError_tT1_PNSt15iterator_traitsISI_E10value_typeET2_T3_PNSJ_ISO_E10value_typeET4_T5_PST_SU_PNS1_23onesweep_lookback_stateEbbT6_jjT7_P12ihipStream_tbENKUlT_T0_SI_SN_E_clIPiSD_S15_SD_EEDaS11_S12_SI_SN_EUlS11_E_NS1_11comp_targetILNS1_3genE3ELNS1_11target_archE908ELNS1_3gpuE7ELNS1_3repE0EEENS1_47radix_sort_onesweep_sort_config_static_selectorELNS0_4arch9wavefront6targetE1EEEvSI_,"axG",@progbits,_ZN7rocprim17ROCPRIM_400000_NS6detail17trampoline_kernelINS0_14default_configENS1_35radix_sort_onesweep_config_selectorIiiEEZZNS1_29radix_sort_onesweep_iterationIS3_Lb1EN6thrust23THRUST_200600_302600_NS6detail15normal_iteratorINS8_10device_ptrIiEEEESD_SD_SD_jNS0_19identity_decomposerENS1_16block_id_wrapperIjLb1EEEEE10hipError_tT1_PNSt15iterator_traitsISI_E10value_typeET2_T3_PNSJ_ISO_E10value_typeET4_T5_PST_SU_PNS1_23onesweep_lookback_stateEbbT6_jjT7_P12ihipStream_tbENKUlT_T0_SI_SN_E_clIPiSD_S15_SD_EEDaS11_S12_SI_SN_EUlS11_E_NS1_11comp_targetILNS1_3genE3ELNS1_11target_archE908ELNS1_3gpuE7ELNS1_3repE0EEENS1_47radix_sort_onesweep_sort_config_static_selectorELNS0_4arch9wavefront6targetE1EEEvSI_,comdat
.Lfunc_end1022:
	.size	_ZN7rocprim17ROCPRIM_400000_NS6detail17trampoline_kernelINS0_14default_configENS1_35radix_sort_onesweep_config_selectorIiiEEZZNS1_29radix_sort_onesweep_iterationIS3_Lb1EN6thrust23THRUST_200600_302600_NS6detail15normal_iteratorINS8_10device_ptrIiEEEESD_SD_SD_jNS0_19identity_decomposerENS1_16block_id_wrapperIjLb1EEEEE10hipError_tT1_PNSt15iterator_traitsISI_E10value_typeET2_T3_PNSJ_ISO_E10value_typeET4_T5_PST_SU_PNS1_23onesweep_lookback_stateEbbT6_jjT7_P12ihipStream_tbENKUlT_T0_SI_SN_E_clIPiSD_S15_SD_EEDaS11_S12_SI_SN_EUlS11_E_NS1_11comp_targetILNS1_3genE3ELNS1_11target_archE908ELNS1_3gpuE7ELNS1_3repE0EEENS1_47radix_sort_onesweep_sort_config_static_selectorELNS0_4arch9wavefront6targetE1EEEvSI_, .Lfunc_end1022-_ZN7rocprim17ROCPRIM_400000_NS6detail17trampoline_kernelINS0_14default_configENS1_35radix_sort_onesweep_config_selectorIiiEEZZNS1_29radix_sort_onesweep_iterationIS3_Lb1EN6thrust23THRUST_200600_302600_NS6detail15normal_iteratorINS8_10device_ptrIiEEEESD_SD_SD_jNS0_19identity_decomposerENS1_16block_id_wrapperIjLb1EEEEE10hipError_tT1_PNSt15iterator_traitsISI_E10value_typeET2_T3_PNSJ_ISO_E10value_typeET4_T5_PST_SU_PNS1_23onesweep_lookback_stateEbbT6_jjT7_P12ihipStream_tbENKUlT_T0_SI_SN_E_clIPiSD_S15_SD_EEDaS11_S12_SI_SN_EUlS11_E_NS1_11comp_targetILNS1_3genE3ELNS1_11target_archE908ELNS1_3gpuE7ELNS1_3repE0EEENS1_47radix_sort_onesweep_sort_config_static_selectorELNS0_4arch9wavefront6targetE1EEEvSI_
                                        ; -- End function
	.set _ZN7rocprim17ROCPRIM_400000_NS6detail17trampoline_kernelINS0_14default_configENS1_35radix_sort_onesweep_config_selectorIiiEEZZNS1_29radix_sort_onesweep_iterationIS3_Lb1EN6thrust23THRUST_200600_302600_NS6detail15normal_iteratorINS8_10device_ptrIiEEEESD_SD_SD_jNS0_19identity_decomposerENS1_16block_id_wrapperIjLb1EEEEE10hipError_tT1_PNSt15iterator_traitsISI_E10value_typeET2_T3_PNSJ_ISO_E10value_typeET4_T5_PST_SU_PNS1_23onesweep_lookback_stateEbbT6_jjT7_P12ihipStream_tbENKUlT_T0_SI_SN_E_clIPiSD_S15_SD_EEDaS11_S12_SI_SN_EUlS11_E_NS1_11comp_targetILNS1_3genE3ELNS1_11target_archE908ELNS1_3gpuE7ELNS1_3repE0EEENS1_47radix_sort_onesweep_sort_config_static_selectorELNS0_4arch9wavefront6targetE1EEEvSI_.num_vgpr, 0
	.set _ZN7rocprim17ROCPRIM_400000_NS6detail17trampoline_kernelINS0_14default_configENS1_35radix_sort_onesweep_config_selectorIiiEEZZNS1_29radix_sort_onesweep_iterationIS3_Lb1EN6thrust23THRUST_200600_302600_NS6detail15normal_iteratorINS8_10device_ptrIiEEEESD_SD_SD_jNS0_19identity_decomposerENS1_16block_id_wrapperIjLb1EEEEE10hipError_tT1_PNSt15iterator_traitsISI_E10value_typeET2_T3_PNSJ_ISO_E10value_typeET4_T5_PST_SU_PNS1_23onesweep_lookback_stateEbbT6_jjT7_P12ihipStream_tbENKUlT_T0_SI_SN_E_clIPiSD_S15_SD_EEDaS11_S12_SI_SN_EUlS11_E_NS1_11comp_targetILNS1_3genE3ELNS1_11target_archE908ELNS1_3gpuE7ELNS1_3repE0EEENS1_47radix_sort_onesweep_sort_config_static_selectorELNS0_4arch9wavefront6targetE1EEEvSI_.num_agpr, 0
	.set _ZN7rocprim17ROCPRIM_400000_NS6detail17trampoline_kernelINS0_14default_configENS1_35radix_sort_onesweep_config_selectorIiiEEZZNS1_29radix_sort_onesweep_iterationIS3_Lb1EN6thrust23THRUST_200600_302600_NS6detail15normal_iteratorINS8_10device_ptrIiEEEESD_SD_SD_jNS0_19identity_decomposerENS1_16block_id_wrapperIjLb1EEEEE10hipError_tT1_PNSt15iterator_traitsISI_E10value_typeET2_T3_PNSJ_ISO_E10value_typeET4_T5_PST_SU_PNS1_23onesweep_lookback_stateEbbT6_jjT7_P12ihipStream_tbENKUlT_T0_SI_SN_E_clIPiSD_S15_SD_EEDaS11_S12_SI_SN_EUlS11_E_NS1_11comp_targetILNS1_3genE3ELNS1_11target_archE908ELNS1_3gpuE7ELNS1_3repE0EEENS1_47radix_sort_onesweep_sort_config_static_selectorELNS0_4arch9wavefront6targetE1EEEvSI_.numbered_sgpr, 0
	.set _ZN7rocprim17ROCPRIM_400000_NS6detail17trampoline_kernelINS0_14default_configENS1_35radix_sort_onesweep_config_selectorIiiEEZZNS1_29radix_sort_onesweep_iterationIS3_Lb1EN6thrust23THRUST_200600_302600_NS6detail15normal_iteratorINS8_10device_ptrIiEEEESD_SD_SD_jNS0_19identity_decomposerENS1_16block_id_wrapperIjLb1EEEEE10hipError_tT1_PNSt15iterator_traitsISI_E10value_typeET2_T3_PNSJ_ISO_E10value_typeET4_T5_PST_SU_PNS1_23onesweep_lookback_stateEbbT6_jjT7_P12ihipStream_tbENKUlT_T0_SI_SN_E_clIPiSD_S15_SD_EEDaS11_S12_SI_SN_EUlS11_E_NS1_11comp_targetILNS1_3genE3ELNS1_11target_archE908ELNS1_3gpuE7ELNS1_3repE0EEENS1_47radix_sort_onesweep_sort_config_static_selectorELNS0_4arch9wavefront6targetE1EEEvSI_.num_named_barrier, 0
	.set _ZN7rocprim17ROCPRIM_400000_NS6detail17trampoline_kernelINS0_14default_configENS1_35radix_sort_onesweep_config_selectorIiiEEZZNS1_29radix_sort_onesweep_iterationIS3_Lb1EN6thrust23THRUST_200600_302600_NS6detail15normal_iteratorINS8_10device_ptrIiEEEESD_SD_SD_jNS0_19identity_decomposerENS1_16block_id_wrapperIjLb1EEEEE10hipError_tT1_PNSt15iterator_traitsISI_E10value_typeET2_T3_PNSJ_ISO_E10value_typeET4_T5_PST_SU_PNS1_23onesweep_lookback_stateEbbT6_jjT7_P12ihipStream_tbENKUlT_T0_SI_SN_E_clIPiSD_S15_SD_EEDaS11_S12_SI_SN_EUlS11_E_NS1_11comp_targetILNS1_3genE3ELNS1_11target_archE908ELNS1_3gpuE7ELNS1_3repE0EEENS1_47radix_sort_onesweep_sort_config_static_selectorELNS0_4arch9wavefront6targetE1EEEvSI_.private_seg_size, 0
	.set _ZN7rocprim17ROCPRIM_400000_NS6detail17trampoline_kernelINS0_14default_configENS1_35radix_sort_onesweep_config_selectorIiiEEZZNS1_29radix_sort_onesweep_iterationIS3_Lb1EN6thrust23THRUST_200600_302600_NS6detail15normal_iteratorINS8_10device_ptrIiEEEESD_SD_SD_jNS0_19identity_decomposerENS1_16block_id_wrapperIjLb1EEEEE10hipError_tT1_PNSt15iterator_traitsISI_E10value_typeET2_T3_PNSJ_ISO_E10value_typeET4_T5_PST_SU_PNS1_23onesweep_lookback_stateEbbT6_jjT7_P12ihipStream_tbENKUlT_T0_SI_SN_E_clIPiSD_S15_SD_EEDaS11_S12_SI_SN_EUlS11_E_NS1_11comp_targetILNS1_3genE3ELNS1_11target_archE908ELNS1_3gpuE7ELNS1_3repE0EEENS1_47radix_sort_onesweep_sort_config_static_selectorELNS0_4arch9wavefront6targetE1EEEvSI_.uses_vcc, 0
	.set _ZN7rocprim17ROCPRIM_400000_NS6detail17trampoline_kernelINS0_14default_configENS1_35radix_sort_onesweep_config_selectorIiiEEZZNS1_29radix_sort_onesweep_iterationIS3_Lb1EN6thrust23THRUST_200600_302600_NS6detail15normal_iteratorINS8_10device_ptrIiEEEESD_SD_SD_jNS0_19identity_decomposerENS1_16block_id_wrapperIjLb1EEEEE10hipError_tT1_PNSt15iterator_traitsISI_E10value_typeET2_T3_PNSJ_ISO_E10value_typeET4_T5_PST_SU_PNS1_23onesweep_lookback_stateEbbT6_jjT7_P12ihipStream_tbENKUlT_T0_SI_SN_E_clIPiSD_S15_SD_EEDaS11_S12_SI_SN_EUlS11_E_NS1_11comp_targetILNS1_3genE3ELNS1_11target_archE908ELNS1_3gpuE7ELNS1_3repE0EEENS1_47radix_sort_onesweep_sort_config_static_selectorELNS0_4arch9wavefront6targetE1EEEvSI_.uses_flat_scratch, 0
	.set _ZN7rocprim17ROCPRIM_400000_NS6detail17trampoline_kernelINS0_14default_configENS1_35radix_sort_onesweep_config_selectorIiiEEZZNS1_29radix_sort_onesweep_iterationIS3_Lb1EN6thrust23THRUST_200600_302600_NS6detail15normal_iteratorINS8_10device_ptrIiEEEESD_SD_SD_jNS0_19identity_decomposerENS1_16block_id_wrapperIjLb1EEEEE10hipError_tT1_PNSt15iterator_traitsISI_E10value_typeET2_T3_PNSJ_ISO_E10value_typeET4_T5_PST_SU_PNS1_23onesweep_lookback_stateEbbT6_jjT7_P12ihipStream_tbENKUlT_T0_SI_SN_E_clIPiSD_S15_SD_EEDaS11_S12_SI_SN_EUlS11_E_NS1_11comp_targetILNS1_3genE3ELNS1_11target_archE908ELNS1_3gpuE7ELNS1_3repE0EEENS1_47radix_sort_onesweep_sort_config_static_selectorELNS0_4arch9wavefront6targetE1EEEvSI_.has_dyn_sized_stack, 0
	.set _ZN7rocprim17ROCPRIM_400000_NS6detail17trampoline_kernelINS0_14default_configENS1_35radix_sort_onesweep_config_selectorIiiEEZZNS1_29radix_sort_onesweep_iterationIS3_Lb1EN6thrust23THRUST_200600_302600_NS6detail15normal_iteratorINS8_10device_ptrIiEEEESD_SD_SD_jNS0_19identity_decomposerENS1_16block_id_wrapperIjLb1EEEEE10hipError_tT1_PNSt15iterator_traitsISI_E10value_typeET2_T3_PNSJ_ISO_E10value_typeET4_T5_PST_SU_PNS1_23onesweep_lookback_stateEbbT6_jjT7_P12ihipStream_tbENKUlT_T0_SI_SN_E_clIPiSD_S15_SD_EEDaS11_S12_SI_SN_EUlS11_E_NS1_11comp_targetILNS1_3genE3ELNS1_11target_archE908ELNS1_3gpuE7ELNS1_3repE0EEENS1_47radix_sort_onesweep_sort_config_static_selectorELNS0_4arch9wavefront6targetE1EEEvSI_.has_recursion, 0
	.set _ZN7rocprim17ROCPRIM_400000_NS6detail17trampoline_kernelINS0_14default_configENS1_35radix_sort_onesweep_config_selectorIiiEEZZNS1_29radix_sort_onesweep_iterationIS3_Lb1EN6thrust23THRUST_200600_302600_NS6detail15normal_iteratorINS8_10device_ptrIiEEEESD_SD_SD_jNS0_19identity_decomposerENS1_16block_id_wrapperIjLb1EEEEE10hipError_tT1_PNSt15iterator_traitsISI_E10value_typeET2_T3_PNSJ_ISO_E10value_typeET4_T5_PST_SU_PNS1_23onesweep_lookback_stateEbbT6_jjT7_P12ihipStream_tbENKUlT_T0_SI_SN_E_clIPiSD_S15_SD_EEDaS11_S12_SI_SN_EUlS11_E_NS1_11comp_targetILNS1_3genE3ELNS1_11target_archE908ELNS1_3gpuE7ELNS1_3repE0EEENS1_47radix_sort_onesweep_sort_config_static_selectorELNS0_4arch9wavefront6targetE1EEEvSI_.has_indirect_call, 0
	.section	.AMDGPU.csdata,"",@progbits
; Kernel info:
; codeLenInByte = 0
; TotalNumSgprs: 6
; NumVgprs: 0
; NumAgprs: 0
; TotalNumVgprs: 0
; ScratchSize: 0
; MemoryBound: 0
; FloatMode: 240
; IeeeMode: 1
; LDSByteSize: 0 bytes/workgroup (compile time only)
; SGPRBlocks: 0
; VGPRBlocks: 0
; NumSGPRsForWavesPerEU: 6
; NumVGPRsForWavesPerEU: 1
; AccumOffset: 4
; Occupancy: 8
; WaveLimiterHint : 0
; COMPUTE_PGM_RSRC2:SCRATCH_EN: 0
; COMPUTE_PGM_RSRC2:USER_SGPR: 2
; COMPUTE_PGM_RSRC2:TRAP_HANDLER: 0
; COMPUTE_PGM_RSRC2:TGID_X_EN: 1
; COMPUTE_PGM_RSRC2:TGID_Y_EN: 0
; COMPUTE_PGM_RSRC2:TGID_Z_EN: 0
; COMPUTE_PGM_RSRC2:TIDIG_COMP_CNT: 0
; COMPUTE_PGM_RSRC3_GFX90A:ACCUM_OFFSET: 0
; COMPUTE_PGM_RSRC3_GFX90A:TG_SPLIT: 0
	.section	.text._ZN7rocprim17ROCPRIM_400000_NS6detail17trampoline_kernelINS0_14default_configENS1_35radix_sort_onesweep_config_selectorIiiEEZZNS1_29radix_sort_onesweep_iterationIS3_Lb1EN6thrust23THRUST_200600_302600_NS6detail15normal_iteratorINS8_10device_ptrIiEEEESD_SD_SD_jNS0_19identity_decomposerENS1_16block_id_wrapperIjLb1EEEEE10hipError_tT1_PNSt15iterator_traitsISI_E10value_typeET2_T3_PNSJ_ISO_E10value_typeET4_T5_PST_SU_PNS1_23onesweep_lookback_stateEbbT6_jjT7_P12ihipStream_tbENKUlT_T0_SI_SN_E_clIPiSD_S15_SD_EEDaS11_S12_SI_SN_EUlS11_E_NS1_11comp_targetILNS1_3genE10ELNS1_11target_archE1201ELNS1_3gpuE5ELNS1_3repE0EEENS1_47radix_sort_onesweep_sort_config_static_selectorELNS0_4arch9wavefront6targetE1EEEvSI_,"axG",@progbits,_ZN7rocprim17ROCPRIM_400000_NS6detail17trampoline_kernelINS0_14default_configENS1_35radix_sort_onesweep_config_selectorIiiEEZZNS1_29radix_sort_onesweep_iterationIS3_Lb1EN6thrust23THRUST_200600_302600_NS6detail15normal_iteratorINS8_10device_ptrIiEEEESD_SD_SD_jNS0_19identity_decomposerENS1_16block_id_wrapperIjLb1EEEEE10hipError_tT1_PNSt15iterator_traitsISI_E10value_typeET2_T3_PNSJ_ISO_E10value_typeET4_T5_PST_SU_PNS1_23onesweep_lookback_stateEbbT6_jjT7_P12ihipStream_tbENKUlT_T0_SI_SN_E_clIPiSD_S15_SD_EEDaS11_S12_SI_SN_EUlS11_E_NS1_11comp_targetILNS1_3genE10ELNS1_11target_archE1201ELNS1_3gpuE5ELNS1_3repE0EEENS1_47radix_sort_onesweep_sort_config_static_selectorELNS0_4arch9wavefront6targetE1EEEvSI_,comdat
	.protected	_ZN7rocprim17ROCPRIM_400000_NS6detail17trampoline_kernelINS0_14default_configENS1_35radix_sort_onesweep_config_selectorIiiEEZZNS1_29radix_sort_onesweep_iterationIS3_Lb1EN6thrust23THRUST_200600_302600_NS6detail15normal_iteratorINS8_10device_ptrIiEEEESD_SD_SD_jNS0_19identity_decomposerENS1_16block_id_wrapperIjLb1EEEEE10hipError_tT1_PNSt15iterator_traitsISI_E10value_typeET2_T3_PNSJ_ISO_E10value_typeET4_T5_PST_SU_PNS1_23onesweep_lookback_stateEbbT6_jjT7_P12ihipStream_tbENKUlT_T0_SI_SN_E_clIPiSD_S15_SD_EEDaS11_S12_SI_SN_EUlS11_E_NS1_11comp_targetILNS1_3genE10ELNS1_11target_archE1201ELNS1_3gpuE5ELNS1_3repE0EEENS1_47radix_sort_onesweep_sort_config_static_selectorELNS0_4arch9wavefront6targetE1EEEvSI_ ; -- Begin function _ZN7rocprim17ROCPRIM_400000_NS6detail17trampoline_kernelINS0_14default_configENS1_35radix_sort_onesweep_config_selectorIiiEEZZNS1_29radix_sort_onesweep_iterationIS3_Lb1EN6thrust23THRUST_200600_302600_NS6detail15normal_iteratorINS8_10device_ptrIiEEEESD_SD_SD_jNS0_19identity_decomposerENS1_16block_id_wrapperIjLb1EEEEE10hipError_tT1_PNSt15iterator_traitsISI_E10value_typeET2_T3_PNSJ_ISO_E10value_typeET4_T5_PST_SU_PNS1_23onesweep_lookback_stateEbbT6_jjT7_P12ihipStream_tbENKUlT_T0_SI_SN_E_clIPiSD_S15_SD_EEDaS11_S12_SI_SN_EUlS11_E_NS1_11comp_targetILNS1_3genE10ELNS1_11target_archE1201ELNS1_3gpuE5ELNS1_3repE0EEENS1_47radix_sort_onesweep_sort_config_static_selectorELNS0_4arch9wavefront6targetE1EEEvSI_
	.globl	_ZN7rocprim17ROCPRIM_400000_NS6detail17trampoline_kernelINS0_14default_configENS1_35radix_sort_onesweep_config_selectorIiiEEZZNS1_29radix_sort_onesweep_iterationIS3_Lb1EN6thrust23THRUST_200600_302600_NS6detail15normal_iteratorINS8_10device_ptrIiEEEESD_SD_SD_jNS0_19identity_decomposerENS1_16block_id_wrapperIjLb1EEEEE10hipError_tT1_PNSt15iterator_traitsISI_E10value_typeET2_T3_PNSJ_ISO_E10value_typeET4_T5_PST_SU_PNS1_23onesweep_lookback_stateEbbT6_jjT7_P12ihipStream_tbENKUlT_T0_SI_SN_E_clIPiSD_S15_SD_EEDaS11_S12_SI_SN_EUlS11_E_NS1_11comp_targetILNS1_3genE10ELNS1_11target_archE1201ELNS1_3gpuE5ELNS1_3repE0EEENS1_47radix_sort_onesweep_sort_config_static_selectorELNS0_4arch9wavefront6targetE1EEEvSI_
	.p2align	8
	.type	_ZN7rocprim17ROCPRIM_400000_NS6detail17trampoline_kernelINS0_14default_configENS1_35radix_sort_onesweep_config_selectorIiiEEZZNS1_29radix_sort_onesweep_iterationIS3_Lb1EN6thrust23THRUST_200600_302600_NS6detail15normal_iteratorINS8_10device_ptrIiEEEESD_SD_SD_jNS0_19identity_decomposerENS1_16block_id_wrapperIjLb1EEEEE10hipError_tT1_PNSt15iterator_traitsISI_E10value_typeET2_T3_PNSJ_ISO_E10value_typeET4_T5_PST_SU_PNS1_23onesweep_lookback_stateEbbT6_jjT7_P12ihipStream_tbENKUlT_T0_SI_SN_E_clIPiSD_S15_SD_EEDaS11_S12_SI_SN_EUlS11_E_NS1_11comp_targetILNS1_3genE10ELNS1_11target_archE1201ELNS1_3gpuE5ELNS1_3repE0EEENS1_47radix_sort_onesweep_sort_config_static_selectorELNS0_4arch9wavefront6targetE1EEEvSI_,@function
_ZN7rocprim17ROCPRIM_400000_NS6detail17trampoline_kernelINS0_14default_configENS1_35radix_sort_onesweep_config_selectorIiiEEZZNS1_29radix_sort_onesweep_iterationIS3_Lb1EN6thrust23THRUST_200600_302600_NS6detail15normal_iteratorINS8_10device_ptrIiEEEESD_SD_SD_jNS0_19identity_decomposerENS1_16block_id_wrapperIjLb1EEEEE10hipError_tT1_PNSt15iterator_traitsISI_E10value_typeET2_T3_PNSJ_ISO_E10value_typeET4_T5_PST_SU_PNS1_23onesweep_lookback_stateEbbT6_jjT7_P12ihipStream_tbENKUlT_T0_SI_SN_E_clIPiSD_S15_SD_EEDaS11_S12_SI_SN_EUlS11_E_NS1_11comp_targetILNS1_3genE10ELNS1_11target_archE1201ELNS1_3gpuE5ELNS1_3repE0EEENS1_47radix_sort_onesweep_sort_config_static_selectorELNS0_4arch9wavefront6targetE1EEEvSI_: ; @_ZN7rocprim17ROCPRIM_400000_NS6detail17trampoline_kernelINS0_14default_configENS1_35radix_sort_onesweep_config_selectorIiiEEZZNS1_29radix_sort_onesweep_iterationIS3_Lb1EN6thrust23THRUST_200600_302600_NS6detail15normal_iteratorINS8_10device_ptrIiEEEESD_SD_SD_jNS0_19identity_decomposerENS1_16block_id_wrapperIjLb1EEEEE10hipError_tT1_PNSt15iterator_traitsISI_E10value_typeET2_T3_PNSJ_ISO_E10value_typeET4_T5_PST_SU_PNS1_23onesweep_lookback_stateEbbT6_jjT7_P12ihipStream_tbENKUlT_T0_SI_SN_E_clIPiSD_S15_SD_EEDaS11_S12_SI_SN_EUlS11_E_NS1_11comp_targetILNS1_3genE10ELNS1_11target_archE1201ELNS1_3gpuE5ELNS1_3repE0EEENS1_47radix_sort_onesweep_sort_config_static_selectorELNS0_4arch9wavefront6targetE1EEEvSI_
; %bb.0:
	.section	.rodata,"a",@progbits
	.p2align	6, 0x0
	.amdhsa_kernel _ZN7rocprim17ROCPRIM_400000_NS6detail17trampoline_kernelINS0_14default_configENS1_35radix_sort_onesweep_config_selectorIiiEEZZNS1_29radix_sort_onesweep_iterationIS3_Lb1EN6thrust23THRUST_200600_302600_NS6detail15normal_iteratorINS8_10device_ptrIiEEEESD_SD_SD_jNS0_19identity_decomposerENS1_16block_id_wrapperIjLb1EEEEE10hipError_tT1_PNSt15iterator_traitsISI_E10value_typeET2_T3_PNSJ_ISO_E10value_typeET4_T5_PST_SU_PNS1_23onesweep_lookback_stateEbbT6_jjT7_P12ihipStream_tbENKUlT_T0_SI_SN_E_clIPiSD_S15_SD_EEDaS11_S12_SI_SN_EUlS11_E_NS1_11comp_targetILNS1_3genE10ELNS1_11target_archE1201ELNS1_3gpuE5ELNS1_3repE0EEENS1_47radix_sort_onesweep_sort_config_static_selectorELNS0_4arch9wavefront6targetE1EEEvSI_
		.amdhsa_group_segment_fixed_size 0
		.amdhsa_private_segment_fixed_size 0
		.amdhsa_kernarg_size 88
		.amdhsa_user_sgpr_count 2
		.amdhsa_user_sgpr_dispatch_ptr 0
		.amdhsa_user_sgpr_queue_ptr 0
		.amdhsa_user_sgpr_kernarg_segment_ptr 1
		.amdhsa_user_sgpr_dispatch_id 0
		.amdhsa_user_sgpr_kernarg_preload_length 0
		.amdhsa_user_sgpr_kernarg_preload_offset 0
		.amdhsa_user_sgpr_private_segment_size 0
		.amdhsa_uses_dynamic_stack 0
		.amdhsa_enable_private_segment 0
		.amdhsa_system_sgpr_workgroup_id_x 1
		.amdhsa_system_sgpr_workgroup_id_y 0
		.amdhsa_system_sgpr_workgroup_id_z 0
		.amdhsa_system_sgpr_workgroup_info 0
		.amdhsa_system_vgpr_workitem_id 0
		.amdhsa_next_free_vgpr 1
		.amdhsa_next_free_sgpr 0
		.amdhsa_accum_offset 4
		.amdhsa_reserve_vcc 0
		.amdhsa_float_round_mode_32 0
		.amdhsa_float_round_mode_16_64 0
		.amdhsa_float_denorm_mode_32 3
		.amdhsa_float_denorm_mode_16_64 3
		.amdhsa_dx10_clamp 1
		.amdhsa_ieee_mode 1
		.amdhsa_fp16_overflow 0
		.amdhsa_tg_split 0
		.amdhsa_exception_fp_ieee_invalid_op 0
		.amdhsa_exception_fp_denorm_src 0
		.amdhsa_exception_fp_ieee_div_zero 0
		.amdhsa_exception_fp_ieee_overflow 0
		.amdhsa_exception_fp_ieee_underflow 0
		.amdhsa_exception_fp_ieee_inexact 0
		.amdhsa_exception_int_div_zero 0
	.end_amdhsa_kernel
	.section	.text._ZN7rocprim17ROCPRIM_400000_NS6detail17trampoline_kernelINS0_14default_configENS1_35radix_sort_onesweep_config_selectorIiiEEZZNS1_29radix_sort_onesweep_iterationIS3_Lb1EN6thrust23THRUST_200600_302600_NS6detail15normal_iteratorINS8_10device_ptrIiEEEESD_SD_SD_jNS0_19identity_decomposerENS1_16block_id_wrapperIjLb1EEEEE10hipError_tT1_PNSt15iterator_traitsISI_E10value_typeET2_T3_PNSJ_ISO_E10value_typeET4_T5_PST_SU_PNS1_23onesweep_lookback_stateEbbT6_jjT7_P12ihipStream_tbENKUlT_T0_SI_SN_E_clIPiSD_S15_SD_EEDaS11_S12_SI_SN_EUlS11_E_NS1_11comp_targetILNS1_3genE10ELNS1_11target_archE1201ELNS1_3gpuE5ELNS1_3repE0EEENS1_47radix_sort_onesweep_sort_config_static_selectorELNS0_4arch9wavefront6targetE1EEEvSI_,"axG",@progbits,_ZN7rocprim17ROCPRIM_400000_NS6detail17trampoline_kernelINS0_14default_configENS1_35radix_sort_onesweep_config_selectorIiiEEZZNS1_29radix_sort_onesweep_iterationIS3_Lb1EN6thrust23THRUST_200600_302600_NS6detail15normal_iteratorINS8_10device_ptrIiEEEESD_SD_SD_jNS0_19identity_decomposerENS1_16block_id_wrapperIjLb1EEEEE10hipError_tT1_PNSt15iterator_traitsISI_E10value_typeET2_T3_PNSJ_ISO_E10value_typeET4_T5_PST_SU_PNS1_23onesweep_lookback_stateEbbT6_jjT7_P12ihipStream_tbENKUlT_T0_SI_SN_E_clIPiSD_S15_SD_EEDaS11_S12_SI_SN_EUlS11_E_NS1_11comp_targetILNS1_3genE10ELNS1_11target_archE1201ELNS1_3gpuE5ELNS1_3repE0EEENS1_47radix_sort_onesweep_sort_config_static_selectorELNS0_4arch9wavefront6targetE1EEEvSI_,comdat
.Lfunc_end1023:
	.size	_ZN7rocprim17ROCPRIM_400000_NS6detail17trampoline_kernelINS0_14default_configENS1_35radix_sort_onesweep_config_selectorIiiEEZZNS1_29radix_sort_onesweep_iterationIS3_Lb1EN6thrust23THRUST_200600_302600_NS6detail15normal_iteratorINS8_10device_ptrIiEEEESD_SD_SD_jNS0_19identity_decomposerENS1_16block_id_wrapperIjLb1EEEEE10hipError_tT1_PNSt15iterator_traitsISI_E10value_typeET2_T3_PNSJ_ISO_E10value_typeET4_T5_PST_SU_PNS1_23onesweep_lookback_stateEbbT6_jjT7_P12ihipStream_tbENKUlT_T0_SI_SN_E_clIPiSD_S15_SD_EEDaS11_S12_SI_SN_EUlS11_E_NS1_11comp_targetILNS1_3genE10ELNS1_11target_archE1201ELNS1_3gpuE5ELNS1_3repE0EEENS1_47radix_sort_onesweep_sort_config_static_selectorELNS0_4arch9wavefront6targetE1EEEvSI_, .Lfunc_end1023-_ZN7rocprim17ROCPRIM_400000_NS6detail17trampoline_kernelINS0_14default_configENS1_35radix_sort_onesweep_config_selectorIiiEEZZNS1_29radix_sort_onesweep_iterationIS3_Lb1EN6thrust23THRUST_200600_302600_NS6detail15normal_iteratorINS8_10device_ptrIiEEEESD_SD_SD_jNS0_19identity_decomposerENS1_16block_id_wrapperIjLb1EEEEE10hipError_tT1_PNSt15iterator_traitsISI_E10value_typeET2_T3_PNSJ_ISO_E10value_typeET4_T5_PST_SU_PNS1_23onesweep_lookback_stateEbbT6_jjT7_P12ihipStream_tbENKUlT_T0_SI_SN_E_clIPiSD_S15_SD_EEDaS11_S12_SI_SN_EUlS11_E_NS1_11comp_targetILNS1_3genE10ELNS1_11target_archE1201ELNS1_3gpuE5ELNS1_3repE0EEENS1_47radix_sort_onesweep_sort_config_static_selectorELNS0_4arch9wavefront6targetE1EEEvSI_
                                        ; -- End function
	.set _ZN7rocprim17ROCPRIM_400000_NS6detail17trampoline_kernelINS0_14default_configENS1_35radix_sort_onesweep_config_selectorIiiEEZZNS1_29radix_sort_onesweep_iterationIS3_Lb1EN6thrust23THRUST_200600_302600_NS6detail15normal_iteratorINS8_10device_ptrIiEEEESD_SD_SD_jNS0_19identity_decomposerENS1_16block_id_wrapperIjLb1EEEEE10hipError_tT1_PNSt15iterator_traitsISI_E10value_typeET2_T3_PNSJ_ISO_E10value_typeET4_T5_PST_SU_PNS1_23onesweep_lookback_stateEbbT6_jjT7_P12ihipStream_tbENKUlT_T0_SI_SN_E_clIPiSD_S15_SD_EEDaS11_S12_SI_SN_EUlS11_E_NS1_11comp_targetILNS1_3genE10ELNS1_11target_archE1201ELNS1_3gpuE5ELNS1_3repE0EEENS1_47radix_sort_onesweep_sort_config_static_selectorELNS0_4arch9wavefront6targetE1EEEvSI_.num_vgpr, 0
	.set _ZN7rocprim17ROCPRIM_400000_NS6detail17trampoline_kernelINS0_14default_configENS1_35radix_sort_onesweep_config_selectorIiiEEZZNS1_29radix_sort_onesweep_iterationIS3_Lb1EN6thrust23THRUST_200600_302600_NS6detail15normal_iteratorINS8_10device_ptrIiEEEESD_SD_SD_jNS0_19identity_decomposerENS1_16block_id_wrapperIjLb1EEEEE10hipError_tT1_PNSt15iterator_traitsISI_E10value_typeET2_T3_PNSJ_ISO_E10value_typeET4_T5_PST_SU_PNS1_23onesweep_lookback_stateEbbT6_jjT7_P12ihipStream_tbENKUlT_T0_SI_SN_E_clIPiSD_S15_SD_EEDaS11_S12_SI_SN_EUlS11_E_NS1_11comp_targetILNS1_3genE10ELNS1_11target_archE1201ELNS1_3gpuE5ELNS1_3repE0EEENS1_47radix_sort_onesweep_sort_config_static_selectorELNS0_4arch9wavefront6targetE1EEEvSI_.num_agpr, 0
	.set _ZN7rocprim17ROCPRIM_400000_NS6detail17trampoline_kernelINS0_14default_configENS1_35radix_sort_onesweep_config_selectorIiiEEZZNS1_29radix_sort_onesweep_iterationIS3_Lb1EN6thrust23THRUST_200600_302600_NS6detail15normal_iteratorINS8_10device_ptrIiEEEESD_SD_SD_jNS0_19identity_decomposerENS1_16block_id_wrapperIjLb1EEEEE10hipError_tT1_PNSt15iterator_traitsISI_E10value_typeET2_T3_PNSJ_ISO_E10value_typeET4_T5_PST_SU_PNS1_23onesweep_lookback_stateEbbT6_jjT7_P12ihipStream_tbENKUlT_T0_SI_SN_E_clIPiSD_S15_SD_EEDaS11_S12_SI_SN_EUlS11_E_NS1_11comp_targetILNS1_3genE10ELNS1_11target_archE1201ELNS1_3gpuE5ELNS1_3repE0EEENS1_47radix_sort_onesweep_sort_config_static_selectorELNS0_4arch9wavefront6targetE1EEEvSI_.numbered_sgpr, 0
	.set _ZN7rocprim17ROCPRIM_400000_NS6detail17trampoline_kernelINS0_14default_configENS1_35radix_sort_onesweep_config_selectorIiiEEZZNS1_29radix_sort_onesweep_iterationIS3_Lb1EN6thrust23THRUST_200600_302600_NS6detail15normal_iteratorINS8_10device_ptrIiEEEESD_SD_SD_jNS0_19identity_decomposerENS1_16block_id_wrapperIjLb1EEEEE10hipError_tT1_PNSt15iterator_traitsISI_E10value_typeET2_T3_PNSJ_ISO_E10value_typeET4_T5_PST_SU_PNS1_23onesweep_lookback_stateEbbT6_jjT7_P12ihipStream_tbENKUlT_T0_SI_SN_E_clIPiSD_S15_SD_EEDaS11_S12_SI_SN_EUlS11_E_NS1_11comp_targetILNS1_3genE10ELNS1_11target_archE1201ELNS1_3gpuE5ELNS1_3repE0EEENS1_47radix_sort_onesweep_sort_config_static_selectorELNS0_4arch9wavefront6targetE1EEEvSI_.num_named_barrier, 0
	.set _ZN7rocprim17ROCPRIM_400000_NS6detail17trampoline_kernelINS0_14default_configENS1_35radix_sort_onesweep_config_selectorIiiEEZZNS1_29radix_sort_onesweep_iterationIS3_Lb1EN6thrust23THRUST_200600_302600_NS6detail15normal_iteratorINS8_10device_ptrIiEEEESD_SD_SD_jNS0_19identity_decomposerENS1_16block_id_wrapperIjLb1EEEEE10hipError_tT1_PNSt15iterator_traitsISI_E10value_typeET2_T3_PNSJ_ISO_E10value_typeET4_T5_PST_SU_PNS1_23onesweep_lookback_stateEbbT6_jjT7_P12ihipStream_tbENKUlT_T0_SI_SN_E_clIPiSD_S15_SD_EEDaS11_S12_SI_SN_EUlS11_E_NS1_11comp_targetILNS1_3genE10ELNS1_11target_archE1201ELNS1_3gpuE5ELNS1_3repE0EEENS1_47radix_sort_onesweep_sort_config_static_selectorELNS0_4arch9wavefront6targetE1EEEvSI_.private_seg_size, 0
	.set _ZN7rocprim17ROCPRIM_400000_NS6detail17trampoline_kernelINS0_14default_configENS1_35radix_sort_onesweep_config_selectorIiiEEZZNS1_29radix_sort_onesweep_iterationIS3_Lb1EN6thrust23THRUST_200600_302600_NS6detail15normal_iteratorINS8_10device_ptrIiEEEESD_SD_SD_jNS0_19identity_decomposerENS1_16block_id_wrapperIjLb1EEEEE10hipError_tT1_PNSt15iterator_traitsISI_E10value_typeET2_T3_PNSJ_ISO_E10value_typeET4_T5_PST_SU_PNS1_23onesweep_lookback_stateEbbT6_jjT7_P12ihipStream_tbENKUlT_T0_SI_SN_E_clIPiSD_S15_SD_EEDaS11_S12_SI_SN_EUlS11_E_NS1_11comp_targetILNS1_3genE10ELNS1_11target_archE1201ELNS1_3gpuE5ELNS1_3repE0EEENS1_47radix_sort_onesweep_sort_config_static_selectorELNS0_4arch9wavefront6targetE1EEEvSI_.uses_vcc, 0
	.set _ZN7rocprim17ROCPRIM_400000_NS6detail17trampoline_kernelINS0_14default_configENS1_35radix_sort_onesweep_config_selectorIiiEEZZNS1_29radix_sort_onesweep_iterationIS3_Lb1EN6thrust23THRUST_200600_302600_NS6detail15normal_iteratorINS8_10device_ptrIiEEEESD_SD_SD_jNS0_19identity_decomposerENS1_16block_id_wrapperIjLb1EEEEE10hipError_tT1_PNSt15iterator_traitsISI_E10value_typeET2_T3_PNSJ_ISO_E10value_typeET4_T5_PST_SU_PNS1_23onesweep_lookback_stateEbbT6_jjT7_P12ihipStream_tbENKUlT_T0_SI_SN_E_clIPiSD_S15_SD_EEDaS11_S12_SI_SN_EUlS11_E_NS1_11comp_targetILNS1_3genE10ELNS1_11target_archE1201ELNS1_3gpuE5ELNS1_3repE0EEENS1_47radix_sort_onesweep_sort_config_static_selectorELNS0_4arch9wavefront6targetE1EEEvSI_.uses_flat_scratch, 0
	.set _ZN7rocprim17ROCPRIM_400000_NS6detail17trampoline_kernelINS0_14default_configENS1_35radix_sort_onesweep_config_selectorIiiEEZZNS1_29radix_sort_onesweep_iterationIS3_Lb1EN6thrust23THRUST_200600_302600_NS6detail15normal_iteratorINS8_10device_ptrIiEEEESD_SD_SD_jNS0_19identity_decomposerENS1_16block_id_wrapperIjLb1EEEEE10hipError_tT1_PNSt15iterator_traitsISI_E10value_typeET2_T3_PNSJ_ISO_E10value_typeET4_T5_PST_SU_PNS1_23onesweep_lookback_stateEbbT6_jjT7_P12ihipStream_tbENKUlT_T0_SI_SN_E_clIPiSD_S15_SD_EEDaS11_S12_SI_SN_EUlS11_E_NS1_11comp_targetILNS1_3genE10ELNS1_11target_archE1201ELNS1_3gpuE5ELNS1_3repE0EEENS1_47radix_sort_onesweep_sort_config_static_selectorELNS0_4arch9wavefront6targetE1EEEvSI_.has_dyn_sized_stack, 0
	.set _ZN7rocprim17ROCPRIM_400000_NS6detail17trampoline_kernelINS0_14default_configENS1_35radix_sort_onesweep_config_selectorIiiEEZZNS1_29radix_sort_onesweep_iterationIS3_Lb1EN6thrust23THRUST_200600_302600_NS6detail15normal_iteratorINS8_10device_ptrIiEEEESD_SD_SD_jNS0_19identity_decomposerENS1_16block_id_wrapperIjLb1EEEEE10hipError_tT1_PNSt15iterator_traitsISI_E10value_typeET2_T3_PNSJ_ISO_E10value_typeET4_T5_PST_SU_PNS1_23onesweep_lookback_stateEbbT6_jjT7_P12ihipStream_tbENKUlT_T0_SI_SN_E_clIPiSD_S15_SD_EEDaS11_S12_SI_SN_EUlS11_E_NS1_11comp_targetILNS1_3genE10ELNS1_11target_archE1201ELNS1_3gpuE5ELNS1_3repE0EEENS1_47radix_sort_onesweep_sort_config_static_selectorELNS0_4arch9wavefront6targetE1EEEvSI_.has_recursion, 0
	.set _ZN7rocprim17ROCPRIM_400000_NS6detail17trampoline_kernelINS0_14default_configENS1_35radix_sort_onesweep_config_selectorIiiEEZZNS1_29radix_sort_onesweep_iterationIS3_Lb1EN6thrust23THRUST_200600_302600_NS6detail15normal_iteratorINS8_10device_ptrIiEEEESD_SD_SD_jNS0_19identity_decomposerENS1_16block_id_wrapperIjLb1EEEEE10hipError_tT1_PNSt15iterator_traitsISI_E10value_typeET2_T3_PNSJ_ISO_E10value_typeET4_T5_PST_SU_PNS1_23onesweep_lookback_stateEbbT6_jjT7_P12ihipStream_tbENKUlT_T0_SI_SN_E_clIPiSD_S15_SD_EEDaS11_S12_SI_SN_EUlS11_E_NS1_11comp_targetILNS1_3genE10ELNS1_11target_archE1201ELNS1_3gpuE5ELNS1_3repE0EEENS1_47radix_sort_onesweep_sort_config_static_selectorELNS0_4arch9wavefront6targetE1EEEvSI_.has_indirect_call, 0
	.section	.AMDGPU.csdata,"",@progbits
; Kernel info:
; codeLenInByte = 0
; TotalNumSgprs: 6
; NumVgprs: 0
; NumAgprs: 0
; TotalNumVgprs: 0
; ScratchSize: 0
; MemoryBound: 0
; FloatMode: 240
; IeeeMode: 1
; LDSByteSize: 0 bytes/workgroup (compile time only)
; SGPRBlocks: 0
; VGPRBlocks: 0
; NumSGPRsForWavesPerEU: 6
; NumVGPRsForWavesPerEU: 1
; AccumOffset: 4
; Occupancy: 8
; WaveLimiterHint : 0
; COMPUTE_PGM_RSRC2:SCRATCH_EN: 0
; COMPUTE_PGM_RSRC2:USER_SGPR: 2
; COMPUTE_PGM_RSRC2:TRAP_HANDLER: 0
; COMPUTE_PGM_RSRC2:TGID_X_EN: 1
; COMPUTE_PGM_RSRC2:TGID_Y_EN: 0
; COMPUTE_PGM_RSRC2:TGID_Z_EN: 0
; COMPUTE_PGM_RSRC2:TIDIG_COMP_CNT: 0
; COMPUTE_PGM_RSRC3_GFX90A:ACCUM_OFFSET: 0
; COMPUTE_PGM_RSRC3_GFX90A:TG_SPLIT: 0
	.section	.text._ZN7rocprim17ROCPRIM_400000_NS6detail17trampoline_kernelINS0_14default_configENS1_35radix_sort_onesweep_config_selectorIiiEEZZNS1_29radix_sort_onesweep_iterationIS3_Lb1EN6thrust23THRUST_200600_302600_NS6detail15normal_iteratorINS8_10device_ptrIiEEEESD_SD_SD_jNS0_19identity_decomposerENS1_16block_id_wrapperIjLb1EEEEE10hipError_tT1_PNSt15iterator_traitsISI_E10value_typeET2_T3_PNSJ_ISO_E10value_typeET4_T5_PST_SU_PNS1_23onesweep_lookback_stateEbbT6_jjT7_P12ihipStream_tbENKUlT_T0_SI_SN_E_clIPiSD_S15_SD_EEDaS11_S12_SI_SN_EUlS11_E_NS1_11comp_targetILNS1_3genE9ELNS1_11target_archE1100ELNS1_3gpuE3ELNS1_3repE0EEENS1_47radix_sort_onesweep_sort_config_static_selectorELNS0_4arch9wavefront6targetE1EEEvSI_,"axG",@progbits,_ZN7rocprim17ROCPRIM_400000_NS6detail17trampoline_kernelINS0_14default_configENS1_35radix_sort_onesweep_config_selectorIiiEEZZNS1_29radix_sort_onesweep_iterationIS3_Lb1EN6thrust23THRUST_200600_302600_NS6detail15normal_iteratorINS8_10device_ptrIiEEEESD_SD_SD_jNS0_19identity_decomposerENS1_16block_id_wrapperIjLb1EEEEE10hipError_tT1_PNSt15iterator_traitsISI_E10value_typeET2_T3_PNSJ_ISO_E10value_typeET4_T5_PST_SU_PNS1_23onesweep_lookback_stateEbbT6_jjT7_P12ihipStream_tbENKUlT_T0_SI_SN_E_clIPiSD_S15_SD_EEDaS11_S12_SI_SN_EUlS11_E_NS1_11comp_targetILNS1_3genE9ELNS1_11target_archE1100ELNS1_3gpuE3ELNS1_3repE0EEENS1_47radix_sort_onesweep_sort_config_static_selectorELNS0_4arch9wavefront6targetE1EEEvSI_,comdat
	.protected	_ZN7rocprim17ROCPRIM_400000_NS6detail17trampoline_kernelINS0_14default_configENS1_35radix_sort_onesweep_config_selectorIiiEEZZNS1_29radix_sort_onesweep_iterationIS3_Lb1EN6thrust23THRUST_200600_302600_NS6detail15normal_iteratorINS8_10device_ptrIiEEEESD_SD_SD_jNS0_19identity_decomposerENS1_16block_id_wrapperIjLb1EEEEE10hipError_tT1_PNSt15iterator_traitsISI_E10value_typeET2_T3_PNSJ_ISO_E10value_typeET4_T5_PST_SU_PNS1_23onesweep_lookback_stateEbbT6_jjT7_P12ihipStream_tbENKUlT_T0_SI_SN_E_clIPiSD_S15_SD_EEDaS11_S12_SI_SN_EUlS11_E_NS1_11comp_targetILNS1_3genE9ELNS1_11target_archE1100ELNS1_3gpuE3ELNS1_3repE0EEENS1_47radix_sort_onesweep_sort_config_static_selectorELNS0_4arch9wavefront6targetE1EEEvSI_ ; -- Begin function _ZN7rocprim17ROCPRIM_400000_NS6detail17trampoline_kernelINS0_14default_configENS1_35radix_sort_onesweep_config_selectorIiiEEZZNS1_29radix_sort_onesweep_iterationIS3_Lb1EN6thrust23THRUST_200600_302600_NS6detail15normal_iteratorINS8_10device_ptrIiEEEESD_SD_SD_jNS0_19identity_decomposerENS1_16block_id_wrapperIjLb1EEEEE10hipError_tT1_PNSt15iterator_traitsISI_E10value_typeET2_T3_PNSJ_ISO_E10value_typeET4_T5_PST_SU_PNS1_23onesweep_lookback_stateEbbT6_jjT7_P12ihipStream_tbENKUlT_T0_SI_SN_E_clIPiSD_S15_SD_EEDaS11_S12_SI_SN_EUlS11_E_NS1_11comp_targetILNS1_3genE9ELNS1_11target_archE1100ELNS1_3gpuE3ELNS1_3repE0EEENS1_47radix_sort_onesweep_sort_config_static_selectorELNS0_4arch9wavefront6targetE1EEEvSI_
	.globl	_ZN7rocprim17ROCPRIM_400000_NS6detail17trampoline_kernelINS0_14default_configENS1_35radix_sort_onesweep_config_selectorIiiEEZZNS1_29radix_sort_onesweep_iterationIS3_Lb1EN6thrust23THRUST_200600_302600_NS6detail15normal_iteratorINS8_10device_ptrIiEEEESD_SD_SD_jNS0_19identity_decomposerENS1_16block_id_wrapperIjLb1EEEEE10hipError_tT1_PNSt15iterator_traitsISI_E10value_typeET2_T3_PNSJ_ISO_E10value_typeET4_T5_PST_SU_PNS1_23onesweep_lookback_stateEbbT6_jjT7_P12ihipStream_tbENKUlT_T0_SI_SN_E_clIPiSD_S15_SD_EEDaS11_S12_SI_SN_EUlS11_E_NS1_11comp_targetILNS1_3genE9ELNS1_11target_archE1100ELNS1_3gpuE3ELNS1_3repE0EEENS1_47radix_sort_onesweep_sort_config_static_selectorELNS0_4arch9wavefront6targetE1EEEvSI_
	.p2align	8
	.type	_ZN7rocprim17ROCPRIM_400000_NS6detail17trampoline_kernelINS0_14default_configENS1_35radix_sort_onesweep_config_selectorIiiEEZZNS1_29radix_sort_onesweep_iterationIS3_Lb1EN6thrust23THRUST_200600_302600_NS6detail15normal_iteratorINS8_10device_ptrIiEEEESD_SD_SD_jNS0_19identity_decomposerENS1_16block_id_wrapperIjLb1EEEEE10hipError_tT1_PNSt15iterator_traitsISI_E10value_typeET2_T3_PNSJ_ISO_E10value_typeET4_T5_PST_SU_PNS1_23onesweep_lookback_stateEbbT6_jjT7_P12ihipStream_tbENKUlT_T0_SI_SN_E_clIPiSD_S15_SD_EEDaS11_S12_SI_SN_EUlS11_E_NS1_11comp_targetILNS1_3genE9ELNS1_11target_archE1100ELNS1_3gpuE3ELNS1_3repE0EEENS1_47radix_sort_onesweep_sort_config_static_selectorELNS0_4arch9wavefront6targetE1EEEvSI_,@function
_ZN7rocprim17ROCPRIM_400000_NS6detail17trampoline_kernelINS0_14default_configENS1_35radix_sort_onesweep_config_selectorIiiEEZZNS1_29radix_sort_onesweep_iterationIS3_Lb1EN6thrust23THRUST_200600_302600_NS6detail15normal_iteratorINS8_10device_ptrIiEEEESD_SD_SD_jNS0_19identity_decomposerENS1_16block_id_wrapperIjLb1EEEEE10hipError_tT1_PNSt15iterator_traitsISI_E10value_typeET2_T3_PNSJ_ISO_E10value_typeET4_T5_PST_SU_PNS1_23onesweep_lookback_stateEbbT6_jjT7_P12ihipStream_tbENKUlT_T0_SI_SN_E_clIPiSD_S15_SD_EEDaS11_S12_SI_SN_EUlS11_E_NS1_11comp_targetILNS1_3genE9ELNS1_11target_archE1100ELNS1_3gpuE3ELNS1_3repE0EEENS1_47radix_sort_onesweep_sort_config_static_selectorELNS0_4arch9wavefront6targetE1EEEvSI_: ; @_ZN7rocprim17ROCPRIM_400000_NS6detail17trampoline_kernelINS0_14default_configENS1_35radix_sort_onesweep_config_selectorIiiEEZZNS1_29radix_sort_onesweep_iterationIS3_Lb1EN6thrust23THRUST_200600_302600_NS6detail15normal_iteratorINS8_10device_ptrIiEEEESD_SD_SD_jNS0_19identity_decomposerENS1_16block_id_wrapperIjLb1EEEEE10hipError_tT1_PNSt15iterator_traitsISI_E10value_typeET2_T3_PNSJ_ISO_E10value_typeET4_T5_PST_SU_PNS1_23onesweep_lookback_stateEbbT6_jjT7_P12ihipStream_tbENKUlT_T0_SI_SN_E_clIPiSD_S15_SD_EEDaS11_S12_SI_SN_EUlS11_E_NS1_11comp_targetILNS1_3genE9ELNS1_11target_archE1100ELNS1_3gpuE3ELNS1_3repE0EEENS1_47radix_sort_onesweep_sort_config_static_selectorELNS0_4arch9wavefront6targetE1EEEvSI_
; %bb.0:
	.section	.rodata,"a",@progbits
	.p2align	6, 0x0
	.amdhsa_kernel _ZN7rocprim17ROCPRIM_400000_NS6detail17trampoline_kernelINS0_14default_configENS1_35radix_sort_onesweep_config_selectorIiiEEZZNS1_29radix_sort_onesweep_iterationIS3_Lb1EN6thrust23THRUST_200600_302600_NS6detail15normal_iteratorINS8_10device_ptrIiEEEESD_SD_SD_jNS0_19identity_decomposerENS1_16block_id_wrapperIjLb1EEEEE10hipError_tT1_PNSt15iterator_traitsISI_E10value_typeET2_T3_PNSJ_ISO_E10value_typeET4_T5_PST_SU_PNS1_23onesweep_lookback_stateEbbT6_jjT7_P12ihipStream_tbENKUlT_T0_SI_SN_E_clIPiSD_S15_SD_EEDaS11_S12_SI_SN_EUlS11_E_NS1_11comp_targetILNS1_3genE9ELNS1_11target_archE1100ELNS1_3gpuE3ELNS1_3repE0EEENS1_47radix_sort_onesweep_sort_config_static_selectorELNS0_4arch9wavefront6targetE1EEEvSI_
		.amdhsa_group_segment_fixed_size 0
		.amdhsa_private_segment_fixed_size 0
		.amdhsa_kernarg_size 88
		.amdhsa_user_sgpr_count 2
		.amdhsa_user_sgpr_dispatch_ptr 0
		.amdhsa_user_sgpr_queue_ptr 0
		.amdhsa_user_sgpr_kernarg_segment_ptr 1
		.amdhsa_user_sgpr_dispatch_id 0
		.amdhsa_user_sgpr_kernarg_preload_length 0
		.amdhsa_user_sgpr_kernarg_preload_offset 0
		.amdhsa_user_sgpr_private_segment_size 0
		.amdhsa_uses_dynamic_stack 0
		.amdhsa_enable_private_segment 0
		.amdhsa_system_sgpr_workgroup_id_x 1
		.amdhsa_system_sgpr_workgroup_id_y 0
		.amdhsa_system_sgpr_workgroup_id_z 0
		.amdhsa_system_sgpr_workgroup_info 0
		.amdhsa_system_vgpr_workitem_id 0
		.amdhsa_next_free_vgpr 1
		.amdhsa_next_free_sgpr 0
		.amdhsa_accum_offset 4
		.amdhsa_reserve_vcc 0
		.amdhsa_float_round_mode_32 0
		.amdhsa_float_round_mode_16_64 0
		.amdhsa_float_denorm_mode_32 3
		.amdhsa_float_denorm_mode_16_64 3
		.amdhsa_dx10_clamp 1
		.amdhsa_ieee_mode 1
		.amdhsa_fp16_overflow 0
		.amdhsa_tg_split 0
		.amdhsa_exception_fp_ieee_invalid_op 0
		.amdhsa_exception_fp_denorm_src 0
		.amdhsa_exception_fp_ieee_div_zero 0
		.amdhsa_exception_fp_ieee_overflow 0
		.amdhsa_exception_fp_ieee_underflow 0
		.amdhsa_exception_fp_ieee_inexact 0
		.amdhsa_exception_int_div_zero 0
	.end_amdhsa_kernel
	.section	.text._ZN7rocprim17ROCPRIM_400000_NS6detail17trampoline_kernelINS0_14default_configENS1_35radix_sort_onesweep_config_selectorIiiEEZZNS1_29radix_sort_onesweep_iterationIS3_Lb1EN6thrust23THRUST_200600_302600_NS6detail15normal_iteratorINS8_10device_ptrIiEEEESD_SD_SD_jNS0_19identity_decomposerENS1_16block_id_wrapperIjLb1EEEEE10hipError_tT1_PNSt15iterator_traitsISI_E10value_typeET2_T3_PNSJ_ISO_E10value_typeET4_T5_PST_SU_PNS1_23onesweep_lookback_stateEbbT6_jjT7_P12ihipStream_tbENKUlT_T0_SI_SN_E_clIPiSD_S15_SD_EEDaS11_S12_SI_SN_EUlS11_E_NS1_11comp_targetILNS1_3genE9ELNS1_11target_archE1100ELNS1_3gpuE3ELNS1_3repE0EEENS1_47radix_sort_onesweep_sort_config_static_selectorELNS0_4arch9wavefront6targetE1EEEvSI_,"axG",@progbits,_ZN7rocprim17ROCPRIM_400000_NS6detail17trampoline_kernelINS0_14default_configENS1_35radix_sort_onesweep_config_selectorIiiEEZZNS1_29radix_sort_onesweep_iterationIS3_Lb1EN6thrust23THRUST_200600_302600_NS6detail15normal_iteratorINS8_10device_ptrIiEEEESD_SD_SD_jNS0_19identity_decomposerENS1_16block_id_wrapperIjLb1EEEEE10hipError_tT1_PNSt15iterator_traitsISI_E10value_typeET2_T3_PNSJ_ISO_E10value_typeET4_T5_PST_SU_PNS1_23onesweep_lookback_stateEbbT6_jjT7_P12ihipStream_tbENKUlT_T0_SI_SN_E_clIPiSD_S15_SD_EEDaS11_S12_SI_SN_EUlS11_E_NS1_11comp_targetILNS1_3genE9ELNS1_11target_archE1100ELNS1_3gpuE3ELNS1_3repE0EEENS1_47radix_sort_onesweep_sort_config_static_selectorELNS0_4arch9wavefront6targetE1EEEvSI_,comdat
.Lfunc_end1024:
	.size	_ZN7rocprim17ROCPRIM_400000_NS6detail17trampoline_kernelINS0_14default_configENS1_35radix_sort_onesweep_config_selectorIiiEEZZNS1_29radix_sort_onesweep_iterationIS3_Lb1EN6thrust23THRUST_200600_302600_NS6detail15normal_iteratorINS8_10device_ptrIiEEEESD_SD_SD_jNS0_19identity_decomposerENS1_16block_id_wrapperIjLb1EEEEE10hipError_tT1_PNSt15iterator_traitsISI_E10value_typeET2_T3_PNSJ_ISO_E10value_typeET4_T5_PST_SU_PNS1_23onesweep_lookback_stateEbbT6_jjT7_P12ihipStream_tbENKUlT_T0_SI_SN_E_clIPiSD_S15_SD_EEDaS11_S12_SI_SN_EUlS11_E_NS1_11comp_targetILNS1_3genE9ELNS1_11target_archE1100ELNS1_3gpuE3ELNS1_3repE0EEENS1_47radix_sort_onesweep_sort_config_static_selectorELNS0_4arch9wavefront6targetE1EEEvSI_, .Lfunc_end1024-_ZN7rocprim17ROCPRIM_400000_NS6detail17trampoline_kernelINS0_14default_configENS1_35radix_sort_onesweep_config_selectorIiiEEZZNS1_29radix_sort_onesweep_iterationIS3_Lb1EN6thrust23THRUST_200600_302600_NS6detail15normal_iteratorINS8_10device_ptrIiEEEESD_SD_SD_jNS0_19identity_decomposerENS1_16block_id_wrapperIjLb1EEEEE10hipError_tT1_PNSt15iterator_traitsISI_E10value_typeET2_T3_PNSJ_ISO_E10value_typeET4_T5_PST_SU_PNS1_23onesweep_lookback_stateEbbT6_jjT7_P12ihipStream_tbENKUlT_T0_SI_SN_E_clIPiSD_S15_SD_EEDaS11_S12_SI_SN_EUlS11_E_NS1_11comp_targetILNS1_3genE9ELNS1_11target_archE1100ELNS1_3gpuE3ELNS1_3repE0EEENS1_47radix_sort_onesweep_sort_config_static_selectorELNS0_4arch9wavefront6targetE1EEEvSI_
                                        ; -- End function
	.set _ZN7rocprim17ROCPRIM_400000_NS6detail17trampoline_kernelINS0_14default_configENS1_35radix_sort_onesweep_config_selectorIiiEEZZNS1_29radix_sort_onesweep_iterationIS3_Lb1EN6thrust23THRUST_200600_302600_NS6detail15normal_iteratorINS8_10device_ptrIiEEEESD_SD_SD_jNS0_19identity_decomposerENS1_16block_id_wrapperIjLb1EEEEE10hipError_tT1_PNSt15iterator_traitsISI_E10value_typeET2_T3_PNSJ_ISO_E10value_typeET4_T5_PST_SU_PNS1_23onesweep_lookback_stateEbbT6_jjT7_P12ihipStream_tbENKUlT_T0_SI_SN_E_clIPiSD_S15_SD_EEDaS11_S12_SI_SN_EUlS11_E_NS1_11comp_targetILNS1_3genE9ELNS1_11target_archE1100ELNS1_3gpuE3ELNS1_3repE0EEENS1_47radix_sort_onesweep_sort_config_static_selectorELNS0_4arch9wavefront6targetE1EEEvSI_.num_vgpr, 0
	.set _ZN7rocprim17ROCPRIM_400000_NS6detail17trampoline_kernelINS0_14default_configENS1_35radix_sort_onesweep_config_selectorIiiEEZZNS1_29radix_sort_onesweep_iterationIS3_Lb1EN6thrust23THRUST_200600_302600_NS6detail15normal_iteratorINS8_10device_ptrIiEEEESD_SD_SD_jNS0_19identity_decomposerENS1_16block_id_wrapperIjLb1EEEEE10hipError_tT1_PNSt15iterator_traitsISI_E10value_typeET2_T3_PNSJ_ISO_E10value_typeET4_T5_PST_SU_PNS1_23onesweep_lookback_stateEbbT6_jjT7_P12ihipStream_tbENKUlT_T0_SI_SN_E_clIPiSD_S15_SD_EEDaS11_S12_SI_SN_EUlS11_E_NS1_11comp_targetILNS1_3genE9ELNS1_11target_archE1100ELNS1_3gpuE3ELNS1_3repE0EEENS1_47radix_sort_onesweep_sort_config_static_selectorELNS0_4arch9wavefront6targetE1EEEvSI_.num_agpr, 0
	.set _ZN7rocprim17ROCPRIM_400000_NS6detail17trampoline_kernelINS0_14default_configENS1_35radix_sort_onesweep_config_selectorIiiEEZZNS1_29radix_sort_onesweep_iterationIS3_Lb1EN6thrust23THRUST_200600_302600_NS6detail15normal_iteratorINS8_10device_ptrIiEEEESD_SD_SD_jNS0_19identity_decomposerENS1_16block_id_wrapperIjLb1EEEEE10hipError_tT1_PNSt15iterator_traitsISI_E10value_typeET2_T3_PNSJ_ISO_E10value_typeET4_T5_PST_SU_PNS1_23onesweep_lookback_stateEbbT6_jjT7_P12ihipStream_tbENKUlT_T0_SI_SN_E_clIPiSD_S15_SD_EEDaS11_S12_SI_SN_EUlS11_E_NS1_11comp_targetILNS1_3genE9ELNS1_11target_archE1100ELNS1_3gpuE3ELNS1_3repE0EEENS1_47radix_sort_onesweep_sort_config_static_selectorELNS0_4arch9wavefront6targetE1EEEvSI_.numbered_sgpr, 0
	.set _ZN7rocprim17ROCPRIM_400000_NS6detail17trampoline_kernelINS0_14default_configENS1_35radix_sort_onesweep_config_selectorIiiEEZZNS1_29radix_sort_onesweep_iterationIS3_Lb1EN6thrust23THRUST_200600_302600_NS6detail15normal_iteratorINS8_10device_ptrIiEEEESD_SD_SD_jNS0_19identity_decomposerENS1_16block_id_wrapperIjLb1EEEEE10hipError_tT1_PNSt15iterator_traitsISI_E10value_typeET2_T3_PNSJ_ISO_E10value_typeET4_T5_PST_SU_PNS1_23onesweep_lookback_stateEbbT6_jjT7_P12ihipStream_tbENKUlT_T0_SI_SN_E_clIPiSD_S15_SD_EEDaS11_S12_SI_SN_EUlS11_E_NS1_11comp_targetILNS1_3genE9ELNS1_11target_archE1100ELNS1_3gpuE3ELNS1_3repE0EEENS1_47radix_sort_onesweep_sort_config_static_selectorELNS0_4arch9wavefront6targetE1EEEvSI_.num_named_barrier, 0
	.set _ZN7rocprim17ROCPRIM_400000_NS6detail17trampoline_kernelINS0_14default_configENS1_35radix_sort_onesweep_config_selectorIiiEEZZNS1_29radix_sort_onesweep_iterationIS3_Lb1EN6thrust23THRUST_200600_302600_NS6detail15normal_iteratorINS8_10device_ptrIiEEEESD_SD_SD_jNS0_19identity_decomposerENS1_16block_id_wrapperIjLb1EEEEE10hipError_tT1_PNSt15iterator_traitsISI_E10value_typeET2_T3_PNSJ_ISO_E10value_typeET4_T5_PST_SU_PNS1_23onesweep_lookback_stateEbbT6_jjT7_P12ihipStream_tbENKUlT_T0_SI_SN_E_clIPiSD_S15_SD_EEDaS11_S12_SI_SN_EUlS11_E_NS1_11comp_targetILNS1_3genE9ELNS1_11target_archE1100ELNS1_3gpuE3ELNS1_3repE0EEENS1_47radix_sort_onesweep_sort_config_static_selectorELNS0_4arch9wavefront6targetE1EEEvSI_.private_seg_size, 0
	.set _ZN7rocprim17ROCPRIM_400000_NS6detail17trampoline_kernelINS0_14default_configENS1_35radix_sort_onesweep_config_selectorIiiEEZZNS1_29radix_sort_onesweep_iterationIS3_Lb1EN6thrust23THRUST_200600_302600_NS6detail15normal_iteratorINS8_10device_ptrIiEEEESD_SD_SD_jNS0_19identity_decomposerENS1_16block_id_wrapperIjLb1EEEEE10hipError_tT1_PNSt15iterator_traitsISI_E10value_typeET2_T3_PNSJ_ISO_E10value_typeET4_T5_PST_SU_PNS1_23onesweep_lookback_stateEbbT6_jjT7_P12ihipStream_tbENKUlT_T0_SI_SN_E_clIPiSD_S15_SD_EEDaS11_S12_SI_SN_EUlS11_E_NS1_11comp_targetILNS1_3genE9ELNS1_11target_archE1100ELNS1_3gpuE3ELNS1_3repE0EEENS1_47radix_sort_onesweep_sort_config_static_selectorELNS0_4arch9wavefront6targetE1EEEvSI_.uses_vcc, 0
	.set _ZN7rocprim17ROCPRIM_400000_NS6detail17trampoline_kernelINS0_14default_configENS1_35radix_sort_onesweep_config_selectorIiiEEZZNS1_29radix_sort_onesweep_iterationIS3_Lb1EN6thrust23THRUST_200600_302600_NS6detail15normal_iteratorINS8_10device_ptrIiEEEESD_SD_SD_jNS0_19identity_decomposerENS1_16block_id_wrapperIjLb1EEEEE10hipError_tT1_PNSt15iterator_traitsISI_E10value_typeET2_T3_PNSJ_ISO_E10value_typeET4_T5_PST_SU_PNS1_23onesweep_lookback_stateEbbT6_jjT7_P12ihipStream_tbENKUlT_T0_SI_SN_E_clIPiSD_S15_SD_EEDaS11_S12_SI_SN_EUlS11_E_NS1_11comp_targetILNS1_3genE9ELNS1_11target_archE1100ELNS1_3gpuE3ELNS1_3repE0EEENS1_47radix_sort_onesweep_sort_config_static_selectorELNS0_4arch9wavefront6targetE1EEEvSI_.uses_flat_scratch, 0
	.set _ZN7rocprim17ROCPRIM_400000_NS6detail17trampoline_kernelINS0_14default_configENS1_35radix_sort_onesweep_config_selectorIiiEEZZNS1_29radix_sort_onesweep_iterationIS3_Lb1EN6thrust23THRUST_200600_302600_NS6detail15normal_iteratorINS8_10device_ptrIiEEEESD_SD_SD_jNS0_19identity_decomposerENS1_16block_id_wrapperIjLb1EEEEE10hipError_tT1_PNSt15iterator_traitsISI_E10value_typeET2_T3_PNSJ_ISO_E10value_typeET4_T5_PST_SU_PNS1_23onesweep_lookback_stateEbbT6_jjT7_P12ihipStream_tbENKUlT_T0_SI_SN_E_clIPiSD_S15_SD_EEDaS11_S12_SI_SN_EUlS11_E_NS1_11comp_targetILNS1_3genE9ELNS1_11target_archE1100ELNS1_3gpuE3ELNS1_3repE0EEENS1_47radix_sort_onesweep_sort_config_static_selectorELNS0_4arch9wavefront6targetE1EEEvSI_.has_dyn_sized_stack, 0
	.set _ZN7rocprim17ROCPRIM_400000_NS6detail17trampoline_kernelINS0_14default_configENS1_35radix_sort_onesweep_config_selectorIiiEEZZNS1_29radix_sort_onesweep_iterationIS3_Lb1EN6thrust23THRUST_200600_302600_NS6detail15normal_iteratorINS8_10device_ptrIiEEEESD_SD_SD_jNS0_19identity_decomposerENS1_16block_id_wrapperIjLb1EEEEE10hipError_tT1_PNSt15iterator_traitsISI_E10value_typeET2_T3_PNSJ_ISO_E10value_typeET4_T5_PST_SU_PNS1_23onesweep_lookback_stateEbbT6_jjT7_P12ihipStream_tbENKUlT_T0_SI_SN_E_clIPiSD_S15_SD_EEDaS11_S12_SI_SN_EUlS11_E_NS1_11comp_targetILNS1_3genE9ELNS1_11target_archE1100ELNS1_3gpuE3ELNS1_3repE0EEENS1_47radix_sort_onesweep_sort_config_static_selectorELNS0_4arch9wavefront6targetE1EEEvSI_.has_recursion, 0
	.set _ZN7rocprim17ROCPRIM_400000_NS6detail17trampoline_kernelINS0_14default_configENS1_35radix_sort_onesweep_config_selectorIiiEEZZNS1_29radix_sort_onesweep_iterationIS3_Lb1EN6thrust23THRUST_200600_302600_NS6detail15normal_iteratorINS8_10device_ptrIiEEEESD_SD_SD_jNS0_19identity_decomposerENS1_16block_id_wrapperIjLb1EEEEE10hipError_tT1_PNSt15iterator_traitsISI_E10value_typeET2_T3_PNSJ_ISO_E10value_typeET4_T5_PST_SU_PNS1_23onesweep_lookback_stateEbbT6_jjT7_P12ihipStream_tbENKUlT_T0_SI_SN_E_clIPiSD_S15_SD_EEDaS11_S12_SI_SN_EUlS11_E_NS1_11comp_targetILNS1_3genE9ELNS1_11target_archE1100ELNS1_3gpuE3ELNS1_3repE0EEENS1_47radix_sort_onesweep_sort_config_static_selectorELNS0_4arch9wavefront6targetE1EEEvSI_.has_indirect_call, 0
	.section	.AMDGPU.csdata,"",@progbits
; Kernel info:
; codeLenInByte = 0
; TotalNumSgprs: 6
; NumVgprs: 0
; NumAgprs: 0
; TotalNumVgprs: 0
; ScratchSize: 0
; MemoryBound: 0
; FloatMode: 240
; IeeeMode: 1
; LDSByteSize: 0 bytes/workgroup (compile time only)
; SGPRBlocks: 0
; VGPRBlocks: 0
; NumSGPRsForWavesPerEU: 6
; NumVGPRsForWavesPerEU: 1
; AccumOffset: 4
; Occupancy: 8
; WaveLimiterHint : 0
; COMPUTE_PGM_RSRC2:SCRATCH_EN: 0
; COMPUTE_PGM_RSRC2:USER_SGPR: 2
; COMPUTE_PGM_RSRC2:TRAP_HANDLER: 0
; COMPUTE_PGM_RSRC2:TGID_X_EN: 1
; COMPUTE_PGM_RSRC2:TGID_Y_EN: 0
; COMPUTE_PGM_RSRC2:TGID_Z_EN: 0
; COMPUTE_PGM_RSRC2:TIDIG_COMP_CNT: 0
; COMPUTE_PGM_RSRC3_GFX90A:ACCUM_OFFSET: 0
; COMPUTE_PGM_RSRC3_GFX90A:TG_SPLIT: 0
	.section	.text._ZN7rocprim17ROCPRIM_400000_NS6detail17trampoline_kernelINS0_14default_configENS1_35radix_sort_onesweep_config_selectorIiiEEZZNS1_29radix_sort_onesweep_iterationIS3_Lb1EN6thrust23THRUST_200600_302600_NS6detail15normal_iteratorINS8_10device_ptrIiEEEESD_SD_SD_jNS0_19identity_decomposerENS1_16block_id_wrapperIjLb1EEEEE10hipError_tT1_PNSt15iterator_traitsISI_E10value_typeET2_T3_PNSJ_ISO_E10value_typeET4_T5_PST_SU_PNS1_23onesweep_lookback_stateEbbT6_jjT7_P12ihipStream_tbENKUlT_T0_SI_SN_E_clIPiSD_S15_SD_EEDaS11_S12_SI_SN_EUlS11_E_NS1_11comp_targetILNS1_3genE8ELNS1_11target_archE1030ELNS1_3gpuE2ELNS1_3repE0EEENS1_47radix_sort_onesweep_sort_config_static_selectorELNS0_4arch9wavefront6targetE1EEEvSI_,"axG",@progbits,_ZN7rocprim17ROCPRIM_400000_NS6detail17trampoline_kernelINS0_14default_configENS1_35radix_sort_onesweep_config_selectorIiiEEZZNS1_29radix_sort_onesweep_iterationIS3_Lb1EN6thrust23THRUST_200600_302600_NS6detail15normal_iteratorINS8_10device_ptrIiEEEESD_SD_SD_jNS0_19identity_decomposerENS1_16block_id_wrapperIjLb1EEEEE10hipError_tT1_PNSt15iterator_traitsISI_E10value_typeET2_T3_PNSJ_ISO_E10value_typeET4_T5_PST_SU_PNS1_23onesweep_lookback_stateEbbT6_jjT7_P12ihipStream_tbENKUlT_T0_SI_SN_E_clIPiSD_S15_SD_EEDaS11_S12_SI_SN_EUlS11_E_NS1_11comp_targetILNS1_3genE8ELNS1_11target_archE1030ELNS1_3gpuE2ELNS1_3repE0EEENS1_47radix_sort_onesweep_sort_config_static_selectorELNS0_4arch9wavefront6targetE1EEEvSI_,comdat
	.protected	_ZN7rocprim17ROCPRIM_400000_NS6detail17trampoline_kernelINS0_14default_configENS1_35radix_sort_onesweep_config_selectorIiiEEZZNS1_29radix_sort_onesweep_iterationIS3_Lb1EN6thrust23THRUST_200600_302600_NS6detail15normal_iteratorINS8_10device_ptrIiEEEESD_SD_SD_jNS0_19identity_decomposerENS1_16block_id_wrapperIjLb1EEEEE10hipError_tT1_PNSt15iterator_traitsISI_E10value_typeET2_T3_PNSJ_ISO_E10value_typeET4_T5_PST_SU_PNS1_23onesweep_lookback_stateEbbT6_jjT7_P12ihipStream_tbENKUlT_T0_SI_SN_E_clIPiSD_S15_SD_EEDaS11_S12_SI_SN_EUlS11_E_NS1_11comp_targetILNS1_3genE8ELNS1_11target_archE1030ELNS1_3gpuE2ELNS1_3repE0EEENS1_47radix_sort_onesweep_sort_config_static_selectorELNS0_4arch9wavefront6targetE1EEEvSI_ ; -- Begin function _ZN7rocprim17ROCPRIM_400000_NS6detail17trampoline_kernelINS0_14default_configENS1_35radix_sort_onesweep_config_selectorIiiEEZZNS1_29radix_sort_onesweep_iterationIS3_Lb1EN6thrust23THRUST_200600_302600_NS6detail15normal_iteratorINS8_10device_ptrIiEEEESD_SD_SD_jNS0_19identity_decomposerENS1_16block_id_wrapperIjLb1EEEEE10hipError_tT1_PNSt15iterator_traitsISI_E10value_typeET2_T3_PNSJ_ISO_E10value_typeET4_T5_PST_SU_PNS1_23onesweep_lookback_stateEbbT6_jjT7_P12ihipStream_tbENKUlT_T0_SI_SN_E_clIPiSD_S15_SD_EEDaS11_S12_SI_SN_EUlS11_E_NS1_11comp_targetILNS1_3genE8ELNS1_11target_archE1030ELNS1_3gpuE2ELNS1_3repE0EEENS1_47radix_sort_onesweep_sort_config_static_selectorELNS0_4arch9wavefront6targetE1EEEvSI_
	.globl	_ZN7rocprim17ROCPRIM_400000_NS6detail17trampoline_kernelINS0_14default_configENS1_35radix_sort_onesweep_config_selectorIiiEEZZNS1_29radix_sort_onesweep_iterationIS3_Lb1EN6thrust23THRUST_200600_302600_NS6detail15normal_iteratorINS8_10device_ptrIiEEEESD_SD_SD_jNS0_19identity_decomposerENS1_16block_id_wrapperIjLb1EEEEE10hipError_tT1_PNSt15iterator_traitsISI_E10value_typeET2_T3_PNSJ_ISO_E10value_typeET4_T5_PST_SU_PNS1_23onesweep_lookback_stateEbbT6_jjT7_P12ihipStream_tbENKUlT_T0_SI_SN_E_clIPiSD_S15_SD_EEDaS11_S12_SI_SN_EUlS11_E_NS1_11comp_targetILNS1_3genE8ELNS1_11target_archE1030ELNS1_3gpuE2ELNS1_3repE0EEENS1_47radix_sort_onesweep_sort_config_static_selectorELNS0_4arch9wavefront6targetE1EEEvSI_
	.p2align	8
	.type	_ZN7rocprim17ROCPRIM_400000_NS6detail17trampoline_kernelINS0_14default_configENS1_35radix_sort_onesweep_config_selectorIiiEEZZNS1_29radix_sort_onesweep_iterationIS3_Lb1EN6thrust23THRUST_200600_302600_NS6detail15normal_iteratorINS8_10device_ptrIiEEEESD_SD_SD_jNS0_19identity_decomposerENS1_16block_id_wrapperIjLb1EEEEE10hipError_tT1_PNSt15iterator_traitsISI_E10value_typeET2_T3_PNSJ_ISO_E10value_typeET4_T5_PST_SU_PNS1_23onesweep_lookback_stateEbbT6_jjT7_P12ihipStream_tbENKUlT_T0_SI_SN_E_clIPiSD_S15_SD_EEDaS11_S12_SI_SN_EUlS11_E_NS1_11comp_targetILNS1_3genE8ELNS1_11target_archE1030ELNS1_3gpuE2ELNS1_3repE0EEENS1_47radix_sort_onesweep_sort_config_static_selectorELNS0_4arch9wavefront6targetE1EEEvSI_,@function
_ZN7rocprim17ROCPRIM_400000_NS6detail17trampoline_kernelINS0_14default_configENS1_35radix_sort_onesweep_config_selectorIiiEEZZNS1_29radix_sort_onesweep_iterationIS3_Lb1EN6thrust23THRUST_200600_302600_NS6detail15normal_iteratorINS8_10device_ptrIiEEEESD_SD_SD_jNS0_19identity_decomposerENS1_16block_id_wrapperIjLb1EEEEE10hipError_tT1_PNSt15iterator_traitsISI_E10value_typeET2_T3_PNSJ_ISO_E10value_typeET4_T5_PST_SU_PNS1_23onesweep_lookback_stateEbbT6_jjT7_P12ihipStream_tbENKUlT_T0_SI_SN_E_clIPiSD_S15_SD_EEDaS11_S12_SI_SN_EUlS11_E_NS1_11comp_targetILNS1_3genE8ELNS1_11target_archE1030ELNS1_3gpuE2ELNS1_3repE0EEENS1_47radix_sort_onesweep_sort_config_static_selectorELNS0_4arch9wavefront6targetE1EEEvSI_: ; @_ZN7rocprim17ROCPRIM_400000_NS6detail17trampoline_kernelINS0_14default_configENS1_35radix_sort_onesweep_config_selectorIiiEEZZNS1_29radix_sort_onesweep_iterationIS3_Lb1EN6thrust23THRUST_200600_302600_NS6detail15normal_iteratorINS8_10device_ptrIiEEEESD_SD_SD_jNS0_19identity_decomposerENS1_16block_id_wrapperIjLb1EEEEE10hipError_tT1_PNSt15iterator_traitsISI_E10value_typeET2_T3_PNSJ_ISO_E10value_typeET4_T5_PST_SU_PNS1_23onesweep_lookback_stateEbbT6_jjT7_P12ihipStream_tbENKUlT_T0_SI_SN_E_clIPiSD_S15_SD_EEDaS11_S12_SI_SN_EUlS11_E_NS1_11comp_targetILNS1_3genE8ELNS1_11target_archE1030ELNS1_3gpuE2ELNS1_3repE0EEENS1_47radix_sort_onesweep_sort_config_static_selectorELNS0_4arch9wavefront6targetE1EEEvSI_
; %bb.0:
	.section	.rodata,"a",@progbits
	.p2align	6, 0x0
	.amdhsa_kernel _ZN7rocprim17ROCPRIM_400000_NS6detail17trampoline_kernelINS0_14default_configENS1_35radix_sort_onesweep_config_selectorIiiEEZZNS1_29radix_sort_onesweep_iterationIS3_Lb1EN6thrust23THRUST_200600_302600_NS6detail15normal_iteratorINS8_10device_ptrIiEEEESD_SD_SD_jNS0_19identity_decomposerENS1_16block_id_wrapperIjLb1EEEEE10hipError_tT1_PNSt15iterator_traitsISI_E10value_typeET2_T3_PNSJ_ISO_E10value_typeET4_T5_PST_SU_PNS1_23onesweep_lookback_stateEbbT6_jjT7_P12ihipStream_tbENKUlT_T0_SI_SN_E_clIPiSD_S15_SD_EEDaS11_S12_SI_SN_EUlS11_E_NS1_11comp_targetILNS1_3genE8ELNS1_11target_archE1030ELNS1_3gpuE2ELNS1_3repE0EEENS1_47radix_sort_onesweep_sort_config_static_selectorELNS0_4arch9wavefront6targetE1EEEvSI_
		.amdhsa_group_segment_fixed_size 0
		.amdhsa_private_segment_fixed_size 0
		.amdhsa_kernarg_size 88
		.amdhsa_user_sgpr_count 2
		.amdhsa_user_sgpr_dispatch_ptr 0
		.amdhsa_user_sgpr_queue_ptr 0
		.amdhsa_user_sgpr_kernarg_segment_ptr 1
		.amdhsa_user_sgpr_dispatch_id 0
		.amdhsa_user_sgpr_kernarg_preload_length 0
		.amdhsa_user_sgpr_kernarg_preload_offset 0
		.amdhsa_user_sgpr_private_segment_size 0
		.amdhsa_uses_dynamic_stack 0
		.amdhsa_enable_private_segment 0
		.amdhsa_system_sgpr_workgroup_id_x 1
		.amdhsa_system_sgpr_workgroup_id_y 0
		.amdhsa_system_sgpr_workgroup_id_z 0
		.amdhsa_system_sgpr_workgroup_info 0
		.amdhsa_system_vgpr_workitem_id 0
		.amdhsa_next_free_vgpr 1
		.amdhsa_next_free_sgpr 0
		.amdhsa_accum_offset 4
		.amdhsa_reserve_vcc 0
		.amdhsa_float_round_mode_32 0
		.amdhsa_float_round_mode_16_64 0
		.amdhsa_float_denorm_mode_32 3
		.amdhsa_float_denorm_mode_16_64 3
		.amdhsa_dx10_clamp 1
		.amdhsa_ieee_mode 1
		.amdhsa_fp16_overflow 0
		.amdhsa_tg_split 0
		.amdhsa_exception_fp_ieee_invalid_op 0
		.amdhsa_exception_fp_denorm_src 0
		.amdhsa_exception_fp_ieee_div_zero 0
		.amdhsa_exception_fp_ieee_overflow 0
		.amdhsa_exception_fp_ieee_underflow 0
		.amdhsa_exception_fp_ieee_inexact 0
		.amdhsa_exception_int_div_zero 0
	.end_amdhsa_kernel
	.section	.text._ZN7rocprim17ROCPRIM_400000_NS6detail17trampoline_kernelINS0_14default_configENS1_35radix_sort_onesweep_config_selectorIiiEEZZNS1_29radix_sort_onesweep_iterationIS3_Lb1EN6thrust23THRUST_200600_302600_NS6detail15normal_iteratorINS8_10device_ptrIiEEEESD_SD_SD_jNS0_19identity_decomposerENS1_16block_id_wrapperIjLb1EEEEE10hipError_tT1_PNSt15iterator_traitsISI_E10value_typeET2_T3_PNSJ_ISO_E10value_typeET4_T5_PST_SU_PNS1_23onesweep_lookback_stateEbbT6_jjT7_P12ihipStream_tbENKUlT_T0_SI_SN_E_clIPiSD_S15_SD_EEDaS11_S12_SI_SN_EUlS11_E_NS1_11comp_targetILNS1_3genE8ELNS1_11target_archE1030ELNS1_3gpuE2ELNS1_3repE0EEENS1_47radix_sort_onesweep_sort_config_static_selectorELNS0_4arch9wavefront6targetE1EEEvSI_,"axG",@progbits,_ZN7rocprim17ROCPRIM_400000_NS6detail17trampoline_kernelINS0_14default_configENS1_35radix_sort_onesweep_config_selectorIiiEEZZNS1_29radix_sort_onesweep_iterationIS3_Lb1EN6thrust23THRUST_200600_302600_NS6detail15normal_iteratorINS8_10device_ptrIiEEEESD_SD_SD_jNS0_19identity_decomposerENS1_16block_id_wrapperIjLb1EEEEE10hipError_tT1_PNSt15iterator_traitsISI_E10value_typeET2_T3_PNSJ_ISO_E10value_typeET4_T5_PST_SU_PNS1_23onesweep_lookback_stateEbbT6_jjT7_P12ihipStream_tbENKUlT_T0_SI_SN_E_clIPiSD_S15_SD_EEDaS11_S12_SI_SN_EUlS11_E_NS1_11comp_targetILNS1_3genE8ELNS1_11target_archE1030ELNS1_3gpuE2ELNS1_3repE0EEENS1_47radix_sort_onesweep_sort_config_static_selectorELNS0_4arch9wavefront6targetE1EEEvSI_,comdat
.Lfunc_end1025:
	.size	_ZN7rocprim17ROCPRIM_400000_NS6detail17trampoline_kernelINS0_14default_configENS1_35radix_sort_onesweep_config_selectorIiiEEZZNS1_29radix_sort_onesweep_iterationIS3_Lb1EN6thrust23THRUST_200600_302600_NS6detail15normal_iteratorINS8_10device_ptrIiEEEESD_SD_SD_jNS0_19identity_decomposerENS1_16block_id_wrapperIjLb1EEEEE10hipError_tT1_PNSt15iterator_traitsISI_E10value_typeET2_T3_PNSJ_ISO_E10value_typeET4_T5_PST_SU_PNS1_23onesweep_lookback_stateEbbT6_jjT7_P12ihipStream_tbENKUlT_T0_SI_SN_E_clIPiSD_S15_SD_EEDaS11_S12_SI_SN_EUlS11_E_NS1_11comp_targetILNS1_3genE8ELNS1_11target_archE1030ELNS1_3gpuE2ELNS1_3repE0EEENS1_47radix_sort_onesweep_sort_config_static_selectorELNS0_4arch9wavefront6targetE1EEEvSI_, .Lfunc_end1025-_ZN7rocprim17ROCPRIM_400000_NS6detail17trampoline_kernelINS0_14default_configENS1_35radix_sort_onesweep_config_selectorIiiEEZZNS1_29radix_sort_onesweep_iterationIS3_Lb1EN6thrust23THRUST_200600_302600_NS6detail15normal_iteratorINS8_10device_ptrIiEEEESD_SD_SD_jNS0_19identity_decomposerENS1_16block_id_wrapperIjLb1EEEEE10hipError_tT1_PNSt15iterator_traitsISI_E10value_typeET2_T3_PNSJ_ISO_E10value_typeET4_T5_PST_SU_PNS1_23onesweep_lookback_stateEbbT6_jjT7_P12ihipStream_tbENKUlT_T0_SI_SN_E_clIPiSD_S15_SD_EEDaS11_S12_SI_SN_EUlS11_E_NS1_11comp_targetILNS1_3genE8ELNS1_11target_archE1030ELNS1_3gpuE2ELNS1_3repE0EEENS1_47radix_sort_onesweep_sort_config_static_selectorELNS0_4arch9wavefront6targetE1EEEvSI_
                                        ; -- End function
	.set _ZN7rocprim17ROCPRIM_400000_NS6detail17trampoline_kernelINS0_14default_configENS1_35radix_sort_onesweep_config_selectorIiiEEZZNS1_29radix_sort_onesweep_iterationIS3_Lb1EN6thrust23THRUST_200600_302600_NS6detail15normal_iteratorINS8_10device_ptrIiEEEESD_SD_SD_jNS0_19identity_decomposerENS1_16block_id_wrapperIjLb1EEEEE10hipError_tT1_PNSt15iterator_traitsISI_E10value_typeET2_T3_PNSJ_ISO_E10value_typeET4_T5_PST_SU_PNS1_23onesweep_lookback_stateEbbT6_jjT7_P12ihipStream_tbENKUlT_T0_SI_SN_E_clIPiSD_S15_SD_EEDaS11_S12_SI_SN_EUlS11_E_NS1_11comp_targetILNS1_3genE8ELNS1_11target_archE1030ELNS1_3gpuE2ELNS1_3repE0EEENS1_47radix_sort_onesweep_sort_config_static_selectorELNS0_4arch9wavefront6targetE1EEEvSI_.num_vgpr, 0
	.set _ZN7rocprim17ROCPRIM_400000_NS6detail17trampoline_kernelINS0_14default_configENS1_35radix_sort_onesweep_config_selectorIiiEEZZNS1_29radix_sort_onesweep_iterationIS3_Lb1EN6thrust23THRUST_200600_302600_NS6detail15normal_iteratorINS8_10device_ptrIiEEEESD_SD_SD_jNS0_19identity_decomposerENS1_16block_id_wrapperIjLb1EEEEE10hipError_tT1_PNSt15iterator_traitsISI_E10value_typeET2_T3_PNSJ_ISO_E10value_typeET4_T5_PST_SU_PNS1_23onesweep_lookback_stateEbbT6_jjT7_P12ihipStream_tbENKUlT_T0_SI_SN_E_clIPiSD_S15_SD_EEDaS11_S12_SI_SN_EUlS11_E_NS1_11comp_targetILNS1_3genE8ELNS1_11target_archE1030ELNS1_3gpuE2ELNS1_3repE0EEENS1_47radix_sort_onesweep_sort_config_static_selectorELNS0_4arch9wavefront6targetE1EEEvSI_.num_agpr, 0
	.set _ZN7rocprim17ROCPRIM_400000_NS6detail17trampoline_kernelINS0_14default_configENS1_35radix_sort_onesweep_config_selectorIiiEEZZNS1_29radix_sort_onesweep_iterationIS3_Lb1EN6thrust23THRUST_200600_302600_NS6detail15normal_iteratorINS8_10device_ptrIiEEEESD_SD_SD_jNS0_19identity_decomposerENS1_16block_id_wrapperIjLb1EEEEE10hipError_tT1_PNSt15iterator_traitsISI_E10value_typeET2_T3_PNSJ_ISO_E10value_typeET4_T5_PST_SU_PNS1_23onesweep_lookback_stateEbbT6_jjT7_P12ihipStream_tbENKUlT_T0_SI_SN_E_clIPiSD_S15_SD_EEDaS11_S12_SI_SN_EUlS11_E_NS1_11comp_targetILNS1_3genE8ELNS1_11target_archE1030ELNS1_3gpuE2ELNS1_3repE0EEENS1_47radix_sort_onesweep_sort_config_static_selectorELNS0_4arch9wavefront6targetE1EEEvSI_.numbered_sgpr, 0
	.set _ZN7rocprim17ROCPRIM_400000_NS6detail17trampoline_kernelINS0_14default_configENS1_35radix_sort_onesweep_config_selectorIiiEEZZNS1_29radix_sort_onesweep_iterationIS3_Lb1EN6thrust23THRUST_200600_302600_NS6detail15normal_iteratorINS8_10device_ptrIiEEEESD_SD_SD_jNS0_19identity_decomposerENS1_16block_id_wrapperIjLb1EEEEE10hipError_tT1_PNSt15iterator_traitsISI_E10value_typeET2_T3_PNSJ_ISO_E10value_typeET4_T5_PST_SU_PNS1_23onesweep_lookback_stateEbbT6_jjT7_P12ihipStream_tbENKUlT_T0_SI_SN_E_clIPiSD_S15_SD_EEDaS11_S12_SI_SN_EUlS11_E_NS1_11comp_targetILNS1_3genE8ELNS1_11target_archE1030ELNS1_3gpuE2ELNS1_3repE0EEENS1_47radix_sort_onesweep_sort_config_static_selectorELNS0_4arch9wavefront6targetE1EEEvSI_.num_named_barrier, 0
	.set _ZN7rocprim17ROCPRIM_400000_NS6detail17trampoline_kernelINS0_14default_configENS1_35radix_sort_onesweep_config_selectorIiiEEZZNS1_29radix_sort_onesweep_iterationIS3_Lb1EN6thrust23THRUST_200600_302600_NS6detail15normal_iteratorINS8_10device_ptrIiEEEESD_SD_SD_jNS0_19identity_decomposerENS1_16block_id_wrapperIjLb1EEEEE10hipError_tT1_PNSt15iterator_traitsISI_E10value_typeET2_T3_PNSJ_ISO_E10value_typeET4_T5_PST_SU_PNS1_23onesweep_lookback_stateEbbT6_jjT7_P12ihipStream_tbENKUlT_T0_SI_SN_E_clIPiSD_S15_SD_EEDaS11_S12_SI_SN_EUlS11_E_NS1_11comp_targetILNS1_3genE8ELNS1_11target_archE1030ELNS1_3gpuE2ELNS1_3repE0EEENS1_47radix_sort_onesweep_sort_config_static_selectorELNS0_4arch9wavefront6targetE1EEEvSI_.private_seg_size, 0
	.set _ZN7rocprim17ROCPRIM_400000_NS6detail17trampoline_kernelINS0_14default_configENS1_35radix_sort_onesweep_config_selectorIiiEEZZNS1_29radix_sort_onesweep_iterationIS3_Lb1EN6thrust23THRUST_200600_302600_NS6detail15normal_iteratorINS8_10device_ptrIiEEEESD_SD_SD_jNS0_19identity_decomposerENS1_16block_id_wrapperIjLb1EEEEE10hipError_tT1_PNSt15iterator_traitsISI_E10value_typeET2_T3_PNSJ_ISO_E10value_typeET4_T5_PST_SU_PNS1_23onesweep_lookback_stateEbbT6_jjT7_P12ihipStream_tbENKUlT_T0_SI_SN_E_clIPiSD_S15_SD_EEDaS11_S12_SI_SN_EUlS11_E_NS1_11comp_targetILNS1_3genE8ELNS1_11target_archE1030ELNS1_3gpuE2ELNS1_3repE0EEENS1_47radix_sort_onesweep_sort_config_static_selectorELNS0_4arch9wavefront6targetE1EEEvSI_.uses_vcc, 0
	.set _ZN7rocprim17ROCPRIM_400000_NS6detail17trampoline_kernelINS0_14default_configENS1_35radix_sort_onesweep_config_selectorIiiEEZZNS1_29radix_sort_onesweep_iterationIS3_Lb1EN6thrust23THRUST_200600_302600_NS6detail15normal_iteratorINS8_10device_ptrIiEEEESD_SD_SD_jNS0_19identity_decomposerENS1_16block_id_wrapperIjLb1EEEEE10hipError_tT1_PNSt15iterator_traitsISI_E10value_typeET2_T3_PNSJ_ISO_E10value_typeET4_T5_PST_SU_PNS1_23onesweep_lookback_stateEbbT6_jjT7_P12ihipStream_tbENKUlT_T0_SI_SN_E_clIPiSD_S15_SD_EEDaS11_S12_SI_SN_EUlS11_E_NS1_11comp_targetILNS1_3genE8ELNS1_11target_archE1030ELNS1_3gpuE2ELNS1_3repE0EEENS1_47radix_sort_onesweep_sort_config_static_selectorELNS0_4arch9wavefront6targetE1EEEvSI_.uses_flat_scratch, 0
	.set _ZN7rocprim17ROCPRIM_400000_NS6detail17trampoline_kernelINS0_14default_configENS1_35radix_sort_onesweep_config_selectorIiiEEZZNS1_29radix_sort_onesweep_iterationIS3_Lb1EN6thrust23THRUST_200600_302600_NS6detail15normal_iteratorINS8_10device_ptrIiEEEESD_SD_SD_jNS0_19identity_decomposerENS1_16block_id_wrapperIjLb1EEEEE10hipError_tT1_PNSt15iterator_traitsISI_E10value_typeET2_T3_PNSJ_ISO_E10value_typeET4_T5_PST_SU_PNS1_23onesweep_lookback_stateEbbT6_jjT7_P12ihipStream_tbENKUlT_T0_SI_SN_E_clIPiSD_S15_SD_EEDaS11_S12_SI_SN_EUlS11_E_NS1_11comp_targetILNS1_3genE8ELNS1_11target_archE1030ELNS1_3gpuE2ELNS1_3repE0EEENS1_47radix_sort_onesweep_sort_config_static_selectorELNS0_4arch9wavefront6targetE1EEEvSI_.has_dyn_sized_stack, 0
	.set _ZN7rocprim17ROCPRIM_400000_NS6detail17trampoline_kernelINS0_14default_configENS1_35radix_sort_onesweep_config_selectorIiiEEZZNS1_29radix_sort_onesweep_iterationIS3_Lb1EN6thrust23THRUST_200600_302600_NS6detail15normal_iteratorINS8_10device_ptrIiEEEESD_SD_SD_jNS0_19identity_decomposerENS1_16block_id_wrapperIjLb1EEEEE10hipError_tT1_PNSt15iterator_traitsISI_E10value_typeET2_T3_PNSJ_ISO_E10value_typeET4_T5_PST_SU_PNS1_23onesweep_lookback_stateEbbT6_jjT7_P12ihipStream_tbENKUlT_T0_SI_SN_E_clIPiSD_S15_SD_EEDaS11_S12_SI_SN_EUlS11_E_NS1_11comp_targetILNS1_3genE8ELNS1_11target_archE1030ELNS1_3gpuE2ELNS1_3repE0EEENS1_47radix_sort_onesweep_sort_config_static_selectorELNS0_4arch9wavefront6targetE1EEEvSI_.has_recursion, 0
	.set _ZN7rocprim17ROCPRIM_400000_NS6detail17trampoline_kernelINS0_14default_configENS1_35radix_sort_onesweep_config_selectorIiiEEZZNS1_29radix_sort_onesweep_iterationIS3_Lb1EN6thrust23THRUST_200600_302600_NS6detail15normal_iteratorINS8_10device_ptrIiEEEESD_SD_SD_jNS0_19identity_decomposerENS1_16block_id_wrapperIjLb1EEEEE10hipError_tT1_PNSt15iterator_traitsISI_E10value_typeET2_T3_PNSJ_ISO_E10value_typeET4_T5_PST_SU_PNS1_23onesweep_lookback_stateEbbT6_jjT7_P12ihipStream_tbENKUlT_T0_SI_SN_E_clIPiSD_S15_SD_EEDaS11_S12_SI_SN_EUlS11_E_NS1_11comp_targetILNS1_3genE8ELNS1_11target_archE1030ELNS1_3gpuE2ELNS1_3repE0EEENS1_47radix_sort_onesweep_sort_config_static_selectorELNS0_4arch9wavefront6targetE1EEEvSI_.has_indirect_call, 0
	.section	.AMDGPU.csdata,"",@progbits
; Kernel info:
; codeLenInByte = 0
; TotalNumSgprs: 6
; NumVgprs: 0
; NumAgprs: 0
; TotalNumVgprs: 0
; ScratchSize: 0
; MemoryBound: 0
; FloatMode: 240
; IeeeMode: 1
; LDSByteSize: 0 bytes/workgroup (compile time only)
; SGPRBlocks: 0
; VGPRBlocks: 0
; NumSGPRsForWavesPerEU: 6
; NumVGPRsForWavesPerEU: 1
; AccumOffset: 4
; Occupancy: 8
; WaveLimiterHint : 0
; COMPUTE_PGM_RSRC2:SCRATCH_EN: 0
; COMPUTE_PGM_RSRC2:USER_SGPR: 2
; COMPUTE_PGM_RSRC2:TRAP_HANDLER: 0
; COMPUTE_PGM_RSRC2:TGID_X_EN: 1
; COMPUTE_PGM_RSRC2:TGID_Y_EN: 0
; COMPUTE_PGM_RSRC2:TGID_Z_EN: 0
; COMPUTE_PGM_RSRC2:TIDIG_COMP_CNT: 0
; COMPUTE_PGM_RSRC3_GFX90A:ACCUM_OFFSET: 0
; COMPUTE_PGM_RSRC3_GFX90A:TG_SPLIT: 0
	.section	.text._ZN7rocprim17ROCPRIM_400000_NS6detail17trampoline_kernelINS0_14default_configENS1_35radix_sort_onesweep_config_selectorIiiEEZZNS1_29radix_sort_onesweep_iterationIS3_Lb1EN6thrust23THRUST_200600_302600_NS6detail15normal_iteratorINS8_10device_ptrIiEEEESD_SD_SD_jNS0_19identity_decomposerENS1_16block_id_wrapperIjLb0EEEEE10hipError_tT1_PNSt15iterator_traitsISI_E10value_typeET2_T3_PNSJ_ISO_E10value_typeET4_T5_PST_SU_PNS1_23onesweep_lookback_stateEbbT6_jjT7_P12ihipStream_tbENKUlT_T0_SI_SN_E_clISD_SD_SD_SD_EEDaS11_S12_SI_SN_EUlS11_E_NS1_11comp_targetILNS1_3genE0ELNS1_11target_archE4294967295ELNS1_3gpuE0ELNS1_3repE0EEENS1_47radix_sort_onesweep_sort_config_static_selectorELNS0_4arch9wavefront6targetE1EEEvSI_,"axG",@progbits,_ZN7rocprim17ROCPRIM_400000_NS6detail17trampoline_kernelINS0_14default_configENS1_35radix_sort_onesweep_config_selectorIiiEEZZNS1_29radix_sort_onesweep_iterationIS3_Lb1EN6thrust23THRUST_200600_302600_NS6detail15normal_iteratorINS8_10device_ptrIiEEEESD_SD_SD_jNS0_19identity_decomposerENS1_16block_id_wrapperIjLb0EEEEE10hipError_tT1_PNSt15iterator_traitsISI_E10value_typeET2_T3_PNSJ_ISO_E10value_typeET4_T5_PST_SU_PNS1_23onesweep_lookback_stateEbbT6_jjT7_P12ihipStream_tbENKUlT_T0_SI_SN_E_clISD_SD_SD_SD_EEDaS11_S12_SI_SN_EUlS11_E_NS1_11comp_targetILNS1_3genE0ELNS1_11target_archE4294967295ELNS1_3gpuE0ELNS1_3repE0EEENS1_47radix_sort_onesweep_sort_config_static_selectorELNS0_4arch9wavefront6targetE1EEEvSI_,comdat
	.protected	_ZN7rocprim17ROCPRIM_400000_NS6detail17trampoline_kernelINS0_14default_configENS1_35radix_sort_onesweep_config_selectorIiiEEZZNS1_29radix_sort_onesweep_iterationIS3_Lb1EN6thrust23THRUST_200600_302600_NS6detail15normal_iteratorINS8_10device_ptrIiEEEESD_SD_SD_jNS0_19identity_decomposerENS1_16block_id_wrapperIjLb0EEEEE10hipError_tT1_PNSt15iterator_traitsISI_E10value_typeET2_T3_PNSJ_ISO_E10value_typeET4_T5_PST_SU_PNS1_23onesweep_lookback_stateEbbT6_jjT7_P12ihipStream_tbENKUlT_T0_SI_SN_E_clISD_SD_SD_SD_EEDaS11_S12_SI_SN_EUlS11_E_NS1_11comp_targetILNS1_3genE0ELNS1_11target_archE4294967295ELNS1_3gpuE0ELNS1_3repE0EEENS1_47radix_sort_onesweep_sort_config_static_selectorELNS0_4arch9wavefront6targetE1EEEvSI_ ; -- Begin function _ZN7rocprim17ROCPRIM_400000_NS6detail17trampoline_kernelINS0_14default_configENS1_35radix_sort_onesweep_config_selectorIiiEEZZNS1_29radix_sort_onesweep_iterationIS3_Lb1EN6thrust23THRUST_200600_302600_NS6detail15normal_iteratorINS8_10device_ptrIiEEEESD_SD_SD_jNS0_19identity_decomposerENS1_16block_id_wrapperIjLb0EEEEE10hipError_tT1_PNSt15iterator_traitsISI_E10value_typeET2_T3_PNSJ_ISO_E10value_typeET4_T5_PST_SU_PNS1_23onesweep_lookback_stateEbbT6_jjT7_P12ihipStream_tbENKUlT_T0_SI_SN_E_clISD_SD_SD_SD_EEDaS11_S12_SI_SN_EUlS11_E_NS1_11comp_targetILNS1_3genE0ELNS1_11target_archE4294967295ELNS1_3gpuE0ELNS1_3repE0EEENS1_47radix_sort_onesweep_sort_config_static_selectorELNS0_4arch9wavefront6targetE1EEEvSI_
	.globl	_ZN7rocprim17ROCPRIM_400000_NS6detail17trampoline_kernelINS0_14default_configENS1_35radix_sort_onesweep_config_selectorIiiEEZZNS1_29radix_sort_onesweep_iterationIS3_Lb1EN6thrust23THRUST_200600_302600_NS6detail15normal_iteratorINS8_10device_ptrIiEEEESD_SD_SD_jNS0_19identity_decomposerENS1_16block_id_wrapperIjLb0EEEEE10hipError_tT1_PNSt15iterator_traitsISI_E10value_typeET2_T3_PNSJ_ISO_E10value_typeET4_T5_PST_SU_PNS1_23onesweep_lookback_stateEbbT6_jjT7_P12ihipStream_tbENKUlT_T0_SI_SN_E_clISD_SD_SD_SD_EEDaS11_S12_SI_SN_EUlS11_E_NS1_11comp_targetILNS1_3genE0ELNS1_11target_archE4294967295ELNS1_3gpuE0ELNS1_3repE0EEENS1_47radix_sort_onesweep_sort_config_static_selectorELNS0_4arch9wavefront6targetE1EEEvSI_
	.p2align	8
	.type	_ZN7rocprim17ROCPRIM_400000_NS6detail17trampoline_kernelINS0_14default_configENS1_35radix_sort_onesweep_config_selectorIiiEEZZNS1_29radix_sort_onesweep_iterationIS3_Lb1EN6thrust23THRUST_200600_302600_NS6detail15normal_iteratorINS8_10device_ptrIiEEEESD_SD_SD_jNS0_19identity_decomposerENS1_16block_id_wrapperIjLb0EEEEE10hipError_tT1_PNSt15iterator_traitsISI_E10value_typeET2_T3_PNSJ_ISO_E10value_typeET4_T5_PST_SU_PNS1_23onesweep_lookback_stateEbbT6_jjT7_P12ihipStream_tbENKUlT_T0_SI_SN_E_clISD_SD_SD_SD_EEDaS11_S12_SI_SN_EUlS11_E_NS1_11comp_targetILNS1_3genE0ELNS1_11target_archE4294967295ELNS1_3gpuE0ELNS1_3repE0EEENS1_47radix_sort_onesweep_sort_config_static_selectorELNS0_4arch9wavefront6targetE1EEEvSI_,@function
_ZN7rocprim17ROCPRIM_400000_NS6detail17trampoline_kernelINS0_14default_configENS1_35radix_sort_onesweep_config_selectorIiiEEZZNS1_29radix_sort_onesweep_iterationIS3_Lb1EN6thrust23THRUST_200600_302600_NS6detail15normal_iteratorINS8_10device_ptrIiEEEESD_SD_SD_jNS0_19identity_decomposerENS1_16block_id_wrapperIjLb0EEEEE10hipError_tT1_PNSt15iterator_traitsISI_E10value_typeET2_T3_PNSJ_ISO_E10value_typeET4_T5_PST_SU_PNS1_23onesweep_lookback_stateEbbT6_jjT7_P12ihipStream_tbENKUlT_T0_SI_SN_E_clISD_SD_SD_SD_EEDaS11_S12_SI_SN_EUlS11_E_NS1_11comp_targetILNS1_3genE0ELNS1_11target_archE4294967295ELNS1_3gpuE0ELNS1_3repE0EEENS1_47radix_sort_onesweep_sort_config_static_selectorELNS0_4arch9wavefront6targetE1EEEvSI_: ; @_ZN7rocprim17ROCPRIM_400000_NS6detail17trampoline_kernelINS0_14default_configENS1_35radix_sort_onesweep_config_selectorIiiEEZZNS1_29radix_sort_onesweep_iterationIS3_Lb1EN6thrust23THRUST_200600_302600_NS6detail15normal_iteratorINS8_10device_ptrIiEEEESD_SD_SD_jNS0_19identity_decomposerENS1_16block_id_wrapperIjLb0EEEEE10hipError_tT1_PNSt15iterator_traitsISI_E10value_typeET2_T3_PNSJ_ISO_E10value_typeET4_T5_PST_SU_PNS1_23onesweep_lookback_stateEbbT6_jjT7_P12ihipStream_tbENKUlT_T0_SI_SN_E_clISD_SD_SD_SD_EEDaS11_S12_SI_SN_EUlS11_E_NS1_11comp_targetILNS1_3genE0ELNS1_11target_archE4294967295ELNS1_3gpuE0ELNS1_3repE0EEENS1_47radix_sort_onesweep_sort_config_static_selectorELNS0_4arch9wavefront6targetE1EEEvSI_
; %bb.0:
	.section	.rodata,"a",@progbits
	.p2align	6, 0x0
	.amdhsa_kernel _ZN7rocprim17ROCPRIM_400000_NS6detail17trampoline_kernelINS0_14default_configENS1_35radix_sort_onesweep_config_selectorIiiEEZZNS1_29radix_sort_onesweep_iterationIS3_Lb1EN6thrust23THRUST_200600_302600_NS6detail15normal_iteratorINS8_10device_ptrIiEEEESD_SD_SD_jNS0_19identity_decomposerENS1_16block_id_wrapperIjLb0EEEEE10hipError_tT1_PNSt15iterator_traitsISI_E10value_typeET2_T3_PNSJ_ISO_E10value_typeET4_T5_PST_SU_PNS1_23onesweep_lookback_stateEbbT6_jjT7_P12ihipStream_tbENKUlT_T0_SI_SN_E_clISD_SD_SD_SD_EEDaS11_S12_SI_SN_EUlS11_E_NS1_11comp_targetILNS1_3genE0ELNS1_11target_archE4294967295ELNS1_3gpuE0ELNS1_3repE0EEENS1_47radix_sort_onesweep_sort_config_static_selectorELNS0_4arch9wavefront6targetE1EEEvSI_
		.amdhsa_group_segment_fixed_size 0
		.amdhsa_private_segment_fixed_size 0
		.amdhsa_kernarg_size 88
		.amdhsa_user_sgpr_count 2
		.amdhsa_user_sgpr_dispatch_ptr 0
		.amdhsa_user_sgpr_queue_ptr 0
		.amdhsa_user_sgpr_kernarg_segment_ptr 1
		.amdhsa_user_sgpr_dispatch_id 0
		.amdhsa_user_sgpr_kernarg_preload_length 0
		.amdhsa_user_sgpr_kernarg_preload_offset 0
		.amdhsa_user_sgpr_private_segment_size 0
		.amdhsa_uses_dynamic_stack 0
		.amdhsa_enable_private_segment 0
		.amdhsa_system_sgpr_workgroup_id_x 1
		.amdhsa_system_sgpr_workgroup_id_y 0
		.amdhsa_system_sgpr_workgroup_id_z 0
		.amdhsa_system_sgpr_workgroup_info 0
		.amdhsa_system_vgpr_workitem_id 0
		.amdhsa_next_free_vgpr 1
		.amdhsa_next_free_sgpr 0
		.amdhsa_accum_offset 4
		.amdhsa_reserve_vcc 0
		.amdhsa_float_round_mode_32 0
		.amdhsa_float_round_mode_16_64 0
		.amdhsa_float_denorm_mode_32 3
		.amdhsa_float_denorm_mode_16_64 3
		.amdhsa_dx10_clamp 1
		.amdhsa_ieee_mode 1
		.amdhsa_fp16_overflow 0
		.amdhsa_tg_split 0
		.amdhsa_exception_fp_ieee_invalid_op 0
		.amdhsa_exception_fp_denorm_src 0
		.amdhsa_exception_fp_ieee_div_zero 0
		.amdhsa_exception_fp_ieee_overflow 0
		.amdhsa_exception_fp_ieee_underflow 0
		.amdhsa_exception_fp_ieee_inexact 0
		.amdhsa_exception_int_div_zero 0
	.end_amdhsa_kernel
	.section	.text._ZN7rocprim17ROCPRIM_400000_NS6detail17trampoline_kernelINS0_14default_configENS1_35radix_sort_onesweep_config_selectorIiiEEZZNS1_29radix_sort_onesweep_iterationIS3_Lb1EN6thrust23THRUST_200600_302600_NS6detail15normal_iteratorINS8_10device_ptrIiEEEESD_SD_SD_jNS0_19identity_decomposerENS1_16block_id_wrapperIjLb0EEEEE10hipError_tT1_PNSt15iterator_traitsISI_E10value_typeET2_T3_PNSJ_ISO_E10value_typeET4_T5_PST_SU_PNS1_23onesweep_lookback_stateEbbT6_jjT7_P12ihipStream_tbENKUlT_T0_SI_SN_E_clISD_SD_SD_SD_EEDaS11_S12_SI_SN_EUlS11_E_NS1_11comp_targetILNS1_3genE0ELNS1_11target_archE4294967295ELNS1_3gpuE0ELNS1_3repE0EEENS1_47radix_sort_onesweep_sort_config_static_selectorELNS0_4arch9wavefront6targetE1EEEvSI_,"axG",@progbits,_ZN7rocprim17ROCPRIM_400000_NS6detail17trampoline_kernelINS0_14default_configENS1_35radix_sort_onesweep_config_selectorIiiEEZZNS1_29radix_sort_onesweep_iterationIS3_Lb1EN6thrust23THRUST_200600_302600_NS6detail15normal_iteratorINS8_10device_ptrIiEEEESD_SD_SD_jNS0_19identity_decomposerENS1_16block_id_wrapperIjLb0EEEEE10hipError_tT1_PNSt15iterator_traitsISI_E10value_typeET2_T3_PNSJ_ISO_E10value_typeET4_T5_PST_SU_PNS1_23onesweep_lookback_stateEbbT6_jjT7_P12ihipStream_tbENKUlT_T0_SI_SN_E_clISD_SD_SD_SD_EEDaS11_S12_SI_SN_EUlS11_E_NS1_11comp_targetILNS1_3genE0ELNS1_11target_archE4294967295ELNS1_3gpuE0ELNS1_3repE0EEENS1_47radix_sort_onesweep_sort_config_static_selectorELNS0_4arch9wavefront6targetE1EEEvSI_,comdat
.Lfunc_end1026:
	.size	_ZN7rocprim17ROCPRIM_400000_NS6detail17trampoline_kernelINS0_14default_configENS1_35radix_sort_onesweep_config_selectorIiiEEZZNS1_29radix_sort_onesweep_iterationIS3_Lb1EN6thrust23THRUST_200600_302600_NS6detail15normal_iteratorINS8_10device_ptrIiEEEESD_SD_SD_jNS0_19identity_decomposerENS1_16block_id_wrapperIjLb0EEEEE10hipError_tT1_PNSt15iterator_traitsISI_E10value_typeET2_T3_PNSJ_ISO_E10value_typeET4_T5_PST_SU_PNS1_23onesweep_lookback_stateEbbT6_jjT7_P12ihipStream_tbENKUlT_T0_SI_SN_E_clISD_SD_SD_SD_EEDaS11_S12_SI_SN_EUlS11_E_NS1_11comp_targetILNS1_3genE0ELNS1_11target_archE4294967295ELNS1_3gpuE0ELNS1_3repE0EEENS1_47radix_sort_onesweep_sort_config_static_selectorELNS0_4arch9wavefront6targetE1EEEvSI_, .Lfunc_end1026-_ZN7rocprim17ROCPRIM_400000_NS6detail17trampoline_kernelINS0_14default_configENS1_35radix_sort_onesweep_config_selectorIiiEEZZNS1_29radix_sort_onesweep_iterationIS3_Lb1EN6thrust23THRUST_200600_302600_NS6detail15normal_iteratorINS8_10device_ptrIiEEEESD_SD_SD_jNS0_19identity_decomposerENS1_16block_id_wrapperIjLb0EEEEE10hipError_tT1_PNSt15iterator_traitsISI_E10value_typeET2_T3_PNSJ_ISO_E10value_typeET4_T5_PST_SU_PNS1_23onesweep_lookback_stateEbbT6_jjT7_P12ihipStream_tbENKUlT_T0_SI_SN_E_clISD_SD_SD_SD_EEDaS11_S12_SI_SN_EUlS11_E_NS1_11comp_targetILNS1_3genE0ELNS1_11target_archE4294967295ELNS1_3gpuE0ELNS1_3repE0EEENS1_47radix_sort_onesweep_sort_config_static_selectorELNS0_4arch9wavefront6targetE1EEEvSI_
                                        ; -- End function
	.set _ZN7rocprim17ROCPRIM_400000_NS6detail17trampoline_kernelINS0_14default_configENS1_35radix_sort_onesweep_config_selectorIiiEEZZNS1_29radix_sort_onesweep_iterationIS3_Lb1EN6thrust23THRUST_200600_302600_NS6detail15normal_iteratorINS8_10device_ptrIiEEEESD_SD_SD_jNS0_19identity_decomposerENS1_16block_id_wrapperIjLb0EEEEE10hipError_tT1_PNSt15iterator_traitsISI_E10value_typeET2_T3_PNSJ_ISO_E10value_typeET4_T5_PST_SU_PNS1_23onesweep_lookback_stateEbbT6_jjT7_P12ihipStream_tbENKUlT_T0_SI_SN_E_clISD_SD_SD_SD_EEDaS11_S12_SI_SN_EUlS11_E_NS1_11comp_targetILNS1_3genE0ELNS1_11target_archE4294967295ELNS1_3gpuE0ELNS1_3repE0EEENS1_47radix_sort_onesweep_sort_config_static_selectorELNS0_4arch9wavefront6targetE1EEEvSI_.num_vgpr, 0
	.set _ZN7rocprim17ROCPRIM_400000_NS6detail17trampoline_kernelINS0_14default_configENS1_35radix_sort_onesweep_config_selectorIiiEEZZNS1_29radix_sort_onesweep_iterationIS3_Lb1EN6thrust23THRUST_200600_302600_NS6detail15normal_iteratorINS8_10device_ptrIiEEEESD_SD_SD_jNS0_19identity_decomposerENS1_16block_id_wrapperIjLb0EEEEE10hipError_tT1_PNSt15iterator_traitsISI_E10value_typeET2_T3_PNSJ_ISO_E10value_typeET4_T5_PST_SU_PNS1_23onesweep_lookback_stateEbbT6_jjT7_P12ihipStream_tbENKUlT_T0_SI_SN_E_clISD_SD_SD_SD_EEDaS11_S12_SI_SN_EUlS11_E_NS1_11comp_targetILNS1_3genE0ELNS1_11target_archE4294967295ELNS1_3gpuE0ELNS1_3repE0EEENS1_47radix_sort_onesweep_sort_config_static_selectorELNS0_4arch9wavefront6targetE1EEEvSI_.num_agpr, 0
	.set _ZN7rocprim17ROCPRIM_400000_NS6detail17trampoline_kernelINS0_14default_configENS1_35radix_sort_onesweep_config_selectorIiiEEZZNS1_29radix_sort_onesweep_iterationIS3_Lb1EN6thrust23THRUST_200600_302600_NS6detail15normal_iteratorINS8_10device_ptrIiEEEESD_SD_SD_jNS0_19identity_decomposerENS1_16block_id_wrapperIjLb0EEEEE10hipError_tT1_PNSt15iterator_traitsISI_E10value_typeET2_T3_PNSJ_ISO_E10value_typeET4_T5_PST_SU_PNS1_23onesweep_lookback_stateEbbT6_jjT7_P12ihipStream_tbENKUlT_T0_SI_SN_E_clISD_SD_SD_SD_EEDaS11_S12_SI_SN_EUlS11_E_NS1_11comp_targetILNS1_3genE0ELNS1_11target_archE4294967295ELNS1_3gpuE0ELNS1_3repE0EEENS1_47radix_sort_onesweep_sort_config_static_selectorELNS0_4arch9wavefront6targetE1EEEvSI_.numbered_sgpr, 0
	.set _ZN7rocprim17ROCPRIM_400000_NS6detail17trampoline_kernelINS0_14default_configENS1_35radix_sort_onesweep_config_selectorIiiEEZZNS1_29radix_sort_onesweep_iterationIS3_Lb1EN6thrust23THRUST_200600_302600_NS6detail15normal_iteratorINS8_10device_ptrIiEEEESD_SD_SD_jNS0_19identity_decomposerENS1_16block_id_wrapperIjLb0EEEEE10hipError_tT1_PNSt15iterator_traitsISI_E10value_typeET2_T3_PNSJ_ISO_E10value_typeET4_T5_PST_SU_PNS1_23onesweep_lookback_stateEbbT6_jjT7_P12ihipStream_tbENKUlT_T0_SI_SN_E_clISD_SD_SD_SD_EEDaS11_S12_SI_SN_EUlS11_E_NS1_11comp_targetILNS1_3genE0ELNS1_11target_archE4294967295ELNS1_3gpuE0ELNS1_3repE0EEENS1_47radix_sort_onesweep_sort_config_static_selectorELNS0_4arch9wavefront6targetE1EEEvSI_.num_named_barrier, 0
	.set _ZN7rocprim17ROCPRIM_400000_NS6detail17trampoline_kernelINS0_14default_configENS1_35radix_sort_onesweep_config_selectorIiiEEZZNS1_29radix_sort_onesweep_iterationIS3_Lb1EN6thrust23THRUST_200600_302600_NS6detail15normal_iteratorINS8_10device_ptrIiEEEESD_SD_SD_jNS0_19identity_decomposerENS1_16block_id_wrapperIjLb0EEEEE10hipError_tT1_PNSt15iterator_traitsISI_E10value_typeET2_T3_PNSJ_ISO_E10value_typeET4_T5_PST_SU_PNS1_23onesweep_lookback_stateEbbT6_jjT7_P12ihipStream_tbENKUlT_T0_SI_SN_E_clISD_SD_SD_SD_EEDaS11_S12_SI_SN_EUlS11_E_NS1_11comp_targetILNS1_3genE0ELNS1_11target_archE4294967295ELNS1_3gpuE0ELNS1_3repE0EEENS1_47radix_sort_onesweep_sort_config_static_selectorELNS0_4arch9wavefront6targetE1EEEvSI_.private_seg_size, 0
	.set _ZN7rocprim17ROCPRIM_400000_NS6detail17trampoline_kernelINS0_14default_configENS1_35radix_sort_onesweep_config_selectorIiiEEZZNS1_29radix_sort_onesweep_iterationIS3_Lb1EN6thrust23THRUST_200600_302600_NS6detail15normal_iteratorINS8_10device_ptrIiEEEESD_SD_SD_jNS0_19identity_decomposerENS1_16block_id_wrapperIjLb0EEEEE10hipError_tT1_PNSt15iterator_traitsISI_E10value_typeET2_T3_PNSJ_ISO_E10value_typeET4_T5_PST_SU_PNS1_23onesweep_lookback_stateEbbT6_jjT7_P12ihipStream_tbENKUlT_T0_SI_SN_E_clISD_SD_SD_SD_EEDaS11_S12_SI_SN_EUlS11_E_NS1_11comp_targetILNS1_3genE0ELNS1_11target_archE4294967295ELNS1_3gpuE0ELNS1_3repE0EEENS1_47radix_sort_onesweep_sort_config_static_selectorELNS0_4arch9wavefront6targetE1EEEvSI_.uses_vcc, 0
	.set _ZN7rocprim17ROCPRIM_400000_NS6detail17trampoline_kernelINS0_14default_configENS1_35radix_sort_onesweep_config_selectorIiiEEZZNS1_29radix_sort_onesweep_iterationIS3_Lb1EN6thrust23THRUST_200600_302600_NS6detail15normal_iteratorINS8_10device_ptrIiEEEESD_SD_SD_jNS0_19identity_decomposerENS1_16block_id_wrapperIjLb0EEEEE10hipError_tT1_PNSt15iterator_traitsISI_E10value_typeET2_T3_PNSJ_ISO_E10value_typeET4_T5_PST_SU_PNS1_23onesweep_lookback_stateEbbT6_jjT7_P12ihipStream_tbENKUlT_T0_SI_SN_E_clISD_SD_SD_SD_EEDaS11_S12_SI_SN_EUlS11_E_NS1_11comp_targetILNS1_3genE0ELNS1_11target_archE4294967295ELNS1_3gpuE0ELNS1_3repE0EEENS1_47radix_sort_onesweep_sort_config_static_selectorELNS0_4arch9wavefront6targetE1EEEvSI_.uses_flat_scratch, 0
	.set _ZN7rocprim17ROCPRIM_400000_NS6detail17trampoline_kernelINS0_14default_configENS1_35radix_sort_onesweep_config_selectorIiiEEZZNS1_29radix_sort_onesweep_iterationIS3_Lb1EN6thrust23THRUST_200600_302600_NS6detail15normal_iteratorINS8_10device_ptrIiEEEESD_SD_SD_jNS0_19identity_decomposerENS1_16block_id_wrapperIjLb0EEEEE10hipError_tT1_PNSt15iterator_traitsISI_E10value_typeET2_T3_PNSJ_ISO_E10value_typeET4_T5_PST_SU_PNS1_23onesweep_lookback_stateEbbT6_jjT7_P12ihipStream_tbENKUlT_T0_SI_SN_E_clISD_SD_SD_SD_EEDaS11_S12_SI_SN_EUlS11_E_NS1_11comp_targetILNS1_3genE0ELNS1_11target_archE4294967295ELNS1_3gpuE0ELNS1_3repE0EEENS1_47radix_sort_onesweep_sort_config_static_selectorELNS0_4arch9wavefront6targetE1EEEvSI_.has_dyn_sized_stack, 0
	.set _ZN7rocprim17ROCPRIM_400000_NS6detail17trampoline_kernelINS0_14default_configENS1_35radix_sort_onesweep_config_selectorIiiEEZZNS1_29radix_sort_onesweep_iterationIS3_Lb1EN6thrust23THRUST_200600_302600_NS6detail15normal_iteratorINS8_10device_ptrIiEEEESD_SD_SD_jNS0_19identity_decomposerENS1_16block_id_wrapperIjLb0EEEEE10hipError_tT1_PNSt15iterator_traitsISI_E10value_typeET2_T3_PNSJ_ISO_E10value_typeET4_T5_PST_SU_PNS1_23onesweep_lookback_stateEbbT6_jjT7_P12ihipStream_tbENKUlT_T0_SI_SN_E_clISD_SD_SD_SD_EEDaS11_S12_SI_SN_EUlS11_E_NS1_11comp_targetILNS1_3genE0ELNS1_11target_archE4294967295ELNS1_3gpuE0ELNS1_3repE0EEENS1_47radix_sort_onesweep_sort_config_static_selectorELNS0_4arch9wavefront6targetE1EEEvSI_.has_recursion, 0
	.set _ZN7rocprim17ROCPRIM_400000_NS6detail17trampoline_kernelINS0_14default_configENS1_35radix_sort_onesweep_config_selectorIiiEEZZNS1_29radix_sort_onesweep_iterationIS3_Lb1EN6thrust23THRUST_200600_302600_NS6detail15normal_iteratorINS8_10device_ptrIiEEEESD_SD_SD_jNS0_19identity_decomposerENS1_16block_id_wrapperIjLb0EEEEE10hipError_tT1_PNSt15iterator_traitsISI_E10value_typeET2_T3_PNSJ_ISO_E10value_typeET4_T5_PST_SU_PNS1_23onesweep_lookback_stateEbbT6_jjT7_P12ihipStream_tbENKUlT_T0_SI_SN_E_clISD_SD_SD_SD_EEDaS11_S12_SI_SN_EUlS11_E_NS1_11comp_targetILNS1_3genE0ELNS1_11target_archE4294967295ELNS1_3gpuE0ELNS1_3repE0EEENS1_47radix_sort_onesweep_sort_config_static_selectorELNS0_4arch9wavefront6targetE1EEEvSI_.has_indirect_call, 0
	.section	.AMDGPU.csdata,"",@progbits
; Kernel info:
; codeLenInByte = 0
; TotalNumSgprs: 6
; NumVgprs: 0
; NumAgprs: 0
; TotalNumVgprs: 0
; ScratchSize: 0
; MemoryBound: 0
; FloatMode: 240
; IeeeMode: 1
; LDSByteSize: 0 bytes/workgroup (compile time only)
; SGPRBlocks: 0
; VGPRBlocks: 0
; NumSGPRsForWavesPerEU: 6
; NumVGPRsForWavesPerEU: 1
; AccumOffset: 4
; Occupancy: 8
; WaveLimiterHint : 0
; COMPUTE_PGM_RSRC2:SCRATCH_EN: 0
; COMPUTE_PGM_RSRC2:USER_SGPR: 2
; COMPUTE_PGM_RSRC2:TRAP_HANDLER: 0
; COMPUTE_PGM_RSRC2:TGID_X_EN: 1
; COMPUTE_PGM_RSRC2:TGID_Y_EN: 0
; COMPUTE_PGM_RSRC2:TGID_Z_EN: 0
; COMPUTE_PGM_RSRC2:TIDIG_COMP_CNT: 0
; COMPUTE_PGM_RSRC3_GFX90A:ACCUM_OFFSET: 0
; COMPUTE_PGM_RSRC3_GFX90A:TG_SPLIT: 0
	.section	.text._ZN7rocprim17ROCPRIM_400000_NS6detail17trampoline_kernelINS0_14default_configENS1_35radix_sort_onesweep_config_selectorIiiEEZZNS1_29radix_sort_onesweep_iterationIS3_Lb1EN6thrust23THRUST_200600_302600_NS6detail15normal_iteratorINS8_10device_ptrIiEEEESD_SD_SD_jNS0_19identity_decomposerENS1_16block_id_wrapperIjLb0EEEEE10hipError_tT1_PNSt15iterator_traitsISI_E10value_typeET2_T3_PNSJ_ISO_E10value_typeET4_T5_PST_SU_PNS1_23onesweep_lookback_stateEbbT6_jjT7_P12ihipStream_tbENKUlT_T0_SI_SN_E_clISD_SD_SD_SD_EEDaS11_S12_SI_SN_EUlS11_E_NS1_11comp_targetILNS1_3genE6ELNS1_11target_archE950ELNS1_3gpuE13ELNS1_3repE0EEENS1_47radix_sort_onesweep_sort_config_static_selectorELNS0_4arch9wavefront6targetE1EEEvSI_,"axG",@progbits,_ZN7rocprim17ROCPRIM_400000_NS6detail17trampoline_kernelINS0_14default_configENS1_35radix_sort_onesweep_config_selectorIiiEEZZNS1_29radix_sort_onesweep_iterationIS3_Lb1EN6thrust23THRUST_200600_302600_NS6detail15normal_iteratorINS8_10device_ptrIiEEEESD_SD_SD_jNS0_19identity_decomposerENS1_16block_id_wrapperIjLb0EEEEE10hipError_tT1_PNSt15iterator_traitsISI_E10value_typeET2_T3_PNSJ_ISO_E10value_typeET4_T5_PST_SU_PNS1_23onesweep_lookback_stateEbbT6_jjT7_P12ihipStream_tbENKUlT_T0_SI_SN_E_clISD_SD_SD_SD_EEDaS11_S12_SI_SN_EUlS11_E_NS1_11comp_targetILNS1_3genE6ELNS1_11target_archE950ELNS1_3gpuE13ELNS1_3repE0EEENS1_47radix_sort_onesweep_sort_config_static_selectorELNS0_4arch9wavefront6targetE1EEEvSI_,comdat
	.protected	_ZN7rocprim17ROCPRIM_400000_NS6detail17trampoline_kernelINS0_14default_configENS1_35radix_sort_onesweep_config_selectorIiiEEZZNS1_29radix_sort_onesweep_iterationIS3_Lb1EN6thrust23THRUST_200600_302600_NS6detail15normal_iteratorINS8_10device_ptrIiEEEESD_SD_SD_jNS0_19identity_decomposerENS1_16block_id_wrapperIjLb0EEEEE10hipError_tT1_PNSt15iterator_traitsISI_E10value_typeET2_T3_PNSJ_ISO_E10value_typeET4_T5_PST_SU_PNS1_23onesweep_lookback_stateEbbT6_jjT7_P12ihipStream_tbENKUlT_T0_SI_SN_E_clISD_SD_SD_SD_EEDaS11_S12_SI_SN_EUlS11_E_NS1_11comp_targetILNS1_3genE6ELNS1_11target_archE950ELNS1_3gpuE13ELNS1_3repE0EEENS1_47radix_sort_onesweep_sort_config_static_selectorELNS0_4arch9wavefront6targetE1EEEvSI_ ; -- Begin function _ZN7rocprim17ROCPRIM_400000_NS6detail17trampoline_kernelINS0_14default_configENS1_35radix_sort_onesweep_config_selectorIiiEEZZNS1_29radix_sort_onesweep_iterationIS3_Lb1EN6thrust23THRUST_200600_302600_NS6detail15normal_iteratorINS8_10device_ptrIiEEEESD_SD_SD_jNS0_19identity_decomposerENS1_16block_id_wrapperIjLb0EEEEE10hipError_tT1_PNSt15iterator_traitsISI_E10value_typeET2_T3_PNSJ_ISO_E10value_typeET4_T5_PST_SU_PNS1_23onesweep_lookback_stateEbbT6_jjT7_P12ihipStream_tbENKUlT_T0_SI_SN_E_clISD_SD_SD_SD_EEDaS11_S12_SI_SN_EUlS11_E_NS1_11comp_targetILNS1_3genE6ELNS1_11target_archE950ELNS1_3gpuE13ELNS1_3repE0EEENS1_47radix_sort_onesweep_sort_config_static_selectorELNS0_4arch9wavefront6targetE1EEEvSI_
	.globl	_ZN7rocprim17ROCPRIM_400000_NS6detail17trampoline_kernelINS0_14default_configENS1_35radix_sort_onesweep_config_selectorIiiEEZZNS1_29radix_sort_onesweep_iterationIS3_Lb1EN6thrust23THRUST_200600_302600_NS6detail15normal_iteratorINS8_10device_ptrIiEEEESD_SD_SD_jNS0_19identity_decomposerENS1_16block_id_wrapperIjLb0EEEEE10hipError_tT1_PNSt15iterator_traitsISI_E10value_typeET2_T3_PNSJ_ISO_E10value_typeET4_T5_PST_SU_PNS1_23onesweep_lookback_stateEbbT6_jjT7_P12ihipStream_tbENKUlT_T0_SI_SN_E_clISD_SD_SD_SD_EEDaS11_S12_SI_SN_EUlS11_E_NS1_11comp_targetILNS1_3genE6ELNS1_11target_archE950ELNS1_3gpuE13ELNS1_3repE0EEENS1_47radix_sort_onesweep_sort_config_static_selectorELNS0_4arch9wavefront6targetE1EEEvSI_
	.p2align	8
	.type	_ZN7rocprim17ROCPRIM_400000_NS6detail17trampoline_kernelINS0_14default_configENS1_35radix_sort_onesweep_config_selectorIiiEEZZNS1_29radix_sort_onesweep_iterationIS3_Lb1EN6thrust23THRUST_200600_302600_NS6detail15normal_iteratorINS8_10device_ptrIiEEEESD_SD_SD_jNS0_19identity_decomposerENS1_16block_id_wrapperIjLb0EEEEE10hipError_tT1_PNSt15iterator_traitsISI_E10value_typeET2_T3_PNSJ_ISO_E10value_typeET4_T5_PST_SU_PNS1_23onesweep_lookback_stateEbbT6_jjT7_P12ihipStream_tbENKUlT_T0_SI_SN_E_clISD_SD_SD_SD_EEDaS11_S12_SI_SN_EUlS11_E_NS1_11comp_targetILNS1_3genE6ELNS1_11target_archE950ELNS1_3gpuE13ELNS1_3repE0EEENS1_47radix_sort_onesweep_sort_config_static_selectorELNS0_4arch9wavefront6targetE1EEEvSI_,@function
_ZN7rocprim17ROCPRIM_400000_NS6detail17trampoline_kernelINS0_14default_configENS1_35radix_sort_onesweep_config_selectorIiiEEZZNS1_29radix_sort_onesweep_iterationIS3_Lb1EN6thrust23THRUST_200600_302600_NS6detail15normal_iteratorINS8_10device_ptrIiEEEESD_SD_SD_jNS0_19identity_decomposerENS1_16block_id_wrapperIjLb0EEEEE10hipError_tT1_PNSt15iterator_traitsISI_E10value_typeET2_T3_PNSJ_ISO_E10value_typeET4_T5_PST_SU_PNS1_23onesweep_lookback_stateEbbT6_jjT7_P12ihipStream_tbENKUlT_T0_SI_SN_E_clISD_SD_SD_SD_EEDaS11_S12_SI_SN_EUlS11_E_NS1_11comp_targetILNS1_3genE6ELNS1_11target_archE950ELNS1_3gpuE13ELNS1_3repE0EEENS1_47radix_sort_onesweep_sort_config_static_selectorELNS0_4arch9wavefront6targetE1EEEvSI_: ; @_ZN7rocprim17ROCPRIM_400000_NS6detail17trampoline_kernelINS0_14default_configENS1_35radix_sort_onesweep_config_selectorIiiEEZZNS1_29radix_sort_onesweep_iterationIS3_Lb1EN6thrust23THRUST_200600_302600_NS6detail15normal_iteratorINS8_10device_ptrIiEEEESD_SD_SD_jNS0_19identity_decomposerENS1_16block_id_wrapperIjLb0EEEEE10hipError_tT1_PNSt15iterator_traitsISI_E10value_typeET2_T3_PNSJ_ISO_E10value_typeET4_T5_PST_SU_PNS1_23onesweep_lookback_stateEbbT6_jjT7_P12ihipStream_tbENKUlT_T0_SI_SN_E_clISD_SD_SD_SD_EEDaS11_S12_SI_SN_EUlS11_E_NS1_11comp_targetILNS1_3genE6ELNS1_11target_archE950ELNS1_3gpuE13ELNS1_3repE0EEENS1_47radix_sort_onesweep_sort_config_static_selectorELNS0_4arch9wavefront6targetE1EEEvSI_
; %bb.0:
	s_load_dwordx8 s[52:59], s[0:1], 0x0
	s_load_dwordx4 s[64:67], s[0:1], 0x44
	s_load_dwordx4 s[60:63], s[0:1], 0x28
	s_load_dwordx2 s[50:51], s[0:1], 0x38
	s_mov_b64 s[4:5], -1
	v_mbcnt_lo_u32_b32 v1, -1, 0
	s_waitcnt lgkmcnt(0)
	s_cmp_ge_u32 s2, s66
	s_cbranch_scc0 .LBB1027_204
; %bb.1:
	s_load_dword s3, s[0:1], 0x20
	s_lshl_b32 s6, s66, 14
	s_lshl_b32 s4, s2, 14
	s_mov_b32 s5, 0
	v_and_b32_e32 v2, 0x3ff, v0
	s_waitcnt lgkmcnt(0)
	s_sub_i32 s3, s3, s6
	s_lshl_b64 s[66:67], s[4:5], 2
	v_mbcnt_hi_u32_b32 v12, -1, v1
	s_add_u32 s4, s52, s66
	v_and_b32_e32 v10, 63, v12
	v_lshlrev_b32_e32 v4, 4, v2
	s_addc_u32 s5, s53, s67
	v_and_b32_e32 v11, 0x3c00, v4
	v_mov_b32_e32 v5, 0
	v_lshlrev_b32_e32 v4, 2, v10
	v_lshl_add_u64 v[8:9], s[4:5], 0, v[4:5]
	v_lshlrev_b32_e32 v6, 2, v11
	v_mov_b32_e32 v7, v5
	v_or_b32_e32 v10, v10, v11
	v_mov_b32_e32 v3, -1
	v_lshl_add_u64 v[8:9], v[8:9], 0, v[6:7]
	v_cmp_gt_u32_e32 vcc, s3, v10
	v_mov_b32_e32 v5, -1
	s_and_saveexec_b64 s[4:5], vcc
	s_cbranch_execz .LBB1027_3
; %bb.2:
	global_load_dword v5, v[8:9], off
	s_waitcnt vmcnt(0)
	v_xor_b32_e32 v5, 0x7fffffff, v5
.LBB1027_3:
	s_or_b64 exec, exec, s[4:5]
	v_or_b32_e32 v7, 64, v10
	v_cmp_gt_u32_e64 s[42:43], s3, v7
	s_and_saveexec_b64 s[4:5], s[42:43]
	s_cbranch_execz .LBB1027_5
; %bb.4:
	global_load_dword v3, v[8:9], off offset:256
	s_waitcnt vmcnt(0)
	v_xor_b32_e32 v3, 0x7fffffff, v3
.LBB1027_5:
	s_or_b64 exec, exec, s[4:5]
	v_or_b32_e32 v7, 0x80, v10
	v_cmp_gt_u32_e64 s[4:5], s3, v7
	v_mov_b32_e32 v7, -1
	v_mov_b32_e32 v14, -1
	s_and_saveexec_b64 s[6:7], s[4:5]
	s_cbranch_execz .LBB1027_7
; %bb.6:
	global_load_dword v11, v[8:9], off offset:512
	s_waitcnt vmcnt(0)
	v_xor_b32_e32 v14, 0x7fffffff, v11
.LBB1027_7:
	s_or_b64 exec, exec, s[6:7]
	v_or_b32_e32 v11, 0xc0, v10
	v_cmp_gt_u32_e64 s[6:7], s3, v11
	s_and_saveexec_b64 s[8:9], s[6:7]
	s_cbranch_execz .LBB1027_9
; %bb.8:
	global_load_dword v7, v[8:9], off offset:768
	s_waitcnt vmcnt(0)
	v_xor_b32_e32 v7, 0x7fffffff, v7
.LBB1027_9:
	s_or_b64 exec, exec, s[8:9]
	v_or_b32_e32 v11, 0x100, v10
	v_cmp_gt_u32_e64 s[8:9], s3, v11
	v_mov_b32_e32 v15, -1
	v_mov_b32_e32 v16, -1
	s_and_saveexec_b64 s[10:11], s[8:9]
	s_cbranch_execz .LBB1027_11
; %bb.10:
	global_load_dword v11, v[8:9], off offset:1024
	s_waitcnt vmcnt(0)
	v_xor_b32_e32 v16, 0x7fffffff, v11
.LBB1027_11:
	;; [unrolled: 22-line block ×7, first 2 shown]
	s_or_b64 exec, exec, s[30:31]
	v_or_b32_e32 v10, 0x3c0, v10
	v_cmp_gt_u32_e64 s[30:31], s3, v10
	s_and_saveexec_b64 s[34:35], s[30:31]
	s_cbranch_execz .LBB1027_33
; %bb.32:
	global_load_dword v8, v[8:9], off offset:3840
	s_waitcnt vmcnt(0)
	v_xor_b32_e32 v25, 0x7fffffff, v8
.LBB1027_33:
	s_or_b64 exec, exec, s[34:35]
	s_load_dword s34, s[0:1], 0x64
	s_load_dword s33, s[0:1], 0x58
	s_add_u32 s35, s0, 0x58
	s_addc_u32 s36, s1, 0
	v_mov_b32_e32 v9, 0
	s_waitcnt lgkmcnt(0)
	s_lshr_b32 s37, s34, 16
	s_cmp_lt_u32 s2, s33
	s_cselect_b32 s34, 12, 18
	s_add_u32 s34, s35, s34
	s_addc_u32 s35, s36, 0
	global_load_ushort v27, v9, s[34:35]
	v_lshrrev_b32_e32 v29, s64, v5
	s_lshl_b32 s34, -1, s65
	v_bfe_u32 v8, v0, 10, 10
	v_bfe_u32 v11, v0, 20, 10
	v_bitop3_b32 v38, v29, s34, v29 bitop3:0x30
	s_movk_i32 s69, 0x44
	v_mad_u32_u24 v40, v11, s37, v8
	v_and_b32_e32 v8, 1, v38
	v_lshlrev_b32_e32 v11, 30, v38
	v_mov_b32_e32 v10, v9
	v_mov_b32_e32 v30, v9
	s_not_b32 s68, s34
	v_mul_lo_u32 v42, v38, s69
	v_lshlrev_b32_e32 v29, 29, v38
	v_lshlrev_b32_e32 v31, 28, v38
	;; [unrolled: 1-line block ×6, first 2 shown]
	v_lshl_add_u64 v[38:39], v[8:9], 0, -1
	v_cmp_ne_u32_e64 s[34:35], 0, v8
	v_not_b32_e32 v8, v11
	v_mov_b32_e32 v28, v9
	v_mov_b32_e32 v32, v9
	v_cmp_gt_i64_e64 s[36:37], 0, v[10:11]
	v_not_b32_e32 v10, v29
	v_cmp_gt_i64_e64 s[40:41], 0, v[30:31]
	v_not_b32_e32 v11, v31
	v_xor_b32_e32 v31, s35, v39
	v_ashrrev_i32_e32 v8, 31, v8
	v_mov_b32_e32 v34, v9
	v_cmp_gt_i64_e64 s[38:39], 0, v[28:29]
	v_cmp_gt_i64_e64 s[44:45], 0, v[32:33]
	v_not_b32_e32 v28, v33
	v_xor_b32_e32 v32, s34, v38
	v_ashrrev_i32_e32 v10, 31, v10
	v_and_b32_e32 v31, exec_hi, v31
	v_xor_b32_e32 v33, s37, v8
	v_cmp_gt_i64_e64 s[46:47], 0, v[34:35]
	v_ashrrev_i32_e32 v11, 31, v11
	v_and_b32_e32 v32, exec_lo, v32
	v_xor_b32_e32 v8, s36, v8
	v_xor_b32_e32 v34, s39, v10
	v_and_b32_e32 v31, v31, v33
	v_mov_b32_e32 v36, v9
	v_not_b32_e32 v29, v35
	v_ashrrev_i32_e32 v28, 31, v28
	v_xor_b32_e32 v10, s38, v10
	v_xor_b32_e32 v35, s41, v11
	v_and_b32_e32 v8, v32, v8
	v_and_b32_e32 v31, v31, v34
	v_cmp_gt_i64_e64 s[48:49], 0, v[36:37]
	v_not_b32_e32 v30, v37
	v_ashrrev_i32_e32 v29, 31, v29
	v_xor_b32_e32 v36, s45, v28
	v_and_b32_e32 v8, v8, v10
	v_and_b32_e32 v10, v31, v35
	v_ashrrev_i32_e32 v30, 31, v30
	v_xor_b32_e32 v11, s40, v11
	v_xor_b32_e32 v37, s47, v29
	v_and_b32_e32 v10, v10, v36
	v_xor_b32_e32 v28, s44, v28
	v_xor_b32_e32 v38, s49, v30
	v_and_b32_e32 v8, v8, v11
	v_and_b32_e32 v10, v10, v37
	;; [unrolled: 1-line block ×4, first 2 shown]
	v_xor_b32_e32 v29, s46, v29
	v_xor_b32_e32 v30, s48, v30
	v_and_b32_e32 v8, v8, v29
	v_and_b32_e32 v8, v8, v30
	v_mul_u32_u24_e32 v13, 20, v2
	ds_write2_b32 v13, v9, v9 offset0:16 offset1:17
	ds_write2_b32 v13, v9, v9 offset0:18 offset1:19
	ds_write_b32 v13, v9 offset:80
	s_waitcnt lgkmcnt(0)
	s_barrier
	s_waitcnt vmcnt(0)
	; wave barrier
	v_mad_u64_u32 v[10:11], s[34:35], v40, v27, v[2:3]
	v_lshrrev_b32_e32 v38, 6, v10
	v_mov_b32_e32 v40, v9
	v_not_b32_e32 v10, v41
	v_cmp_gt_i64_e64 s[34:35], 0, v[40:41]
	v_ashrrev_i32_e32 v10, 31, v10
	v_lshl_add_u32 v31, v38, 2, v42
	v_xor_b32_e32 v11, s35, v10
	v_xor_b32_e32 v10, s34, v10
	v_and_b32_e32 v10, v8, v10
	v_and_b32_e32 v11, v28, v11
	v_mbcnt_lo_u32_b32 v8, v10, 0
	v_mbcnt_hi_u32_b32 v28, v11, v8
	v_cmp_eq_u32_e64 s[34:35], 0, v28
	v_cmp_ne_u64_e64 s[36:37], 0, v[10:11]
	s_and_b64 s[36:37], s[36:37], s[34:35]
	s_and_saveexec_b64 s[34:35], s[36:37]
; %bb.34:
	v_bcnt_u32_b32 v8, v10, 0
	v_bcnt_u32_b32 v8, v11, v8
	ds_write_b32 v31, v8 offset:64
; %bb.35:
	s_or_b64 exec, exec, s[34:35]
	v_lshrrev_b32_e32 v8, s64, v3
	v_and_b32_e32 v29, s68, v8
	v_mul_lo_u32 v8, v29, s69
	v_lshl_add_u32 v33, v38, 2, v8
	v_and_b32_e32 v8, 1, v29
	v_lshl_add_u64 v[10:11], v[8:9], 0, -1
	v_cmp_ne_u32_e64 s[34:35], 0, v8
	; wave barrier
	s_nop 1
	v_xor_b32_e32 v10, s34, v10
	v_xor_b32_e32 v8, s35, v11
	v_and_b32_e32 v30, exec_lo, v10
	v_lshlrev_b32_e32 v11, 30, v29
	v_mov_b32_e32 v10, v9
	v_cmp_gt_i64_e64 s[34:35], 0, v[10:11]
	v_not_b32_e32 v10, v11
	v_ashrrev_i32_e32 v10, 31, v10
	v_and_b32_e32 v8, exec_hi, v8
	v_xor_b32_e32 v11, s35, v10
	v_xor_b32_e32 v10, s34, v10
	v_and_b32_e32 v8, v8, v11
	v_and_b32_e32 v30, v30, v10
	v_lshlrev_b32_e32 v11, 29, v29
	v_mov_b32_e32 v10, v9
	v_cmp_gt_i64_e64 s[34:35], 0, v[10:11]
	v_not_b32_e32 v10, v11
	v_ashrrev_i32_e32 v10, 31, v10
	v_xor_b32_e32 v11, s35, v10
	v_xor_b32_e32 v10, s34, v10
	v_and_b32_e32 v8, v8, v11
	v_and_b32_e32 v30, v30, v10
	v_lshlrev_b32_e32 v11, 28, v29
	v_mov_b32_e32 v10, v9
	v_cmp_gt_i64_e64 s[34:35], 0, v[10:11]
	v_not_b32_e32 v10, v11
	v_ashrrev_i32_e32 v10, 31, v10
	;; [unrolled: 9-line block ×5, first 2 shown]
	v_xor_b32_e32 v11, s35, v10
	v_xor_b32_e32 v10, s34, v10
	v_and_b32_e32 v8, v8, v11
	v_lshlrev_b32_e32 v11, 24, v29
	v_and_b32_e32 v30, v30, v10
	v_mov_b32_e32 v10, v9
	v_not_b32_e32 v9, v11
	v_cmp_gt_i64_e64 s[34:35], 0, v[10:11]
	v_ashrrev_i32_e32 v9, 31, v9
	ds_read_b32 v27, v33 offset:64
	v_xor_b32_e32 v10, s35, v9
	v_xor_b32_e32 v11, s34, v9
	v_and_b32_e32 v9, v8, v10
	v_and_b32_e32 v8, v30, v11
	v_mbcnt_lo_u32_b32 v10, v8, 0
	v_mbcnt_hi_u32_b32 v29, v9, v10
	v_cmp_eq_u32_e64 s[34:35], 0, v29
	v_cmp_ne_u64_e64 s[36:37], 0, v[8:9]
	s_and_b64 s[36:37], s[36:37], s[34:35]
	; wave barrier
	s_and_saveexec_b64 s[34:35], s[36:37]
	s_cbranch_execz .LBB1027_37
; %bb.36:
	v_bcnt_u32_b32 v8, v8, 0
	v_bcnt_u32_b32 v8, v9, v8
	s_waitcnt lgkmcnt(0)
	v_add_u32_e32 v8, v27, v8
	ds_write_b32 v33, v8 offset:64
.LBB1027_37:
	s_or_b64 exec, exec, s[34:35]
	v_lshrrev_b32_e32 v8, s64, v14
	v_and_b32_e32 v32, s68, v8
	s_movk_i32 s38, 0x44
	v_mul_lo_u32 v8, v32, s38
	v_lshl_add_u32 v36, v38, 2, v8
	v_and_b32_e32 v8, 1, v32
	v_mov_b32_e32 v9, 0
	v_lshl_add_u64 v[10:11], v[8:9], 0, -1
	v_cmp_ne_u32_e64 s[34:35], 0, v8
	; wave barrier
	s_nop 1
	v_xor_b32_e32 v10, s34, v10
	v_xor_b32_e32 v8, s35, v11
	v_and_b32_e32 v34, exec_lo, v10
	v_lshlrev_b32_e32 v11, 30, v32
	v_mov_b32_e32 v10, v9
	v_cmp_gt_i64_e64 s[34:35], 0, v[10:11]
	v_not_b32_e32 v10, v11
	v_ashrrev_i32_e32 v10, 31, v10
	v_and_b32_e32 v8, exec_hi, v8
	v_xor_b32_e32 v11, s35, v10
	v_xor_b32_e32 v10, s34, v10
	v_and_b32_e32 v8, v8, v11
	v_and_b32_e32 v34, v34, v10
	v_lshlrev_b32_e32 v11, 29, v32
	v_mov_b32_e32 v10, v9
	v_cmp_gt_i64_e64 s[34:35], 0, v[10:11]
	v_not_b32_e32 v10, v11
	v_ashrrev_i32_e32 v10, 31, v10
	v_xor_b32_e32 v11, s35, v10
	v_xor_b32_e32 v10, s34, v10
	v_and_b32_e32 v8, v8, v11
	v_and_b32_e32 v34, v34, v10
	v_lshlrev_b32_e32 v11, 28, v32
	v_mov_b32_e32 v10, v9
	v_cmp_gt_i64_e64 s[34:35], 0, v[10:11]
	v_not_b32_e32 v10, v11
	v_ashrrev_i32_e32 v10, 31, v10
	;; [unrolled: 9-line block ×6, first 2 shown]
	v_xor_b32_e32 v11, s35, v10
	v_xor_b32_e32 v10, s34, v10
	ds_read_b32 v30, v36 offset:64
	v_and_b32_e32 v10, v34, v10
	v_and_b32_e32 v11, v8, v11
	v_mbcnt_lo_u32_b32 v8, v10, 0
	v_mbcnt_hi_u32_b32 v32, v11, v8
	v_cmp_eq_u32_e64 s[34:35], 0, v32
	v_cmp_ne_u64_e64 s[36:37], 0, v[10:11]
	s_and_b64 s[36:37], s[36:37], s[34:35]
	; wave barrier
	s_and_saveexec_b64 s[34:35], s[36:37]
	s_cbranch_execz .LBB1027_39
; %bb.38:
	v_bcnt_u32_b32 v8, v10, 0
	v_bcnt_u32_b32 v8, v11, v8
	s_waitcnt lgkmcnt(0)
	v_add_u32_e32 v8, v30, v8
	ds_write_b32 v36, v8 offset:64
.LBB1027_39:
	s_or_b64 exec, exec, s[34:35]
	v_lshrrev_b32_e32 v8, s64, v7
	v_and_b32_e32 v35, s68, v8
	v_mul_lo_u32 v8, v35, s38
	v_lshl_add_u32 v40, v38, 2, v8
	v_and_b32_e32 v8, 1, v35
	v_lshl_add_u64 v[10:11], v[8:9], 0, -1
	v_cmp_ne_u32_e64 s[34:35], 0, v8
	; wave barrier
	s_nop 1
	v_xor_b32_e32 v10, s34, v10
	v_xor_b32_e32 v8, s35, v11
	v_and_b32_e32 v37, exec_lo, v10
	v_lshlrev_b32_e32 v11, 30, v35
	v_mov_b32_e32 v10, v9
	v_cmp_gt_i64_e64 s[34:35], 0, v[10:11]
	v_not_b32_e32 v10, v11
	v_ashrrev_i32_e32 v10, 31, v10
	v_and_b32_e32 v8, exec_hi, v8
	v_xor_b32_e32 v11, s35, v10
	v_xor_b32_e32 v10, s34, v10
	v_and_b32_e32 v8, v8, v11
	v_and_b32_e32 v37, v37, v10
	v_lshlrev_b32_e32 v11, 29, v35
	v_mov_b32_e32 v10, v9
	v_cmp_gt_i64_e64 s[34:35], 0, v[10:11]
	v_not_b32_e32 v10, v11
	v_ashrrev_i32_e32 v10, 31, v10
	v_xor_b32_e32 v11, s35, v10
	v_xor_b32_e32 v10, s34, v10
	v_and_b32_e32 v8, v8, v11
	v_and_b32_e32 v37, v37, v10
	v_lshlrev_b32_e32 v11, 28, v35
	v_mov_b32_e32 v10, v9
	v_cmp_gt_i64_e64 s[34:35], 0, v[10:11]
	v_not_b32_e32 v10, v11
	v_ashrrev_i32_e32 v10, 31, v10
	;; [unrolled: 9-line block ×5, first 2 shown]
	v_xor_b32_e32 v11, s35, v10
	v_xor_b32_e32 v10, s34, v10
	v_and_b32_e32 v8, v8, v11
	v_lshlrev_b32_e32 v11, 24, v35
	v_and_b32_e32 v37, v37, v10
	v_mov_b32_e32 v10, v9
	v_not_b32_e32 v9, v11
	v_cmp_gt_i64_e64 s[34:35], 0, v[10:11]
	v_ashrrev_i32_e32 v9, 31, v9
	ds_read_b32 v34, v40 offset:64
	v_xor_b32_e32 v10, s35, v9
	v_xor_b32_e32 v11, s34, v9
	v_and_b32_e32 v9, v8, v10
	v_and_b32_e32 v8, v37, v11
	v_mbcnt_lo_u32_b32 v10, v8, 0
	v_mbcnt_hi_u32_b32 v35, v9, v10
	v_cmp_eq_u32_e64 s[34:35], 0, v35
	v_cmp_ne_u64_e64 s[36:37], 0, v[8:9]
	s_and_b64 s[36:37], s[36:37], s[34:35]
	; wave barrier
	s_and_saveexec_b64 s[34:35], s[36:37]
	s_cbranch_execz .LBB1027_41
; %bb.40:
	v_bcnt_u32_b32 v8, v8, 0
	v_bcnt_u32_b32 v8, v9, v8
	s_waitcnt lgkmcnt(0)
	v_add_u32_e32 v8, v34, v8
	ds_write_b32 v40, v8 offset:64
.LBB1027_41:
	s_or_b64 exec, exec, s[34:35]
	v_lshrrev_b32_e32 v8, s64, v16
	v_and_b32_e32 v39, s68, v8
	v_mul_lo_u32 v8, v39, s38
	v_lshl_add_u32 v43, v38, 2, v8
	v_and_b32_e32 v8, 1, v39
	v_mov_b32_e32 v9, 0
	v_lshl_add_u64 v[10:11], v[8:9], 0, -1
	v_cmp_ne_u32_e64 s[34:35], 0, v8
	; wave barrier
	s_nop 1
	v_xor_b32_e32 v10, s34, v10
	v_xor_b32_e32 v8, s35, v11
	v_and_b32_e32 v41, exec_lo, v10
	v_lshlrev_b32_e32 v11, 30, v39
	v_mov_b32_e32 v10, v9
	v_cmp_gt_i64_e64 s[34:35], 0, v[10:11]
	v_not_b32_e32 v10, v11
	v_ashrrev_i32_e32 v10, 31, v10
	v_and_b32_e32 v8, exec_hi, v8
	v_xor_b32_e32 v11, s35, v10
	v_xor_b32_e32 v10, s34, v10
	v_and_b32_e32 v8, v8, v11
	v_and_b32_e32 v41, v41, v10
	v_lshlrev_b32_e32 v11, 29, v39
	v_mov_b32_e32 v10, v9
	v_cmp_gt_i64_e64 s[34:35], 0, v[10:11]
	v_not_b32_e32 v10, v11
	v_ashrrev_i32_e32 v10, 31, v10
	v_xor_b32_e32 v11, s35, v10
	v_xor_b32_e32 v10, s34, v10
	v_and_b32_e32 v8, v8, v11
	v_and_b32_e32 v41, v41, v10
	v_lshlrev_b32_e32 v11, 28, v39
	v_mov_b32_e32 v10, v9
	v_cmp_gt_i64_e64 s[34:35], 0, v[10:11]
	v_not_b32_e32 v10, v11
	v_ashrrev_i32_e32 v10, 31, v10
	;; [unrolled: 9-line block ×6, first 2 shown]
	v_xor_b32_e32 v11, s35, v10
	v_xor_b32_e32 v10, s34, v10
	ds_read_b32 v37, v43 offset:64
	v_and_b32_e32 v10, v41, v10
	v_and_b32_e32 v11, v8, v11
	v_mbcnt_lo_u32_b32 v8, v10, 0
	v_mbcnt_hi_u32_b32 v39, v11, v8
	v_cmp_eq_u32_e64 s[34:35], 0, v39
	v_cmp_ne_u64_e64 s[36:37], 0, v[10:11]
	s_and_b64 s[36:37], s[36:37], s[34:35]
	; wave barrier
	s_and_saveexec_b64 s[34:35], s[36:37]
	s_cbranch_execz .LBB1027_43
; %bb.42:
	v_bcnt_u32_b32 v8, v10, 0
	v_bcnt_u32_b32 v8, v11, v8
	s_waitcnt lgkmcnt(0)
	v_add_u32_e32 v8, v37, v8
	ds_write_b32 v43, v8 offset:64
.LBB1027_43:
	s_or_b64 exec, exec, s[34:35]
	v_lshrrev_b32_e32 v8, s64, v15
	v_and_b32_e32 v42, s68, v8
	v_mul_lo_u32 v8, v42, s38
	v_lshl_add_u32 v45, v38, 2, v8
	v_and_b32_e32 v8, 1, v42
	v_lshl_add_u64 v[10:11], v[8:9], 0, -1
	v_cmp_ne_u32_e64 s[34:35], 0, v8
	; wave barrier
	s_nop 1
	v_xor_b32_e32 v10, s34, v10
	v_xor_b32_e32 v8, s35, v11
	v_and_b32_e32 v44, exec_lo, v10
	v_lshlrev_b32_e32 v11, 30, v42
	v_mov_b32_e32 v10, v9
	v_cmp_gt_i64_e64 s[34:35], 0, v[10:11]
	v_not_b32_e32 v10, v11
	v_ashrrev_i32_e32 v10, 31, v10
	v_and_b32_e32 v8, exec_hi, v8
	v_xor_b32_e32 v11, s35, v10
	v_xor_b32_e32 v10, s34, v10
	v_and_b32_e32 v8, v8, v11
	v_and_b32_e32 v44, v44, v10
	v_lshlrev_b32_e32 v11, 29, v42
	v_mov_b32_e32 v10, v9
	v_cmp_gt_i64_e64 s[34:35], 0, v[10:11]
	v_not_b32_e32 v10, v11
	v_ashrrev_i32_e32 v10, 31, v10
	v_xor_b32_e32 v11, s35, v10
	v_xor_b32_e32 v10, s34, v10
	v_and_b32_e32 v8, v8, v11
	v_and_b32_e32 v44, v44, v10
	v_lshlrev_b32_e32 v11, 28, v42
	v_mov_b32_e32 v10, v9
	v_cmp_gt_i64_e64 s[34:35], 0, v[10:11]
	v_not_b32_e32 v10, v11
	v_ashrrev_i32_e32 v10, 31, v10
	;; [unrolled: 9-line block ×5, first 2 shown]
	v_xor_b32_e32 v11, s35, v10
	v_xor_b32_e32 v10, s34, v10
	v_and_b32_e32 v8, v8, v11
	v_lshlrev_b32_e32 v11, 24, v42
	v_and_b32_e32 v44, v44, v10
	v_mov_b32_e32 v10, v9
	v_not_b32_e32 v9, v11
	v_cmp_gt_i64_e64 s[34:35], 0, v[10:11]
	v_ashrrev_i32_e32 v9, 31, v9
	ds_read_b32 v41, v45 offset:64
	v_xor_b32_e32 v10, s35, v9
	v_xor_b32_e32 v11, s34, v9
	v_and_b32_e32 v9, v8, v10
	v_and_b32_e32 v8, v44, v11
	v_mbcnt_lo_u32_b32 v10, v8, 0
	v_mbcnt_hi_u32_b32 v42, v9, v10
	v_cmp_eq_u32_e64 s[34:35], 0, v42
	v_cmp_ne_u64_e64 s[36:37], 0, v[8:9]
	s_and_b64 s[36:37], s[36:37], s[34:35]
	; wave barrier
	s_and_saveexec_b64 s[34:35], s[36:37]
	s_cbranch_execz .LBB1027_45
; %bb.44:
	v_bcnt_u32_b32 v8, v8, 0
	v_bcnt_u32_b32 v8, v9, v8
	s_waitcnt lgkmcnt(0)
	v_add_u32_e32 v8, v41, v8
	ds_write_b32 v45, v8 offset:64
.LBB1027_45:
	s_or_b64 exec, exec, s[34:35]
	v_lshrrev_b32_e32 v8, s64, v18
	v_and_b32_e32 v46, s68, v8
	v_mul_lo_u32 v8, v46, s38
	v_lshl_add_u32 v48, v38, 2, v8
	v_and_b32_e32 v8, 1, v46
	v_mov_b32_e32 v9, 0
	v_lshl_add_u64 v[10:11], v[8:9], 0, -1
	v_cmp_ne_u32_e64 s[34:35], 0, v8
	; wave barrier
	s_nop 1
	v_xor_b32_e32 v10, s34, v10
	v_xor_b32_e32 v8, s35, v11
	v_and_b32_e32 v47, exec_lo, v10
	v_lshlrev_b32_e32 v11, 30, v46
	v_mov_b32_e32 v10, v9
	v_cmp_gt_i64_e64 s[34:35], 0, v[10:11]
	v_not_b32_e32 v10, v11
	v_ashrrev_i32_e32 v10, 31, v10
	v_and_b32_e32 v8, exec_hi, v8
	v_xor_b32_e32 v11, s35, v10
	v_xor_b32_e32 v10, s34, v10
	v_and_b32_e32 v8, v8, v11
	v_and_b32_e32 v47, v47, v10
	v_lshlrev_b32_e32 v11, 29, v46
	v_mov_b32_e32 v10, v9
	v_cmp_gt_i64_e64 s[34:35], 0, v[10:11]
	v_not_b32_e32 v10, v11
	v_ashrrev_i32_e32 v10, 31, v10
	v_xor_b32_e32 v11, s35, v10
	v_xor_b32_e32 v10, s34, v10
	v_and_b32_e32 v8, v8, v11
	v_and_b32_e32 v47, v47, v10
	v_lshlrev_b32_e32 v11, 28, v46
	v_mov_b32_e32 v10, v9
	v_cmp_gt_i64_e64 s[34:35], 0, v[10:11]
	v_not_b32_e32 v10, v11
	v_ashrrev_i32_e32 v10, 31, v10
	;; [unrolled: 9-line block ×6, first 2 shown]
	v_xor_b32_e32 v11, s35, v10
	v_xor_b32_e32 v10, s34, v10
	ds_read_b32 v44, v48 offset:64
	v_and_b32_e32 v10, v47, v10
	v_and_b32_e32 v11, v8, v11
	v_mbcnt_lo_u32_b32 v8, v10, 0
	v_mbcnt_hi_u32_b32 v46, v11, v8
	v_cmp_eq_u32_e64 s[34:35], 0, v46
	v_cmp_ne_u64_e64 s[36:37], 0, v[10:11]
	s_and_b64 s[36:37], s[36:37], s[34:35]
	; wave barrier
	s_and_saveexec_b64 s[34:35], s[36:37]
	s_cbranch_execz .LBB1027_47
; %bb.46:
	v_bcnt_u32_b32 v8, v10, 0
	v_bcnt_u32_b32 v8, v11, v8
	s_waitcnt lgkmcnt(0)
	v_add_u32_e32 v8, v44, v8
	ds_write_b32 v48, v8 offset:64
.LBB1027_47:
	s_or_b64 exec, exec, s[34:35]
	v_lshrrev_b32_e32 v8, s64, v17
	v_and_b32_e32 v49, s68, v8
	v_mul_lo_u32 v8, v49, s38
	v_lshl_add_u32 v51, v38, 2, v8
	v_and_b32_e32 v8, 1, v49
	v_lshl_add_u64 v[10:11], v[8:9], 0, -1
	v_cmp_ne_u32_e64 s[34:35], 0, v8
	; wave barrier
	s_nop 1
	v_xor_b32_e32 v10, s34, v10
	v_xor_b32_e32 v8, s35, v11
	v_and_b32_e32 v50, exec_lo, v10
	v_lshlrev_b32_e32 v11, 30, v49
	v_mov_b32_e32 v10, v9
	v_cmp_gt_i64_e64 s[34:35], 0, v[10:11]
	v_not_b32_e32 v10, v11
	v_ashrrev_i32_e32 v10, 31, v10
	v_and_b32_e32 v8, exec_hi, v8
	v_xor_b32_e32 v11, s35, v10
	v_xor_b32_e32 v10, s34, v10
	v_and_b32_e32 v8, v8, v11
	v_and_b32_e32 v50, v50, v10
	v_lshlrev_b32_e32 v11, 29, v49
	v_mov_b32_e32 v10, v9
	v_cmp_gt_i64_e64 s[34:35], 0, v[10:11]
	v_not_b32_e32 v10, v11
	v_ashrrev_i32_e32 v10, 31, v10
	v_xor_b32_e32 v11, s35, v10
	v_xor_b32_e32 v10, s34, v10
	v_and_b32_e32 v8, v8, v11
	v_and_b32_e32 v50, v50, v10
	v_lshlrev_b32_e32 v11, 28, v49
	v_mov_b32_e32 v10, v9
	v_cmp_gt_i64_e64 s[34:35], 0, v[10:11]
	v_not_b32_e32 v10, v11
	v_ashrrev_i32_e32 v10, 31, v10
	;; [unrolled: 9-line block ×5, first 2 shown]
	v_xor_b32_e32 v11, s35, v10
	v_xor_b32_e32 v10, s34, v10
	v_and_b32_e32 v8, v8, v11
	v_lshlrev_b32_e32 v11, 24, v49
	v_and_b32_e32 v50, v50, v10
	v_mov_b32_e32 v10, v9
	v_not_b32_e32 v9, v11
	v_cmp_gt_i64_e64 s[34:35], 0, v[10:11]
	v_ashrrev_i32_e32 v9, 31, v9
	ds_read_b32 v47, v51 offset:64
	v_xor_b32_e32 v10, s35, v9
	v_xor_b32_e32 v11, s34, v9
	v_and_b32_e32 v9, v8, v10
	v_and_b32_e32 v8, v50, v11
	v_mbcnt_lo_u32_b32 v10, v8, 0
	v_mbcnt_hi_u32_b32 v49, v9, v10
	v_cmp_eq_u32_e64 s[34:35], 0, v49
	v_cmp_ne_u64_e64 s[36:37], 0, v[8:9]
	s_and_b64 s[36:37], s[36:37], s[34:35]
	; wave barrier
	s_and_saveexec_b64 s[34:35], s[36:37]
	s_cbranch_execz .LBB1027_49
; %bb.48:
	v_bcnt_u32_b32 v8, v8, 0
	v_bcnt_u32_b32 v8, v9, v8
	s_waitcnt lgkmcnt(0)
	v_add_u32_e32 v8, v47, v8
	ds_write_b32 v51, v8 offset:64
.LBB1027_49:
	s_or_b64 exec, exec, s[34:35]
	v_lshrrev_b32_e32 v8, s64, v20
	v_and_b32_e32 v52, s68, v8
	v_mul_lo_u32 v8, v52, s38
	v_lshl_add_u32 v54, v38, 2, v8
	v_and_b32_e32 v8, 1, v52
	v_mov_b32_e32 v9, 0
	v_lshl_add_u64 v[10:11], v[8:9], 0, -1
	v_cmp_ne_u32_e64 s[34:35], 0, v8
	; wave barrier
	s_nop 1
	v_xor_b32_e32 v10, s34, v10
	v_xor_b32_e32 v8, s35, v11
	v_and_b32_e32 v53, exec_lo, v10
	v_lshlrev_b32_e32 v11, 30, v52
	v_mov_b32_e32 v10, v9
	v_cmp_gt_i64_e64 s[34:35], 0, v[10:11]
	v_not_b32_e32 v10, v11
	v_ashrrev_i32_e32 v10, 31, v10
	v_and_b32_e32 v8, exec_hi, v8
	v_xor_b32_e32 v11, s35, v10
	v_xor_b32_e32 v10, s34, v10
	v_and_b32_e32 v8, v8, v11
	v_and_b32_e32 v53, v53, v10
	v_lshlrev_b32_e32 v11, 29, v52
	v_mov_b32_e32 v10, v9
	v_cmp_gt_i64_e64 s[34:35], 0, v[10:11]
	v_not_b32_e32 v10, v11
	v_ashrrev_i32_e32 v10, 31, v10
	v_xor_b32_e32 v11, s35, v10
	v_xor_b32_e32 v10, s34, v10
	v_and_b32_e32 v8, v8, v11
	v_and_b32_e32 v53, v53, v10
	v_lshlrev_b32_e32 v11, 28, v52
	v_mov_b32_e32 v10, v9
	v_cmp_gt_i64_e64 s[34:35], 0, v[10:11]
	v_not_b32_e32 v10, v11
	v_ashrrev_i32_e32 v10, 31, v10
	;; [unrolled: 9-line block ×6, first 2 shown]
	v_xor_b32_e32 v11, s35, v10
	v_xor_b32_e32 v10, s34, v10
	ds_read_b32 v50, v54 offset:64
	v_and_b32_e32 v10, v53, v10
	v_and_b32_e32 v11, v8, v11
	v_mbcnt_lo_u32_b32 v8, v10, 0
	v_mbcnt_hi_u32_b32 v52, v11, v8
	v_cmp_eq_u32_e64 s[34:35], 0, v52
	v_cmp_ne_u64_e64 s[36:37], 0, v[10:11]
	s_and_b64 s[36:37], s[36:37], s[34:35]
	; wave barrier
	s_and_saveexec_b64 s[34:35], s[36:37]
	s_cbranch_execz .LBB1027_51
; %bb.50:
	v_bcnt_u32_b32 v8, v10, 0
	v_bcnt_u32_b32 v8, v11, v8
	s_waitcnt lgkmcnt(0)
	v_add_u32_e32 v8, v50, v8
	ds_write_b32 v54, v8 offset:64
.LBB1027_51:
	s_or_b64 exec, exec, s[34:35]
	v_lshrrev_b32_e32 v8, s64, v19
	v_and_b32_e32 v55, s68, v8
	v_mul_lo_u32 v8, v55, s38
	v_lshl_add_u32 v57, v38, 2, v8
	v_and_b32_e32 v8, 1, v55
	v_lshl_add_u64 v[10:11], v[8:9], 0, -1
	v_cmp_ne_u32_e64 s[34:35], 0, v8
	; wave barrier
	s_nop 1
	v_xor_b32_e32 v10, s34, v10
	v_xor_b32_e32 v8, s35, v11
	v_and_b32_e32 v56, exec_lo, v10
	v_lshlrev_b32_e32 v11, 30, v55
	v_mov_b32_e32 v10, v9
	v_cmp_gt_i64_e64 s[34:35], 0, v[10:11]
	v_not_b32_e32 v10, v11
	v_ashrrev_i32_e32 v10, 31, v10
	v_and_b32_e32 v8, exec_hi, v8
	v_xor_b32_e32 v11, s35, v10
	v_xor_b32_e32 v10, s34, v10
	v_and_b32_e32 v8, v8, v11
	v_and_b32_e32 v56, v56, v10
	v_lshlrev_b32_e32 v11, 29, v55
	v_mov_b32_e32 v10, v9
	v_cmp_gt_i64_e64 s[34:35], 0, v[10:11]
	v_not_b32_e32 v10, v11
	v_ashrrev_i32_e32 v10, 31, v10
	v_xor_b32_e32 v11, s35, v10
	v_xor_b32_e32 v10, s34, v10
	v_and_b32_e32 v8, v8, v11
	v_and_b32_e32 v56, v56, v10
	v_lshlrev_b32_e32 v11, 28, v55
	v_mov_b32_e32 v10, v9
	v_cmp_gt_i64_e64 s[34:35], 0, v[10:11]
	v_not_b32_e32 v10, v11
	v_ashrrev_i32_e32 v10, 31, v10
	;; [unrolled: 9-line block ×5, first 2 shown]
	v_xor_b32_e32 v11, s35, v10
	v_xor_b32_e32 v10, s34, v10
	v_and_b32_e32 v8, v8, v11
	v_lshlrev_b32_e32 v11, 24, v55
	v_and_b32_e32 v56, v56, v10
	v_mov_b32_e32 v10, v9
	v_not_b32_e32 v9, v11
	v_cmp_gt_i64_e64 s[34:35], 0, v[10:11]
	v_ashrrev_i32_e32 v9, 31, v9
	ds_read_b32 v53, v57 offset:64
	v_xor_b32_e32 v10, s35, v9
	v_xor_b32_e32 v11, s34, v9
	v_and_b32_e32 v9, v8, v10
	v_and_b32_e32 v8, v56, v11
	v_mbcnt_lo_u32_b32 v10, v8, 0
	v_mbcnt_hi_u32_b32 v55, v9, v10
	v_cmp_eq_u32_e64 s[34:35], 0, v55
	v_cmp_ne_u64_e64 s[36:37], 0, v[8:9]
	s_and_b64 s[36:37], s[36:37], s[34:35]
	; wave barrier
	s_and_saveexec_b64 s[34:35], s[36:37]
	s_cbranch_execz .LBB1027_53
; %bb.52:
	v_bcnt_u32_b32 v8, v8, 0
	v_bcnt_u32_b32 v8, v9, v8
	s_waitcnt lgkmcnt(0)
	v_add_u32_e32 v8, v53, v8
	ds_write_b32 v57, v8 offset:64
.LBB1027_53:
	s_or_b64 exec, exec, s[34:35]
	v_lshrrev_b32_e32 v8, s64, v22
	v_and_b32_e32 v58, s68, v8
	v_mul_lo_u32 v8, v58, s38
	v_lshl_add_u32 v60, v38, 2, v8
	v_and_b32_e32 v8, 1, v58
	v_mov_b32_e32 v9, 0
	v_lshl_add_u64 v[10:11], v[8:9], 0, -1
	v_cmp_ne_u32_e64 s[34:35], 0, v8
	; wave barrier
	s_nop 1
	v_xor_b32_e32 v10, s34, v10
	v_xor_b32_e32 v8, s35, v11
	v_and_b32_e32 v59, exec_lo, v10
	v_lshlrev_b32_e32 v11, 30, v58
	v_mov_b32_e32 v10, v9
	v_cmp_gt_i64_e64 s[34:35], 0, v[10:11]
	v_not_b32_e32 v10, v11
	v_ashrrev_i32_e32 v10, 31, v10
	v_and_b32_e32 v8, exec_hi, v8
	v_xor_b32_e32 v11, s35, v10
	v_xor_b32_e32 v10, s34, v10
	v_and_b32_e32 v8, v8, v11
	v_and_b32_e32 v59, v59, v10
	v_lshlrev_b32_e32 v11, 29, v58
	v_mov_b32_e32 v10, v9
	v_cmp_gt_i64_e64 s[34:35], 0, v[10:11]
	v_not_b32_e32 v10, v11
	v_ashrrev_i32_e32 v10, 31, v10
	v_xor_b32_e32 v11, s35, v10
	v_xor_b32_e32 v10, s34, v10
	v_and_b32_e32 v8, v8, v11
	v_and_b32_e32 v59, v59, v10
	v_lshlrev_b32_e32 v11, 28, v58
	v_mov_b32_e32 v10, v9
	v_cmp_gt_i64_e64 s[34:35], 0, v[10:11]
	v_not_b32_e32 v10, v11
	v_ashrrev_i32_e32 v10, 31, v10
	;; [unrolled: 9-line block ×6, first 2 shown]
	v_xor_b32_e32 v11, s35, v10
	v_xor_b32_e32 v10, s34, v10
	ds_read_b32 v56, v60 offset:64
	v_and_b32_e32 v10, v59, v10
	v_and_b32_e32 v11, v8, v11
	v_mbcnt_lo_u32_b32 v8, v10, 0
	v_mbcnt_hi_u32_b32 v58, v11, v8
	v_cmp_eq_u32_e64 s[34:35], 0, v58
	v_cmp_ne_u64_e64 s[36:37], 0, v[10:11]
	s_and_b64 s[36:37], s[36:37], s[34:35]
	; wave barrier
	s_and_saveexec_b64 s[34:35], s[36:37]
	s_cbranch_execz .LBB1027_55
; %bb.54:
	v_bcnt_u32_b32 v8, v10, 0
	v_bcnt_u32_b32 v8, v11, v8
	s_waitcnt lgkmcnt(0)
	v_add_u32_e32 v8, v56, v8
	ds_write_b32 v60, v8 offset:64
.LBB1027_55:
	s_or_b64 exec, exec, s[34:35]
	v_lshrrev_b32_e32 v8, s64, v21
	v_and_b32_e32 v61, s68, v8
	v_mul_lo_u32 v8, v61, s38
	v_lshl_add_u32 v63, v38, 2, v8
	v_and_b32_e32 v8, 1, v61
	v_lshl_add_u64 v[10:11], v[8:9], 0, -1
	v_cmp_ne_u32_e64 s[34:35], 0, v8
	; wave barrier
	s_nop 1
	v_xor_b32_e32 v10, s34, v10
	v_xor_b32_e32 v8, s35, v11
	v_and_b32_e32 v62, exec_lo, v10
	v_lshlrev_b32_e32 v11, 30, v61
	v_mov_b32_e32 v10, v9
	v_cmp_gt_i64_e64 s[34:35], 0, v[10:11]
	v_not_b32_e32 v10, v11
	v_ashrrev_i32_e32 v10, 31, v10
	v_and_b32_e32 v8, exec_hi, v8
	v_xor_b32_e32 v11, s35, v10
	v_xor_b32_e32 v10, s34, v10
	v_and_b32_e32 v8, v8, v11
	v_and_b32_e32 v62, v62, v10
	v_lshlrev_b32_e32 v11, 29, v61
	v_mov_b32_e32 v10, v9
	v_cmp_gt_i64_e64 s[34:35], 0, v[10:11]
	v_not_b32_e32 v10, v11
	v_ashrrev_i32_e32 v10, 31, v10
	v_xor_b32_e32 v11, s35, v10
	v_xor_b32_e32 v10, s34, v10
	v_and_b32_e32 v8, v8, v11
	v_and_b32_e32 v62, v62, v10
	v_lshlrev_b32_e32 v11, 28, v61
	v_mov_b32_e32 v10, v9
	v_cmp_gt_i64_e64 s[34:35], 0, v[10:11]
	v_not_b32_e32 v10, v11
	v_ashrrev_i32_e32 v10, 31, v10
	;; [unrolled: 9-line block ×5, first 2 shown]
	v_xor_b32_e32 v11, s35, v10
	v_xor_b32_e32 v10, s34, v10
	v_and_b32_e32 v8, v8, v11
	v_lshlrev_b32_e32 v11, 24, v61
	v_and_b32_e32 v62, v62, v10
	v_mov_b32_e32 v10, v9
	v_not_b32_e32 v9, v11
	v_cmp_gt_i64_e64 s[34:35], 0, v[10:11]
	v_ashrrev_i32_e32 v9, 31, v9
	ds_read_b32 v59, v63 offset:64
	v_xor_b32_e32 v10, s35, v9
	v_xor_b32_e32 v11, s34, v9
	v_and_b32_e32 v9, v8, v10
	v_and_b32_e32 v8, v62, v11
	v_mbcnt_lo_u32_b32 v10, v8, 0
	v_mbcnt_hi_u32_b32 v61, v9, v10
	v_cmp_eq_u32_e64 s[34:35], 0, v61
	v_cmp_ne_u64_e64 s[36:37], 0, v[8:9]
	s_and_b64 s[36:37], s[36:37], s[34:35]
	; wave barrier
	s_and_saveexec_b64 s[34:35], s[36:37]
	s_cbranch_execz .LBB1027_57
; %bb.56:
	v_bcnt_u32_b32 v8, v8, 0
	v_bcnt_u32_b32 v8, v9, v8
	s_waitcnt lgkmcnt(0)
	v_add_u32_e32 v8, v59, v8
	ds_write_b32 v63, v8 offset:64
.LBB1027_57:
	s_or_b64 exec, exec, s[34:35]
	v_lshrrev_b32_e32 v8, s64, v24
	v_and_b32_e32 v64, s68, v8
	v_mul_lo_u32 v8, v64, s38
	v_lshl_add_u32 v66, v38, 2, v8
	v_and_b32_e32 v8, 1, v64
	v_mov_b32_e32 v9, 0
	v_lshl_add_u64 v[10:11], v[8:9], 0, -1
	v_cmp_ne_u32_e64 s[34:35], 0, v8
	; wave barrier
	s_nop 1
	v_xor_b32_e32 v10, s34, v10
	v_xor_b32_e32 v8, s35, v11
	v_and_b32_e32 v65, exec_lo, v10
	v_lshlrev_b32_e32 v11, 30, v64
	v_mov_b32_e32 v10, v9
	v_cmp_gt_i64_e64 s[34:35], 0, v[10:11]
	v_not_b32_e32 v10, v11
	v_ashrrev_i32_e32 v10, 31, v10
	v_and_b32_e32 v8, exec_hi, v8
	v_xor_b32_e32 v11, s35, v10
	v_xor_b32_e32 v10, s34, v10
	v_and_b32_e32 v8, v8, v11
	v_and_b32_e32 v65, v65, v10
	v_lshlrev_b32_e32 v11, 29, v64
	v_mov_b32_e32 v10, v9
	v_cmp_gt_i64_e64 s[34:35], 0, v[10:11]
	v_not_b32_e32 v10, v11
	v_ashrrev_i32_e32 v10, 31, v10
	v_xor_b32_e32 v11, s35, v10
	v_xor_b32_e32 v10, s34, v10
	v_and_b32_e32 v8, v8, v11
	v_and_b32_e32 v65, v65, v10
	v_lshlrev_b32_e32 v11, 28, v64
	v_mov_b32_e32 v10, v9
	v_cmp_gt_i64_e64 s[34:35], 0, v[10:11]
	v_not_b32_e32 v10, v11
	v_ashrrev_i32_e32 v10, 31, v10
	v_xor_b32_e32 v11, s35, v10
	v_xor_b32_e32 v10, s34, v10
	v_and_b32_e32 v8, v8, v11
	v_and_b32_e32 v65, v65, v10
	v_lshlrev_b32_e32 v11, 27, v64
	v_mov_b32_e32 v10, v9
	v_cmp_gt_i64_e64 s[34:35], 0, v[10:11]
	v_not_b32_e32 v10, v11
	v_ashrrev_i32_e32 v10, 31, v10
	v_xor_b32_e32 v11, s35, v10
	v_xor_b32_e32 v10, s34, v10
	v_and_b32_e32 v8, v8, v11
	v_and_b32_e32 v65, v65, v10
	v_lshlrev_b32_e32 v11, 26, v64
	v_mov_b32_e32 v10, v9
	v_cmp_gt_i64_e64 s[34:35], 0, v[10:11]
	v_not_b32_e32 v10, v11
	v_ashrrev_i32_e32 v10, 31, v10
	v_xor_b32_e32 v11, s35, v10
	v_xor_b32_e32 v10, s34, v10
	v_and_b32_e32 v8, v8, v11
	v_and_b32_e32 v65, v65, v10
	v_lshlrev_b32_e32 v11, 25, v64
	v_mov_b32_e32 v10, v9
	v_cmp_gt_i64_e64 s[34:35], 0, v[10:11]
	v_not_b32_e32 v10, v11
	v_ashrrev_i32_e32 v10, 31, v10
	v_xor_b32_e32 v11, s35, v10
	v_xor_b32_e32 v10, s34, v10
	v_and_b32_e32 v8, v8, v11
	v_and_b32_e32 v65, v65, v10
	v_lshlrev_b32_e32 v11, 24, v64
	v_mov_b32_e32 v10, v9
	v_cmp_gt_i64_e64 s[34:35], 0, v[10:11]
	v_not_b32_e32 v10, v11
	v_ashrrev_i32_e32 v10, 31, v10
	v_xor_b32_e32 v11, s35, v10
	v_xor_b32_e32 v10, s34, v10
	ds_read_b32 v62, v66 offset:64
	v_and_b32_e32 v10, v65, v10
	v_and_b32_e32 v11, v8, v11
	v_mbcnt_lo_u32_b32 v8, v10, 0
	v_mbcnt_hi_u32_b32 v64, v11, v8
	v_cmp_eq_u32_e64 s[34:35], 0, v64
	v_cmp_ne_u64_e64 s[36:37], 0, v[10:11]
	s_and_b64 s[36:37], s[36:37], s[34:35]
	; wave barrier
	s_and_saveexec_b64 s[34:35], s[36:37]
	s_cbranch_execz .LBB1027_59
; %bb.58:
	v_bcnt_u32_b32 v8, v10, 0
	v_bcnt_u32_b32 v8, v11, v8
	s_waitcnt lgkmcnt(0)
	v_add_u32_e32 v8, v62, v8
	ds_write_b32 v66, v8 offset:64
.LBB1027_59:
	s_or_b64 exec, exec, s[34:35]
	v_lshrrev_b32_e32 v8, s64, v23
	v_and_b32_e32 v67, s68, v8
	v_mul_lo_u32 v8, v67, s38
	v_lshl_add_u32 v69, v38, 2, v8
	v_and_b32_e32 v8, 1, v67
	v_lshl_add_u64 v[10:11], v[8:9], 0, -1
	v_cmp_ne_u32_e64 s[34:35], 0, v8
	; wave barrier
	s_nop 1
	v_xor_b32_e32 v10, s34, v10
	v_xor_b32_e32 v8, s35, v11
	v_and_b32_e32 v68, exec_lo, v10
	v_lshlrev_b32_e32 v11, 30, v67
	v_mov_b32_e32 v10, v9
	v_cmp_gt_i64_e64 s[34:35], 0, v[10:11]
	v_not_b32_e32 v10, v11
	v_ashrrev_i32_e32 v10, 31, v10
	v_and_b32_e32 v8, exec_hi, v8
	v_xor_b32_e32 v11, s35, v10
	v_xor_b32_e32 v10, s34, v10
	v_and_b32_e32 v8, v8, v11
	v_and_b32_e32 v68, v68, v10
	v_lshlrev_b32_e32 v11, 29, v67
	v_mov_b32_e32 v10, v9
	v_cmp_gt_i64_e64 s[34:35], 0, v[10:11]
	v_not_b32_e32 v10, v11
	v_ashrrev_i32_e32 v10, 31, v10
	v_xor_b32_e32 v11, s35, v10
	v_xor_b32_e32 v10, s34, v10
	v_and_b32_e32 v8, v8, v11
	v_and_b32_e32 v68, v68, v10
	v_lshlrev_b32_e32 v11, 28, v67
	v_mov_b32_e32 v10, v9
	v_cmp_gt_i64_e64 s[34:35], 0, v[10:11]
	v_not_b32_e32 v10, v11
	v_ashrrev_i32_e32 v10, 31, v10
	;; [unrolled: 9-line block ×5, first 2 shown]
	v_xor_b32_e32 v11, s35, v10
	v_xor_b32_e32 v10, s34, v10
	v_and_b32_e32 v8, v8, v11
	v_lshlrev_b32_e32 v11, 24, v67
	v_and_b32_e32 v68, v68, v10
	v_mov_b32_e32 v10, v9
	v_not_b32_e32 v9, v11
	v_cmp_gt_i64_e64 s[34:35], 0, v[10:11]
	v_ashrrev_i32_e32 v9, 31, v9
	ds_read_b32 v65, v69 offset:64
	v_xor_b32_e32 v10, s35, v9
	v_xor_b32_e32 v11, s34, v9
	v_and_b32_e32 v9, v8, v10
	v_and_b32_e32 v8, v68, v11
	v_mbcnt_lo_u32_b32 v10, v8, 0
	v_mbcnt_hi_u32_b32 v67, v9, v10
	v_cmp_eq_u32_e64 s[34:35], 0, v67
	v_cmp_ne_u64_e64 s[36:37], 0, v[8:9]
	s_and_b64 s[36:37], s[36:37], s[34:35]
	; wave barrier
	s_and_saveexec_b64 s[34:35], s[36:37]
	s_cbranch_execz .LBB1027_61
; %bb.60:
	v_bcnt_u32_b32 v8, v8, 0
	v_bcnt_u32_b32 v8, v9, v8
	s_waitcnt lgkmcnt(0)
	v_add_u32_e32 v8, v65, v8
	ds_write_b32 v69, v8 offset:64
.LBB1027_61:
	s_or_b64 exec, exec, s[34:35]
	v_lshrrev_b32_e32 v8, s64, v26
	v_and_b32_e32 v70, s68, v8
	v_mul_lo_u32 v8, v70, s38
	v_lshl_add_u32 v72, v38, 2, v8
	v_and_b32_e32 v8, 1, v70
	v_mov_b32_e32 v9, 0
	v_lshl_add_u64 v[10:11], v[8:9], 0, -1
	v_cmp_ne_u32_e64 s[34:35], 0, v8
	; wave barrier
	s_nop 1
	v_xor_b32_e32 v10, s34, v10
	v_xor_b32_e32 v8, s35, v11
	v_and_b32_e32 v71, exec_lo, v10
	v_lshlrev_b32_e32 v11, 30, v70
	v_mov_b32_e32 v10, v9
	v_cmp_gt_i64_e64 s[34:35], 0, v[10:11]
	v_not_b32_e32 v10, v11
	v_ashrrev_i32_e32 v10, 31, v10
	v_and_b32_e32 v8, exec_hi, v8
	v_xor_b32_e32 v11, s35, v10
	v_xor_b32_e32 v10, s34, v10
	v_and_b32_e32 v8, v8, v11
	v_and_b32_e32 v71, v71, v10
	v_lshlrev_b32_e32 v11, 29, v70
	v_mov_b32_e32 v10, v9
	v_cmp_gt_i64_e64 s[34:35], 0, v[10:11]
	v_not_b32_e32 v10, v11
	v_ashrrev_i32_e32 v10, 31, v10
	v_xor_b32_e32 v11, s35, v10
	v_xor_b32_e32 v10, s34, v10
	v_and_b32_e32 v8, v8, v11
	v_and_b32_e32 v71, v71, v10
	v_lshlrev_b32_e32 v11, 28, v70
	v_mov_b32_e32 v10, v9
	v_cmp_gt_i64_e64 s[34:35], 0, v[10:11]
	v_not_b32_e32 v10, v11
	v_ashrrev_i32_e32 v10, 31, v10
	;; [unrolled: 9-line block ×6, first 2 shown]
	v_xor_b32_e32 v11, s35, v10
	v_xor_b32_e32 v10, s34, v10
	ds_read_b32 v68, v72 offset:64
	v_and_b32_e32 v10, v71, v10
	v_and_b32_e32 v11, v8, v11
	v_mbcnt_lo_u32_b32 v8, v10, 0
	v_mbcnt_hi_u32_b32 v70, v11, v8
	v_cmp_eq_u32_e64 s[34:35], 0, v70
	v_cmp_ne_u64_e64 s[36:37], 0, v[10:11]
	s_and_b64 s[36:37], s[36:37], s[34:35]
	; wave barrier
	s_and_saveexec_b64 s[34:35], s[36:37]
	s_cbranch_execz .LBB1027_63
; %bb.62:
	v_bcnt_u32_b32 v8, v10, 0
	v_bcnt_u32_b32 v8, v11, v8
	s_waitcnt lgkmcnt(0)
	v_add_u32_e32 v8, v68, v8
	ds_write_b32 v72, v8 offset:64
.LBB1027_63:
	s_or_b64 exec, exec, s[34:35]
	v_lshrrev_b32_e32 v8, s64, v25
	v_and_b32_e32 v73, s68, v8
	v_mul_lo_u32 v8, v73, s38
	v_lshl_add_u32 v74, v38, 2, v8
	v_and_b32_e32 v8, 1, v73
	v_lshl_add_u64 v[10:11], v[8:9], 0, -1
	v_cmp_ne_u32_e64 s[34:35], 0, v8
	; wave barrier
	s_nop 1
	v_xor_b32_e32 v10, s34, v10
	v_xor_b32_e32 v8, s35, v11
	v_and_b32_e32 v38, exec_lo, v10
	v_lshlrev_b32_e32 v11, 30, v73
	v_mov_b32_e32 v10, v9
	v_cmp_gt_i64_e64 s[34:35], 0, v[10:11]
	v_not_b32_e32 v10, v11
	v_ashrrev_i32_e32 v10, 31, v10
	v_and_b32_e32 v8, exec_hi, v8
	v_xor_b32_e32 v11, s35, v10
	v_xor_b32_e32 v10, s34, v10
	v_and_b32_e32 v8, v8, v11
	v_and_b32_e32 v38, v38, v10
	v_lshlrev_b32_e32 v11, 29, v73
	v_mov_b32_e32 v10, v9
	v_cmp_gt_i64_e64 s[34:35], 0, v[10:11]
	v_not_b32_e32 v10, v11
	v_ashrrev_i32_e32 v10, 31, v10
	v_xor_b32_e32 v11, s35, v10
	v_xor_b32_e32 v10, s34, v10
	v_and_b32_e32 v8, v8, v11
	v_and_b32_e32 v38, v38, v10
	v_lshlrev_b32_e32 v11, 28, v73
	v_mov_b32_e32 v10, v9
	v_cmp_gt_i64_e64 s[34:35], 0, v[10:11]
	v_not_b32_e32 v10, v11
	v_ashrrev_i32_e32 v10, 31, v10
	;; [unrolled: 9-line block ×5, first 2 shown]
	v_xor_b32_e32 v11, s35, v10
	v_xor_b32_e32 v10, s34, v10
	v_and_b32_e32 v8, v8, v11
	v_lshlrev_b32_e32 v11, 24, v73
	v_and_b32_e32 v38, v38, v10
	v_mov_b32_e32 v10, v9
	v_not_b32_e32 v9, v11
	v_cmp_gt_i64_e64 s[34:35], 0, v[10:11]
	v_ashrrev_i32_e32 v9, 31, v9
	ds_read_b32 v71, v74 offset:64
	v_xor_b32_e32 v10, s35, v9
	v_xor_b32_e32 v11, s34, v9
	v_and_b32_e32 v9, v8, v10
	v_and_b32_e32 v8, v38, v11
	v_mbcnt_lo_u32_b32 v10, v8, 0
	v_mbcnt_hi_u32_b32 v73, v9, v10
	v_cmp_eq_u32_e64 s[34:35], 0, v73
	v_cmp_ne_u64_e64 s[36:37], 0, v[8:9]
	s_and_b64 s[36:37], s[36:37], s[34:35]
	; wave barrier
	s_and_saveexec_b64 s[34:35], s[36:37]
	s_cbranch_execz .LBB1027_65
; %bb.64:
	v_bcnt_u32_b32 v8, v8, 0
	v_bcnt_u32_b32 v8, v9, v8
	s_waitcnt lgkmcnt(0)
	v_add_u32_e32 v8, v71, v8
	ds_write_b32 v74, v8 offset:64
.LBB1027_65:
	s_or_b64 exec, exec, s[34:35]
	; wave barrier
	s_waitcnt lgkmcnt(0)
	s_barrier
	ds_read2_b32 v[10:11], v13 offset0:16 offset1:17
	ds_read2_b32 v[8:9], v13 offset0:18 offset1:19
	ds_read_b32 v38, v13 offset:80
	v_cmp_lt_u32_e64 s[44:45], 31, v12
	s_waitcnt lgkmcnt(1)
	v_add3_u32 v75, v11, v10, v8
	s_waitcnt lgkmcnt(0)
	v_add3_u32 v38, v75, v9, v38
	v_and_b32_e32 v75, 15, v12
	v_cmp_eq_u32_e64 s[34:35], 0, v75
	v_mov_b32_dpp v76, v38 row_shr:1 row_mask:0xf bank_mask:0xf
	v_cmp_lt_u32_e64 s[36:37], 1, v75
	v_cndmask_b32_e64 v76, v76, 0, s[34:35]
	v_add_u32_e32 v38, v76, v38
	v_cmp_lt_u32_e64 s[38:39], 3, v75
	v_cmp_lt_u32_e64 s[40:41], 7, v75
	v_mov_b32_dpp v76, v38 row_shr:2 row_mask:0xf bank_mask:0xf
	v_cndmask_b32_e64 v76, 0, v76, s[36:37]
	v_add_u32_e32 v38, v38, v76
	s_nop 1
	v_mov_b32_dpp v76, v38 row_shr:4 row_mask:0xf bank_mask:0xf
	v_cndmask_b32_e64 v76, 0, v76, s[38:39]
	v_add_u32_e32 v38, v38, v76
	s_nop 1
	v_mov_b32_dpp v76, v38 row_shr:8 row_mask:0xf bank_mask:0xf
	v_cndmask_b32_e64 v75, 0, v76, s[40:41]
	v_add_u32_e32 v38, v38, v75
	v_bfe_i32 v76, v12, 4, 1
	s_nop 0
	v_mov_b32_dpp v75, v38 row_bcast:15 row_mask:0xf bank_mask:0xf
	v_and_b32_e32 v75, v76, v75
	v_add_u32_e32 v38, v38, v75
	v_lshrrev_b32_e32 v76, 6, v2
	s_nop 0
	v_mov_b32_dpp v75, v38 row_bcast:31 row_mask:0xf bank_mask:0xf
	v_cndmask_b32_e64 v75, 0, v75, s[44:45]
	v_add_u32_e32 v75, v38, v75
	v_and_b32_e32 v38, 63, v2
	v_cmp_eq_u32_e64 s[44:45], 63, v38
	s_and_saveexec_b64 s[46:47], s[44:45]
; %bb.66:
	v_lshlrev_b32_e32 v38, 2, v76
	ds_write_b32 v38, v75
; %bb.67:
	s_or_b64 exec, exec, s[46:47]
	v_cmp_gt_u32_e64 s[44:45], 16, v2
	v_lshlrev_b32_e32 v38, 2, v2
	s_waitcnt lgkmcnt(0)
	s_barrier
	s_and_saveexec_b64 s[46:47], s[44:45]
	s_cbranch_execz .LBB1027_69
; %bb.68:
	ds_read_b32 v77, v38
	s_waitcnt lgkmcnt(0)
	s_nop 0
	v_mov_b32_dpp v78, v77 row_shr:1 row_mask:0xf bank_mask:0xf
	v_cndmask_b32_e64 v78, v78, 0, s[34:35]
	v_add_u32_e32 v77, v78, v77
	s_nop 1
	v_mov_b32_dpp v78, v77 row_shr:2 row_mask:0xf bank_mask:0xf
	v_cndmask_b32_e64 v78, 0, v78, s[36:37]
	v_add_u32_e32 v77, v77, v78
	;; [unrolled: 4-line block ×4, first 2 shown]
	ds_write_b32 v38, v77
.LBB1027_69:
	s_or_b64 exec, exec, s[46:47]
	v_cmp_lt_u32_e64 s[34:35], 63, v2
	v_mov_b32_e32 v77, 0
	s_waitcnt lgkmcnt(0)
	s_barrier
	s_and_saveexec_b64 s[36:37], s[34:35]
; %bb.70:
	v_lshl_add_u32 v76, v76, 2, -4
	ds_read_b32 v77, v76
; %bb.71:
	s_or_b64 exec, exec, s[36:37]
	v_subrev_co_u32_e64 v76, s[34:35], 1, v12
	v_and_b32_e32 v78, 64, v12
	v_cmp_lt_i32_e64 s[36:37], v76, v78
	s_waitcnt lgkmcnt(0)
	v_add_u32_e32 v75, v77, v75
	s_movk_i32 s38, 0x100
	v_cndmask_b32_e64 v12, v76, v12, s[36:37]
	v_lshlrev_b32_e32 v12, 2, v12
	ds_bpermute_b32 v12, v12, v75
	v_cmp_gt_u32_e64 s[36:37], s38, v2
	s_waitcnt lgkmcnt(0)
	v_cndmask_b32_e64 v12, v12, v77, s[34:35]
	v_cmp_ne_u32_e64 s[34:35], 0, v2
	s_nop 1
	v_cndmask_b32_e64 v12, 0, v12, s[34:35]
	v_add_u32_e32 v10, v12, v10
	v_add_u32_e32 v11, v10, v11
	;; [unrolled: 1-line block ×4, first 2 shown]
	ds_write2_b32 v13, v12, v10 offset0:16 offset1:17
	ds_write2_b32 v13, v11, v8 offset0:18 offset1:19
	ds_write_b32 v13, v9 offset:80
	s_waitcnt lgkmcnt(0)
	s_barrier
	ds_read_b32 v84, v31 offset:64
	ds_read_b32 v75, v33 offset:64
	;; [unrolled: 1-line block ×16, first 2 shown]
	s_movk_i32 s34, 0xff
	v_cmp_lt_u32_e64 s[34:35], s34, v2
                                        ; implicit-def: $vgpr31
                                        ; implicit-def: $vgpr33
	s_and_saveexec_b64 s[40:41], s[36:37]
	s_cbranch_execz .LBB1027_75
; %bb.72:
	v_mul_u32_u24_e32 v8, 0x44, v2
	ds_read_b32 v31, v8 offset:64
	v_add_u32_e32 v9, 1, v2
	v_cmp_ne_u32_e64 s[38:39], s38, v9
	v_mov_b32_e32 v8, 0x4000
	s_and_saveexec_b64 s[44:45], s[38:39]
; %bb.73:
	v_mul_u32_u24_e32 v8, 0x44, v9
	ds_read_b32 v8, v8 offset:64
; %bb.74:
	s_or_b64 exec, exec, s[44:45]
	s_waitcnt lgkmcnt(0)
	v_sub_u32_e32 v33, v8, v31
.LBB1027_75:
	s_or_b64 exec, exec, s[40:41]
	v_mov_b32_e32 v9, 0
	s_waitcnt lgkmcnt(0)
	s_barrier
	s_and_saveexec_b64 s[38:39], s[36:37]
	s_cbranch_execz .LBB1027_85
; %bb.76:
	v_lshl_add_u32 v8, s2, 8, v2
	v_lshl_add_u64 v[10:11], v[8:9], 2, s[50:51]
	v_or_b32_e32 v8, 2.0, v33
	s_mov_b64 s[40:41], 0
	s_brev_b32 s48, -4
	s_mov_b32 s49, s2
	v_mov_b32_e32 v48, 0
	global_store_dword v[10:11], v8, off sc1
                                        ; implicit-def: $sgpr36_sgpr37
	s_branch .LBB1027_79
.LBB1027_77:                            ;   in Loop: Header=BB1027_79 Depth=1
	s_or_b64 exec, exec, s[46:47]
.LBB1027_78:                            ;   in Loop: Header=BB1027_79 Depth=1
	s_or_b64 exec, exec, s[44:45]
	v_and_b32_e32 v12, 0x3fffffff, v8
	v_add_u32_e32 v48, v12, v48
	v_cmp_gt_i32_e64 s[36:37], -2.0, v8
	s_and_b64 s[44:45], exec, s[36:37]
	s_or_b64 s[40:41], s[44:45], s[40:41]
	s_andn2_b64 exec, exec, s[40:41]
	s_cbranch_execz .LBB1027_84
.LBB1027_79:                            ; =>This Loop Header: Depth=1
                                        ;     Child Loop BB1027_82 Depth 2
	s_or_b64 s[36:37], s[36:37], exec
	s_cmp_eq_u32 s49, 0
	s_cbranch_scc1 .LBB1027_83
; %bb.80:                               ;   in Loop: Header=BB1027_79 Depth=1
	s_add_i32 s49, s49, -1
	v_lshl_or_b32 v8, s49, 8, v2
	v_lshl_add_u64 v[12:13], v[8:9], 2, s[50:51]
	global_load_dword v8, v[12:13], off sc1
	s_waitcnt vmcnt(0)
	v_cmp_gt_u32_e64 s[36:37], 2.0, v8
	s_and_saveexec_b64 s[44:45], s[36:37]
	s_cbranch_execz .LBB1027_78
; %bb.81:                               ;   in Loop: Header=BB1027_79 Depth=1
	s_mov_b64 s[46:47], 0
.LBB1027_82:                            ;   Parent Loop BB1027_79 Depth=1
                                        ; =>  This Inner Loop Header: Depth=2
	global_load_dword v8, v[12:13], off sc1
	s_waitcnt vmcnt(0)
	v_cmp_lt_u32_e64 s[36:37], s48, v8
	s_or_b64 s[46:47], s[36:37], s[46:47]
	s_andn2_b64 exec, exec, s[46:47]
	s_cbranch_execnz .LBB1027_82
	s_branch .LBB1027_77
.LBB1027_83:                            ;   in Loop: Header=BB1027_79 Depth=1
                                        ; implicit-def: $sgpr49
	s_and_b64 s[44:45], exec, s[36:37]
	s_or_b64 s[40:41], s[44:45], s[40:41]
	s_andn2_b64 exec, exec, s[40:41]
	s_cbranch_execnz .LBB1027_79
.LBB1027_84:
	s_or_b64 exec, exec, s[40:41]
	v_add_u32_e32 v8, v48, v33
	v_or_b32_e32 v8, 0x80000000, v8
	global_store_dword v[10:11], v8, off sc1
	global_load_dword v8, v38, s[60:61]
	v_sub_u32_e32 v9, v48, v31
	s_waitcnt vmcnt(0)
	v_add_u32_e32 v8, v9, v8
	ds_write_b32 v38, v8
.LBB1027_85:
	s_or_b64 exec, exec, s[38:39]
	v_add_u32_e32 v10, v84, v28
	v_add3_u32 v8, v29, v27, v75
	v_add3_u32 v9, v32, v30, v76
	;; [unrolled: 1-line block ×15, first 2 shown]
	v_mov_b32_e32 v87, 0x400
	s_movk_i32 s40, 0x400
	v_lshl_add_u32 v11, v11, 2, v87
	v_add3_u32 v12, v73, v43, v71
	v_lshl_add_u32 v13, v13, 2, v87
	v_add3_u32 v28, v70, v36, v68
	;; [unrolled: 2-line block ×15, first 2 shown]
	v_lshl_add_u32 v29, v10, 2, v87
	s_mov_b32 s41, 0
	s_mov_b32 s44, 0
	s_movk_i32 s45, 0x1000
	v_mov_b32_e32 v9, 0
	s_movk_i32 s46, 0x800
	s_movk_i32 s47, 0xc00
	v_mov_b32_e32 v58, v2
	s_mov_b32 s48, 0
	s_branch .LBB1027_87
.LBB1027_86:                            ;   in Loop: Header=BB1027_87 Depth=1
	s_or_b64 exec, exec, s[38:39]
	s_addk_i32 s48, 0xc000
	s_add_i32 s41, s41, 16
	s_addk_i32 s44, 0xf000
	s_cmp_eq_u32 s48, 0xffff0000
	v_add_u32_e32 v58, 0x1000, v58
	s_barrier
	s_cbranch_scc1 .LBB1027_127
.LBB1027_87:                            ; =>This Inner Loop Header: Depth=1
	v_add_u32_e32 v8, s44, v10
	v_cmp_gt_u32_e64 s[36:37], s45, v8
	s_and_saveexec_b64 s[38:39], s[36:37]
; %bb.88:                               ;   in Loop: Header=BB1027_87 Depth=1
	v_add_u32_e32 v8, s48, v29
	ds_write_b32 v8, v5
; %bb.89:                               ;   in Loop: Header=BB1027_87 Depth=1
	s_or_b64 exec, exec, s[38:39]
	v_add_u32_e32 v8, s44, v27
	v_cmp_gt_u32_e64 s[36:37], s45, v8
	s_and_saveexec_b64 s[38:39], s[36:37]
; %bb.90:                               ;   in Loop: Header=BB1027_87 Depth=1
	v_add_u32_e32 v8, s48, v32
	ds_write_b32 v8, v3
; %bb.91:                               ;   in Loop: Header=BB1027_87 Depth=1
	s_or_b64 exec, exec, s[38:39]
	;; [unrolled: 8-line block ×6, first 2 shown]
	v_add_u32_e32 v8, s44, v44
	v_cmp_gt_u32_e64 s[36:37], s45, v8
	s_and_saveexec_b64 s[38:39], s[36:37]
; %bb.100:                              ;   in Loop: Header=BB1027_87 Depth=1
	v_add_u32_e32 v8, s48, v49
	ds_write_b32 v8, v18
; %bb.101:                              ;   in Loop: Header=BB1027_87 Depth=1
	s_or_b64 exec, exec, s[38:39]
	v_add_u32_e32 v8, s44, v47
	v_cmp_gt_u32_e64 s[36:37], s45, v8
	s_and_saveexec_b64 s[38:39], s[36:37]
; %bb.102:                              ;   in Loop: Header=BB1027_87 Depth=1
	v_add_u32_e32 v8, s48, v52
	ds_write_b32 v8, v17
; %bb.103:                              ;   in Loop: Header=BB1027_87 Depth=1
	s_or_b64 exec, exec, s[38:39]
	;; [unrolled: 8-line block ×10, first 2 shown]
	v_cmp_gt_u32_e64 s[36:37], s3, v58
	s_waitcnt lgkmcnt(0)
	s_barrier
	s_and_saveexec_b64 s[38:39], s[36:37]
	s_cbranch_execz .LBB1027_121
; %bb.120:                              ;   in Loop: Header=BB1027_87 Depth=1
	ds_read_b32 v8, v38 offset:1024
	s_waitcnt lgkmcnt(0)
	v_lshrrev_b32_e32 v59, s64, v8
	v_and_b32_e32 v59, s68, v59
	v_lshlrev_b32_e32 v60, 2, v59
	ds_read_b32 v60, v60
	v_xor_b32_e32 v62, 0x7fffffff, v8
	s_waitcnt lgkmcnt(0)
	v_add_u32_e32 v8, v58, v60
	v_lshl_add_u64 v[60:61], v[8:9], 2, s[54:55]
	global_store_dword v[60:61], v62, off
	scratch_store_dword off, v59, s41
.LBB1027_121:                           ;   in Loop: Header=BB1027_87 Depth=1
	s_or_b64 exec, exec, s[38:39]
	v_add_u32_e32 v8, 0x400, v58
	v_cmp_gt_u32_e64 s[36:37], s3, v8
	s_and_saveexec_b64 s[38:39], s[36:37]
	s_cbranch_execz .LBB1027_123
; %bb.122:                              ;   in Loop: Header=BB1027_87 Depth=1
	ds_read_b32 v8, v38 offset:5120
	s_add_i32 s36, s41, 4
	s_waitcnt lgkmcnt(0)
	v_lshrrev_b32_e32 v59, s64, v8
	v_and_b32_e32 v59, s68, v59
	v_lshlrev_b32_e32 v60, 2, v59
	ds_read_b32 v60, v60
	v_xor_b32_e32 v62, 0x7fffffff, v8
	s_waitcnt lgkmcnt(0)
	v_add3_u32 v8, v58, v60, s40
	v_lshl_add_u64 v[60:61], v[8:9], 2, s[54:55]
	global_store_dword v[60:61], v62, off
	scratch_store_dword off, v59, s36
.LBB1027_123:                           ;   in Loop: Header=BB1027_87 Depth=1
	s_or_b64 exec, exec, s[38:39]
	v_add_u32_e32 v8, 0x800, v58
	v_cmp_gt_u32_e64 s[36:37], s3, v8
	s_and_saveexec_b64 s[38:39], s[36:37]
	s_cbranch_execz .LBB1027_125
; %bb.124:                              ;   in Loop: Header=BB1027_87 Depth=1
	ds_read_b32 v8, v38 offset:9216
	s_add_i32 s36, s41, 8
	s_waitcnt lgkmcnt(0)
	v_lshrrev_b32_e32 v59, s64, v8
	v_and_b32_e32 v59, s68, v59
	v_lshlrev_b32_e32 v60, 2, v59
	ds_read_b32 v60, v60
	v_xor_b32_e32 v62, 0x7fffffff, v8
	s_waitcnt lgkmcnt(0)
	v_add3_u32 v8, v58, v60, s46
	v_lshl_add_u64 v[60:61], v[8:9], 2, s[54:55]
	global_store_dword v[60:61], v62, off
	scratch_store_dword off, v59, s36
.LBB1027_125:                           ;   in Loop: Header=BB1027_87 Depth=1
	s_or_b64 exec, exec, s[38:39]
	v_add_u32_e32 v8, 0xc00, v58
	v_cmp_gt_u32_e64 s[36:37], s3, v8
	s_and_saveexec_b64 s[38:39], s[36:37]
	s_cbranch_execz .LBB1027_86
; %bb.126:                              ;   in Loop: Header=BB1027_87 Depth=1
	ds_read_b32 v8, v38 offset:13312
	s_add_i32 s36, s41, 12
	s_waitcnt lgkmcnt(0)
	v_lshrrev_b32_e32 v59, s64, v8
	v_and_b32_e32 v59, s68, v59
	v_lshlrev_b32_e32 v60, 2, v59
	ds_read_b32 v60, v60
	v_xor_b32_e32 v62, 0x7fffffff, v8
	s_waitcnt lgkmcnt(0)
	v_add3_u32 v8, v58, v60, s47
	v_lshl_add_u64 v[60:61], v[8:9], 2, s[54:55]
	global_store_dword v[60:61], v62, off
	scratch_store_dword off, v59, s36
	s_branch .LBB1027_86
.LBB1027_127:
	s_add_u32 s36, s56, s66
	s_addc_u32 s37, s57, s67
	v_mov_b32_e32 v5, 0
	v_lshl_add_u64 v[8:9], s[36:37], 0, v[4:5]
	v_mov_b32_e32 v7, v5
	v_lshl_add_u64 v[4:5], v[8:9], 0, v[6:7]
                                        ; implicit-def: $vgpr3
	s_and_saveexec_b64 s[36:37], vcc
	s_cbranch_execz .LBB1027_143
; %bb.128:
	global_load_dword v3, v[4:5], off
	s_or_b64 exec, exec, s[36:37]
                                        ; implicit-def: $vgpr6
	s_and_saveexec_b64 s[36:37], s[42:43]
	s_cbranch_execnz .LBB1027_144
.LBB1027_129:
	s_or_b64 exec, exec, s[36:37]
                                        ; implicit-def: $vgpr7
	s_and_saveexec_b64 s[36:37], s[4:5]
	s_cbranch_execz .LBB1027_145
.LBB1027_130:
	global_load_dword v7, v[4:5], off offset:512
	s_or_b64 exec, exec, s[36:37]
                                        ; implicit-def: $vgpr8
	s_and_saveexec_b64 s[4:5], s[6:7]
	s_cbranch_execnz .LBB1027_146
.LBB1027_131:
	s_or_b64 exec, exec, s[4:5]
                                        ; implicit-def: $vgpr9
	s_and_saveexec_b64 s[4:5], s[8:9]
	s_cbranch_execz .LBB1027_147
.LBB1027_132:
	global_load_dword v9, v[4:5], off offset:1024
	s_or_b64 exec, exec, s[4:5]
                                        ; implicit-def: $vgpr14
	s_and_saveexec_b64 s[4:5], s[10:11]
	s_cbranch_execnz .LBB1027_148
.LBB1027_133:
	s_or_b64 exec, exec, s[4:5]
                                        ; implicit-def: $vgpr15
	s_and_saveexec_b64 s[4:5], s[12:13]
	s_cbranch_execz .LBB1027_149
.LBB1027_134:
	global_load_dword v15, v[4:5], off offset:1536
	s_or_b64 exec, exec, s[4:5]
                                        ; implicit-def: $vgpr16
	s_and_saveexec_b64 s[4:5], s[14:15]
	s_cbranch_execnz .LBB1027_150
.LBB1027_135:
	s_or_b64 exec, exec, s[4:5]
                                        ; implicit-def: $vgpr17
	s_and_saveexec_b64 s[4:5], s[16:17]
	s_cbranch_execz .LBB1027_151
.LBB1027_136:
	global_load_dword v17, v[4:5], off offset:2048
	s_or_b64 exec, exec, s[4:5]
                                        ; implicit-def: $vgpr18
	s_and_saveexec_b64 s[4:5], s[18:19]
	s_cbranch_execnz .LBB1027_152
.LBB1027_137:
	s_or_b64 exec, exec, s[4:5]
                                        ; implicit-def: $vgpr19
	s_and_saveexec_b64 s[4:5], s[20:21]
	s_cbranch_execz .LBB1027_153
.LBB1027_138:
	global_load_dword v19, v[4:5], off offset:2560
	s_or_b64 exec, exec, s[4:5]
                                        ; implicit-def: $vgpr20
	s_and_saveexec_b64 s[4:5], s[22:23]
	s_cbranch_execnz .LBB1027_154
.LBB1027_139:
	s_or_b64 exec, exec, s[4:5]
                                        ; implicit-def: $vgpr21
	s_and_saveexec_b64 s[4:5], s[24:25]
	s_cbranch_execz .LBB1027_155
.LBB1027_140:
	global_load_dword v21, v[4:5], off offset:3072
	s_or_b64 exec, exec, s[4:5]
                                        ; implicit-def: $vgpr22
	s_and_saveexec_b64 s[4:5], s[26:27]
	s_cbranch_execnz .LBB1027_156
.LBB1027_141:
	s_or_b64 exec, exec, s[4:5]
                                        ; implicit-def: $vgpr23
	s_and_saveexec_b64 s[4:5], s[28:29]
	s_cbranch_execz .LBB1027_157
.LBB1027_142:
	global_load_dword v23, v[4:5], off offset:3584
	s_or_b64 exec, exec, s[4:5]
                                        ; implicit-def: $vgpr24
	s_and_saveexec_b64 s[4:5], s[30:31]
	s_cbranch_execnz .LBB1027_158
	s_branch .LBB1027_159
.LBB1027_143:
	s_or_b64 exec, exec, s[36:37]
                                        ; implicit-def: $vgpr6
	s_and_saveexec_b64 s[36:37], s[42:43]
	s_cbranch_execz .LBB1027_129
.LBB1027_144:
	global_load_dword v6, v[4:5], off offset:256
	s_or_b64 exec, exec, s[36:37]
                                        ; implicit-def: $vgpr7
	s_and_saveexec_b64 s[36:37], s[4:5]
	s_cbranch_execnz .LBB1027_130
.LBB1027_145:
	s_or_b64 exec, exec, s[36:37]
                                        ; implicit-def: $vgpr8
	s_and_saveexec_b64 s[4:5], s[6:7]
	s_cbranch_execz .LBB1027_131
.LBB1027_146:
	global_load_dword v8, v[4:5], off offset:768
	s_or_b64 exec, exec, s[4:5]
                                        ; implicit-def: $vgpr9
	s_and_saveexec_b64 s[4:5], s[8:9]
	s_cbranch_execnz .LBB1027_132
.LBB1027_147:
	s_or_b64 exec, exec, s[4:5]
                                        ; implicit-def: $vgpr14
	s_and_saveexec_b64 s[4:5], s[10:11]
	s_cbranch_execz .LBB1027_133
.LBB1027_148:
	global_load_dword v14, v[4:5], off offset:1280
	s_or_b64 exec, exec, s[4:5]
                                        ; implicit-def: $vgpr15
	s_and_saveexec_b64 s[4:5], s[12:13]
	s_cbranch_execnz .LBB1027_134
.LBB1027_149:
	s_or_b64 exec, exec, s[4:5]
                                        ; implicit-def: $vgpr16
	s_and_saveexec_b64 s[4:5], s[14:15]
	s_cbranch_execz .LBB1027_135
.LBB1027_150:
	global_load_dword v16, v[4:5], off offset:1792
	s_or_b64 exec, exec, s[4:5]
                                        ; implicit-def: $vgpr17
	s_and_saveexec_b64 s[4:5], s[16:17]
	s_cbranch_execnz .LBB1027_136
.LBB1027_151:
	s_or_b64 exec, exec, s[4:5]
                                        ; implicit-def: $vgpr18
	s_and_saveexec_b64 s[4:5], s[18:19]
	s_cbranch_execz .LBB1027_137
.LBB1027_152:
	global_load_dword v18, v[4:5], off offset:2304
	s_or_b64 exec, exec, s[4:5]
                                        ; implicit-def: $vgpr19
	s_and_saveexec_b64 s[4:5], s[20:21]
	s_cbranch_execnz .LBB1027_138
.LBB1027_153:
	s_or_b64 exec, exec, s[4:5]
                                        ; implicit-def: $vgpr20
	s_and_saveexec_b64 s[4:5], s[22:23]
	s_cbranch_execz .LBB1027_139
.LBB1027_154:
	global_load_dword v20, v[4:5], off offset:2816
	s_or_b64 exec, exec, s[4:5]
                                        ; implicit-def: $vgpr21
	s_and_saveexec_b64 s[4:5], s[24:25]
	s_cbranch_execnz .LBB1027_140
.LBB1027_155:
	s_or_b64 exec, exec, s[4:5]
                                        ; implicit-def: $vgpr22
	s_and_saveexec_b64 s[4:5], s[26:27]
	s_cbranch_execz .LBB1027_141
.LBB1027_156:
	global_load_dword v22, v[4:5], off offset:3328
	s_or_b64 exec, exec, s[4:5]
                                        ; implicit-def: $vgpr23
	s_and_saveexec_b64 s[4:5], s[28:29]
	s_cbranch_execnz .LBB1027_142
.LBB1027_157:
	s_or_b64 exec, exec, s[4:5]
                                        ; implicit-def: $vgpr24
	s_and_saveexec_b64 s[4:5], s[30:31]
	s_cbranch_execz .LBB1027_159
.LBB1027_158:
	global_load_dword v24, v[4:5], off offset:3840
.LBB1027_159:
	s_or_b64 exec, exec, s[4:5]
	s_mov_b32 s6, 0
	s_mov_b32 s7, 0
	s_movk_i32 s8, 0x1000
	v_mov_b32_e32 v5, 0
	s_movk_i32 s9, 0x400
	s_movk_i32 s10, 0x800
	;; [unrolled: 1-line block ×3, first 2 shown]
	s_mov_b32 s12, 0
	s_branch .LBB1027_161
.LBB1027_160:                           ;   in Loop: Header=BB1027_161 Depth=1
	s_or_b64 exec, exec, s[4:5]
	s_addk_i32 s12, 0xc000
	s_addk_i32 s7, 0xf000
	s_add_i32 s6, s6, 16
	s_cmp_eq_u32 s12, 0xffff0000
	v_add_u32_e32 v2, 0x1000, v2
	s_barrier
	s_cbranch_scc1 .LBB1027_201
.LBB1027_161:                           ; =>This Inner Loop Header: Depth=1
	v_add_u32_e32 v4, s7, v10
	v_cmp_gt_u32_e32 vcc, s8, v4
	s_and_saveexec_b64 s[4:5], vcc
	s_cbranch_execz .LBB1027_163
; %bb.162:                              ;   in Loop: Header=BB1027_161 Depth=1
	v_add_u32_e32 v4, s12, v29
	s_waitcnt vmcnt(0)
	ds_write_b32 v4, v3
.LBB1027_163:                           ;   in Loop: Header=BB1027_161 Depth=1
	s_or_b64 exec, exec, s[4:5]
	v_add_u32_e32 v4, s7, v27
	v_cmp_gt_u32_e32 vcc, s8, v4
	s_and_saveexec_b64 s[4:5], vcc
	s_cbranch_execz .LBB1027_165
; %bb.164:                              ;   in Loop: Header=BB1027_161 Depth=1
	v_add_u32_e32 v4, s12, v32
	s_waitcnt vmcnt(0)
	ds_write_b32 v4, v6
.LBB1027_165:                           ;   in Loop: Header=BB1027_161 Depth=1
	s_or_b64 exec, exec, s[4:5]
	;; [unrolled: 10-line block ×16, first 2 shown]
	v_cmp_gt_u32_e32 vcc, s3, v2
	s_waitcnt lgkmcnt(0)
	s_barrier
	s_and_saveexec_b64 s[4:5], vcc
	s_cbranch_execz .LBB1027_195
; %bb.194:                              ;   in Loop: Header=BB1027_161 Depth=1
	scratch_load_dword v4, off, s6
	s_waitcnt vmcnt(0)
	v_lshlrev_b32_e32 v4, 2, v4
	ds_read_b32 v4, v4
	ds_read_b32 v25, v38 offset:1024
	s_waitcnt lgkmcnt(1)
	v_add_u32_e32 v4, v2, v4
	v_lshl_add_u64 v[58:59], v[4:5], 2, s[58:59]
	s_waitcnt lgkmcnt(0)
	global_store_dword v[58:59], v25, off
.LBB1027_195:                           ;   in Loop: Header=BB1027_161 Depth=1
	s_or_b64 exec, exec, s[4:5]
	v_add_u32_e32 v4, 0x400, v2
	v_cmp_gt_u32_e32 vcc, s3, v4
	s_and_saveexec_b64 s[4:5], vcc
	s_cbranch_execz .LBB1027_197
; %bb.196:                              ;   in Loop: Header=BB1027_161 Depth=1
	s_add_i32 s13, s6, 4
	scratch_load_dword v4, off, s13
	s_waitcnt vmcnt(0)
	v_lshlrev_b32_e32 v4, 2, v4
	ds_read_b32 v4, v4
	ds_read_b32 v25, v38 offset:5120
	s_waitcnt lgkmcnt(1)
	v_add3_u32 v4, v2, v4, s9
	v_lshl_add_u64 v[58:59], v[4:5], 2, s[58:59]
	s_waitcnt lgkmcnt(0)
	global_store_dword v[58:59], v25, off
.LBB1027_197:                           ;   in Loop: Header=BB1027_161 Depth=1
	s_or_b64 exec, exec, s[4:5]
	v_add_u32_e32 v4, 0x800, v2
	v_cmp_gt_u32_e32 vcc, s3, v4
	s_and_saveexec_b64 s[4:5], vcc
	s_cbranch_execz .LBB1027_199
; %bb.198:                              ;   in Loop: Header=BB1027_161 Depth=1
	s_add_i32 s13, s6, 8
	scratch_load_dword v4, off, s13
	s_waitcnt vmcnt(0)
	v_lshlrev_b32_e32 v4, 2, v4
	ds_read_b32 v4, v4
	ds_read_b32 v25, v38 offset:9216
	s_waitcnt lgkmcnt(1)
	v_add3_u32 v4, v2, v4, s10
	v_lshl_add_u64 v[58:59], v[4:5], 2, s[58:59]
	s_waitcnt lgkmcnt(0)
	global_store_dword v[58:59], v25, off
.LBB1027_199:                           ;   in Loop: Header=BB1027_161 Depth=1
	s_or_b64 exec, exec, s[4:5]
	v_add_u32_e32 v4, 0xc00, v2
	v_cmp_gt_u32_e32 vcc, s3, v4
	s_and_saveexec_b64 s[4:5], vcc
	s_cbranch_execz .LBB1027_160
; %bb.200:                              ;   in Loop: Header=BB1027_161 Depth=1
	s_add_i32 s13, s6, 12
	scratch_load_dword v4, off, s13
	s_waitcnt vmcnt(0)
	v_lshlrev_b32_e32 v4, 2, v4
	ds_read_b32 v4, v4
	ds_read_b32 v25, v38 offset:13312
	s_waitcnt lgkmcnt(1)
	v_add3_u32 v4, v2, v4, s11
	v_lshl_add_u64 v[58:59], v[4:5], 2, s[58:59]
	s_waitcnt lgkmcnt(0)
	global_store_dword v[58:59], v25, off
	s_branch .LBB1027_160
.LBB1027_201:
	s_add_i32 s33, s33, -1
	s_cmp_eq_u32 s2, s33
	s_cselect_b64 s[4:5], -1, 0
	s_xor_b64 s[6:7], s[34:35], -1
	s_and_b64 s[6:7], s[6:7], s[4:5]
	s_and_saveexec_b64 s[4:5], s[6:7]
	s_cbranch_execz .LBB1027_203
; %bb.202:
	ds_read_b32 v2, v38
	s_waitcnt lgkmcnt(0)
	v_add3_u32 v2, v31, v33, v2
	global_store_dword v38, v2, s[62:63]
.LBB1027_203:
	s_or_b64 exec, exec, s[4:5]
	s_mov_b64 s[4:5], 0
.LBB1027_204:
	s_and_b64 vcc, exec, s[4:5]
	s_cbranch_vccz .LBB1027_327
; %bb.205:
	v_and_b32_e32 v2, 0x3ff, v0
	s_lshl_b32 s4, s2, 14
	s_mov_b32 s5, 0
	s_lshl_b64 s[10:11], s[4:5], 2
	v_mbcnt_hi_u32_b32 v10, -1, v1
	v_lshlrev_b32_e32 v1, 4, v2
	s_add_u32 s4, s52, s10
	s_waitcnt vmcnt(0)
	v_and_b32_e32 v3, 63, v10
	v_and_b32_e32 v6, 0x3c00, v1
	v_mov_b32_e32 v1, 0
	s_addc_u32 s5, s53, s11
	v_lshlrev_b32_e32 v4, 2, v3
	v_mov_b32_e32 v5, v1
	v_lshl_add_u64 v[8:9], s[4:5], 0, v[4:5]
	s_load_dword s3, s[0:1], 0x58
	s_load_dword s4, s[0:1], 0x64
	v_lshlrev_b32_e32 v6, 2, v6
	v_mov_b32_e32 v7, v1
	s_add_u32 s0, s0, 0x58
	v_lshl_add_u64 v[8:9], v[8:9], 0, v[6:7]
	s_addc_u32 s1, s1, 0
	s_waitcnt lgkmcnt(0)
	s_lshr_b32 s4, s4, 16
	global_load_dword v3, v[8:9], off
	s_cmp_lt_u32 s2, s3
	s_cselect_b32 s5, 12, 18
	s_add_u32 s0, s0, s5
	s_addc_u32 s1, s1, 0
	global_load_ushort v13, v1, s[0:1]
	v_mul_u32_u24_e32 v11, 20, v2
	ds_write2_b32 v11, v1, v1 offset0:16 offset1:17
	ds_write2_b32 v11, v1, v1 offset0:18 offset1:19
	ds_write_b32 v11, v1 offset:80
	global_load_dword v5, v[8:9], off offset:256
	global_load_dword v7, v[8:9], off offset:512
	;; [unrolled: 1-line block ×15, first 2 shown]
	v_bfe_u32 v14, v0, 10, 10
	v_bfe_u32 v0, v0, 20, 10
	v_mad_u32_u24 v8, v0, s4, v14
	s_lshl_b32 s0, -1, s65
	v_mov_b32_e32 v16, v1
	s_not_b32 s14, s0
	v_mov_b32_e32 v20, v1
	v_mov_b32_e32 v26, v1
	s_movk_i32 s8, 0x44
	s_waitcnt lgkmcnt(0)
	s_barrier
	s_waitcnt vmcnt(16)
	; wave barrier
	v_xor_b32_e32 v3, 0x7fffffff, v3
	v_lshrrev_b32_e32 v0, s64, v3
	v_bitop3_b32 v14, v0, s0, v0 bitop3:0x30
	v_and_b32_e32 v0, 1, v14
	v_lshlrev_b32_e32 v17, 30, v14
	v_lshlrev_b32_e32 v21, 29, v14
	s_waitcnt vmcnt(15)
	v_mad_u64_u32 v[8:9], s[0:1], v8, v13, v[2:3]
	v_lshl_add_u64 v[32:33], v[0:1], 0, -1
	v_cmp_ne_u32_e32 vcc, 0, v0
	v_not_b32_e32 v0, v17
	v_lshlrev_b32_e32 v27, 28, v14
	v_cmp_gt_i64_e64 s[0:1], 0, v[16:17]
	v_not_b32_e32 v9, v21
	v_lshrrev_b32_e32 v28, 6, v8
	v_xor_b32_e32 v8, vcc_hi, v33
	v_xor_b32_e32 v16, vcc_lo, v32
	v_ashrrev_i32_e32 v0, 31, v0
	v_cmp_gt_i64_e64 s[4:5], 0, v[20:21]
	v_not_b32_e32 v13, v27
	v_ashrrev_i32_e32 v9, 31, v9
	v_and_b32_e32 v8, exec_hi, v8
	v_and_b32_e32 v16, exec_lo, v16
	v_xor_b32_e32 v17, s1, v0
	v_xor_b32_e32 v0, s0, v0
	v_cmp_gt_i64_e64 s[6:7], 0, v[26:27]
	v_ashrrev_i32_e32 v13, 31, v13
	v_xor_b32_e32 v20, s5, v9
	v_xor_b32_e32 v9, s4, v9
	v_and_b32_e32 v8, v8, v17
	v_and_b32_e32 v0, v16, v0
	v_xor_b32_e32 v21, s7, v13
	v_and_b32_e32 v8, v8, v20
	v_and_b32_e32 v0, v0, v9
	v_xor_b32_e32 v9, s6, v13
	v_and_b32_e32 v13, v8, v21
	v_and_b32_e32 v0, v0, v9
	v_lshlrev_b32_e32 v9, 27, v14
	v_mov_b32_e32 v8, v1
	v_cmp_gt_i64_e32 vcc, 0, v[8:9]
	v_not_b32_e32 v8, v9
	v_ashrrev_i32_e32 v8, 31, v8
	v_xor_b32_e32 v9, vcc_hi, v8
	v_xor_b32_e32 v8, vcc_lo, v8
	v_and_b32_e32 v13, v13, v9
	v_and_b32_e32 v0, v0, v8
	v_lshlrev_b32_e32 v9, 26, v14
	v_mov_b32_e32 v8, v1
	v_cmp_gt_i64_e32 vcc, 0, v[8:9]
	v_not_b32_e32 v8, v9
	v_ashrrev_i32_e32 v8, 31, v8
	v_xor_b32_e32 v9, vcc_hi, v8
	v_xor_b32_e32 v8, vcc_lo, v8
	v_and_b32_e32 v13, v13, v9
	v_and_b32_e32 v0, v0, v8
	;; [unrolled: 9-line block ×4, first 2 shown]
	v_mbcnt_lo_u32_b32 v0, v8, 0
	v_mul_lo_u32 v18, v14, s8
	v_mbcnt_hi_u32_b32 v14, v9, v0
	v_cmp_eq_u32_e32 vcc, 0, v14
	v_cmp_ne_u64_e64 s[0:1], 0, v[8:9]
	v_lshl_add_u32 v18, v28, 2, v18
	s_and_b64 s[4:5], s[0:1], vcc
	s_and_saveexec_b64 s[0:1], s[4:5]
; %bb.206:
	v_bcnt_u32_b32 v0, v8, 0
	v_bcnt_u32_b32 v0, v9, v0
	ds_write_b32 v18, v0 offset:64
; %bb.207:
	s_or_b64 exec, exec, s[0:1]
	s_waitcnt vmcnt(14)
	v_xor_b32_e32 v5, 0x7fffffff, v5
	v_lshrrev_b32_e32 v0, s64, v5
	v_and_b32_e32 v16, s14, v0
	v_mul_lo_u32 v0, v16, s8
	v_lshl_add_u32 v21, v28, 2, v0
	v_and_b32_e32 v0, 1, v16
	v_lshl_add_u64 v[8:9], v[0:1], 0, -1
	v_cmp_ne_u32_e32 vcc, 0, v0
	; wave barrier
	s_nop 1
	v_xor_b32_e32 v8, vcc_lo, v8
	v_xor_b32_e32 v0, vcc_hi, v9
	v_and_b32_e32 v17, exec_lo, v8
	v_lshlrev_b32_e32 v9, 30, v16
	v_mov_b32_e32 v8, v1
	v_cmp_gt_i64_e32 vcc, 0, v[8:9]
	v_not_b32_e32 v8, v9
	v_ashrrev_i32_e32 v8, 31, v8
	v_and_b32_e32 v0, exec_hi, v0
	v_xor_b32_e32 v9, vcc_hi, v8
	v_xor_b32_e32 v8, vcc_lo, v8
	v_and_b32_e32 v0, v0, v9
	v_and_b32_e32 v17, v17, v8
	v_lshlrev_b32_e32 v9, 29, v16
	v_mov_b32_e32 v8, v1
	v_cmp_gt_i64_e32 vcc, 0, v[8:9]
	v_not_b32_e32 v8, v9
	v_ashrrev_i32_e32 v8, 31, v8
	v_xor_b32_e32 v9, vcc_hi, v8
	v_xor_b32_e32 v8, vcc_lo, v8
	v_and_b32_e32 v0, v0, v9
	v_and_b32_e32 v17, v17, v8
	v_lshlrev_b32_e32 v9, 28, v16
	v_mov_b32_e32 v8, v1
	v_cmp_gt_i64_e32 vcc, 0, v[8:9]
	v_not_b32_e32 v8, v9
	v_ashrrev_i32_e32 v8, 31, v8
	;; [unrolled: 9-line block ×5, first 2 shown]
	v_xor_b32_e32 v9, vcc_hi, v8
	v_xor_b32_e32 v8, vcc_lo, v8
	v_and_b32_e32 v0, v0, v9
	v_lshlrev_b32_e32 v9, 24, v16
	v_and_b32_e32 v17, v17, v8
	v_mov_b32_e32 v8, v1
	v_not_b32_e32 v1, v9
	v_cmp_gt_i64_e32 vcc, 0, v[8:9]
	v_ashrrev_i32_e32 v1, 31, v1
	ds_read_b32 v13, v21 offset:64
	v_xor_b32_e32 v8, vcc_hi, v1
	v_xor_b32_e32 v9, vcc_lo, v1
	v_and_b32_e32 v1, v0, v8
	v_and_b32_e32 v0, v17, v9
	v_mbcnt_lo_u32_b32 v8, v0, 0
	v_mbcnt_hi_u32_b32 v16, v1, v8
	v_cmp_eq_u32_e32 vcc, 0, v16
	v_cmp_ne_u64_e64 s[0:1], 0, v[0:1]
	s_and_b64 s[4:5], s[0:1], vcc
	; wave barrier
	s_and_saveexec_b64 s[0:1], s[4:5]
	s_cbranch_execz .LBB1027_209
; %bb.208:
	v_bcnt_u32_b32 v0, v0, 0
	v_bcnt_u32_b32 v0, v1, v0
	s_waitcnt lgkmcnt(0)
	v_add_u32_e32 v0, v13, v0
	ds_write_b32 v21, v0 offset:64
.LBB1027_209:
	s_or_b64 exec, exec, s[0:1]
	s_waitcnt vmcnt(13)
	v_xor_b32_e32 v7, 0x7fffffff, v7
	v_lshrrev_b32_e32 v0, s64, v7
	v_and_b32_e32 v20, s14, v0
	s_movk_i32 s4, 0x44
	v_mul_lo_u32 v0, v20, s4
	v_lshl_add_u32 v26, v28, 2, v0
	v_and_b32_e32 v0, 1, v20
	v_mov_b32_e32 v1, 0
	v_lshl_add_u64 v[8:9], v[0:1], 0, -1
	v_cmp_ne_u32_e32 vcc, 0, v0
	; wave barrier
	s_nop 1
	v_xor_b32_e32 v8, vcc_lo, v8
	v_xor_b32_e32 v0, vcc_hi, v9
	v_and_b32_e32 v22, exec_lo, v8
	v_lshlrev_b32_e32 v9, 30, v20
	v_mov_b32_e32 v8, v1
	v_cmp_gt_i64_e32 vcc, 0, v[8:9]
	v_not_b32_e32 v8, v9
	v_ashrrev_i32_e32 v8, 31, v8
	v_and_b32_e32 v0, exec_hi, v0
	v_xor_b32_e32 v9, vcc_hi, v8
	v_xor_b32_e32 v8, vcc_lo, v8
	v_and_b32_e32 v0, v0, v9
	v_and_b32_e32 v22, v22, v8
	v_lshlrev_b32_e32 v9, 29, v20
	v_mov_b32_e32 v8, v1
	v_cmp_gt_i64_e32 vcc, 0, v[8:9]
	v_not_b32_e32 v8, v9
	v_ashrrev_i32_e32 v8, 31, v8
	v_xor_b32_e32 v9, vcc_hi, v8
	v_xor_b32_e32 v8, vcc_lo, v8
	v_and_b32_e32 v0, v0, v9
	v_and_b32_e32 v22, v22, v8
	v_lshlrev_b32_e32 v9, 28, v20
	v_mov_b32_e32 v8, v1
	v_cmp_gt_i64_e32 vcc, 0, v[8:9]
	v_not_b32_e32 v8, v9
	v_ashrrev_i32_e32 v8, 31, v8
	;; [unrolled: 9-line block ×6, first 2 shown]
	v_xor_b32_e32 v9, vcc_hi, v8
	v_xor_b32_e32 v8, vcc_lo, v8
	ds_read_b32 v17, v26 offset:64
	v_and_b32_e32 v8, v22, v8
	v_and_b32_e32 v9, v0, v9
	v_mbcnt_lo_u32_b32 v0, v8, 0
	v_mbcnt_hi_u32_b32 v20, v9, v0
	v_cmp_eq_u32_e32 vcc, 0, v20
	v_cmp_ne_u64_e64 s[0:1], 0, v[8:9]
	s_and_b64 s[6:7], s[0:1], vcc
	; wave barrier
	s_and_saveexec_b64 s[0:1], s[6:7]
	s_cbranch_execz .LBB1027_211
; %bb.210:
	v_bcnt_u32_b32 v0, v8, 0
	v_bcnt_u32_b32 v0, v9, v0
	s_waitcnt lgkmcnt(0)
	v_add_u32_e32 v0, v17, v0
	ds_write_b32 v26, v0 offset:64
.LBB1027_211:
	s_or_b64 exec, exec, s[0:1]
	s_waitcnt vmcnt(12)
	v_xor_b32_e32 v12, 0x7fffffff, v12
	v_lshrrev_b32_e32 v0, s64, v12
	v_and_b32_e32 v24, s14, v0
	v_mul_lo_u32 v0, v24, s4
	v_lshl_add_u32 v32, v28, 2, v0
	v_and_b32_e32 v0, 1, v24
	v_lshl_add_u64 v[8:9], v[0:1], 0, -1
	v_cmp_ne_u32_e32 vcc, 0, v0
	; wave barrier
	s_nop 1
	v_xor_b32_e32 v8, vcc_lo, v8
	v_xor_b32_e32 v0, vcc_hi, v9
	v_and_b32_e32 v27, exec_lo, v8
	v_lshlrev_b32_e32 v9, 30, v24
	v_mov_b32_e32 v8, v1
	v_cmp_gt_i64_e32 vcc, 0, v[8:9]
	v_not_b32_e32 v8, v9
	v_ashrrev_i32_e32 v8, 31, v8
	v_and_b32_e32 v0, exec_hi, v0
	v_xor_b32_e32 v9, vcc_hi, v8
	v_xor_b32_e32 v8, vcc_lo, v8
	v_and_b32_e32 v0, v0, v9
	v_and_b32_e32 v27, v27, v8
	v_lshlrev_b32_e32 v9, 29, v24
	v_mov_b32_e32 v8, v1
	v_cmp_gt_i64_e32 vcc, 0, v[8:9]
	v_not_b32_e32 v8, v9
	v_ashrrev_i32_e32 v8, 31, v8
	v_xor_b32_e32 v9, vcc_hi, v8
	v_xor_b32_e32 v8, vcc_lo, v8
	v_and_b32_e32 v0, v0, v9
	v_and_b32_e32 v27, v27, v8
	v_lshlrev_b32_e32 v9, 28, v24
	v_mov_b32_e32 v8, v1
	v_cmp_gt_i64_e32 vcc, 0, v[8:9]
	v_not_b32_e32 v8, v9
	v_ashrrev_i32_e32 v8, 31, v8
	;; [unrolled: 9-line block ×5, first 2 shown]
	v_xor_b32_e32 v9, vcc_hi, v8
	v_xor_b32_e32 v8, vcc_lo, v8
	v_and_b32_e32 v0, v0, v9
	v_lshlrev_b32_e32 v9, 24, v24
	v_and_b32_e32 v27, v27, v8
	v_mov_b32_e32 v8, v1
	v_not_b32_e32 v1, v9
	v_cmp_gt_i64_e32 vcc, 0, v[8:9]
	v_ashrrev_i32_e32 v1, 31, v1
	ds_read_b32 v22, v32 offset:64
	v_xor_b32_e32 v8, vcc_hi, v1
	v_xor_b32_e32 v9, vcc_lo, v1
	v_and_b32_e32 v1, v0, v8
	v_and_b32_e32 v0, v27, v9
	v_mbcnt_lo_u32_b32 v8, v0, 0
	v_mbcnt_hi_u32_b32 v24, v1, v8
	v_cmp_eq_u32_e32 vcc, 0, v24
	v_cmp_ne_u64_e64 s[0:1], 0, v[0:1]
	s_and_b64 s[4:5], s[0:1], vcc
	; wave barrier
	s_and_saveexec_b64 s[0:1], s[4:5]
	s_cbranch_execz .LBB1027_213
; %bb.212:
	v_bcnt_u32_b32 v0, v0, 0
	v_bcnt_u32_b32 v0, v1, v0
	s_waitcnt lgkmcnt(0)
	v_add_u32_e32 v0, v22, v0
	ds_write_b32 v32, v0 offset:64
.LBB1027_213:
	s_or_b64 exec, exec, s[0:1]
	s_waitcnt vmcnt(11)
	v_xor_b32_e32 v15, 0x7fffffff, v15
	v_lshrrev_b32_e32 v0, s64, v15
	v_and_b32_e32 v30, s14, v0
	s_movk_i32 s4, 0x44
	v_mul_lo_u32 v0, v30, s4
	v_lshl_add_u32 v37, v28, 2, v0
	v_and_b32_e32 v0, 1, v30
	v_mov_b32_e32 v1, 0
	v_lshl_add_u64 v[8:9], v[0:1], 0, -1
	v_cmp_ne_u32_e32 vcc, 0, v0
	; wave barrier
	s_nop 1
	v_xor_b32_e32 v8, vcc_lo, v8
	v_xor_b32_e32 v0, vcc_hi, v9
	v_and_b32_e32 v33, exec_lo, v8
	v_lshlrev_b32_e32 v9, 30, v30
	v_mov_b32_e32 v8, v1
	v_cmp_gt_i64_e32 vcc, 0, v[8:9]
	v_not_b32_e32 v8, v9
	v_ashrrev_i32_e32 v8, 31, v8
	v_and_b32_e32 v0, exec_hi, v0
	v_xor_b32_e32 v9, vcc_hi, v8
	v_xor_b32_e32 v8, vcc_lo, v8
	v_and_b32_e32 v0, v0, v9
	v_and_b32_e32 v33, v33, v8
	v_lshlrev_b32_e32 v9, 29, v30
	v_mov_b32_e32 v8, v1
	v_cmp_gt_i64_e32 vcc, 0, v[8:9]
	v_not_b32_e32 v8, v9
	v_ashrrev_i32_e32 v8, 31, v8
	v_xor_b32_e32 v9, vcc_hi, v8
	v_xor_b32_e32 v8, vcc_lo, v8
	v_and_b32_e32 v0, v0, v9
	v_and_b32_e32 v33, v33, v8
	v_lshlrev_b32_e32 v9, 28, v30
	v_mov_b32_e32 v8, v1
	v_cmp_gt_i64_e32 vcc, 0, v[8:9]
	v_not_b32_e32 v8, v9
	v_ashrrev_i32_e32 v8, 31, v8
	;; [unrolled: 9-line block ×6, first 2 shown]
	v_xor_b32_e32 v9, vcc_hi, v8
	v_xor_b32_e32 v8, vcc_lo, v8
	ds_read_b32 v27, v37 offset:64
	v_and_b32_e32 v8, v33, v8
	v_and_b32_e32 v9, v0, v9
	v_mbcnt_lo_u32_b32 v0, v8, 0
	v_mbcnt_hi_u32_b32 v30, v9, v0
	v_cmp_eq_u32_e32 vcc, 0, v30
	v_cmp_ne_u64_e64 s[0:1], 0, v[8:9]
	s_and_b64 s[6:7], s[0:1], vcc
	; wave barrier
	s_and_saveexec_b64 s[0:1], s[6:7]
	s_cbranch_execz .LBB1027_215
; %bb.214:
	v_bcnt_u32_b32 v0, v8, 0
	v_bcnt_u32_b32 v0, v9, v0
	s_waitcnt lgkmcnt(0)
	v_add_u32_e32 v0, v27, v0
	ds_write_b32 v37, v0 offset:64
.LBB1027_215:
	s_or_b64 exec, exec, s[0:1]
	s_waitcnt vmcnt(10)
	v_xor_b32_e32 v19, 0x7fffffff, v19
	v_lshrrev_b32_e32 v0, s64, v19
	v_and_b32_e32 v35, s14, v0
	v_mul_lo_u32 v0, v35, s4
	v_lshl_add_u32 v41, v28, 2, v0
	v_and_b32_e32 v0, 1, v35
	v_lshl_add_u64 v[8:9], v[0:1], 0, -1
	v_cmp_ne_u32_e32 vcc, 0, v0
	; wave barrier
	s_nop 1
	v_xor_b32_e32 v8, vcc_lo, v8
	v_xor_b32_e32 v0, vcc_hi, v9
	v_and_b32_e32 v38, exec_lo, v8
	v_lshlrev_b32_e32 v9, 30, v35
	v_mov_b32_e32 v8, v1
	v_cmp_gt_i64_e32 vcc, 0, v[8:9]
	v_not_b32_e32 v8, v9
	v_ashrrev_i32_e32 v8, 31, v8
	v_and_b32_e32 v0, exec_hi, v0
	v_xor_b32_e32 v9, vcc_hi, v8
	v_xor_b32_e32 v8, vcc_lo, v8
	v_and_b32_e32 v0, v0, v9
	v_and_b32_e32 v38, v38, v8
	v_lshlrev_b32_e32 v9, 29, v35
	v_mov_b32_e32 v8, v1
	v_cmp_gt_i64_e32 vcc, 0, v[8:9]
	v_not_b32_e32 v8, v9
	v_ashrrev_i32_e32 v8, 31, v8
	v_xor_b32_e32 v9, vcc_hi, v8
	v_xor_b32_e32 v8, vcc_lo, v8
	v_and_b32_e32 v0, v0, v9
	v_and_b32_e32 v38, v38, v8
	v_lshlrev_b32_e32 v9, 28, v35
	v_mov_b32_e32 v8, v1
	v_cmp_gt_i64_e32 vcc, 0, v[8:9]
	v_not_b32_e32 v8, v9
	v_ashrrev_i32_e32 v8, 31, v8
	v_xor_b32_e32 v9, vcc_hi, v8
	v_xor_b32_e32 v8, vcc_lo, v8
	v_and_b32_e32 v0, v0, v9
	v_and_b32_e32 v38, v38, v8
	v_lshlrev_b32_e32 v9, 27, v35
	v_mov_b32_e32 v8, v1
	v_cmp_gt_i64_e32 vcc, 0, v[8:9]
	v_not_b32_e32 v8, v9
	v_ashrrev_i32_e32 v8, 31, v8
	v_xor_b32_e32 v9, vcc_hi, v8
	v_xor_b32_e32 v8, vcc_lo, v8
	v_and_b32_e32 v0, v0, v9
	v_and_b32_e32 v38, v38, v8
	v_lshlrev_b32_e32 v9, 26, v35
	v_mov_b32_e32 v8, v1
	v_cmp_gt_i64_e32 vcc, 0, v[8:9]
	v_not_b32_e32 v8, v9
	v_ashrrev_i32_e32 v8, 31, v8
	v_xor_b32_e32 v9, vcc_hi, v8
	v_xor_b32_e32 v8, vcc_lo, v8
	v_and_b32_e32 v0, v0, v9
	v_and_b32_e32 v38, v38, v8
	v_lshlrev_b32_e32 v9, 25, v35
	v_mov_b32_e32 v8, v1
	v_cmp_gt_i64_e32 vcc, 0, v[8:9]
	v_not_b32_e32 v8, v9
	v_ashrrev_i32_e32 v8, 31, v8
	v_xor_b32_e32 v9, vcc_hi, v8
	v_xor_b32_e32 v8, vcc_lo, v8
	v_and_b32_e32 v0, v0, v9
	v_lshlrev_b32_e32 v9, 24, v35
	v_and_b32_e32 v38, v38, v8
	v_mov_b32_e32 v8, v1
	v_not_b32_e32 v1, v9
	v_cmp_gt_i64_e32 vcc, 0, v[8:9]
	v_ashrrev_i32_e32 v1, 31, v1
	ds_read_b32 v33, v41 offset:64
	v_xor_b32_e32 v8, vcc_hi, v1
	v_xor_b32_e32 v9, vcc_lo, v1
	v_and_b32_e32 v1, v0, v8
	v_and_b32_e32 v0, v38, v9
	v_mbcnt_lo_u32_b32 v8, v0, 0
	v_mbcnt_hi_u32_b32 v35, v1, v8
	v_cmp_eq_u32_e32 vcc, 0, v35
	v_cmp_ne_u64_e64 s[0:1], 0, v[0:1]
	s_and_b64 s[4:5], s[0:1], vcc
	; wave barrier
	s_and_saveexec_b64 s[0:1], s[4:5]
	s_cbranch_execz .LBB1027_217
; %bb.216:
	v_bcnt_u32_b32 v0, v0, 0
	v_bcnt_u32_b32 v0, v1, v0
	s_waitcnt lgkmcnt(0)
	v_add_u32_e32 v0, v33, v0
	ds_write_b32 v41, v0 offset:64
.LBB1027_217:
	s_or_b64 exec, exec, s[0:1]
	s_waitcnt vmcnt(9)
	v_xor_b32_e32 v23, 0x7fffffff, v23
	v_lshrrev_b32_e32 v0, s64, v23
	v_and_b32_e32 v42, s14, v0
	s_movk_i32 s4, 0x44
	v_mul_lo_u32 v0, v42, s4
	v_lshl_add_u32 v46, v28, 2, v0
	v_and_b32_e32 v0, 1, v42
	v_mov_b32_e32 v1, 0
	v_lshl_add_u64 v[8:9], v[0:1], 0, -1
	v_cmp_ne_u32_e32 vcc, 0, v0
	; wave barrier
	s_nop 1
	v_xor_b32_e32 v8, vcc_lo, v8
	v_xor_b32_e32 v0, vcc_hi, v9
	v_and_b32_e32 v43, exec_lo, v8
	v_lshlrev_b32_e32 v9, 30, v42
	v_mov_b32_e32 v8, v1
	v_cmp_gt_i64_e32 vcc, 0, v[8:9]
	v_not_b32_e32 v8, v9
	v_ashrrev_i32_e32 v8, 31, v8
	v_and_b32_e32 v0, exec_hi, v0
	v_xor_b32_e32 v9, vcc_hi, v8
	v_xor_b32_e32 v8, vcc_lo, v8
	v_and_b32_e32 v0, v0, v9
	v_and_b32_e32 v43, v43, v8
	v_lshlrev_b32_e32 v9, 29, v42
	v_mov_b32_e32 v8, v1
	v_cmp_gt_i64_e32 vcc, 0, v[8:9]
	v_not_b32_e32 v8, v9
	v_ashrrev_i32_e32 v8, 31, v8
	v_xor_b32_e32 v9, vcc_hi, v8
	v_xor_b32_e32 v8, vcc_lo, v8
	v_and_b32_e32 v0, v0, v9
	v_and_b32_e32 v43, v43, v8
	v_lshlrev_b32_e32 v9, 28, v42
	v_mov_b32_e32 v8, v1
	v_cmp_gt_i64_e32 vcc, 0, v[8:9]
	v_not_b32_e32 v8, v9
	v_ashrrev_i32_e32 v8, 31, v8
	;; [unrolled: 9-line block ×6, first 2 shown]
	v_xor_b32_e32 v9, vcc_hi, v8
	v_xor_b32_e32 v8, vcc_lo, v8
	ds_read_b32 v38, v46 offset:64
	v_and_b32_e32 v8, v43, v8
	v_and_b32_e32 v9, v0, v9
	v_mbcnt_lo_u32_b32 v0, v8, 0
	v_mbcnt_hi_u32_b32 v42, v9, v0
	v_cmp_eq_u32_e32 vcc, 0, v42
	v_cmp_ne_u64_e64 s[0:1], 0, v[8:9]
	s_and_b64 s[6:7], s[0:1], vcc
	; wave barrier
	s_and_saveexec_b64 s[0:1], s[6:7]
	s_cbranch_execz .LBB1027_219
; %bb.218:
	v_bcnt_u32_b32 v0, v8, 0
	v_bcnt_u32_b32 v0, v9, v0
	s_waitcnt lgkmcnt(0)
	v_add_u32_e32 v0, v38, v0
	ds_write_b32 v46, v0 offset:64
.LBB1027_219:
	s_or_b64 exec, exec, s[0:1]
	s_waitcnt vmcnt(8)
	v_xor_b32_e32 v29, 0x7fffffff, v29
	v_lshrrev_b32_e32 v0, s64, v29
	v_and_b32_e32 v47, s14, v0
	v_mul_lo_u32 v0, v47, s4
	v_lshl_add_u32 v49, v28, 2, v0
	v_and_b32_e32 v0, 1, v47
	v_lshl_add_u64 v[8:9], v[0:1], 0, -1
	v_cmp_ne_u32_e32 vcc, 0, v0
	; wave barrier
	s_nop 1
	v_xor_b32_e32 v8, vcc_lo, v8
	v_xor_b32_e32 v0, vcc_hi, v9
	v_and_b32_e32 v48, exec_lo, v8
	v_lshlrev_b32_e32 v9, 30, v47
	v_mov_b32_e32 v8, v1
	v_cmp_gt_i64_e32 vcc, 0, v[8:9]
	v_not_b32_e32 v8, v9
	v_ashrrev_i32_e32 v8, 31, v8
	v_and_b32_e32 v0, exec_hi, v0
	v_xor_b32_e32 v9, vcc_hi, v8
	v_xor_b32_e32 v8, vcc_lo, v8
	v_and_b32_e32 v0, v0, v9
	v_and_b32_e32 v48, v48, v8
	v_lshlrev_b32_e32 v9, 29, v47
	v_mov_b32_e32 v8, v1
	v_cmp_gt_i64_e32 vcc, 0, v[8:9]
	v_not_b32_e32 v8, v9
	v_ashrrev_i32_e32 v8, 31, v8
	v_xor_b32_e32 v9, vcc_hi, v8
	v_xor_b32_e32 v8, vcc_lo, v8
	v_and_b32_e32 v0, v0, v9
	v_and_b32_e32 v48, v48, v8
	v_lshlrev_b32_e32 v9, 28, v47
	v_mov_b32_e32 v8, v1
	v_cmp_gt_i64_e32 vcc, 0, v[8:9]
	v_not_b32_e32 v8, v9
	v_ashrrev_i32_e32 v8, 31, v8
	;; [unrolled: 9-line block ×5, first 2 shown]
	v_xor_b32_e32 v9, vcc_hi, v8
	v_xor_b32_e32 v8, vcc_lo, v8
	v_and_b32_e32 v0, v0, v9
	v_lshlrev_b32_e32 v9, 24, v47
	v_and_b32_e32 v48, v48, v8
	v_mov_b32_e32 v8, v1
	v_not_b32_e32 v1, v9
	v_cmp_gt_i64_e32 vcc, 0, v[8:9]
	v_ashrrev_i32_e32 v1, 31, v1
	ds_read_b32 v43, v49 offset:64
	v_xor_b32_e32 v8, vcc_hi, v1
	v_xor_b32_e32 v9, vcc_lo, v1
	v_and_b32_e32 v1, v0, v8
	v_and_b32_e32 v0, v48, v9
	v_mbcnt_lo_u32_b32 v8, v0, 0
	v_mbcnt_hi_u32_b32 v47, v1, v8
	v_cmp_eq_u32_e32 vcc, 0, v47
	v_cmp_ne_u64_e64 s[0:1], 0, v[0:1]
	s_and_b64 s[4:5], s[0:1], vcc
	; wave barrier
	s_and_saveexec_b64 s[0:1], s[4:5]
	s_cbranch_execz .LBB1027_221
; %bb.220:
	v_bcnt_u32_b32 v0, v0, 0
	v_bcnt_u32_b32 v0, v1, v0
	s_waitcnt lgkmcnt(0)
	v_add_u32_e32 v0, v43, v0
	ds_write_b32 v49, v0 offset:64
.LBB1027_221:
	s_or_b64 exec, exec, s[0:1]
	s_waitcnt vmcnt(7)
	v_xor_b32_e32 v34, 0x7fffffff, v34
	v_lshrrev_b32_e32 v0, s64, v34
	v_and_b32_e32 v50, s14, v0
	s_movk_i32 s4, 0x44
	v_mul_lo_u32 v0, v50, s4
	v_lshl_add_u32 v52, v28, 2, v0
	v_and_b32_e32 v0, 1, v50
	v_mov_b32_e32 v1, 0
	v_lshl_add_u64 v[8:9], v[0:1], 0, -1
	v_cmp_ne_u32_e32 vcc, 0, v0
	; wave barrier
	s_nop 1
	v_xor_b32_e32 v8, vcc_lo, v8
	v_xor_b32_e32 v0, vcc_hi, v9
	v_and_b32_e32 v51, exec_lo, v8
	v_lshlrev_b32_e32 v9, 30, v50
	v_mov_b32_e32 v8, v1
	v_cmp_gt_i64_e32 vcc, 0, v[8:9]
	v_not_b32_e32 v8, v9
	v_ashrrev_i32_e32 v8, 31, v8
	v_and_b32_e32 v0, exec_hi, v0
	v_xor_b32_e32 v9, vcc_hi, v8
	v_xor_b32_e32 v8, vcc_lo, v8
	v_and_b32_e32 v0, v0, v9
	v_and_b32_e32 v51, v51, v8
	v_lshlrev_b32_e32 v9, 29, v50
	v_mov_b32_e32 v8, v1
	v_cmp_gt_i64_e32 vcc, 0, v[8:9]
	v_not_b32_e32 v8, v9
	v_ashrrev_i32_e32 v8, 31, v8
	v_xor_b32_e32 v9, vcc_hi, v8
	v_xor_b32_e32 v8, vcc_lo, v8
	v_and_b32_e32 v0, v0, v9
	v_and_b32_e32 v51, v51, v8
	v_lshlrev_b32_e32 v9, 28, v50
	v_mov_b32_e32 v8, v1
	v_cmp_gt_i64_e32 vcc, 0, v[8:9]
	v_not_b32_e32 v8, v9
	v_ashrrev_i32_e32 v8, 31, v8
	;; [unrolled: 9-line block ×6, first 2 shown]
	v_xor_b32_e32 v9, vcc_hi, v8
	v_xor_b32_e32 v8, vcc_lo, v8
	ds_read_b32 v48, v52 offset:64
	v_and_b32_e32 v8, v51, v8
	v_and_b32_e32 v9, v0, v9
	v_mbcnt_lo_u32_b32 v0, v8, 0
	v_mbcnt_hi_u32_b32 v50, v9, v0
	v_cmp_eq_u32_e32 vcc, 0, v50
	v_cmp_ne_u64_e64 s[0:1], 0, v[8:9]
	s_and_b64 s[6:7], s[0:1], vcc
	; wave barrier
	s_and_saveexec_b64 s[0:1], s[6:7]
	s_cbranch_execz .LBB1027_223
; %bb.222:
	v_bcnt_u32_b32 v0, v8, 0
	v_bcnt_u32_b32 v0, v9, v0
	s_waitcnt lgkmcnt(0)
	v_add_u32_e32 v0, v48, v0
	ds_write_b32 v52, v0 offset:64
.LBB1027_223:
	s_or_b64 exec, exec, s[0:1]
	s_waitcnt vmcnt(6)
	v_xor_b32_e32 v39, 0x7fffffff, v39
	v_lshrrev_b32_e32 v0, s64, v39
	v_and_b32_e32 v53, s14, v0
	v_mul_lo_u32 v0, v53, s4
	v_lshl_add_u32 v55, v28, 2, v0
	v_and_b32_e32 v0, 1, v53
	v_lshl_add_u64 v[8:9], v[0:1], 0, -1
	v_cmp_ne_u32_e32 vcc, 0, v0
	; wave barrier
	s_nop 1
	v_xor_b32_e32 v8, vcc_lo, v8
	v_xor_b32_e32 v0, vcc_hi, v9
	v_and_b32_e32 v54, exec_lo, v8
	v_lshlrev_b32_e32 v9, 30, v53
	v_mov_b32_e32 v8, v1
	v_cmp_gt_i64_e32 vcc, 0, v[8:9]
	v_not_b32_e32 v8, v9
	v_ashrrev_i32_e32 v8, 31, v8
	v_and_b32_e32 v0, exec_hi, v0
	v_xor_b32_e32 v9, vcc_hi, v8
	v_xor_b32_e32 v8, vcc_lo, v8
	v_and_b32_e32 v0, v0, v9
	v_and_b32_e32 v54, v54, v8
	v_lshlrev_b32_e32 v9, 29, v53
	v_mov_b32_e32 v8, v1
	v_cmp_gt_i64_e32 vcc, 0, v[8:9]
	v_not_b32_e32 v8, v9
	v_ashrrev_i32_e32 v8, 31, v8
	v_xor_b32_e32 v9, vcc_hi, v8
	v_xor_b32_e32 v8, vcc_lo, v8
	v_and_b32_e32 v0, v0, v9
	v_and_b32_e32 v54, v54, v8
	v_lshlrev_b32_e32 v9, 28, v53
	v_mov_b32_e32 v8, v1
	v_cmp_gt_i64_e32 vcc, 0, v[8:9]
	v_not_b32_e32 v8, v9
	v_ashrrev_i32_e32 v8, 31, v8
	;; [unrolled: 9-line block ×5, first 2 shown]
	v_xor_b32_e32 v9, vcc_hi, v8
	v_xor_b32_e32 v8, vcc_lo, v8
	v_and_b32_e32 v0, v0, v9
	v_lshlrev_b32_e32 v9, 24, v53
	v_and_b32_e32 v54, v54, v8
	v_mov_b32_e32 v8, v1
	v_not_b32_e32 v1, v9
	v_cmp_gt_i64_e32 vcc, 0, v[8:9]
	v_ashrrev_i32_e32 v1, 31, v1
	ds_read_b32 v51, v55 offset:64
	v_xor_b32_e32 v8, vcc_hi, v1
	v_xor_b32_e32 v9, vcc_lo, v1
	v_and_b32_e32 v1, v0, v8
	v_and_b32_e32 v0, v54, v9
	v_mbcnt_lo_u32_b32 v8, v0, 0
	v_mbcnt_hi_u32_b32 v53, v1, v8
	v_cmp_eq_u32_e32 vcc, 0, v53
	v_cmp_ne_u64_e64 s[0:1], 0, v[0:1]
	s_and_b64 s[4:5], s[0:1], vcc
	; wave barrier
	s_and_saveexec_b64 s[0:1], s[4:5]
	s_cbranch_execz .LBB1027_225
; %bb.224:
	v_bcnt_u32_b32 v0, v0, 0
	v_bcnt_u32_b32 v0, v1, v0
	s_waitcnt lgkmcnt(0)
	v_add_u32_e32 v0, v51, v0
	ds_write_b32 v55, v0 offset:64
.LBB1027_225:
	s_or_b64 exec, exec, s[0:1]
	s_waitcnt vmcnt(5)
	v_xor_b32_e32 v44, 0x7fffffff, v44
	v_lshrrev_b32_e32 v0, s64, v44
	v_and_b32_e32 v56, s14, v0
	s_movk_i32 s4, 0x44
	v_mul_lo_u32 v0, v56, s4
	v_lshl_add_u32 v58, v28, 2, v0
	v_and_b32_e32 v0, 1, v56
	v_mov_b32_e32 v1, 0
	v_lshl_add_u64 v[8:9], v[0:1], 0, -1
	v_cmp_ne_u32_e32 vcc, 0, v0
	; wave barrier
	s_nop 1
	v_xor_b32_e32 v8, vcc_lo, v8
	v_xor_b32_e32 v0, vcc_hi, v9
	v_and_b32_e32 v57, exec_lo, v8
	v_lshlrev_b32_e32 v9, 30, v56
	v_mov_b32_e32 v8, v1
	v_cmp_gt_i64_e32 vcc, 0, v[8:9]
	v_not_b32_e32 v8, v9
	v_ashrrev_i32_e32 v8, 31, v8
	v_and_b32_e32 v0, exec_hi, v0
	v_xor_b32_e32 v9, vcc_hi, v8
	v_xor_b32_e32 v8, vcc_lo, v8
	v_and_b32_e32 v0, v0, v9
	v_and_b32_e32 v57, v57, v8
	v_lshlrev_b32_e32 v9, 29, v56
	v_mov_b32_e32 v8, v1
	v_cmp_gt_i64_e32 vcc, 0, v[8:9]
	v_not_b32_e32 v8, v9
	v_ashrrev_i32_e32 v8, 31, v8
	v_xor_b32_e32 v9, vcc_hi, v8
	v_xor_b32_e32 v8, vcc_lo, v8
	v_and_b32_e32 v0, v0, v9
	v_and_b32_e32 v57, v57, v8
	v_lshlrev_b32_e32 v9, 28, v56
	v_mov_b32_e32 v8, v1
	v_cmp_gt_i64_e32 vcc, 0, v[8:9]
	v_not_b32_e32 v8, v9
	v_ashrrev_i32_e32 v8, 31, v8
	;; [unrolled: 9-line block ×6, first 2 shown]
	v_xor_b32_e32 v9, vcc_hi, v8
	v_xor_b32_e32 v8, vcc_lo, v8
	ds_read_b32 v54, v58 offset:64
	v_and_b32_e32 v8, v57, v8
	v_and_b32_e32 v9, v0, v9
	v_mbcnt_lo_u32_b32 v0, v8, 0
	v_mbcnt_hi_u32_b32 v56, v9, v0
	v_cmp_eq_u32_e32 vcc, 0, v56
	v_cmp_ne_u64_e64 s[0:1], 0, v[8:9]
	s_and_b64 s[6:7], s[0:1], vcc
	; wave barrier
	s_and_saveexec_b64 s[0:1], s[6:7]
	s_cbranch_execz .LBB1027_227
; %bb.226:
	v_bcnt_u32_b32 v0, v8, 0
	v_bcnt_u32_b32 v0, v9, v0
	s_waitcnt lgkmcnt(0)
	v_add_u32_e32 v0, v54, v0
	ds_write_b32 v58, v0 offset:64
.LBB1027_227:
	s_or_b64 exec, exec, s[0:1]
	s_waitcnt vmcnt(4)
	v_xor_b32_e32 v45, 0x7fffffff, v45
	v_lshrrev_b32_e32 v0, s64, v45
	v_and_b32_e32 v59, s14, v0
	v_mul_lo_u32 v0, v59, s4
	v_lshl_add_u32 v62, v28, 2, v0
	v_and_b32_e32 v0, 1, v59
	v_lshl_add_u64 v[8:9], v[0:1], 0, -1
	v_cmp_ne_u32_e32 vcc, 0, v0
	; wave barrier
	s_nop 1
	v_xor_b32_e32 v8, vcc_lo, v8
	v_xor_b32_e32 v0, vcc_hi, v9
	v_and_b32_e32 v60, exec_lo, v8
	v_lshlrev_b32_e32 v9, 30, v59
	v_mov_b32_e32 v8, v1
	v_cmp_gt_i64_e32 vcc, 0, v[8:9]
	v_not_b32_e32 v8, v9
	v_ashrrev_i32_e32 v8, 31, v8
	v_and_b32_e32 v0, exec_hi, v0
	v_xor_b32_e32 v9, vcc_hi, v8
	v_xor_b32_e32 v8, vcc_lo, v8
	v_and_b32_e32 v0, v0, v9
	v_and_b32_e32 v60, v60, v8
	v_lshlrev_b32_e32 v9, 29, v59
	v_mov_b32_e32 v8, v1
	v_cmp_gt_i64_e32 vcc, 0, v[8:9]
	v_not_b32_e32 v8, v9
	v_ashrrev_i32_e32 v8, 31, v8
	v_xor_b32_e32 v9, vcc_hi, v8
	v_xor_b32_e32 v8, vcc_lo, v8
	v_and_b32_e32 v0, v0, v9
	v_and_b32_e32 v60, v60, v8
	v_lshlrev_b32_e32 v9, 28, v59
	v_mov_b32_e32 v8, v1
	v_cmp_gt_i64_e32 vcc, 0, v[8:9]
	v_not_b32_e32 v8, v9
	v_ashrrev_i32_e32 v8, 31, v8
	;; [unrolled: 9-line block ×5, first 2 shown]
	v_xor_b32_e32 v9, vcc_hi, v8
	v_xor_b32_e32 v8, vcc_lo, v8
	v_and_b32_e32 v0, v0, v9
	v_lshlrev_b32_e32 v9, 24, v59
	v_and_b32_e32 v60, v60, v8
	v_mov_b32_e32 v8, v1
	v_not_b32_e32 v1, v9
	v_cmp_gt_i64_e32 vcc, 0, v[8:9]
	v_ashrrev_i32_e32 v1, 31, v1
	ds_read_b32 v57, v62 offset:64
	v_xor_b32_e32 v8, vcc_hi, v1
	v_xor_b32_e32 v9, vcc_lo, v1
	v_and_b32_e32 v1, v0, v8
	v_and_b32_e32 v0, v60, v9
	v_mbcnt_lo_u32_b32 v8, v0, 0
	v_mbcnt_hi_u32_b32 v59, v1, v8
	v_cmp_eq_u32_e32 vcc, 0, v59
	v_cmp_ne_u64_e64 s[0:1], 0, v[0:1]
	s_and_b64 s[4:5], s[0:1], vcc
	; wave barrier
	s_and_saveexec_b64 s[0:1], s[4:5]
	s_cbranch_execz .LBB1027_229
; %bb.228:
	v_bcnt_u32_b32 v0, v0, 0
	v_bcnt_u32_b32 v0, v1, v0
	s_waitcnt lgkmcnt(0)
	v_add_u32_e32 v0, v57, v0
	ds_write_b32 v62, v0 offset:64
.LBB1027_229:
	s_or_b64 exec, exec, s[0:1]
	s_waitcnt vmcnt(3)
	v_xor_b32_e32 v40, 0x7fffffff, v40
	v_lshrrev_b32_e32 v0, s64, v40
	v_and_b32_e32 v61, s14, v0
	s_movk_i32 s4, 0x44
	v_mul_lo_u32 v0, v61, s4
	v_lshl_add_u32 v65, v28, 2, v0
	v_and_b32_e32 v0, 1, v61
	v_mov_b32_e32 v1, 0
	v_lshl_add_u64 v[8:9], v[0:1], 0, -1
	v_cmp_ne_u32_e32 vcc, 0, v0
	; wave barrier
	s_nop 1
	v_xor_b32_e32 v8, vcc_lo, v8
	v_xor_b32_e32 v0, vcc_hi, v9
	v_and_b32_e32 v63, exec_lo, v8
	v_lshlrev_b32_e32 v9, 30, v61
	v_mov_b32_e32 v8, v1
	v_cmp_gt_i64_e32 vcc, 0, v[8:9]
	v_not_b32_e32 v8, v9
	v_ashrrev_i32_e32 v8, 31, v8
	v_and_b32_e32 v0, exec_hi, v0
	v_xor_b32_e32 v9, vcc_hi, v8
	v_xor_b32_e32 v8, vcc_lo, v8
	v_and_b32_e32 v0, v0, v9
	v_and_b32_e32 v63, v63, v8
	v_lshlrev_b32_e32 v9, 29, v61
	v_mov_b32_e32 v8, v1
	v_cmp_gt_i64_e32 vcc, 0, v[8:9]
	v_not_b32_e32 v8, v9
	v_ashrrev_i32_e32 v8, 31, v8
	v_xor_b32_e32 v9, vcc_hi, v8
	v_xor_b32_e32 v8, vcc_lo, v8
	v_and_b32_e32 v0, v0, v9
	v_and_b32_e32 v63, v63, v8
	v_lshlrev_b32_e32 v9, 28, v61
	v_mov_b32_e32 v8, v1
	v_cmp_gt_i64_e32 vcc, 0, v[8:9]
	v_not_b32_e32 v8, v9
	v_ashrrev_i32_e32 v8, 31, v8
	v_xor_b32_e32 v9, vcc_hi, v8
	v_xor_b32_e32 v8, vcc_lo, v8
	v_and_b32_e32 v0, v0, v9
	v_and_b32_e32 v63, v63, v8
	v_lshlrev_b32_e32 v9, 27, v61
	v_mov_b32_e32 v8, v1
	v_cmp_gt_i64_e32 vcc, 0, v[8:9]
	v_not_b32_e32 v8, v9
	v_ashrrev_i32_e32 v8, 31, v8
	v_xor_b32_e32 v9, vcc_hi, v8
	v_xor_b32_e32 v8, vcc_lo, v8
	v_and_b32_e32 v0, v0, v9
	v_and_b32_e32 v63, v63, v8
	v_lshlrev_b32_e32 v9, 26, v61
	v_mov_b32_e32 v8, v1
	v_cmp_gt_i64_e32 vcc, 0, v[8:9]
	v_not_b32_e32 v8, v9
	v_ashrrev_i32_e32 v8, 31, v8
	v_xor_b32_e32 v9, vcc_hi, v8
	v_xor_b32_e32 v8, vcc_lo, v8
	v_and_b32_e32 v0, v0, v9
	v_and_b32_e32 v63, v63, v8
	v_lshlrev_b32_e32 v9, 25, v61
	v_mov_b32_e32 v8, v1
	v_cmp_gt_i64_e32 vcc, 0, v[8:9]
	v_not_b32_e32 v8, v9
	v_ashrrev_i32_e32 v8, 31, v8
	v_xor_b32_e32 v9, vcc_hi, v8
	v_xor_b32_e32 v8, vcc_lo, v8
	v_and_b32_e32 v0, v0, v9
	v_and_b32_e32 v63, v63, v8
	v_lshlrev_b32_e32 v9, 24, v61
	v_mov_b32_e32 v8, v1
	v_cmp_gt_i64_e32 vcc, 0, v[8:9]
	v_not_b32_e32 v8, v9
	v_ashrrev_i32_e32 v8, 31, v8
	v_xor_b32_e32 v9, vcc_hi, v8
	v_xor_b32_e32 v8, vcc_lo, v8
	ds_read_b32 v60, v65 offset:64
	v_and_b32_e32 v8, v63, v8
	v_and_b32_e32 v9, v0, v9
	v_mbcnt_lo_u32_b32 v0, v8, 0
	v_mbcnt_hi_u32_b32 v63, v9, v0
	v_cmp_eq_u32_e32 vcc, 0, v63
	v_cmp_ne_u64_e64 s[0:1], 0, v[8:9]
	s_and_b64 s[6:7], s[0:1], vcc
	; wave barrier
	s_and_saveexec_b64 s[0:1], s[6:7]
	s_cbranch_execz .LBB1027_231
; %bb.230:
	v_bcnt_u32_b32 v0, v8, 0
	v_bcnt_u32_b32 v0, v9, v0
	s_waitcnt lgkmcnt(0)
	v_add_u32_e32 v0, v60, v0
	ds_write_b32 v65, v0 offset:64
.LBB1027_231:
	s_or_b64 exec, exec, s[0:1]
	s_waitcnt vmcnt(2)
	v_xor_b32_e32 v36, 0x7fffffff, v36
	v_lshrrev_b32_e32 v0, s64, v36
	v_and_b32_e32 v61, s14, v0
	v_mul_lo_u32 v0, v61, s4
	v_lshl_add_u32 v68, v28, 2, v0
	v_and_b32_e32 v0, 1, v61
	v_lshl_add_u64 v[8:9], v[0:1], 0, -1
	v_cmp_ne_u32_e32 vcc, 0, v0
	; wave barrier
	s_nop 1
	v_xor_b32_e32 v8, vcc_lo, v8
	v_xor_b32_e32 v0, vcc_hi, v9
	v_and_b32_e32 v66, exec_lo, v8
	v_lshlrev_b32_e32 v9, 30, v61
	v_mov_b32_e32 v8, v1
	v_cmp_gt_i64_e32 vcc, 0, v[8:9]
	v_not_b32_e32 v8, v9
	v_ashrrev_i32_e32 v8, 31, v8
	v_and_b32_e32 v0, exec_hi, v0
	v_xor_b32_e32 v9, vcc_hi, v8
	v_xor_b32_e32 v8, vcc_lo, v8
	v_and_b32_e32 v0, v0, v9
	v_and_b32_e32 v66, v66, v8
	v_lshlrev_b32_e32 v9, 29, v61
	v_mov_b32_e32 v8, v1
	v_cmp_gt_i64_e32 vcc, 0, v[8:9]
	v_not_b32_e32 v8, v9
	v_ashrrev_i32_e32 v8, 31, v8
	v_xor_b32_e32 v9, vcc_hi, v8
	v_xor_b32_e32 v8, vcc_lo, v8
	v_and_b32_e32 v0, v0, v9
	v_and_b32_e32 v66, v66, v8
	v_lshlrev_b32_e32 v9, 28, v61
	v_mov_b32_e32 v8, v1
	v_cmp_gt_i64_e32 vcc, 0, v[8:9]
	v_not_b32_e32 v8, v9
	v_ashrrev_i32_e32 v8, 31, v8
	;; [unrolled: 9-line block ×5, first 2 shown]
	v_xor_b32_e32 v9, vcc_hi, v8
	v_xor_b32_e32 v8, vcc_lo, v8
	v_and_b32_e32 v0, v0, v9
	v_lshlrev_b32_e32 v9, 24, v61
	v_and_b32_e32 v66, v66, v8
	v_mov_b32_e32 v8, v1
	v_not_b32_e32 v1, v9
	v_cmp_gt_i64_e32 vcc, 0, v[8:9]
	v_ashrrev_i32_e32 v1, 31, v1
	ds_read_b32 v64, v68 offset:64
	v_xor_b32_e32 v8, vcc_hi, v1
	v_xor_b32_e32 v9, vcc_lo, v1
	v_and_b32_e32 v1, v0, v8
	v_and_b32_e32 v0, v66, v9
	v_mbcnt_lo_u32_b32 v8, v0, 0
	v_mbcnt_hi_u32_b32 v66, v1, v8
	v_cmp_eq_u32_e32 vcc, 0, v66
	v_cmp_ne_u64_e64 s[0:1], 0, v[0:1]
	s_and_b64 s[4:5], s[0:1], vcc
	; wave barrier
	s_and_saveexec_b64 s[0:1], s[4:5]
	s_cbranch_execz .LBB1027_233
; %bb.232:
	v_bcnt_u32_b32 v0, v0, 0
	v_bcnt_u32_b32 v0, v1, v0
	s_waitcnt lgkmcnt(0)
	v_add_u32_e32 v0, v64, v0
	ds_write_b32 v68, v0 offset:64
.LBB1027_233:
	s_or_b64 exec, exec, s[0:1]
	s_waitcnt vmcnt(1)
	v_xor_b32_e32 v31, 0x7fffffff, v31
	v_lshrrev_b32_e32 v0, s64, v31
	v_and_b32_e32 v61, s14, v0
	s_movk_i32 s4, 0x44
	v_mul_lo_u32 v0, v61, s4
	v_lshl_add_u32 v70, v28, 2, v0
	v_and_b32_e32 v0, 1, v61
	v_mov_b32_e32 v1, 0
	v_lshl_add_u64 v[8:9], v[0:1], 0, -1
	v_cmp_ne_u32_e32 vcc, 0, v0
	; wave barrier
	s_nop 1
	v_xor_b32_e32 v8, vcc_lo, v8
	v_xor_b32_e32 v0, vcc_hi, v9
	v_and_b32_e32 v69, exec_lo, v8
	v_lshlrev_b32_e32 v9, 30, v61
	v_mov_b32_e32 v8, v1
	v_cmp_gt_i64_e32 vcc, 0, v[8:9]
	v_not_b32_e32 v8, v9
	v_ashrrev_i32_e32 v8, 31, v8
	v_and_b32_e32 v0, exec_hi, v0
	v_xor_b32_e32 v9, vcc_hi, v8
	v_xor_b32_e32 v8, vcc_lo, v8
	v_and_b32_e32 v0, v0, v9
	v_and_b32_e32 v69, v69, v8
	v_lshlrev_b32_e32 v9, 29, v61
	v_mov_b32_e32 v8, v1
	v_cmp_gt_i64_e32 vcc, 0, v[8:9]
	v_not_b32_e32 v8, v9
	v_ashrrev_i32_e32 v8, 31, v8
	v_xor_b32_e32 v9, vcc_hi, v8
	v_xor_b32_e32 v8, vcc_lo, v8
	v_and_b32_e32 v0, v0, v9
	v_and_b32_e32 v69, v69, v8
	v_lshlrev_b32_e32 v9, 28, v61
	v_mov_b32_e32 v8, v1
	v_cmp_gt_i64_e32 vcc, 0, v[8:9]
	v_not_b32_e32 v8, v9
	v_ashrrev_i32_e32 v8, 31, v8
	;; [unrolled: 9-line block ×6, first 2 shown]
	v_xor_b32_e32 v9, vcc_hi, v8
	v_xor_b32_e32 v8, vcc_lo, v8
	ds_read_b32 v67, v70 offset:64
	v_and_b32_e32 v8, v69, v8
	v_and_b32_e32 v9, v0, v9
	v_mbcnt_lo_u32_b32 v0, v8, 0
	v_mbcnt_hi_u32_b32 v69, v9, v0
	v_cmp_eq_u32_e32 vcc, 0, v69
	v_cmp_ne_u64_e64 s[0:1], 0, v[8:9]
	s_and_b64 s[6:7], s[0:1], vcc
	; wave barrier
	s_and_saveexec_b64 s[0:1], s[6:7]
	s_cbranch_execz .LBB1027_235
; %bb.234:
	v_bcnt_u32_b32 v0, v8, 0
	v_bcnt_u32_b32 v0, v9, v0
	s_waitcnt lgkmcnt(0)
	v_add_u32_e32 v0, v67, v0
	ds_write_b32 v70, v0 offset:64
.LBB1027_235:
	s_or_b64 exec, exec, s[0:1]
	s_waitcnt vmcnt(0)
	v_xor_b32_e32 v61, 0x7fffffff, v25
	v_lshrrev_b32_e32 v0, s64, v61
	v_and_b32_e32 v25, s14, v0
	v_mul_lo_u32 v0, v25, s4
	v_lshl_add_u32 v72, v28, 2, v0
	v_and_b32_e32 v0, 1, v25
	v_lshl_add_u64 v[8:9], v[0:1], 0, -1
	v_cmp_ne_u32_e32 vcc, 0, v0
	; wave barrier
	s_nop 1
	v_xor_b32_e32 v8, vcc_lo, v8
	v_xor_b32_e32 v0, vcc_hi, v9
	v_and_b32_e32 v71, exec_lo, v8
	v_lshlrev_b32_e32 v9, 30, v25
	v_mov_b32_e32 v8, v1
	v_cmp_gt_i64_e32 vcc, 0, v[8:9]
	v_not_b32_e32 v8, v9
	v_ashrrev_i32_e32 v8, 31, v8
	v_and_b32_e32 v0, exec_hi, v0
	v_xor_b32_e32 v9, vcc_hi, v8
	v_xor_b32_e32 v8, vcc_lo, v8
	v_and_b32_e32 v0, v0, v9
	v_and_b32_e32 v71, v71, v8
	v_lshlrev_b32_e32 v9, 29, v25
	v_mov_b32_e32 v8, v1
	v_cmp_gt_i64_e32 vcc, 0, v[8:9]
	v_not_b32_e32 v8, v9
	v_ashrrev_i32_e32 v8, 31, v8
	v_xor_b32_e32 v9, vcc_hi, v8
	v_xor_b32_e32 v8, vcc_lo, v8
	v_and_b32_e32 v0, v0, v9
	v_and_b32_e32 v71, v71, v8
	v_lshlrev_b32_e32 v9, 28, v25
	v_mov_b32_e32 v8, v1
	v_cmp_gt_i64_e32 vcc, 0, v[8:9]
	v_not_b32_e32 v8, v9
	v_ashrrev_i32_e32 v8, 31, v8
	;; [unrolled: 9-line block ×5, first 2 shown]
	v_xor_b32_e32 v9, vcc_hi, v8
	v_xor_b32_e32 v8, vcc_lo, v8
	v_and_b32_e32 v0, v0, v9
	v_lshlrev_b32_e32 v9, 24, v25
	v_and_b32_e32 v71, v71, v8
	v_mov_b32_e32 v8, v1
	v_not_b32_e32 v1, v9
	v_cmp_gt_i64_e32 vcc, 0, v[8:9]
	v_ashrrev_i32_e32 v1, 31, v1
	ds_read_b32 v28, v72 offset:64
	v_xor_b32_e32 v8, vcc_hi, v1
	v_xor_b32_e32 v9, vcc_lo, v1
	v_and_b32_e32 v1, v0, v8
	v_and_b32_e32 v0, v71, v9
	v_mbcnt_lo_u32_b32 v8, v0, 0
	v_mbcnt_hi_u32_b32 v71, v1, v8
	v_cmp_eq_u32_e32 vcc, 0, v71
	v_cmp_ne_u64_e64 s[0:1], 0, v[0:1]
	s_and_b64 s[4:5], s[0:1], vcc
	; wave barrier
	s_and_saveexec_b64 s[0:1], s[4:5]
	s_cbranch_execz .LBB1027_237
; %bb.236:
	v_bcnt_u32_b32 v0, v0, 0
	v_bcnt_u32_b32 v0, v1, v0
	s_waitcnt lgkmcnt(0)
	v_add_u32_e32 v0, v28, v0
	ds_write_b32 v72, v0 offset:64
.LBB1027_237:
	s_or_b64 exec, exec, s[0:1]
	; wave barrier
	s_waitcnt lgkmcnt(0)
	s_barrier
	ds_read2_b32 v[8:9], v11 offset0:16 offset1:17
	ds_read2_b32 v[0:1], v11 offset0:18 offset1:19
	ds_read_b32 v25, v11 offset:80
	v_cmp_lt_u32_e64 s[8:9], 31, v10
	s_waitcnt lgkmcnt(1)
	v_add3_u32 v73, v9, v8, v0
	s_waitcnt lgkmcnt(0)
	v_add3_u32 v25, v73, v1, v25
	v_and_b32_e32 v73, 15, v10
	v_cmp_eq_u32_e32 vcc, 0, v73
	v_mov_b32_dpp v74, v25 row_shr:1 row_mask:0xf bank_mask:0xf
	v_cmp_lt_u32_e64 s[0:1], 1, v73
	v_cndmask_b32_e64 v74, v74, 0, vcc
	v_add_u32_e32 v25, v74, v25
	v_cmp_lt_u32_e64 s[6:7], 3, v73
	v_cmp_lt_u32_e64 s[4:5], 7, v73
	v_mov_b32_dpp v74, v25 row_shr:2 row_mask:0xf bank_mask:0xf
	v_cndmask_b32_e64 v74, 0, v74, s[0:1]
	v_add_u32_e32 v25, v25, v74
	s_nop 1
	v_mov_b32_dpp v74, v25 row_shr:4 row_mask:0xf bank_mask:0xf
	v_cndmask_b32_e64 v74, 0, v74, s[6:7]
	v_add_u32_e32 v25, v25, v74
	s_nop 1
	v_mov_b32_dpp v74, v25 row_shr:8 row_mask:0xf bank_mask:0xf
	v_cndmask_b32_e64 v73, 0, v74, s[4:5]
	v_add_u32_e32 v25, v25, v73
	v_bfe_i32 v74, v10, 4, 1
	s_nop 0
	v_mov_b32_dpp v73, v25 row_bcast:15 row_mask:0xf bank_mask:0xf
	v_and_b32_e32 v73, v74, v73
	v_add_u32_e32 v25, v25, v73
	v_lshrrev_b32_e32 v74, 6, v2
	s_nop 0
	v_mov_b32_dpp v73, v25 row_bcast:31 row_mask:0xf bank_mask:0xf
	v_cndmask_b32_e64 v73, 0, v73, s[8:9]
	v_add_u32_e32 v73, v25, v73
	v_and_b32_e32 v25, 63, v2
	v_cmp_eq_u32_e64 s[8:9], 63, v25
	s_and_saveexec_b64 s[12:13], s[8:9]
; %bb.238:
	v_lshlrev_b32_e32 v25, 2, v74
	ds_write_b32 v25, v73
; %bb.239:
	s_or_b64 exec, exec, s[12:13]
	v_cmp_gt_u32_e64 s[8:9], 16, v2
	v_lshlrev_b32_e32 v25, 2, v2
	s_waitcnt lgkmcnt(0)
	s_barrier
	s_and_saveexec_b64 s[12:13], s[8:9]
	s_cbranch_execz .LBB1027_241
; %bb.240:
	ds_read_b32 v75, v25
	s_waitcnt lgkmcnt(0)
	s_nop 0
	v_mov_b32_dpp v76, v75 row_shr:1 row_mask:0xf bank_mask:0xf
	v_cndmask_b32_e64 v76, v76, 0, vcc
	v_add_u32_e32 v75, v76, v75
	s_nop 1
	v_mov_b32_dpp v76, v75 row_shr:2 row_mask:0xf bank_mask:0xf
	v_cndmask_b32_e64 v76, 0, v76, s[0:1]
	v_add_u32_e32 v75, v75, v76
	s_nop 1
	v_mov_b32_dpp v76, v75 row_shr:4 row_mask:0xf bank_mask:0xf
	v_cndmask_b32_e64 v76, 0, v76, s[6:7]
	v_add_u32_e32 v75, v75, v76
	s_nop 1
	v_mov_b32_dpp v76, v75 row_shr:8 row_mask:0xf bank_mask:0xf
	v_cndmask_b32_e64 v76, 0, v76, s[4:5]
	v_add_u32_e32 v75, v75, v76
	ds_write_b32 v25, v75
.LBB1027_241:
	s_or_b64 exec, exec, s[12:13]
	v_cmp_lt_u32_e32 vcc, 63, v2
	v_mov_b32_e32 v75, 0
	s_waitcnt lgkmcnt(0)
	s_barrier
	s_and_saveexec_b64 s[0:1], vcc
; %bb.242:
	v_lshl_add_u32 v74, v74, 2, -4
	ds_read_b32 v75, v74
; %bb.243:
	s_or_b64 exec, exec, s[0:1]
	v_subrev_co_u32_e32 v74, vcc, 1, v10
	v_and_b32_e32 v76, 64, v10
	v_cmp_lt_i32_e64 s[0:1], v74, v76
	s_waitcnt lgkmcnt(0)
	v_add_u32_e32 v73, v75, v73
	s_movk_i32 s4, 0x100
	v_cndmask_b32_e64 v10, v74, v10, s[0:1]
	v_lshlrev_b32_e32 v10, 2, v10
	ds_bpermute_b32 v10, v10, v73
	s_movk_i32 s0, 0xff
	s_waitcnt lgkmcnt(0)
	v_cndmask_b32_e32 v10, v10, v75, vcc
	v_cmp_ne_u32_e32 vcc, 0, v2
	s_nop 1
	v_cndmask_b32_e32 v10, 0, v10, vcc
	v_add_u32_e32 v8, v10, v8
	v_add_u32_e32 v9, v8, v9
	;; [unrolled: 1-line block ×4, first 2 shown]
	ds_write2_b32 v11, v10, v8 offset0:16 offset1:17
	ds_write2_b32 v11, v9, v0 offset0:18 offset1:19
	ds_write_b32 v11, v1 offset:80
	s_waitcnt lgkmcnt(0)
	s_barrier
	ds_read_b32 v81, v18 offset:64
	ds_read_b32 v73, v21 offset:64
	;; [unrolled: 1-line block ×16, first 2 shown]
	v_cmp_lt_u32_e32 vcc, s0, v2
	v_cmp_gt_u32_e64 s[0:1], s4, v2
                                        ; implicit-def: $vgpr18
                                        ; implicit-def: $vgpr21
	s_and_saveexec_b64 s[6:7], s[0:1]
	s_cbranch_execz .LBB1027_247
; %bb.244:
	v_mul_u32_u24_e32 v0, 0x44, v2
	ds_read_b32 v18, v0 offset:64
	v_add_u32_e32 v1, 1, v2
	v_cmp_ne_u32_e64 s[4:5], s4, v1
	v_mov_b32_e32 v0, 0x4000
	s_and_saveexec_b64 s[8:9], s[4:5]
; %bb.245:
	v_mul_u32_u24_e32 v0, 0x44, v1
	ds_read_b32 v0, v0 offset:64
; %bb.246:
	s_or_b64 exec, exec, s[8:9]
	s_waitcnt lgkmcnt(0)
	v_sub_u32_e32 v21, v0, v18
.LBB1027_247:
	s_or_b64 exec, exec, s[6:7]
	v_mov_b32_e32 v1, 0
	s_waitcnt lgkmcnt(0)
	s_barrier
	s_and_saveexec_b64 s[4:5], s[0:1]
	s_cbranch_execz .LBB1027_257
; %bb.248:
	v_lshl_add_u32 v0, s2, 8, v2
	v_lshl_add_u64 v[8:9], v[0:1], 2, s[50:51]
	v_or_b32_e32 v0, 2.0, v21
	s_mov_b64 s[6:7], 0
	s_brev_b32 s15, -4
	s_mov_b32 s16, s2
	v_mov_b32_e32 v49, 0
	global_store_dword v[8:9], v0, off sc1
                                        ; implicit-def: $sgpr0_sgpr1
	s_branch .LBB1027_251
.LBB1027_249:                           ;   in Loop: Header=BB1027_251 Depth=1
	s_or_b64 exec, exec, s[12:13]
.LBB1027_250:                           ;   in Loop: Header=BB1027_251 Depth=1
	s_or_b64 exec, exec, s[8:9]
	v_and_b32_e32 v10, 0x3fffffff, v0
	v_add_u32_e32 v49, v10, v49
	v_cmp_gt_i32_e64 s[0:1], -2.0, v0
	s_and_b64 s[8:9], exec, s[0:1]
	s_or_b64 s[6:7], s[8:9], s[6:7]
	s_andn2_b64 exec, exec, s[6:7]
	s_cbranch_execz .LBB1027_256
.LBB1027_251:                           ; =>This Loop Header: Depth=1
                                        ;     Child Loop BB1027_254 Depth 2
	s_or_b64 s[0:1], s[0:1], exec
	s_cmp_eq_u32 s16, 0
	s_cbranch_scc1 .LBB1027_255
; %bb.252:                              ;   in Loop: Header=BB1027_251 Depth=1
	s_add_i32 s16, s16, -1
	v_lshl_or_b32 v0, s16, 8, v2
	v_lshl_add_u64 v[10:11], v[0:1], 2, s[50:51]
	global_load_dword v0, v[10:11], off sc1
	s_waitcnt vmcnt(0)
	v_cmp_gt_u32_e64 s[0:1], 2.0, v0
	s_and_saveexec_b64 s[8:9], s[0:1]
	s_cbranch_execz .LBB1027_250
; %bb.253:                              ;   in Loop: Header=BB1027_251 Depth=1
	s_mov_b64 s[12:13], 0
.LBB1027_254:                           ;   Parent Loop BB1027_251 Depth=1
                                        ; =>  This Inner Loop Header: Depth=2
	global_load_dword v0, v[10:11], off sc1
	s_waitcnt vmcnt(0)
	v_cmp_lt_u32_e64 s[0:1], s15, v0
	s_or_b64 s[12:13], s[0:1], s[12:13]
	s_andn2_b64 exec, exec, s[12:13]
	s_cbranch_execnz .LBB1027_254
	s_branch .LBB1027_249
.LBB1027_255:                           ;   in Loop: Header=BB1027_251 Depth=1
                                        ; implicit-def: $sgpr16
	s_and_b64 s[8:9], exec, s[0:1]
	s_or_b64 s[6:7], s[8:9], s[6:7]
	s_andn2_b64 exec, exec, s[6:7]
	s_cbranch_execnz .LBB1027_251
.LBB1027_256:
	s_or_b64 exec, exec, s[6:7]
	v_add_u32_e32 v0, v49, v21
	v_or_b32_e32 v0, 0x80000000, v0
	global_store_dword v[8:9], v0, off sc1
	global_load_dword v0, v25, s[60:61]
	v_sub_u32_e32 v1, v49, v18
	s_waitcnt vmcnt(0)
	v_add_u32_e32 v0, v1, v0
	ds_write_b32 v25, v0
.LBB1027_257:
	s_or_b64 exec, exec, s[4:5]
	v_add_u32_e32 v8, v81, v14
	v_add3_u32 v0, v16, v13, v73
	v_add3_u32 v1, v20, v17, v74
	;; [unrolled: 1-line block ×15, first 2 shown]
	v_mov_b32_e32 v85, 0x400
	s_mov_b32 s6, s64
	s_mov_b32 s7, s14
	s_movk_i32 s8, 0x400
	v_lshl_add_u32 v9, v9, 2, v85
	v_add3_u32 v10, v71, v41, v28
	v_lshl_add_u32 v11, v11, 2, v85
	v_add3_u32 v14, v69, v26, v67
	v_lshl_add_u32 v26, v84, 2, v85
	v_add3_u32 v28, v66, v32, v64
	v_lshl_add_u32 v32, v83, 2, v85
	v_add3_u32 v37, v63, v37, v60
	v_lshl_add_u32 v41, v82, 2, v85
	v_add3_u32 v46, v59, v46, v57
	v_lshl_add_u32 v49, v49, 2, v85
	v_add3_u32 v52, v56, v52, v54
	v_lshl_add_u32 v54, v81, 2, v85
	v_add3_u32 v51, v53, v55, v51
	v_lshl_add_u32 v53, v72, 2, v85
	v_add3_u32 v48, v50, v80, v48
	v_lshl_add_u32 v50, v70, 2, v85
	v_add3_u32 v43, v47, v79, v43
	v_lshl_add_u32 v47, v68, 2, v85
	v_add3_u32 v38, v42, v78, v38
	v_lshl_add_u32 v42, v65, 2, v85
	v_add3_u32 v33, v35, v77, v33
	v_lshl_add_u32 v35, v62, 2, v85
	v_add3_u32 v27, v30, v76, v27
	v_lshl_add_u32 v30, v58, 2, v85
	v_add3_u32 v22, v24, v75, v22
	v_lshl_add_u32 v24, v1, 2, v85
	v_add3_u32 v17, v20, v74, v17
	v_lshl_add_u32 v20, v0, 2, v85
	v_add3_u32 v13, v16, v73, v13
	v_lshl_add_u32 v16, v8, 2, v85
	s_mov_b32 s9, 0
	s_mov_b32 s12, 0
	s_movk_i32 s13, 0x1000
	v_mov_b32_e32 v1, 0
	s_movk_i32 s15, 0x800
	s_movk_i32 s16, 0xc00
	v_mov_b32_e32 v55, v2
	s_mov_b32 s17, 0
	s_branch .LBB1027_259
.LBB1027_258:                           ;   in Loop: Header=BB1027_259 Depth=1
	s_or_b64 exec, exec, s[4:5]
	s_waitcnt lgkmcnt(0)
	s_barrier
	ds_read2st64_b32 v[56:57], v25 offset0:4 offset1:20
	ds_read2st64_b32 v[62:63], v25 offset0:36 offset1:52
	s_addk_i32 s17, 0xc000
	s_addk_i32 s12, 0xf000
	s_waitcnt lgkmcnt(1)
	v_xor_b32_e32 v60, 0x7fffffff, v56
	v_lshrrev_b32_e32 v56, s64, v56
	v_lshrrev_b32_e32 v0, s6, v57
	v_and_b32_e32 v56, s14, v56
	v_xor_b32_e32 v66, 0x7fffffff, v57
	v_and_b32_e32 v57, s7, v0
	v_lshlrev_b32_e32 v0, 2, v56
	ds_read_b32 v0, v0
	s_waitcnt lgkmcnt(1)
	v_lshrrev_b32_e32 v58, s6, v63
	v_lshrrev_b32_e32 v65, s64, v62
	v_and_b32_e32 v59, s7, v58
	v_lshlrev_b32_e32 v64, 2, v57
	v_and_b32_e32 v58, s14, v65
	v_lshlrev_b32_e32 v67, 2, v59
	v_lshlrev_b32_e32 v65, 2, v58
	ds_read_b32 v68, v64
	ds_read_b32 v69, v65
	;; [unrolled: 1-line block ×3, first 2 shown]
	s_waitcnt lgkmcnt(3)
	v_add_u32_e32 v0, v55, v0
	v_lshl_add_u64 v[64:65], v[0:1], 2, s[54:55]
	s_waitcnt lgkmcnt(2)
	v_add3_u32 v0, v55, v68, s8
	global_store_dword v[64:65], v60, off
	v_lshl_add_u64 v[64:65], v[0:1], 2, s[54:55]
	s_waitcnt lgkmcnt(1)
	v_add3_u32 v0, v55, v69, s15
	global_store_dword v[64:65], v66, off
	v_xor_b32_e32 v60, 0x7fffffff, v62
	v_xor_b32_e32 v64, 0x7fffffff, v63
	v_lshl_add_u64 v[62:63], v[0:1], 2, s[54:55]
	s_waitcnt lgkmcnt(0)
	v_add3_u32 v0, v55, v67, s16
	global_store_dword v[62:63], v60, off
	v_lshl_add_u64 v[62:63], v[0:1], 2, s[54:55]
	global_store_dword v[62:63], v64, off
	scratch_store_dwordx4 off, v[56:59], s9
	s_add_i32 s9, s9, 16
	s_cmp_eq_u32 s17, 0xffff0000
	v_add_u32_e32 v55, 0x1000, v55
	s_barrier
	s_cbranch_scc1 .LBB1027_291
.LBB1027_259:                           ; =>This Inner Loop Header: Depth=1
	v_add_u32_e32 v0, s12, v8
	v_cmp_gt_u32_e64 s[0:1], s13, v0
	s_and_saveexec_b64 s[4:5], s[0:1]
; %bb.260:                              ;   in Loop: Header=BB1027_259 Depth=1
	v_add_u32_e32 v0, s17, v16
	ds_write_b32 v0, v3
; %bb.261:                              ;   in Loop: Header=BB1027_259 Depth=1
	s_or_b64 exec, exec, s[4:5]
	v_add_u32_e32 v0, s12, v13
	v_cmp_gt_u32_e64 s[0:1], s13, v0
	s_and_saveexec_b64 s[4:5], s[0:1]
; %bb.262:                              ;   in Loop: Header=BB1027_259 Depth=1
	v_add_u32_e32 v0, s17, v20
	ds_write_b32 v0, v5
; %bb.263:                              ;   in Loop: Header=BB1027_259 Depth=1
	s_or_b64 exec, exec, s[4:5]
	v_add_u32_e32 v0, s12, v17
	v_cmp_gt_u32_e64 s[0:1], s13, v0
	s_and_saveexec_b64 s[4:5], s[0:1]
; %bb.264:                              ;   in Loop: Header=BB1027_259 Depth=1
	v_add_u32_e32 v0, s17, v24
	ds_write_b32 v0, v7
; %bb.265:                              ;   in Loop: Header=BB1027_259 Depth=1
	s_or_b64 exec, exec, s[4:5]
	v_add_u32_e32 v0, s12, v22
	v_cmp_gt_u32_e64 s[0:1], s13, v0
	s_and_saveexec_b64 s[4:5], s[0:1]
; %bb.266:                              ;   in Loop: Header=BB1027_259 Depth=1
	v_add_u32_e32 v0, s17, v30
	ds_write_b32 v0, v12
; %bb.267:                              ;   in Loop: Header=BB1027_259 Depth=1
	s_or_b64 exec, exec, s[4:5]
	v_add_u32_e32 v0, s12, v27
	v_cmp_gt_u32_e64 s[0:1], s13, v0
	s_and_saveexec_b64 s[4:5], s[0:1]
; %bb.268:                              ;   in Loop: Header=BB1027_259 Depth=1
	v_add_u32_e32 v0, s17, v35
	ds_write_b32 v0, v15
; %bb.269:                              ;   in Loop: Header=BB1027_259 Depth=1
	s_or_b64 exec, exec, s[4:5]
	v_add_u32_e32 v0, s12, v33
	v_cmp_gt_u32_e64 s[0:1], s13, v0
	s_and_saveexec_b64 s[4:5], s[0:1]
; %bb.270:                              ;   in Loop: Header=BB1027_259 Depth=1
	v_add_u32_e32 v0, s17, v42
	ds_write_b32 v0, v19
; %bb.271:                              ;   in Loop: Header=BB1027_259 Depth=1
	s_or_b64 exec, exec, s[4:5]
	v_add_u32_e32 v0, s12, v38
	v_cmp_gt_u32_e64 s[0:1], s13, v0
	s_and_saveexec_b64 s[4:5], s[0:1]
; %bb.272:                              ;   in Loop: Header=BB1027_259 Depth=1
	v_add_u32_e32 v0, s17, v47
	ds_write_b32 v0, v23
; %bb.273:                              ;   in Loop: Header=BB1027_259 Depth=1
	s_or_b64 exec, exec, s[4:5]
	v_add_u32_e32 v0, s12, v43
	v_cmp_gt_u32_e64 s[0:1], s13, v0
	s_and_saveexec_b64 s[4:5], s[0:1]
; %bb.274:                              ;   in Loop: Header=BB1027_259 Depth=1
	v_add_u32_e32 v0, s17, v50
	ds_write_b32 v0, v29
; %bb.275:                              ;   in Loop: Header=BB1027_259 Depth=1
	s_or_b64 exec, exec, s[4:5]
	v_add_u32_e32 v0, s12, v48
	v_cmp_gt_u32_e64 s[0:1], s13, v0
	s_and_saveexec_b64 s[4:5], s[0:1]
; %bb.276:                              ;   in Loop: Header=BB1027_259 Depth=1
	v_add_u32_e32 v0, s17, v53
	ds_write_b32 v0, v34
; %bb.277:                              ;   in Loop: Header=BB1027_259 Depth=1
	s_or_b64 exec, exec, s[4:5]
	v_add_u32_e32 v0, s12, v51
	v_cmp_gt_u32_e64 s[0:1], s13, v0
	s_and_saveexec_b64 s[4:5], s[0:1]
; %bb.278:                              ;   in Loop: Header=BB1027_259 Depth=1
	v_add_u32_e32 v0, s17, v54
	ds_write_b32 v0, v39
; %bb.279:                              ;   in Loop: Header=BB1027_259 Depth=1
	s_or_b64 exec, exec, s[4:5]
	v_add_u32_e32 v0, s12, v52
	v_cmp_gt_u32_e64 s[0:1], s13, v0
	s_and_saveexec_b64 s[4:5], s[0:1]
; %bb.280:                              ;   in Loop: Header=BB1027_259 Depth=1
	v_add_u32_e32 v0, s17, v49
	ds_write_b32 v0, v44
; %bb.281:                              ;   in Loop: Header=BB1027_259 Depth=1
	s_or_b64 exec, exec, s[4:5]
	v_add_u32_e32 v0, s12, v46
	v_cmp_gt_u32_e64 s[0:1], s13, v0
	s_and_saveexec_b64 s[4:5], s[0:1]
; %bb.282:                              ;   in Loop: Header=BB1027_259 Depth=1
	v_add_u32_e32 v0, s17, v41
	ds_write_b32 v0, v45
; %bb.283:                              ;   in Loop: Header=BB1027_259 Depth=1
	s_or_b64 exec, exec, s[4:5]
	v_add_u32_e32 v0, s12, v37
	v_cmp_gt_u32_e64 s[0:1], s13, v0
	s_and_saveexec_b64 s[4:5], s[0:1]
; %bb.284:                              ;   in Loop: Header=BB1027_259 Depth=1
	v_add_u32_e32 v0, s17, v32
	ds_write_b32 v0, v40
; %bb.285:                              ;   in Loop: Header=BB1027_259 Depth=1
	s_or_b64 exec, exec, s[4:5]
	v_add_u32_e32 v0, s12, v28
	v_cmp_gt_u32_e64 s[0:1], s13, v0
	s_and_saveexec_b64 s[4:5], s[0:1]
; %bb.286:                              ;   in Loop: Header=BB1027_259 Depth=1
	v_add_u32_e32 v0, s17, v26
	ds_write_b32 v0, v36
; %bb.287:                              ;   in Loop: Header=BB1027_259 Depth=1
	s_or_b64 exec, exec, s[4:5]
	v_add_u32_e32 v0, s12, v14
	v_cmp_gt_u32_e64 s[0:1], s13, v0
	s_and_saveexec_b64 s[4:5], s[0:1]
; %bb.288:                              ;   in Loop: Header=BB1027_259 Depth=1
	v_add_u32_e32 v0, s17, v11
	ds_write_b32 v0, v31
; %bb.289:                              ;   in Loop: Header=BB1027_259 Depth=1
	s_or_b64 exec, exec, s[4:5]
	v_add_u32_e32 v0, s12, v10
	v_cmp_gt_u32_e64 s[0:1], s13, v0
	s_and_saveexec_b64 s[4:5], s[0:1]
	s_cbranch_execz .LBB1027_258
; %bb.290:                              ;   in Loop: Header=BB1027_259 Depth=1
	v_add_u32_e32 v0, s17, v9
	ds_write_b32 v0, v61
	s_branch .LBB1027_258
.LBB1027_291:
	s_add_u32 s0, s56, s10
	s_addc_u32 s1, s57, s11
	v_mov_b32_e32 v5, 0
	v_lshl_add_u64 v[0:1], s[0:1], 0, v[4:5]
	v_mov_b32_e32 v7, v5
	v_lshl_add_u64 v[44:45], v[0:1], 0, v[6:7]
	global_load_dword v0, v[44:45], off
	global_load_dword v1, v[44:45], off offset:256
	global_load_dword v3, v[44:45], off offset:512
	;; [unrolled: 1-line block ×14, first 2 shown]
	s_nop 0
	global_load_dword v44, v[44:45], off offset:3840
	s_mov_b32 s6, 0
	s_mov_b32 s7, 0
	s_movk_i32 s8, 0x1000
	s_movk_i32 s9, 0x400
	;; [unrolled: 1-line block ×4, first 2 shown]
	s_mov_b32 s12, 0
	s_branch .LBB1027_293
.LBB1027_292:                           ;   in Loop: Header=BB1027_293 Depth=1
	s_or_b64 exec, exec, s[4:5]
	s_waitcnt lgkmcnt(0)
	s_barrier
	scratch_load_dwordx4 v[56:59], off, s6
	ds_read2st64_b32 v[60:61], v25 offset0:4 offset1:20
	ds_read2st64_b32 v[62:63], v25 offset0:36 offset1:52
	s_addk_i32 s12, 0xc000
	s_addk_i32 s7, 0xf000
	s_add_i32 s6, s6, 16
	s_cmp_eq_u32 s12, 0xffff0000
	s_waitcnt vmcnt(0)
	v_lshlrev_b32_e32 v4, 2, v56
	ds_read_b32 v4, v4
	v_lshlrev_b32_e32 v45, 2, v57
	v_lshlrev_b32_e32 v55, 2, v58
	;; [unrolled: 1-line block ×3, first 2 shown]
	ds_read_b32 v45, v45
	ds_read_b32 v55, v55
	ds_read_b32 v58, v56
	s_waitcnt lgkmcnt(3)
	v_add_u32_e32 v4, v2, v4
	v_lshl_add_u64 v[56:57], v[4:5], 2, s[58:59]
	s_waitcnt lgkmcnt(2)
	v_add3_u32 v4, v2, v45, s9
	global_store_dword v[56:57], v60, off
	v_lshl_add_u64 v[56:57], v[4:5], 2, s[58:59]
	s_waitcnt lgkmcnt(1)
	v_add3_u32 v4, v2, v55, s10
	global_store_dword v[56:57], v61, off
	;; [unrolled: 4-line block ×3, first 2 shown]
	v_lshl_add_u64 v[56:57], v[4:5], 2, s[58:59]
	v_add_u32_e32 v2, 0x1000, v2
	global_store_dword v[56:57], v63, off
	s_barrier
	s_cbranch_scc1 .LBB1027_325
.LBB1027_293:                           ; =>This Inner Loop Header: Depth=1
	v_add_u32_e32 v4, s7, v8
	v_cmp_gt_u32_e64 s[0:1], s8, v4
	s_and_saveexec_b64 s[4:5], s[0:1]
	s_cbranch_execz .LBB1027_295
; %bb.294:                              ;   in Loop: Header=BB1027_293 Depth=1
	v_add_u32_e32 v4, s12, v16
	s_waitcnt vmcnt(15)
	ds_write_b32 v4, v0
.LBB1027_295:                           ;   in Loop: Header=BB1027_293 Depth=1
	s_or_b64 exec, exec, s[4:5]
	v_add_u32_e32 v4, s7, v13
	v_cmp_gt_u32_e64 s[0:1], s8, v4
	s_and_saveexec_b64 s[4:5], s[0:1]
	s_cbranch_execz .LBB1027_297
; %bb.296:                              ;   in Loop: Header=BB1027_293 Depth=1
	v_add_u32_e32 v4, s12, v20
	s_waitcnt vmcnt(14)
	ds_write_b32 v4, v1
.LBB1027_297:                           ;   in Loop: Header=BB1027_293 Depth=1
	s_or_b64 exec, exec, s[4:5]
	;; [unrolled: 10-line block ×15, first 2 shown]
	v_add_u32_e32 v4, s7, v10
	v_cmp_gt_u32_e64 s[0:1], s8, v4
	s_and_saveexec_b64 s[4:5], s[0:1]
	s_cbranch_execz .LBB1027_292
; %bb.324:                              ;   in Loop: Header=BB1027_293 Depth=1
	v_add_u32_e32 v4, s12, v9
	s_waitcnt vmcnt(0)
	ds_write_b32 v4, v44
	s_branch .LBB1027_292
.LBB1027_325:
	s_add_i32 s3, s3, -1
	s_cmp_eq_u32 s2, s3
	s_cselect_b64 s[0:1], -1, 0
	s_xor_b64 s[2:3], vcc, -1
	s_and_b64 s[0:1], s[2:3], s[0:1]
	s_and_saveexec_b64 s[2:3], s[0:1]
	s_cbranch_execz .LBB1027_327
; %bb.326:
	ds_read_b32 v0, v25
	s_waitcnt lgkmcnt(0)
	v_add3_u32 v0, v18, v21, v0
	global_store_dword v25, v0, s[62:63]
.LBB1027_327:
	s_endpgm
	.section	.rodata,"a",@progbits
	.p2align	6, 0x0
	.amdhsa_kernel _ZN7rocprim17ROCPRIM_400000_NS6detail17trampoline_kernelINS0_14default_configENS1_35radix_sort_onesweep_config_selectorIiiEEZZNS1_29radix_sort_onesweep_iterationIS3_Lb1EN6thrust23THRUST_200600_302600_NS6detail15normal_iteratorINS8_10device_ptrIiEEEESD_SD_SD_jNS0_19identity_decomposerENS1_16block_id_wrapperIjLb0EEEEE10hipError_tT1_PNSt15iterator_traitsISI_E10value_typeET2_T3_PNSJ_ISO_E10value_typeET4_T5_PST_SU_PNS1_23onesweep_lookback_stateEbbT6_jjT7_P12ihipStream_tbENKUlT_T0_SI_SN_E_clISD_SD_SD_SD_EEDaS11_S12_SI_SN_EUlS11_E_NS1_11comp_targetILNS1_3genE6ELNS1_11target_archE950ELNS1_3gpuE13ELNS1_3repE0EEENS1_47radix_sort_onesweep_sort_config_static_selectorELNS0_4arch9wavefront6targetE1EEEvSI_
		.amdhsa_group_segment_fixed_size 20552
		.amdhsa_private_segment_fixed_size 80
		.amdhsa_kernarg_size 344
		.amdhsa_user_sgpr_count 2
		.amdhsa_user_sgpr_dispatch_ptr 0
		.amdhsa_user_sgpr_queue_ptr 0
		.amdhsa_user_sgpr_kernarg_segment_ptr 1
		.amdhsa_user_sgpr_dispatch_id 0
		.amdhsa_user_sgpr_kernarg_preload_length 0
		.amdhsa_user_sgpr_kernarg_preload_offset 0
		.amdhsa_user_sgpr_private_segment_size 0
		.amdhsa_uses_dynamic_stack 0
		.amdhsa_enable_private_segment 1
		.amdhsa_system_sgpr_workgroup_id_x 1
		.amdhsa_system_sgpr_workgroup_id_y 0
		.amdhsa_system_sgpr_workgroup_id_z 0
		.amdhsa_system_sgpr_workgroup_info 0
		.amdhsa_system_vgpr_workitem_id 2
		.amdhsa_next_free_vgpr 88
		.amdhsa_next_free_sgpr 70
		.amdhsa_accum_offset 88
		.amdhsa_reserve_vcc 1
		.amdhsa_float_round_mode_32 0
		.amdhsa_float_round_mode_16_64 0
		.amdhsa_float_denorm_mode_32 3
		.amdhsa_float_denorm_mode_16_64 3
		.amdhsa_dx10_clamp 1
		.amdhsa_ieee_mode 1
		.amdhsa_fp16_overflow 0
		.amdhsa_tg_split 0
		.amdhsa_exception_fp_ieee_invalid_op 0
		.amdhsa_exception_fp_denorm_src 0
		.amdhsa_exception_fp_ieee_div_zero 0
		.amdhsa_exception_fp_ieee_overflow 0
		.amdhsa_exception_fp_ieee_underflow 0
		.amdhsa_exception_fp_ieee_inexact 0
		.amdhsa_exception_int_div_zero 0
	.end_amdhsa_kernel
	.section	.text._ZN7rocprim17ROCPRIM_400000_NS6detail17trampoline_kernelINS0_14default_configENS1_35radix_sort_onesweep_config_selectorIiiEEZZNS1_29radix_sort_onesweep_iterationIS3_Lb1EN6thrust23THRUST_200600_302600_NS6detail15normal_iteratorINS8_10device_ptrIiEEEESD_SD_SD_jNS0_19identity_decomposerENS1_16block_id_wrapperIjLb0EEEEE10hipError_tT1_PNSt15iterator_traitsISI_E10value_typeET2_T3_PNSJ_ISO_E10value_typeET4_T5_PST_SU_PNS1_23onesweep_lookback_stateEbbT6_jjT7_P12ihipStream_tbENKUlT_T0_SI_SN_E_clISD_SD_SD_SD_EEDaS11_S12_SI_SN_EUlS11_E_NS1_11comp_targetILNS1_3genE6ELNS1_11target_archE950ELNS1_3gpuE13ELNS1_3repE0EEENS1_47radix_sort_onesweep_sort_config_static_selectorELNS0_4arch9wavefront6targetE1EEEvSI_,"axG",@progbits,_ZN7rocprim17ROCPRIM_400000_NS6detail17trampoline_kernelINS0_14default_configENS1_35radix_sort_onesweep_config_selectorIiiEEZZNS1_29radix_sort_onesweep_iterationIS3_Lb1EN6thrust23THRUST_200600_302600_NS6detail15normal_iteratorINS8_10device_ptrIiEEEESD_SD_SD_jNS0_19identity_decomposerENS1_16block_id_wrapperIjLb0EEEEE10hipError_tT1_PNSt15iterator_traitsISI_E10value_typeET2_T3_PNSJ_ISO_E10value_typeET4_T5_PST_SU_PNS1_23onesweep_lookback_stateEbbT6_jjT7_P12ihipStream_tbENKUlT_T0_SI_SN_E_clISD_SD_SD_SD_EEDaS11_S12_SI_SN_EUlS11_E_NS1_11comp_targetILNS1_3genE6ELNS1_11target_archE950ELNS1_3gpuE13ELNS1_3repE0EEENS1_47radix_sort_onesweep_sort_config_static_selectorELNS0_4arch9wavefront6targetE1EEEvSI_,comdat
.Lfunc_end1027:
	.size	_ZN7rocprim17ROCPRIM_400000_NS6detail17trampoline_kernelINS0_14default_configENS1_35radix_sort_onesweep_config_selectorIiiEEZZNS1_29radix_sort_onesweep_iterationIS3_Lb1EN6thrust23THRUST_200600_302600_NS6detail15normal_iteratorINS8_10device_ptrIiEEEESD_SD_SD_jNS0_19identity_decomposerENS1_16block_id_wrapperIjLb0EEEEE10hipError_tT1_PNSt15iterator_traitsISI_E10value_typeET2_T3_PNSJ_ISO_E10value_typeET4_T5_PST_SU_PNS1_23onesweep_lookback_stateEbbT6_jjT7_P12ihipStream_tbENKUlT_T0_SI_SN_E_clISD_SD_SD_SD_EEDaS11_S12_SI_SN_EUlS11_E_NS1_11comp_targetILNS1_3genE6ELNS1_11target_archE950ELNS1_3gpuE13ELNS1_3repE0EEENS1_47radix_sort_onesweep_sort_config_static_selectorELNS0_4arch9wavefront6targetE1EEEvSI_, .Lfunc_end1027-_ZN7rocprim17ROCPRIM_400000_NS6detail17trampoline_kernelINS0_14default_configENS1_35radix_sort_onesweep_config_selectorIiiEEZZNS1_29radix_sort_onesweep_iterationIS3_Lb1EN6thrust23THRUST_200600_302600_NS6detail15normal_iteratorINS8_10device_ptrIiEEEESD_SD_SD_jNS0_19identity_decomposerENS1_16block_id_wrapperIjLb0EEEEE10hipError_tT1_PNSt15iterator_traitsISI_E10value_typeET2_T3_PNSJ_ISO_E10value_typeET4_T5_PST_SU_PNS1_23onesweep_lookback_stateEbbT6_jjT7_P12ihipStream_tbENKUlT_T0_SI_SN_E_clISD_SD_SD_SD_EEDaS11_S12_SI_SN_EUlS11_E_NS1_11comp_targetILNS1_3genE6ELNS1_11target_archE950ELNS1_3gpuE13ELNS1_3repE0EEENS1_47radix_sort_onesweep_sort_config_static_selectorELNS0_4arch9wavefront6targetE1EEEvSI_
                                        ; -- End function
	.set _ZN7rocprim17ROCPRIM_400000_NS6detail17trampoline_kernelINS0_14default_configENS1_35radix_sort_onesweep_config_selectorIiiEEZZNS1_29radix_sort_onesweep_iterationIS3_Lb1EN6thrust23THRUST_200600_302600_NS6detail15normal_iteratorINS8_10device_ptrIiEEEESD_SD_SD_jNS0_19identity_decomposerENS1_16block_id_wrapperIjLb0EEEEE10hipError_tT1_PNSt15iterator_traitsISI_E10value_typeET2_T3_PNSJ_ISO_E10value_typeET4_T5_PST_SU_PNS1_23onesweep_lookback_stateEbbT6_jjT7_P12ihipStream_tbENKUlT_T0_SI_SN_E_clISD_SD_SD_SD_EEDaS11_S12_SI_SN_EUlS11_E_NS1_11comp_targetILNS1_3genE6ELNS1_11target_archE950ELNS1_3gpuE13ELNS1_3repE0EEENS1_47radix_sort_onesweep_sort_config_static_selectorELNS0_4arch9wavefront6targetE1EEEvSI_.num_vgpr, 88
	.set _ZN7rocprim17ROCPRIM_400000_NS6detail17trampoline_kernelINS0_14default_configENS1_35radix_sort_onesweep_config_selectorIiiEEZZNS1_29radix_sort_onesweep_iterationIS3_Lb1EN6thrust23THRUST_200600_302600_NS6detail15normal_iteratorINS8_10device_ptrIiEEEESD_SD_SD_jNS0_19identity_decomposerENS1_16block_id_wrapperIjLb0EEEEE10hipError_tT1_PNSt15iterator_traitsISI_E10value_typeET2_T3_PNSJ_ISO_E10value_typeET4_T5_PST_SU_PNS1_23onesweep_lookback_stateEbbT6_jjT7_P12ihipStream_tbENKUlT_T0_SI_SN_E_clISD_SD_SD_SD_EEDaS11_S12_SI_SN_EUlS11_E_NS1_11comp_targetILNS1_3genE6ELNS1_11target_archE950ELNS1_3gpuE13ELNS1_3repE0EEENS1_47radix_sort_onesweep_sort_config_static_selectorELNS0_4arch9wavefront6targetE1EEEvSI_.num_agpr, 0
	.set _ZN7rocprim17ROCPRIM_400000_NS6detail17trampoline_kernelINS0_14default_configENS1_35radix_sort_onesweep_config_selectorIiiEEZZNS1_29radix_sort_onesweep_iterationIS3_Lb1EN6thrust23THRUST_200600_302600_NS6detail15normal_iteratorINS8_10device_ptrIiEEEESD_SD_SD_jNS0_19identity_decomposerENS1_16block_id_wrapperIjLb0EEEEE10hipError_tT1_PNSt15iterator_traitsISI_E10value_typeET2_T3_PNSJ_ISO_E10value_typeET4_T5_PST_SU_PNS1_23onesweep_lookback_stateEbbT6_jjT7_P12ihipStream_tbENKUlT_T0_SI_SN_E_clISD_SD_SD_SD_EEDaS11_S12_SI_SN_EUlS11_E_NS1_11comp_targetILNS1_3genE6ELNS1_11target_archE950ELNS1_3gpuE13ELNS1_3repE0EEENS1_47radix_sort_onesweep_sort_config_static_selectorELNS0_4arch9wavefront6targetE1EEEvSI_.numbered_sgpr, 70
	.set _ZN7rocprim17ROCPRIM_400000_NS6detail17trampoline_kernelINS0_14default_configENS1_35radix_sort_onesweep_config_selectorIiiEEZZNS1_29radix_sort_onesweep_iterationIS3_Lb1EN6thrust23THRUST_200600_302600_NS6detail15normal_iteratorINS8_10device_ptrIiEEEESD_SD_SD_jNS0_19identity_decomposerENS1_16block_id_wrapperIjLb0EEEEE10hipError_tT1_PNSt15iterator_traitsISI_E10value_typeET2_T3_PNSJ_ISO_E10value_typeET4_T5_PST_SU_PNS1_23onesweep_lookback_stateEbbT6_jjT7_P12ihipStream_tbENKUlT_T0_SI_SN_E_clISD_SD_SD_SD_EEDaS11_S12_SI_SN_EUlS11_E_NS1_11comp_targetILNS1_3genE6ELNS1_11target_archE950ELNS1_3gpuE13ELNS1_3repE0EEENS1_47radix_sort_onesweep_sort_config_static_selectorELNS0_4arch9wavefront6targetE1EEEvSI_.num_named_barrier, 0
	.set _ZN7rocprim17ROCPRIM_400000_NS6detail17trampoline_kernelINS0_14default_configENS1_35radix_sort_onesweep_config_selectorIiiEEZZNS1_29radix_sort_onesweep_iterationIS3_Lb1EN6thrust23THRUST_200600_302600_NS6detail15normal_iteratorINS8_10device_ptrIiEEEESD_SD_SD_jNS0_19identity_decomposerENS1_16block_id_wrapperIjLb0EEEEE10hipError_tT1_PNSt15iterator_traitsISI_E10value_typeET2_T3_PNSJ_ISO_E10value_typeET4_T5_PST_SU_PNS1_23onesweep_lookback_stateEbbT6_jjT7_P12ihipStream_tbENKUlT_T0_SI_SN_E_clISD_SD_SD_SD_EEDaS11_S12_SI_SN_EUlS11_E_NS1_11comp_targetILNS1_3genE6ELNS1_11target_archE950ELNS1_3gpuE13ELNS1_3repE0EEENS1_47radix_sort_onesweep_sort_config_static_selectorELNS0_4arch9wavefront6targetE1EEEvSI_.private_seg_size, 80
	.set _ZN7rocprim17ROCPRIM_400000_NS6detail17trampoline_kernelINS0_14default_configENS1_35radix_sort_onesweep_config_selectorIiiEEZZNS1_29radix_sort_onesweep_iterationIS3_Lb1EN6thrust23THRUST_200600_302600_NS6detail15normal_iteratorINS8_10device_ptrIiEEEESD_SD_SD_jNS0_19identity_decomposerENS1_16block_id_wrapperIjLb0EEEEE10hipError_tT1_PNSt15iterator_traitsISI_E10value_typeET2_T3_PNSJ_ISO_E10value_typeET4_T5_PST_SU_PNS1_23onesweep_lookback_stateEbbT6_jjT7_P12ihipStream_tbENKUlT_T0_SI_SN_E_clISD_SD_SD_SD_EEDaS11_S12_SI_SN_EUlS11_E_NS1_11comp_targetILNS1_3genE6ELNS1_11target_archE950ELNS1_3gpuE13ELNS1_3repE0EEENS1_47radix_sort_onesweep_sort_config_static_selectorELNS0_4arch9wavefront6targetE1EEEvSI_.uses_vcc, 1
	.set _ZN7rocprim17ROCPRIM_400000_NS6detail17trampoline_kernelINS0_14default_configENS1_35radix_sort_onesweep_config_selectorIiiEEZZNS1_29radix_sort_onesweep_iterationIS3_Lb1EN6thrust23THRUST_200600_302600_NS6detail15normal_iteratorINS8_10device_ptrIiEEEESD_SD_SD_jNS0_19identity_decomposerENS1_16block_id_wrapperIjLb0EEEEE10hipError_tT1_PNSt15iterator_traitsISI_E10value_typeET2_T3_PNSJ_ISO_E10value_typeET4_T5_PST_SU_PNS1_23onesweep_lookback_stateEbbT6_jjT7_P12ihipStream_tbENKUlT_T0_SI_SN_E_clISD_SD_SD_SD_EEDaS11_S12_SI_SN_EUlS11_E_NS1_11comp_targetILNS1_3genE6ELNS1_11target_archE950ELNS1_3gpuE13ELNS1_3repE0EEENS1_47radix_sort_onesweep_sort_config_static_selectorELNS0_4arch9wavefront6targetE1EEEvSI_.uses_flat_scratch, 0
	.set _ZN7rocprim17ROCPRIM_400000_NS6detail17trampoline_kernelINS0_14default_configENS1_35radix_sort_onesweep_config_selectorIiiEEZZNS1_29radix_sort_onesweep_iterationIS3_Lb1EN6thrust23THRUST_200600_302600_NS6detail15normal_iteratorINS8_10device_ptrIiEEEESD_SD_SD_jNS0_19identity_decomposerENS1_16block_id_wrapperIjLb0EEEEE10hipError_tT1_PNSt15iterator_traitsISI_E10value_typeET2_T3_PNSJ_ISO_E10value_typeET4_T5_PST_SU_PNS1_23onesweep_lookback_stateEbbT6_jjT7_P12ihipStream_tbENKUlT_T0_SI_SN_E_clISD_SD_SD_SD_EEDaS11_S12_SI_SN_EUlS11_E_NS1_11comp_targetILNS1_3genE6ELNS1_11target_archE950ELNS1_3gpuE13ELNS1_3repE0EEENS1_47radix_sort_onesweep_sort_config_static_selectorELNS0_4arch9wavefront6targetE1EEEvSI_.has_dyn_sized_stack, 0
	.set _ZN7rocprim17ROCPRIM_400000_NS6detail17trampoline_kernelINS0_14default_configENS1_35radix_sort_onesweep_config_selectorIiiEEZZNS1_29radix_sort_onesweep_iterationIS3_Lb1EN6thrust23THRUST_200600_302600_NS6detail15normal_iteratorINS8_10device_ptrIiEEEESD_SD_SD_jNS0_19identity_decomposerENS1_16block_id_wrapperIjLb0EEEEE10hipError_tT1_PNSt15iterator_traitsISI_E10value_typeET2_T3_PNSJ_ISO_E10value_typeET4_T5_PST_SU_PNS1_23onesweep_lookback_stateEbbT6_jjT7_P12ihipStream_tbENKUlT_T0_SI_SN_E_clISD_SD_SD_SD_EEDaS11_S12_SI_SN_EUlS11_E_NS1_11comp_targetILNS1_3genE6ELNS1_11target_archE950ELNS1_3gpuE13ELNS1_3repE0EEENS1_47radix_sort_onesweep_sort_config_static_selectorELNS0_4arch9wavefront6targetE1EEEvSI_.has_recursion, 0
	.set _ZN7rocprim17ROCPRIM_400000_NS6detail17trampoline_kernelINS0_14default_configENS1_35radix_sort_onesweep_config_selectorIiiEEZZNS1_29radix_sort_onesweep_iterationIS3_Lb1EN6thrust23THRUST_200600_302600_NS6detail15normal_iteratorINS8_10device_ptrIiEEEESD_SD_SD_jNS0_19identity_decomposerENS1_16block_id_wrapperIjLb0EEEEE10hipError_tT1_PNSt15iterator_traitsISI_E10value_typeET2_T3_PNSJ_ISO_E10value_typeET4_T5_PST_SU_PNS1_23onesweep_lookback_stateEbbT6_jjT7_P12ihipStream_tbENKUlT_T0_SI_SN_E_clISD_SD_SD_SD_EEDaS11_S12_SI_SN_EUlS11_E_NS1_11comp_targetILNS1_3genE6ELNS1_11target_archE950ELNS1_3gpuE13ELNS1_3repE0EEENS1_47radix_sort_onesweep_sort_config_static_selectorELNS0_4arch9wavefront6targetE1EEEvSI_.has_indirect_call, 0
	.section	.AMDGPU.csdata,"",@progbits
; Kernel info:
; codeLenInByte = 22584
; TotalNumSgprs: 76
; NumVgprs: 88
; NumAgprs: 0
; TotalNumVgprs: 88
; ScratchSize: 80
; MemoryBound: 0
; FloatMode: 240
; IeeeMode: 1
; LDSByteSize: 20552 bytes/workgroup (compile time only)
; SGPRBlocks: 9
; VGPRBlocks: 10
; NumSGPRsForWavesPerEU: 76
; NumVGPRsForWavesPerEU: 88
; AccumOffset: 88
; Occupancy: 5
; WaveLimiterHint : 1
; COMPUTE_PGM_RSRC2:SCRATCH_EN: 1
; COMPUTE_PGM_RSRC2:USER_SGPR: 2
; COMPUTE_PGM_RSRC2:TRAP_HANDLER: 0
; COMPUTE_PGM_RSRC2:TGID_X_EN: 1
; COMPUTE_PGM_RSRC2:TGID_Y_EN: 0
; COMPUTE_PGM_RSRC2:TGID_Z_EN: 0
; COMPUTE_PGM_RSRC2:TIDIG_COMP_CNT: 2
; COMPUTE_PGM_RSRC3_GFX90A:ACCUM_OFFSET: 21
; COMPUTE_PGM_RSRC3_GFX90A:TG_SPLIT: 0
	.section	.text._ZN7rocprim17ROCPRIM_400000_NS6detail17trampoline_kernelINS0_14default_configENS1_35radix_sort_onesweep_config_selectorIiiEEZZNS1_29radix_sort_onesweep_iterationIS3_Lb1EN6thrust23THRUST_200600_302600_NS6detail15normal_iteratorINS8_10device_ptrIiEEEESD_SD_SD_jNS0_19identity_decomposerENS1_16block_id_wrapperIjLb0EEEEE10hipError_tT1_PNSt15iterator_traitsISI_E10value_typeET2_T3_PNSJ_ISO_E10value_typeET4_T5_PST_SU_PNS1_23onesweep_lookback_stateEbbT6_jjT7_P12ihipStream_tbENKUlT_T0_SI_SN_E_clISD_SD_SD_SD_EEDaS11_S12_SI_SN_EUlS11_E_NS1_11comp_targetILNS1_3genE5ELNS1_11target_archE942ELNS1_3gpuE9ELNS1_3repE0EEENS1_47radix_sort_onesweep_sort_config_static_selectorELNS0_4arch9wavefront6targetE1EEEvSI_,"axG",@progbits,_ZN7rocprim17ROCPRIM_400000_NS6detail17trampoline_kernelINS0_14default_configENS1_35radix_sort_onesweep_config_selectorIiiEEZZNS1_29radix_sort_onesweep_iterationIS3_Lb1EN6thrust23THRUST_200600_302600_NS6detail15normal_iteratorINS8_10device_ptrIiEEEESD_SD_SD_jNS0_19identity_decomposerENS1_16block_id_wrapperIjLb0EEEEE10hipError_tT1_PNSt15iterator_traitsISI_E10value_typeET2_T3_PNSJ_ISO_E10value_typeET4_T5_PST_SU_PNS1_23onesweep_lookback_stateEbbT6_jjT7_P12ihipStream_tbENKUlT_T0_SI_SN_E_clISD_SD_SD_SD_EEDaS11_S12_SI_SN_EUlS11_E_NS1_11comp_targetILNS1_3genE5ELNS1_11target_archE942ELNS1_3gpuE9ELNS1_3repE0EEENS1_47radix_sort_onesweep_sort_config_static_selectorELNS0_4arch9wavefront6targetE1EEEvSI_,comdat
	.protected	_ZN7rocprim17ROCPRIM_400000_NS6detail17trampoline_kernelINS0_14default_configENS1_35radix_sort_onesweep_config_selectorIiiEEZZNS1_29radix_sort_onesweep_iterationIS3_Lb1EN6thrust23THRUST_200600_302600_NS6detail15normal_iteratorINS8_10device_ptrIiEEEESD_SD_SD_jNS0_19identity_decomposerENS1_16block_id_wrapperIjLb0EEEEE10hipError_tT1_PNSt15iterator_traitsISI_E10value_typeET2_T3_PNSJ_ISO_E10value_typeET4_T5_PST_SU_PNS1_23onesweep_lookback_stateEbbT6_jjT7_P12ihipStream_tbENKUlT_T0_SI_SN_E_clISD_SD_SD_SD_EEDaS11_S12_SI_SN_EUlS11_E_NS1_11comp_targetILNS1_3genE5ELNS1_11target_archE942ELNS1_3gpuE9ELNS1_3repE0EEENS1_47radix_sort_onesweep_sort_config_static_selectorELNS0_4arch9wavefront6targetE1EEEvSI_ ; -- Begin function _ZN7rocprim17ROCPRIM_400000_NS6detail17trampoline_kernelINS0_14default_configENS1_35radix_sort_onesweep_config_selectorIiiEEZZNS1_29radix_sort_onesweep_iterationIS3_Lb1EN6thrust23THRUST_200600_302600_NS6detail15normal_iteratorINS8_10device_ptrIiEEEESD_SD_SD_jNS0_19identity_decomposerENS1_16block_id_wrapperIjLb0EEEEE10hipError_tT1_PNSt15iterator_traitsISI_E10value_typeET2_T3_PNSJ_ISO_E10value_typeET4_T5_PST_SU_PNS1_23onesweep_lookback_stateEbbT6_jjT7_P12ihipStream_tbENKUlT_T0_SI_SN_E_clISD_SD_SD_SD_EEDaS11_S12_SI_SN_EUlS11_E_NS1_11comp_targetILNS1_3genE5ELNS1_11target_archE942ELNS1_3gpuE9ELNS1_3repE0EEENS1_47radix_sort_onesweep_sort_config_static_selectorELNS0_4arch9wavefront6targetE1EEEvSI_
	.globl	_ZN7rocprim17ROCPRIM_400000_NS6detail17trampoline_kernelINS0_14default_configENS1_35radix_sort_onesweep_config_selectorIiiEEZZNS1_29radix_sort_onesweep_iterationIS3_Lb1EN6thrust23THRUST_200600_302600_NS6detail15normal_iteratorINS8_10device_ptrIiEEEESD_SD_SD_jNS0_19identity_decomposerENS1_16block_id_wrapperIjLb0EEEEE10hipError_tT1_PNSt15iterator_traitsISI_E10value_typeET2_T3_PNSJ_ISO_E10value_typeET4_T5_PST_SU_PNS1_23onesweep_lookback_stateEbbT6_jjT7_P12ihipStream_tbENKUlT_T0_SI_SN_E_clISD_SD_SD_SD_EEDaS11_S12_SI_SN_EUlS11_E_NS1_11comp_targetILNS1_3genE5ELNS1_11target_archE942ELNS1_3gpuE9ELNS1_3repE0EEENS1_47radix_sort_onesweep_sort_config_static_selectorELNS0_4arch9wavefront6targetE1EEEvSI_
	.p2align	8
	.type	_ZN7rocprim17ROCPRIM_400000_NS6detail17trampoline_kernelINS0_14default_configENS1_35radix_sort_onesweep_config_selectorIiiEEZZNS1_29radix_sort_onesweep_iterationIS3_Lb1EN6thrust23THRUST_200600_302600_NS6detail15normal_iteratorINS8_10device_ptrIiEEEESD_SD_SD_jNS0_19identity_decomposerENS1_16block_id_wrapperIjLb0EEEEE10hipError_tT1_PNSt15iterator_traitsISI_E10value_typeET2_T3_PNSJ_ISO_E10value_typeET4_T5_PST_SU_PNS1_23onesweep_lookback_stateEbbT6_jjT7_P12ihipStream_tbENKUlT_T0_SI_SN_E_clISD_SD_SD_SD_EEDaS11_S12_SI_SN_EUlS11_E_NS1_11comp_targetILNS1_3genE5ELNS1_11target_archE942ELNS1_3gpuE9ELNS1_3repE0EEENS1_47radix_sort_onesweep_sort_config_static_selectorELNS0_4arch9wavefront6targetE1EEEvSI_,@function
_ZN7rocprim17ROCPRIM_400000_NS6detail17trampoline_kernelINS0_14default_configENS1_35radix_sort_onesweep_config_selectorIiiEEZZNS1_29radix_sort_onesweep_iterationIS3_Lb1EN6thrust23THRUST_200600_302600_NS6detail15normal_iteratorINS8_10device_ptrIiEEEESD_SD_SD_jNS0_19identity_decomposerENS1_16block_id_wrapperIjLb0EEEEE10hipError_tT1_PNSt15iterator_traitsISI_E10value_typeET2_T3_PNSJ_ISO_E10value_typeET4_T5_PST_SU_PNS1_23onesweep_lookback_stateEbbT6_jjT7_P12ihipStream_tbENKUlT_T0_SI_SN_E_clISD_SD_SD_SD_EEDaS11_S12_SI_SN_EUlS11_E_NS1_11comp_targetILNS1_3genE5ELNS1_11target_archE942ELNS1_3gpuE9ELNS1_3repE0EEENS1_47radix_sort_onesweep_sort_config_static_selectorELNS0_4arch9wavefront6targetE1EEEvSI_: ; @_ZN7rocprim17ROCPRIM_400000_NS6detail17trampoline_kernelINS0_14default_configENS1_35radix_sort_onesweep_config_selectorIiiEEZZNS1_29radix_sort_onesweep_iterationIS3_Lb1EN6thrust23THRUST_200600_302600_NS6detail15normal_iteratorINS8_10device_ptrIiEEEESD_SD_SD_jNS0_19identity_decomposerENS1_16block_id_wrapperIjLb0EEEEE10hipError_tT1_PNSt15iterator_traitsISI_E10value_typeET2_T3_PNSJ_ISO_E10value_typeET4_T5_PST_SU_PNS1_23onesweep_lookback_stateEbbT6_jjT7_P12ihipStream_tbENKUlT_T0_SI_SN_E_clISD_SD_SD_SD_EEDaS11_S12_SI_SN_EUlS11_E_NS1_11comp_targetILNS1_3genE5ELNS1_11target_archE942ELNS1_3gpuE9ELNS1_3repE0EEENS1_47radix_sort_onesweep_sort_config_static_selectorELNS0_4arch9wavefront6targetE1EEEvSI_
; %bb.0:
	.section	.rodata,"a",@progbits
	.p2align	6, 0x0
	.amdhsa_kernel _ZN7rocprim17ROCPRIM_400000_NS6detail17trampoline_kernelINS0_14default_configENS1_35radix_sort_onesweep_config_selectorIiiEEZZNS1_29radix_sort_onesweep_iterationIS3_Lb1EN6thrust23THRUST_200600_302600_NS6detail15normal_iteratorINS8_10device_ptrIiEEEESD_SD_SD_jNS0_19identity_decomposerENS1_16block_id_wrapperIjLb0EEEEE10hipError_tT1_PNSt15iterator_traitsISI_E10value_typeET2_T3_PNSJ_ISO_E10value_typeET4_T5_PST_SU_PNS1_23onesweep_lookback_stateEbbT6_jjT7_P12ihipStream_tbENKUlT_T0_SI_SN_E_clISD_SD_SD_SD_EEDaS11_S12_SI_SN_EUlS11_E_NS1_11comp_targetILNS1_3genE5ELNS1_11target_archE942ELNS1_3gpuE9ELNS1_3repE0EEENS1_47radix_sort_onesweep_sort_config_static_selectorELNS0_4arch9wavefront6targetE1EEEvSI_
		.amdhsa_group_segment_fixed_size 0
		.amdhsa_private_segment_fixed_size 0
		.amdhsa_kernarg_size 88
		.amdhsa_user_sgpr_count 2
		.amdhsa_user_sgpr_dispatch_ptr 0
		.amdhsa_user_sgpr_queue_ptr 0
		.amdhsa_user_sgpr_kernarg_segment_ptr 1
		.amdhsa_user_sgpr_dispatch_id 0
		.amdhsa_user_sgpr_kernarg_preload_length 0
		.amdhsa_user_sgpr_kernarg_preload_offset 0
		.amdhsa_user_sgpr_private_segment_size 0
		.amdhsa_uses_dynamic_stack 0
		.amdhsa_enable_private_segment 0
		.amdhsa_system_sgpr_workgroup_id_x 1
		.amdhsa_system_sgpr_workgroup_id_y 0
		.amdhsa_system_sgpr_workgroup_id_z 0
		.amdhsa_system_sgpr_workgroup_info 0
		.amdhsa_system_vgpr_workitem_id 0
		.amdhsa_next_free_vgpr 1
		.amdhsa_next_free_sgpr 0
		.amdhsa_accum_offset 4
		.amdhsa_reserve_vcc 0
		.amdhsa_float_round_mode_32 0
		.amdhsa_float_round_mode_16_64 0
		.amdhsa_float_denorm_mode_32 3
		.amdhsa_float_denorm_mode_16_64 3
		.amdhsa_dx10_clamp 1
		.amdhsa_ieee_mode 1
		.amdhsa_fp16_overflow 0
		.amdhsa_tg_split 0
		.amdhsa_exception_fp_ieee_invalid_op 0
		.amdhsa_exception_fp_denorm_src 0
		.amdhsa_exception_fp_ieee_div_zero 0
		.amdhsa_exception_fp_ieee_overflow 0
		.amdhsa_exception_fp_ieee_underflow 0
		.amdhsa_exception_fp_ieee_inexact 0
		.amdhsa_exception_int_div_zero 0
	.end_amdhsa_kernel
	.section	.text._ZN7rocprim17ROCPRIM_400000_NS6detail17trampoline_kernelINS0_14default_configENS1_35radix_sort_onesweep_config_selectorIiiEEZZNS1_29radix_sort_onesweep_iterationIS3_Lb1EN6thrust23THRUST_200600_302600_NS6detail15normal_iteratorINS8_10device_ptrIiEEEESD_SD_SD_jNS0_19identity_decomposerENS1_16block_id_wrapperIjLb0EEEEE10hipError_tT1_PNSt15iterator_traitsISI_E10value_typeET2_T3_PNSJ_ISO_E10value_typeET4_T5_PST_SU_PNS1_23onesweep_lookback_stateEbbT6_jjT7_P12ihipStream_tbENKUlT_T0_SI_SN_E_clISD_SD_SD_SD_EEDaS11_S12_SI_SN_EUlS11_E_NS1_11comp_targetILNS1_3genE5ELNS1_11target_archE942ELNS1_3gpuE9ELNS1_3repE0EEENS1_47radix_sort_onesweep_sort_config_static_selectorELNS0_4arch9wavefront6targetE1EEEvSI_,"axG",@progbits,_ZN7rocprim17ROCPRIM_400000_NS6detail17trampoline_kernelINS0_14default_configENS1_35radix_sort_onesweep_config_selectorIiiEEZZNS1_29radix_sort_onesweep_iterationIS3_Lb1EN6thrust23THRUST_200600_302600_NS6detail15normal_iteratorINS8_10device_ptrIiEEEESD_SD_SD_jNS0_19identity_decomposerENS1_16block_id_wrapperIjLb0EEEEE10hipError_tT1_PNSt15iterator_traitsISI_E10value_typeET2_T3_PNSJ_ISO_E10value_typeET4_T5_PST_SU_PNS1_23onesweep_lookback_stateEbbT6_jjT7_P12ihipStream_tbENKUlT_T0_SI_SN_E_clISD_SD_SD_SD_EEDaS11_S12_SI_SN_EUlS11_E_NS1_11comp_targetILNS1_3genE5ELNS1_11target_archE942ELNS1_3gpuE9ELNS1_3repE0EEENS1_47radix_sort_onesweep_sort_config_static_selectorELNS0_4arch9wavefront6targetE1EEEvSI_,comdat
.Lfunc_end1028:
	.size	_ZN7rocprim17ROCPRIM_400000_NS6detail17trampoline_kernelINS0_14default_configENS1_35radix_sort_onesweep_config_selectorIiiEEZZNS1_29radix_sort_onesweep_iterationIS3_Lb1EN6thrust23THRUST_200600_302600_NS6detail15normal_iteratorINS8_10device_ptrIiEEEESD_SD_SD_jNS0_19identity_decomposerENS1_16block_id_wrapperIjLb0EEEEE10hipError_tT1_PNSt15iterator_traitsISI_E10value_typeET2_T3_PNSJ_ISO_E10value_typeET4_T5_PST_SU_PNS1_23onesweep_lookback_stateEbbT6_jjT7_P12ihipStream_tbENKUlT_T0_SI_SN_E_clISD_SD_SD_SD_EEDaS11_S12_SI_SN_EUlS11_E_NS1_11comp_targetILNS1_3genE5ELNS1_11target_archE942ELNS1_3gpuE9ELNS1_3repE0EEENS1_47radix_sort_onesweep_sort_config_static_selectorELNS0_4arch9wavefront6targetE1EEEvSI_, .Lfunc_end1028-_ZN7rocprim17ROCPRIM_400000_NS6detail17trampoline_kernelINS0_14default_configENS1_35radix_sort_onesweep_config_selectorIiiEEZZNS1_29radix_sort_onesweep_iterationIS3_Lb1EN6thrust23THRUST_200600_302600_NS6detail15normal_iteratorINS8_10device_ptrIiEEEESD_SD_SD_jNS0_19identity_decomposerENS1_16block_id_wrapperIjLb0EEEEE10hipError_tT1_PNSt15iterator_traitsISI_E10value_typeET2_T3_PNSJ_ISO_E10value_typeET4_T5_PST_SU_PNS1_23onesweep_lookback_stateEbbT6_jjT7_P12ihipStream_tbENKUlT_T0_SI_SN_E_clISD_SD_SD_SD_EEDaS11_S12_SI_SN_EUlS11_E_NS1_11comp_targetILNS1_3genE5ELNS1_11target_archE942ELNS1_3gpuE9ELNS1_3repE0EEENS1_47radix_sort_onesweep_sort_config_static_selectorELNS0_4arch9wavefront6targetE1EEEvSI_
                                        ; -- End function
	.set _ZN7rocprim17ROCPRIM_400000_NS6detail17trampoline_kernelINS0_14default_configENS1_35radix_sort_onesweep_config_selectorIiiEEZZNS1_29radix_sort_onesweep_iterationIS3_Lb1EN6thrust23THRUST_200600_302600_NS6detail15normal_iteratorINS8_10device_ptrIiEEEESD_SD_SD_jNS0_19identity_decomposerENS1_16block_id_wrapperIjLb0EEEEE10hipError_tT1_PNSt15iterator_traitsISI_E10value_typeET2_T3_PNSJ_ISO_E10value_typeET4_T5_PST_SU_PNS1_23onesweep_lookback_stateEbbT6_jjT7_P12ihipStream_tbENKUlT_T0_SI_SN_E_clISD_SD_SD_SD_EEDaS11_S12_SI_SN_EUlS11_E_NS1_11comp_targetILNS1_3genE5ELNS1_11target_archE942ELNS1_3gpuE9ELNS1_3repE0EEENS1_47radix_sort_onesweep_sort_config_static_selectorELNS0_4arch9wavefront6targetE1EEEvSI_.num_vgpr, 0
	.set _ZN7rocprim17ROCPRIM_400000_NS6detail17trampoline_kernelINS0_14default_configENS1_35radix_sort_onesweep_config_selectorIiiEEZZNS1_29radix_sort_onesweep_iterationIS3_Lb1EN6thrust23THRUST_200600_302600_NS6detail15normal_iteratorINS8_10device_ptrIiEEEESD_SD_SD_jNS0_19identity_decomposerENS1_16block_id_wrapperIjLb0EEEEE10hipError_tT1_PNSt15iterator_traitsISI_E10value_typeET2_T3_PNSJ_ISO_E10value_typeET4_T5_PST_SU_PNS1_23onesweep_lookback_stateEbbT6_jjT7_P12ihipStream_tbENKUlT_T0_SI_SN_E_clISD_SD_SD_SD_EEDaS11_S12_SI_SN_EUlS11_E_NS1_11comp_targetILNS1_3genE5ELNS1_11target_archE942ELNS1_3gpuE9ELNS1_3repE0EEENS1_47radix_sort_onesweep_sort_config_static_selectorELNS0_4arch9wavefront6targetE1EEEvSI_.num_agpr, 0
	.set _ZN7rocprim17ROCPRIM_400000_NS6detail17trampoline_kernelINS0_14default_configENS1_35radix_sort_onesweep_config_selectorIiiEEZZNS1_29radix_sort_onesweep_iterationIS3_Lb1EN6thrust23THRUST_200600_302600_NS6detail15normal_iteratorINS8_10device_ptrIiEEEESD_SD_SD_jNS0_19identity_decomposerENS1_16block_id_wrapperIjLb0EEEEE10hipError_tT1_PNSt15iterator_traitsISI_E10value_typeET2_T3_PNSJ_ISO_E10value_typeET4_T5_PST_SU_PNS1_23onesweep_lookback_stateEbbT6_jjT7_P12ihipStream_tbENKUlT_T0_SI_SN_E_clISD_SD_SD_SD_EEDaS11_S12_SI_SN_EUlS11_E_NS1_11comp_targetILNS1_3genE5ELNS1_11target_archE942ELNS1_3gpuE9ELNS1_3repE0EEENS1_47radix_sort_onesweep_sort_config_static_selectorELNS0_4arch9wavefront6targetE1EEEvSI_.numbered_sgpr, 0
	.set _ZN7rocprim17ROCPRIM_400000_NS6detail17trampoline_kernelINS0_14default_configENS1_35radix_sort_onesweep_config_selectorIiiEEZZNS1_29radix_sort_onesweep_iterationIS3_Lb1EN6thrust23THRUST_200600_302600_NS6detail15normal_iteratorINS8_10device_ptrIiEEEESD_SD_SD_jNS0_19identity_decomposerENS1_16block_id_wrapperIjLb0EEEEE10hipError_tT1_PNSt15iterator_traitsISI_E10value_typeET2_T3_PNSJ_ISO_E10value_typeET4_T5_PST_SU_PNS1_23onesweep_lookback_stateEbbT6_jjT7_P12ihipStream_tbENKUlT_T0_SI_SN_E_clISD_SD_SD_SD_EEDaS11_S12_SI_SN_EUlS11_E_NS1_11comp_targetILNS1_3genE5ELNS1_11target_archE942ELNS1_3gpuE9ELNS1_3repE0EEENS1_47radix_sort_onesweep_sort_config_static_selectorELNS0_4arch9wavefront6targetE1EEEvSI_.num_named_barrier, 0
	.set _ZN7rocprim17ROCPRIM_400000_NS6detail17trampoline_kernelINS0_14default_configENS1_35radix_sort_onesweep_config_selectorIiiEEZZNS1_29radix_sort_onesweep_iterationIS3_Lb1EN6thrust23THRUST_200600_302600_NS6detail15normal_iteratorINS8_10device_ptrIiEEEESD_SD_SD_jNS0_19identity_decomposerENS1_16block_id_wrapperIjLb0EEEEE10hipError_tT1_PNSt15iterator_traitsISI_E10value_typeET2_T3_PNSJ_ISO_E10value_typeET4_T5_PST_SU_PNS1_23onesweep_lookback_stateEbbT6_jjT7_P12ihipStream_tbENKUlT_T0_SI_SN_E_clISD_SD_SD_SD_EEDaS11_S12_SI_SN_EUlS11_E_NS1_11comp_targetILNS1_3genE5ELNS1_11target_archE942ELNS1_3gpuE9ELNS1_3repE0EEENS1_47radix_sort_onesweep_sort_config_static_selectorELNS0_4arch9wavefront6targetE1EEEvSI_.private_seg_size, 0
	.set _ZN7rocprim17ROCPRIM_400000_NS6detail17trampoline_kernelINS0_14default_configENS1_35radix_sort_onesweep_config_selectorIiiEEZZNS1_29radix_sort_onesweep_iterationIS3_Lb1EN6thrust23THRUST_200600_302600_NS6detail15normal_iteratorINS8_10device_ptrIiEEEESD_SD_SD_jNS0_19identity_decomposerENS1_16block_id_wrapperIjLb0EEEEE10hipError_tT1_PNSt15iterator_traitsISI_E10value_typeET2_T3_PNSJ_ISO_E10value_typeET4_T5_PST_SU_PNS1_23onesweep_lookback_stateEbbT6_jjT7_P12ihipStream_tbENKUlT_T0_SI_SN_E_clISD_SD_SD_SD_EEDaS11_S12_SI_SN_EUlS11_E_NS1_11comp_targetILNS1_3genE5ELNS1_11target_archE942ELNS1_3gpuE9ELNS1_3repE0EEENS1_47radix_sort_onesweep_sort_config_static_selectorELNS0_4arch9wavefront6targetE1EEEvSI_.uses_vcc, 0
	.set _ZN7rocprim17ROCPRIM_400000_NS6detail17trampoline_kernelINS0_14default_configENS1_35radix_sort_onesweep_config_selectorIiiEEZZNS1_29radix_sort_onesweep_iterationIS3_Lb1EN6thrust23THRUST_200600_302600_NS6detail15normal_iteratorINS8_10device_ptrIiEEEESD_SD_SD_jNS0_19identity_decomposerENS1_16block_id_wrapperIjLb0EEEEE10hipError_tT1_PNSt15iterator_traitsISI_E10value_typeET2_T3_PNSJ_ISO_E10value_typeET4_T5_PST_SU_PNS1_23onesweep_lookback_stateEbbT6_jjT7_P12ihipStream_tbENKUlT_T0_SI_SN_E_clISD_SD_SD_SD_EEDaS11_S12_SI_SN_EUlS11_E_NS1_11comp_targetILNS1_3genE5ELNS1_11target_archE942ELNS1_3gpuE9ELNS1_3repE0EEENS1_47radix_sort_onesweep_sort_config_static_selectorELNS0_4arch9wavefront6targetE1EEEvSI_.uses_flat_scratch, 0
	.set _ZN7rocprim17ROCPRIM_400000_NS6detail17trampoline_kernelINS0_14default_configENS1_35radix_sort_onesweep_config_selectorIiiEEZZNS1_29radix_sort_onesweep_iterationIS3_Lb1EN6thrust23THRUST_200600_302600_NS6detail15normal_iteratorINS8_10device_ptrIiEEEESD_SD_SD_jNS0_19identity_decomposerENS1_16block_id_wrapperIjLb0EEEEE10hipError_tT1_PNSt15iterator_traitsISI_E10value_typeET2_T3_PNSJ_ISO_E10value_typeET4_T5_PST_SU_PNS1_23onesweep_lookback_stateEbbT6_jjT7_P12ihipStream_tbENKUlT_T0_SI_SN_E_clISD_SD_SD_SD_EEDaS11_S12_SI_SN_EUlS11_E_NS1_11comp_targetILNS1_3genE5ELNS1_11target_archE942ELNS1_3gpuE9ELNS1_3repE0EEENS1_47radix_sort_onesweep_sort_config_static_selectorELNS0_4arch9wavefront6targetE1EEEvSI_.has_dyn_sized_stack, 0
	.set _ZN7rocprim17ROCPRIM_400000_NS6detail17trampoline_kernelINS0_14default_configENS1_35radix_sort_onesweep_config_selectorIiiEEZZNS1_29radix_sort_onesweep_iterationIS3_Lb1EN6thrust23THRUST_200600_302600_NS6detail15normal_iteratorINS8_10device_ptrIiEEEESD_SD_SD_jNS0_19identity_decomposerENS1_16block_id_wrapperIjLb0EEEEE10hipError_tT1_PNSt15iterator_traitsISI_E10value_typeET2_T3_PNSJ_ISO_E10value_typeET4_T5_PST_SU_PNS1_23onesweep_lookback_stateEbbT6_jjT7_P12ihipStream_tbENKUlT_T0_SI_SN_E_clISD_SD_SD_SD_EEDaS11_S12_SI_SN_EUlS11_E_NS1_11comp_targetILNS1_3genE5ELNS1_11target_archE942ELNS1_3gpuE9ELNS1_3repE0EEENS1_47radix_sort_onesweep_sort_config_static_selectorELNS0_4arch9wavefront6targetE1EEEvSI_.has_recursion, 0
	.set _ZN7rocprim17ROCPRIM_400000_NS6detail17trampoline_kernelINS0_14default_configENS1_35radix_sort_onesweep_config_selectorIiiEEZZNS1_29radix_sort_onesweep_iterationIS3_Lb1EN6thrust23THRUST_200600_302600_NS6detail15normal_iteratorINS8_10device_ptrIiEEEESD_SD_SD_jNS0_19identity_decomposerENS1_16block_id_wrapperIjLb0EEEEE10hipError_tT1_PNSt15iterator_traitsISI_E10value_typeET2_T3_PNSJ_ISO_E10value_typeET4_T5_PST_SU_PNS1_23onesweep_lookback_stateEbbT6_jjT7_P12ihipStream_tbENKUlT_T0_SI_SN_E_clISD_SD_SD_SD_EEDaS11_S12_SI_SN_EUlS11_E_NS1_11comp_targetILNS1_3genE5ELNS1_11target_archE942ELNS1_3gpuE9ELNS1_3repE0EEENS1_47radix_sort_onesweep_sort_config_static_selectorELNS0_4arch9wavefront6targetE1EEEvSI_.has_indirect_call, 0
	.section	.AMDGPU.csdata,"",@progbits
; Kernel info:
; codeLenInByte = 0
; TotalNumSgprs: 6
; NumVgprs: 0
; NumAgprs: 0
; TotalNumVgprs: 0
; ScratchSize: 0
; MemoryBound: 0
; FloatMode: 240
; IeeeMode: 1
; LDSByteSize: 0 bytes/workgroup (compile time only)
; SGPRBlocks: 0
; VGPRBlocks: 0
; NumSGPRsForWavesPerEU: 6
; NumVGPRsForWavesPerEU: 1
; AccumOffset: 4
; Occupancy: 8
; WaveLimiterHint : 0
; COMPUTE_PGM_RSRC2:SCRATCH_EN: 0
; COMPUTE_PGM_RSRC2:USER_SGPR: 2
; COMPUTE_PGM_RSRC2:TRAP_HANDLER: 0
; COMPUTE_PGM_RSRC2:TGID_X_EN: 1
; COMPUTE_PGM_RSRC2:TGID_Y_EN: 0
; COMPUTE_PGM_RSRC2:TGID_Z_EN: 0
; COMPUTE_PGM_RSRC2:TIDIG_COMP_CNT: 0
; COMPUTE_PGM_RSRC3_GFX90A:ACCUM_OFFSET: 0
; COMPUTE_PGM_RSRC3_GFX90A:TG_SPLIT: 0
	.section	.text._ZN7rocprim17ROCPRIM_400000_NS6detail17trampoline_kernelINS0_14default_configENS1_35radix_sort_onesweep_config_selectorIiiEEZZNS1_29radix_sort_onesweep_iterationIS3_Lb1EN6thrust23THRUST_200600_302600_NS6detail15normal_iteratorINS8_10device_ptrIiEEEESD_SD_SD_jNS0_19identity_decomposerENS1_16block_id_wrapperIjLb0EEEEE10hipError_tT1_PNSt15iterator_traitsISI_E10value_typeET2_T3_PNSJ_ISO_E10value_typeET4_T5_PST_SU_PNS1_23onesweep_lookback_stateEbbT6_jjT7_P12ihipStream_tbENKUlT_T0_SI_SN_E_clISD_SD_SD_SD_EEDaS11_S12_SI_SN_EUlS11_E_NS1_11comp_targetILNS1_3genE2ELNS1_11target_archE906ELNS1_3gpuE6ELNS1_3repE0EEENS1_47radix_sort_onesweep_sort_config_static_selectorELNS0_4arch9wavefront6targetE1EEEvSI_,"axG",@progbits,_ZN7rocprim17ROCPRIM_400000_NS6detail17trampoline_kernelINS0_14default_configENS1_35radix_sort_onesweep_config_selectorIiiEEZZNS1_29radix_sort_onesweep_iterationIS3_Lb1EN6thrust23THRUST_200600_302600_NS6detail15normal_iteratorINS8_10device_ptrIiEEEESD_SD_SD_jNS0_19identity_decomposerENS1_16block_id_wrapperIjLb0EEEEE10hipError_tT1_PNSt15iterator_traitsISI_E10value_typeET2_T3_PNSJ_ISO_E10value_typeET4_T5_PST_SU_PNS1_23onesweep_lookback_stateEbbT6_jjT7_P12ihipStream_tbENKUlT_T0_SI_SN_E_clISD_SD_SD_SD_EEDaS11_S12_SI_SN_EUlS11_E_NS1_11comp_targetILNS1_3genE2ELNS1_11target_archE906ELNS1_3gpuE6ELNS1_3repE0EEENS1_47radix_sort_onesweep_sort_config_static_selectorELNS0_4arch9wavefront6targetE1EEEvSI_,comdat
	.protected	_ZN7rocprim17ROCPRIM_400000_NS6detail17trampoline_kernelINS0_14default_configENS1_35radix_sort_onesweep_config_selectorIiiEEZZNS1_29radix_sort_onesweep_iterationIS3_Lb1EN6thrust23THRUST_200600_302600_NS6detail15normal_iteratorINS8_10device_ptrIiEEEESD_SD_SD_jNS0_19identity_decomposerENS1_16block_id_wrapperIjLb0EEEEE10hipError_tT1_PNSt15iterator_traitsISI_E10value_typeET2_T3_PNSJ_ISO_E10value_typeET4_T5_PST_SU_PNS1_23onesweep_lookback_stateEbbT6_jjT7_P12ihipStream_tbENKUlT_T0_SI_SN_E_clISD_SD_SD_SD_EEDaS11_S12_SI_SN_EUlS11_E_NS1_11comp_targetILNS1_3genE2ELNS1_11target_archE906ELNS1_3gpuE6ELNS1_3repE0EEENS1_47radix_sort_onesweep_sort_config_static_selectorELNS0_4arch9wavefront6targetE1EEEvSI_ ; -- Begin function _ZN7rocprim17ROCPRIM_400000_NS6detail17trampoline_kernelINS0_14default_configENS1_35radix_sort_onesweep_config_selectorIiiEEZZNS1_29radix_sort_onesweep_iterationIS3_Lb1EN6thrust23THRUST_200600_302600_NS6detail15normal_iteratorINS8_10device_ptrIiEEEESD_SD_SD_jNS0_19identity_decomposerENS1_16block_id_wrapperIjLb0EEEEE10hipError_tT1_PNSt15iterator_traitsISI_E10value_typeET2_T3_PNSJ_ISO_E10value_typeET4_T5_PST_SU_PNS1_23onesweep_lookback_stateEbbT6_jjT7_P12ihipStream_tbENKUlT_T0_SI_SN_E_clISD_SD_SD_SD_EEDaS11_S12_SI_SN_EUlS11_E_NS1_11comp_targetILNS1_3genE2ELNS1_11target_archE906ELNS1_3gpuE6ELNS1_3repE0EEENS1_47radix_sort_onesweep_sort_config_static_selectorELNS0_4arch9wavefront6targetE1EEEvSI_
	.globl	_ZN7rocprim17ROCPRIM_400000_NS6detail17trampoline_kernelINS0_14default_configENS1_35radix_sort_onesweep_config_selectorIiiEEZZNS1_29radix_sort_onesweep_iterationIS3_Lb1EN6thrust23THRUST_200600_302600_NS6detail15normal_iteratorINS8_10device_ptrIiEEEESD_SD_SD_jNS0_19identity_decomposerENS1_16block_id_wrapperIjLb0EEEEE10hipError_tT1_PNSt15iterator_traitsISI_E10value_typeET2_T3_PNSJ_ISO_E10value_typeET4_T5_PST_SU_PNS1_23onesweep_lookback_stateEbbT6_jjT7_P12ihipStream_tbENKUlT_T0_SI_SN_E_clISD_SD_SD_SD_EEDaS11_S12_SI_SN_EUlS11_E_NS1_11comp_targetILNS1_3genE2ELNS1_11target_archE906ELNS1_3gpuE6ELNS1_3repE0EEENS1_47radix_sort_onesweep_sort_config_static_selectorELNS0_4arch9wavefront6targetE1EEEvSI_
	.p2align	8
	.type	_ZN7rocprim17ROCPRIM_400000_NS6detail17trampoline_kernelINS0_14default_configENS1_35radix_sort_onesweep_config_selectorIiiEEZZNS1_29radix_sort_onesweep_iterationIS3_Lb1EN6thrust23THRUST_200600_302600_NS6detail15normal_iteratorINS8_10device_ptrIiEEEESD_SD_SD_jNS0_19identity_decomposerENS1_16block_id_wrapperIjLb0EEEEE10hipError_tT1_PNSt15iterator_traitsISI_E10value_typeET2_T3_PNSJ_ISO_E10value_typeET4_T5_PST_SU_PNS1_23onesweep_lookback_stateEbbT6_jjT7_P12ihipStream_tbENKUlT_T0_SI_SN_E_clISD_SD_SD_SD_EEDaS11_S12_SI_SN_EUlS11_E_NS1_11comp_targetILNS1_3genE2ELNS1_11target_archE906ELNS1_3gpuE6ELNS1_3repE0EEENS1_47radix_sort_onesweep_sort_config_static_selectorELNS0_4arch9wavefront6targetE1EEEvSI_,@function
_ZN7rocprim17ROCPRIM_400000_NS6detail17trampoline_kernelINS0_14default_configENS1_35radix_sort_onesweep_config_selectorIiiEEZZNS1_29radix_sort_onesweep_iterationIS3_Lb1EN6thrust23THRUST_200600_302600_NS6detail15normal_iteratorINS8_10device_ptrIiEEEESD_SD_SD_jNS0_19identity_decomposerENS1_16block_id_wrapperIjLb0EEEEE10hipError_tT1_PNSt15iterator_traitsISI_E10value_typeET2_T3_PNSJ_ISO_E10value_typeET4_T5_PST_SU_PNS1_23onesweep_lookback_stateEbbT6_jjT7_P12ihipStream_tbENKUlT_T0_SI_SN_E_clISD_SD_SD_SD_EEDaS11_S12_SI_SN_EUlS11_E_NS1_11comp_targetILNS1_3genE2ELNS1_11target_archE906ELNS1_3gpuE6ELNS1_3repE0EEENS1_47radix_sort_onesweep_sort_config_static_selectorELNS0_4arch9wavefront6targetE1EEEvSI_: ; @_ZN7rocprim17ROCPRIM_400000_NS6detail17trampoline_kernelINS0_14default_configENS1_35radix_sort_onesweep_config_selectorIiiEEZZNS1_29radix_sort_onesweep_iterationIS3_Lb1EN6thrust23THRUST_200600_302600_NS6detail15normal_iteratorINS8_10device_ptrIiEEEESD_SD_SD_jNS0_19identity_decomposerENS1_16block_id_wrapperIjLb0EEEEE10hipError_tT1_PNSt15iterator_traitsISI_E10value_typeET2_T3_PNSJ_ISO_E10value_typeET4_T5_PST_SU_PNS1_23onesweep_lookback_stateEbbT6_jjT7_P12ihipStream_tbENKUlT_T0_SI_SN_E_clISD_SD_SD_SD_EEDaS11_S12_SI_SN_EUlS11_E_NS1_11comp_targetILNS1_3genE2ELNS1_11target_archE906ELNS1_3gpuE6ELNS1_3repE0EEENS1_47radix_sort_onesweep_sort_config_static_selectorELNS0_4arch9wavefront6targetE1EEEvSI_
; %bb.0:
	.section	.rodata,"a",@progbits
	.p2align	6, 0x0
	.amdhsa_kernel _ZN7rocprim17ROCPRIM_400000_NS6detail17trampoline_kernelINS0_14default_configENS1_35radix_sort_onesweep_config_selectorIiiEEZZNS1_29radix_sort_onesweep_iterationIS3_Lb1EN6thrust23THRUST_200600_302600_NS6detail15normal_iteratorINS8_10device_ptrIiEEEESD_SD_SD_jNS0_19identity_decomposerENS1_16block_id_wrapperIjLb0EEEEE10hipError_tT1_PNSt15iterator_traitsISI_E10value_typeET2_T3_PNSJ_ISO_E10value_typeET4_T5_PST_SU_PNS1_23onesweep_lookback_stateEbbT6_jjT7_P12ihipStream_tbENKUlT_T0_SI_SN_E_clISD_SD_SD_SD_EEDaS11_S12_SI_SN_EUlS11_E_NS1_11comp_targetILNS1_3genE2ELNS1_11target_archE906ELNS1_3gpuE6ELNS1_3repE0EEENS1_47radix_sort_onesweep_sort_config_static_selectorELNS0_4arch9wavefront6targetE1EEEvSI_
		.amdhsa_group_segment_fixed_size 0
		.amdhsa_private_segment_fixed_size 0
		.amdhsa_kernarg_size 88
		.amdhsa_user_sgpr_count 2
		.amdhsa_user_sgpr_dispatch_ptr 0
		.amdhsa_user_sgpr_queue_ptr 0
		.amdhsa_user_sgpr_kernarg_segment_ptr 1
		.amdhsa_user_sgpr_dispatch_id 0
		.amdhsa_user_sgpr_kernarg_preload_length 0
		.amdhsa_user_sgpr_kernarg_preload_offset 0
		.amdhsa_user_sgpr_private_segment_size 0
		.amdhsa_uses_dynamic_stack 0
		.amdhsa_enable_private_segment 0
		.amdhsa_system_sgpr_workgroup_id_x 1
		.amdhsa_system_sgpr_workgroup_id_y 0
		.amdhsa_system_sgpr_workgroup_id_z 0
		.amdhsa_system_sgpr_workgroup_info 0
		.amdhsa_system_vgpr_workitem_id 0
		.amdhsa_next_free_vgpr 1
		.amdhsa_next_free_sgpr 0
		.amdhsa_accum_offset 4
		.amdhsa_reserve_vcc 0
		.amdhsa_float_round_mode_32 0
		.amdhsa_float_round_mode_16_64 0
		.amdhsa_float_denorm_mode_32 3
		.amdhsa_float_denorm_mode_16_64 3
		.amdhsa_dx10_clamp 1
		.amdhsa_ieee_mode 1
		.amdhsa_fp16_overflow 0
		.amdhsa_tg_split 0
		.amdhsa_exception_fp_ieee_invalid_op 0
		.amdhsa_exception_fp_denorm_src 0
		.amdhsa_exception_fp_ieee_div_zero 0
		.amdhsa_exception_fp_ieee_overflow 0
		.amdhsa_exception_fp_ieee_underflow 0
		.amdhsa_exception_fp_ieee_inexact 0
		.amdhsa_exception_int_div_zero 0
	.end_amdhsa_kernel
	.section	.text._ZN7rocprim17ROCPRIM_400000_NS6detail17trampoline_kernelINS0_14default_configENS1_35radix_sort_onesweep_config_selectorIiiEEZZNS1_29radix_sort_onesweep_iterationIS3_Lb1EN6thrust23THRUST_200600_302600_NS6detail15normal_iteratorINS8_10device_ptrIiEEEESD_SD_SD_jNS0_19identity_decomposerENS1_16block_id_wrapperIjLb0EEEEE10hipError_tT1_PNSt15iterator_traitsISI_E10value_typeET2_T3_PNSJ_ISO_E10value_typeET4_T5_PST_SU_PNS1_23onesweep_lookback_stateEbbT6_jjT7_P12ihipStream_tbENKUlT_T0_SI_SN_E_clISD_SD_SD_SD_EEDaS11_S12_SI_SN_EUlS11_E_NS1_11comp_targetILNS1_3genE2ELNS1_11target_archE906ELNS1_3gpuE6ELNS1_3repE0EEENS1_47radix_sort_onesweep_sort_config_static_selectorELNS0_4arch9wavefront6targetE1EEEvSI_,"axG",@progbits,_ZN7rocprim17ROCPRIM_400000_NS6detail17trampoline_kernelINS0_14default_configENS1_35radix_sort_onesweep_config_selectorIiiEEZZNS1_29radix_sort_onesweep_iterationIS3_Lb1EN6thrust23THRUST_200600_302600_NS6detail15normal_iteratorINS8_10device_ptrIiEEEESD_SD_SD_jNS0_19identity_decomposerENS1_16block_id_wrapperIjLb0EEEEE10hipError_tT1_PNSt15iterator_traitsISI_E10value_typeET2_T3_PNSJ_ISO_E10value_typeET4_T5_PST_SU_PNS1_23onesweep_lookback_stateEbbT6_jjT7_P12ihipStream_tbENKUlT_T0_SI_SN_E_clISD_SD_SD_SD_EEDaS11_S12_SI_SN_EUlS11_E_NS1_11comp_targetILNS1_3genE2ELNS1_11target_archE906ELNS1_3gpuE6ELNS1_3repE0EEENS1_47radix_sort_onesweep_sort_config_static_selectorELNS0_4arch9wavefront6targetE1EEEvSI_,comdat
.Lfunc_end1029:
	.size	_ZN7rocprim17ROCPRIM_400000_NS6detail17trampoline_kernelINS0_14default_configENS1_35radix_sort_onesweep_config_selectorIiiEEZZNS1_29radix_sort_onesweep_iterationIS3_Lb1EN6thrust23THRUST_200600_302600_NS6detail15normal_iteratorINS8_10device_ptrIiEEEESD_SD_SD_jNS0_19identity_decomposerENS1_16block_id_wrapperIjLb0EEEEE10hipError_tT1_PNSt15iterator_traitsISI_E10value_typeET2_T3_PNSJ_ISO_E10value_typeET4_T5_PST_SU_PNS1_23onesweep_lookback_stateEbbT6_jjT7_P12ihipStream_tbENKUlT_T0_SI_SN_E_clISD_SD_SD_SD_EEDaS11_S12_SI_SN_EUlS11_E_NS1_11comp_targetILNS1_3genE2ELNS1_11target_archE906ELNS1_3gpuE6ELNS1_3repE0EEENS1_47radix_sort_onesweep_sort_config_static_selectorELNS0_4arch9wavefront6targetE1EEEvSI_, .Lfunc_end1029-_ZN7rocprim17ROCPRIM_400000_NS6detail17trampoline_kernelINS0_14default_configENS1_35radix_sort_onesweep_config_selectorIiiEEZZNS1_29radix_sort_onesweep_iterationIS3_Lb1EN6thrust23THRUST_200600_302600_NS6detail15normal_iteratorINS8_10device_ptrIiEEEESD_SD_SD_jNS0_19identity_decomposerENS1_16block_id_wrapperIjLb0EEEEE10hipError_tT1_PNSt15iterator_traitsISI_E10value_typeET2_T3_PNSJ_ISO_E10value_typeET4_T5_PST_SU_PNS1_23onesweep_lookback_stateEbbT6_jjT7_P12ihipStream_tbENKUlT_T0_SI_SN_E_clISD_SD_SD_SD_EEDaS11_S12_SI_SN_EUlS11_E_NS1_11comp_targetILNS1_3genE2ELNS1_11target_archE906ELNS1_3gpuE6ELNS1_3repE0EEENS1_47radix_sort_onesweep_sort_config_static_selectorELNS0_4arch9wavefront6targetE1EEEvSI_
                                        ; -- End function
	.set _ZN7rocprim17ROCPRIM_400000_NS6detail17trampoline_kernelINS0_14default_configENS1_35radix_sort_onesweep_config_selectorIiiEEZZNS1_29radix_sort_onesweep_iterationIS3_Lb1EN6thrust23THRUST_200600_302600_NS6detail15normal_iteratorINS8_10device_ptrIiEEEESD_SD_SD_jNS0_19identity_decomposerENS1_16block_id_wrapperIjLb0EEEEE10hipError_tT1_PNSt15iterator_traitsISI_E10value_typeET2_T3_PNSJ_ISO_E10value_typeET4_T5_PST_SU_PNS1_23onesweep_lookback_stateEbbT6_jjT7_P12ihipStream_tbENKUlT_T0_SI_SN_E_clISD_SD_SD_SD_EEDaS11_S12_SI_SN_EUlS11_E_NS1_11comp_targetILNS1_3genE2ELNS1_11target_archE906ELNS1_3gpuE6ELNS1_3repE0EEENS1_47radix_sort_onesweep_sort_config_static_selectorELNS0_4arch9wavefront6targetE1EEEvSI_.num_vgpr, 0
	.set _ZN7rocprim17ROCPRIM_400000_NS6detail17trampoline_kernelINS0_14default_configENS1_35radix_sort_onesweep_config_selectorIiiEEZZNS1_29radix_sort_onesweep_iterationIS3_Lb1EN6thrust23THRUST_200600_302600_NS6detail15normal_iteratorINS8_10device_ptrIiEEEESD_SD_SD_jNS0_19identity_decomposerENS1_16block_id_wrapperIjLb0EEEEE10hipError_tT1_PNSt15iterator_traitsISI_E10value_typeET2_T3_PNSJ_ISO_E10value_typeET4_T5_PST_SU_PNS1_23onesweep_lookback_stateEbbT6_jjT7_P12ihipStream_tbENKUlT_T0_SI_SN_E_clISD_SD_SD_SD_EEDaS11_S12_SI_SN_EUlS11_E_NS1_11comp_targetILNS1_3genE2ELNS1_11target_archE906ELNS1_3gpuE6ELNS1_3repE0EEENS1_47radix_sort_onesweep_sort_config_static_selectorELNS0_4arch9wavefront6targetE1EEEvSI_.num_agpr, 0
	.set _ZN7rocprim17ROCPRIM_400000_NS6detail17trampoline_kernelINS0_14default_configENS1_35radix_sort_onesweep_config_selectorIiiEEZZNS1_29radix_sort_onesweep_iterationIS3_Lb1EN6thrust23THRUST_200600_302600_NS6detail15normal_iteratorINS8_10device_ptrIiEEEESD_SD_SD_jNS0_19identity_decomposerENS1_16block_id_wrapperIjLb0EEEEE10hipError_tT1_PNSt15iterator_traitsISI_E10value_typeET2_T3_PNSJ_ISO_E10value_typeET4_T5_PST_SU_PNS1_23onesweep_lookback_stateEbbT6_jjT7_P12ihipStream_tbENKUlT_T0_SI_SN_E_clISD_SD_SD_SD_EEDaS11_S12_SI_SN_EUlS11_E_NS1_11comp_targetILNS1_3genE2ELNS1_11target_archE906ELNS1_3gpuE6ELNS1_3repE0EEENS1_47radix_sort_onesweep_sort_config_static_selectorELNS0_4arch9wavefront6targetE1EEEvSI_.numbered_sgpr, 0
	.set _ZN7rocprim17ROCPRIM_400000_NS6detail17trampoline_kernelINS0_14default_configENS1_35radix_sort_onesweep_config_selectorIiiEEZZNS1_29radix_sort_onesweep_iterationIS3_Lb1EN6thrust23THRUST_200600_302600_NS6detail15normal_iteratorINS8_10device_ptrIiEEEESD_SD_SD_jNS0_19identity_decomposerENS1_16block_id_wrapperIjLb0EEEEE10hipError_tT1_PNSt15iterator_traitsISI_E10value_typeET2_T3_PNSJ_ISO_E10value_typeET4_T5_PST_SU_PNS1_23onesweep_lookback_stateEbbT6_jjT7_P12ihipStream_tbENKUlT_T0_SI_SN_E_clISD_SD_SD_SD_EEDaS11_S12_SI_SN_EUlS11_E_NS1_11comp_targetILNS1_3genE2ELNS1_11target_archE906ELNS1_3gpuE6ELNS1_3repE0EEENS1_47radix_sort_onesweep_sort_config_static_selectorELNS0_4arch9wavefront6targetE1EEEvSI_.num_named_barrier, 0
	.set _ZN7rocprim17ROCPRIM_400000_NS6detail17trampoline_kernelINS0_14default_configENS1_35radix_sort_onesweep_config_selectorIiiEEZZNS1_29radix_sort_onesweep_iterationIS3_Lb1EN6thrust23THRUST_200600_302600_NS6detail15normal_iteratorINS8_10device_ptrIiEEEESD_SD_SD_jNS0_19identity_decomposerENS1_16block_id_wrapperIjLb0EEEEE10hipError_tT1_PNSt15iterator_traitsISI_E10value_typeET2_T3_PNSJ_ISO_E10value_typeET4_T5_PST_SU_PNS1_23onesweep_lookback_stateEbbT6_jjT7_P12ihipStream_tbENKUlT_T0_SI_SN_E_clISD_SD_SD_SD_EEDaS11_S12_SI_SN_EUlS11_E_NS1_11comp_targetILNS1_3genE2ELNS1_11target_archE906ELNS1_3gpuE6ELNS1_3repE0EEENS1_47radix_sort_onesweep_sort_config_static_selectorELNS0_4arch9wavefront6targetE1EEEvSI_.private_seg_size, 0
	.set _ZN7rocprim17ROCPRIM_400000_NS6detail17trampoline_kernelINS0_14default_configENS1_35radix_sort_onesweep_config_selectorIiiEEZZNS1_29radix_sort_onesweep_iterationIS3_Lb1EN6thrust23THRUST_200600_302600_NS6detail15normal_iteratorINS8_10device_ptrIiEEEESD_SD_SD_jNS0_19identity_decomposerENS1_16block_id_wrapperIjLb0EEEEE10hipError_tT1_PNSt15iterator_traitsISI_E10value_typeET2_T3_PNSJ_ISO_E10value_typeET4_T5_PST_SU_PNS1_23onesweep_lookback_stateEbbT6_jjT7_P12ihipStream_tbENKUlT_T0_SI_SN_E_clISD_SD_SD_SD_EEDaS11_S12_SI_SN_EUlS11_E_NS1_11comp_targetILNS1_3genE2ELNS1_11target_archE906ELNS1_3gpuE6ELNS1_3repE0EEENS1_47radix_sort_onesweep_sort_config_static_selectorELNS0_4arch9wavefront6targetE1EEEvSI_.uses_vcc, 0
	.set _ZN7rocprim17ROCPRIM_400000_NS6detail17trampoline_kernelINS0_14default_configENS1_35radix_sort_onesweep_config_selectorIiiEEZZNS1_29radix_sort_onesweep_iterationIS3_Lb1EN6thrust23THRUST_200600_302600_NS6detail15normal_iteratorINS8_10device_ptrIiEEEESD_SD_SD_jNS0_19identity_decomposerENS1_16block_id_wrapperIjLb0EEEEE10hipError_tT1_PNSt15iterator_traitsISI_E10value_typeET2_T3_PNSJ_ISO_E10value_typeET4_T5_PST_SU_PNS1_23onesweep_lookback_stateEbbT6_jjT7_P12ihipStream_tbENKUlT_T0_SI_SN_E_clISD_SD_SD_SD_EEDaS11_S12_SI_SN_EUlS11_E_NS1_11comp_targetILNS1_3genE2ELNS1_11target_archE906ELNS1_3gpuE6ELNS1_3repE0EEENS1_47radix_sort_onesweep_sort_config_static_selectorELNS0_4arch9wavefront6targetE1EEEvSI_.uses_flat_scratch, 0
	.set _ZN7rocprim17ROCPRIM_400000_NS6detail17trampoline_kernelINS0_14default_configENS1_35radix_sort_onesweep_config_selectorIiiEEZZNS1_29radix_sort_onesweep_iterationIS3_Lb1EN6thrust23THRUST_200600_302600_NS6detail15normal_iteratorINS8_10device_ptrIiEEEESD_SD_SD_jNS0_19identity_decomposerENS1_16block_id_wrapperIjLb0EEEEE10hipError_tT1_PNSt15iterator_traitsISI_E10value_typeET2_T3_PNSJ_ISO_E10value_typeET4_T5_PST_SU_PNS1_23onesweep_lookback_stateEbbT6_jjT7_P12ihipStream_tbENKUlT_T0_SI_SN_E_clISD_SD_SD_SD_EEDaS11_S12_SI_SN_EUlS11_E_NS1_11comp_targetILNS1_3genE2ELNS1_11target_archE906ELNS1_3gpuE6ELNS1_3repE0EEENS1_47radix_sort_onesweep_sort_config_static_selectorELNS0_4arch9wavefront6targetE1EEEvSI_.has_dyn_sized_stack, 0
	.set _ZN7rocprim17ROCPRIM_400000_NS6detail17trampoline_kernelINS0_14default_configENS1_35radix_sort_onesweep_config_selectorIiiEEZZNS1_29radix_sort_onesweep_iterationIS3_Lb1EN6thrust23THRUST_200600_302600_NS6detail15normal_iteratorINS8_10device_ptrIiEEEESD_SD_SD_jNS0_19identity_decomposerENS1_16block_id_wrapperIjLb0EEEEE10hipError_tT1_PNSt15iterator_traitsISI_E10value_typeET2_T3_PNSJ_ISO_E10value_typeET4_T5_PST_SU_PNS1_23onesweep_lookback_stateEbbT6_jjT7_P12ihipStream_tbENKUlT_T0_SI_SN_E_clISD_SD_SD_SD_EEDaS11_S12_SI_SN_EUlS11_E_NS1_11comp_targetILNS1_3genE2ELNS1_11target_archE906ELNS1_3gpuE6ELNS1_3repE0EEENS1_47radix_sort_onesweep_sort_config_static_selectorELNS0_4arch9wavefront6targetE1EEEvSI_.has_recursion, 0
	.set _ZN7rocprim17ROCPRIM_400000_NS6detail17trampoline_kernelINS0_14default_configENS1_35radix_sort_onesweep_config_selectorIiiEEZZNS1_29radix_sort_onesweep_iterationIS3_Lb1EN6thrust23THRUST_200600_302600_NS6detail15normal_iteratorINS8_10device_ptrIiEEEESD_SD_SD_jNS0_19identity_decomposerENS1_16block_id_wrapperIjLb0EEEEE10hipError_tT1_PNSt15iterator_traitsISI_E10value_typeET2_T3_PNSJ_ISO_E10value_typeET4_T5_PST_SU_PNS1_23onesweep_lookback_stateEbbT6_jjT7_P12ihipStream_tbENKUlT_T0_SI_SN_E_clISD_SD_SD_SD_EEDaS11_S12_SI_SN_EUlS11_E_NS1_11comp_targetILNS1_3genE2ELNS1_11target_archE906ELNS1_3gpuE6ELNS1_3repE0EEENS1_47radix_sort_onesweep_sort_config_static_selectorELNS0_4arch9wavefront6targetE1EEEvSI_.has_indirect_call, 0
	.section	.AMDGPU.csdata,"",@progbits
; Kernel info:
; codeLenInByte = 0
; TotalNumSgprs: 6
; NumVgprs: 0
; NumAgprs: 0
; TotalNumVgprs: 0
; ScratchSize: 0
; MemoryBound: 0
; FloatMode: 240
; IeeeMode: 1
; LDSByteSize: 0 bytes/workgroup (compile time only)
; SGPRBlocks: 0
; VGPRBlocks: 0
; NumSGPRsForWavesPerEU: 6
; NumVGPRsForWavesPerEU: 1
; AccumOffset: 4
; Occupancy: 8
; WaveLimiterHint : 0
; COMPUTE_PGM_RSRC2:SCRATCH_EN: 0
; COMPUTE_PGM_RSRC2:USER_SGPR: 2
; COMPUTE_PGM_RSRC2:TRAP_HANDLER: 0
; COMPUTE_PGM_RSRC2:TGID_X_EN: 1
; COMPUTE_PGM_RSRC2:TGID_Y_EN: 0
; COMPUTE_PGM_RSRC2:TGID_Z_EN: 0
; COMPUTE_PGM_RSRC2:TIDIG_COMP_CNT: 0
; COMPUTE_PGM_RSRC3_GFX90A:ACCUM_OFFSET: 0
; COMPUTE_PGM_RSRC3_GFX90A:TG_SPLIT: 0
	.section	.text._ZN7rocprim17ROCPRIM_400000_NS6detail17trampoline_kernelINS0_14default_configENS1_35radix_sort_onesweep_config_selectorIiiEEZZNS1_29radix_sort_onesweep_iterationIS3_Lb1EN6thrust23THRUST_200600_302600_NS6detail15normal_iteratorINS8_10device_ptrIiEEEESD_SD_SD_jNS0_19identity_decomposerENS1_16block_id_wrapperIjLb0EEEEE10hipError_tT1_PNSt15iterator_traitsISI_E10value_typeET2_T3_PNSJ_ISO_E10value_typeET4_T5_PST_SU_PNS1_23onesweep_lookback_stateEbbT6_jjT7_P12ihipStream_tbENKUlT_T0_SI_SN_E_clISD_SD_SD_SD_EEDaS11_S12_SI_SN_EUlS11_E_NS1_11comp_targetILNS1_3genE4ELNS1_11target_archE910ELNS1_3gpuE8ELNS1_3repE0EEENS1_47radix_sort_onesweep_sort_config_static_selectorELNS0_4arch9wavefront6targetE1EEEvSI_,"axG",@progbits,_ZN7rocprim17ROCPRIM_400000_NS6detail17trampoline_kernelINS0_14default_configENS1_35radix_sort_onesweep_config_selectorIiiEEZZNS1_29radix_sort_onesweep_iterationIS3_Lb1EN6thrust23THRUST_200600_302600_NS6detail15normal_iteratorINS8_10device_ptrIiEEEESD_SD_SD_jNS0_19identity_decomposerENS1_16block_id_wrapperIjLb0EEEEE10hipError_tT1_PNSt15iterator_traitsISI_E10value_typeET2_T3_PNSJ_ISO_E10value_typeET4_T5_PST_SU_PNS1_23onesweep_lookback_stateEbbT6_jjT7_P12ihipStream_tbENKUlT_T0_SI_SN_E_clISD_SD_SD_SD_EEDaS11_S12_SI_SN_EUlS11_E_NS1_11comp_targetILNS1_3genE4ELNS1_11target_archE910ELNS1_3gpuE8ELNS1_3repE0EEENS1_47radix_sort_onesweep_sort_config_static_selectorELNS0_4arch9wavefront6targetE1EEEvSI_,comdat
	.protected	_ZN7rocprim17ROCPRIM_400000_NS6detail17trampoline_kernelINS0_14default_configENS1_35radix_sort_onesweep_config_selectorIiiEEZZNS1_29radix_sort_onesweep_iterationIS3_Lb1EN6thrust23THRUST_200600_302600_NS6detail15normal_iteratorINS8_10device_ptrIiEEEESD_SD_SD_jNS0_19identity_decomposerENS1_16block_id_wrapperIjLb0EEEEE10hipError_tT1_PNSt15iterator_traitsISI_E10value_typeET2_T3_PNSJ_ISO_E10value_typeET4_T5_PST_SU_PNS1_23onesweep_lookback_stateEbbT6_jjT7_P12ihipStream_tbENKUlT_T0_SI_SN_E_clISD_SD_SD_SD_EEDaS11_S12_SI_SN_EUlS11_E_NS1_11comp_targetILNS1_3genE4ELNS1_11target_archE910ELNS1_3gpuE8ELNS1_3repE0EEENS1_47radix_sort_onesweep_sort_config_static_selectorELNS0_4arch9wavefront6targetE1EEEvSI_ ; -- Begin function _ZN7rocprim17ROCPRIM_400000_NS6detail17trampoline_kernelINS0_14default_configENS1_35radix_sort_onesweep_config_selectorIiiEEZZNS1_29radix_sort_onesweep_iterationIS3_Lb1EN6thrust23THRUST_200600_302600_NS6detail15normal_iteratorINS8_10device_ptrIiEEEESD_SD_SD_jNS0_19identity_decomposerENS1_16block_id_wrapperIjLb0EEEEE10hipError_tT1_PNSt15iterator_traitsISI_E10value_typeET2_T3_PNSJ_ISO_E10value_typeET4_T5_PST_SU_PNS1_23onesweep_lookback_stateEbbT6_jjT7_P12ihipStream_tbENKUlT_T0_SI_SN_E_clISD_SD_SD_SD_EEDaS11_S12_SI_SN_EUlS11_E_NS1_11comp_targetILNS1_3genE4ELNS1_11target_archE910ELNS1_3gpuE8ELNS1_3repE0EEENS1_47radix_sort_onesweep_sort_config_static_selectorELNS0_4arch9wavefront6targetE1EEEvSI_
	.globl	_ZN7rocprim17ROCPRIM_400000_NS6detail17trampoline_kernelINS0_14default_configENS1_35radix_sort_onesweep_config_selectorIiiEEZZNS1_29radix_sort_onesweep_iterationIS3_Lb1EN6thrust23THRUST_200600_302600_NS6detail15normal_iteratorINS8_10device_ptrIiEEEESD_SD_SD_jNS0_19identity_decomposerENS1_16block_id_wrapperIjLb0EEEEE10hipError_tT1_PNSt15iterator_traitsISI_E10value_typeET2_T3_PNSJ_ISO_E10value_typeET4_T5_PST_SU_PNS1_23onesweep_lookback_stateEbbT6_jjT7_P12ihipStream_tbENKUlT_T0_SI_SN_E_clISD_SD_SD_SD_EEDaS11_S12_SI_SN_EUlS11_E_NS1_11comp_targetILNS1_3genE4ELNS1_11target_archE910ELNS1_3gpuE8ELNS1_3repE0EEENS1_47radix_sort_onesweep_sort_config_static_selectorELNS0_4arch9wavefront6targetE1EEEvSI_
	.p2align	8
	.type	_ZN7rocprim17ROCPRIM_400000_NS6detail17trampoline_kernelINS0_14default_configENS1_35radix_sort_onesweep_config_selectorIiiEEZZNS1_29radix_sort_onesweep_iterationIS3_Lb1EN6thrust23THRUST_200600_302600_NS6detail15normal_iteratorINS8_10device_ptrIiEEEESD_SD_SD_jNS0_19identity_decomposerENS1_16block_id_wrapperIjLb0EEEEE10hipError_tT1_PNSt15iterator_traitsISI_E10value_typeET2_T3_PNSJ_ISO_E10value_typeET4_T5_PST_SU_PNS1_23onesweep_lookback_stateEbbT6_jjT7_P12ihipStream_tbENKUlT_T0_SI_SN_E_clISD_SD_SD_SD_EEDaS11_S12_SI_SN_EUlS11_E_NS1_11comp_targetILNS1_3genE4ELNS1_11target_archE910ELNS1_3gpuE8ELNS1_3repE0EEENS1_47radix_sort_onesweep_sort_config_static_selectorELNS0_4arch9wavefront6targetE1EEEvSI_,@function
_ZN7rocprim17ROCPRIM_400000_NS6detail17trampoline_kernelINS0_14default_configENS1_35radix_sort_onesweep_config_selectorIiiEEZZNS1_29radix_sort_onesweep_iterationIS3_Lb1EN6thrust23THRUST_200600_302600_NS6detail15normal_iteratorINS8_10device_ptrIiEEEESD_SD_SD_jNS0_19identity_decomposerENS1_16block_id_wrapperIjLb0EEEEE10hipError_tT1_PNSt15iterator_traitsISI_E10value_typeET2_T3_PNSJ_ISO_E10value_typeET4_T5_PST_SU_PNS1_23onesweep_lookback_stateEbbT6_jjT7_P12ihipStream_tbENKUlT_T0_SI_SN_E_clISD_SD_SD_SD_EEDaS11_S12_SI_SN_EUlS11_E_NS1_11comp_targetILNS1_3genE4ELNS1_11target_archE910ELNS1_3gpuE8ELNS1_3repE0EEENS1_47radix_sort_onesweep_sort_config_static_selectorELNS0_4arch9wavefront6targetE1EEEvSI_: ; @_ZN7rocprim17ROCPRIM_400000_NS6detail17trampoline_kernelINS0_14default_configENS1_35radix_sort_onesweep_config_selectorIiiEEZZNS1_29radix_sort_onesweep_iterationIS3_Lb1EN6thrust23THRUST_200600_302600_NS6detail15normal_iteratorINS8_10device_ptrIiEEEESD_SD_SD_jNS0_19identity_decomposerENS1_16block_id_wrapperIjLb0EEEEE10hipError_tT1_PNSt15iterator_traitsISI_E10value_typeET2_T3_PNSJ_ISO_E10value_typeET4_T5_PST_SU_PNS1_23onesweep_lookback_stateEbbT6_jjT7_P12ihipStream_tbENKUlT_T0_SI_SN_E_clISD_SD_SD_SD_EEDaS11_S12_SI_SN_EUlS11_E_NS1_11comp_targetILNS1_3genE4ELNS1_11target_archE910ELNS1_3gpuE8ELNS1_3repE0EEENS1_47radix_sort_onesweep_sort_config_static_selectorELNS0_4arch9wavefront6targetE1EEEvSI_
; %bb.0:
	.section	.rodata,"a",@progbits
	.p2align	6, 0x0
	.amdhsa_kernel _ZN7rocprim17ROCPRIM_400000_NS6detail17trampoline_kernelINS0_14default_configENS1_35radix_sort_onesweep_config_selectorIiiEEZZNS1_29radix_sort_onesweep_iterationIS3_Lb1EN6thrust23THRUST_200600_302600_NS6detail15normal_iteratorINS8_10device_ptrIiEEEESD_SD_SD_jNS0_19identity_decomposerENS1_16block_id_wrapperIjLb0EEEEE10hipError_tT1_PNSt15iterator_traitsISI_E10value_typeET2_T3_PNSJ_ISO_E10value_typeET4_T5_PST_SU_PNS1_23onesweep_lookback_stateEbbT6_jjT7_P12ihipStream_tbENKUlT_T0_SI_SN_E_clISD_SD_SD_SD_EEDaS11_S12_SI_SN_EUlS11_E_NS1_11comp_targetILNS1_3genE4ELNS1_11target_archE910ELNS1_3gpuE8ELNS1_3repE0EEENS1_47radix_sort_onesweep_sort_config_static_selectorELNS0_4arch9wavefront6targetE1EEEvSI_
		.amdhsa_group_segment_fixed_size 0
		.amdhsa_private_segment_fixed_size 0
		.amdhsa_kernarg_size 88
		.amdhsa_user_sgpr_count 2
		.amdhsa_user_sgpr_dispatch_ptr 0
		.amdhsa_user_sgpr_queue_ptr 0
		.amdhsa_user_sgpr_kernarg_segment_ptr 1
		.amdhsa_user_sgpr_dispatch_id 0
		.amdhsa_user_sgpr_kernarg_preload_length 0
		.amdhsa_user_sgpr_kernarg_preload_offset 0
		.amdhsa_user_sgpr_private_segment_size 0
		.amdhsa_uses_dynamic_stack 0
		.amdhsa_enable_private_segment 0
		.amdhsa_system_sgpr_workgroup_id_x 1
		.amdhsa_system_sgpr_workgroup_id_y 0
		.amdhsa_system_sgpr_workgroup_id_z 0
		.amdhsa_system_sgpr_workgroup_info 0
		.amdhsa_system_vgpr_workitem_id 0
		.amdhsa_next_free_vgpr 1
		.amdhsa_next_free_sgpr 0
		.amdhsa_accum_offset 4
		.amdhsa_reserve_vcc 0
		.amdhsa_float_round_mode_32 0
		.amdhsa_float_round_mode_16_64 0
		.amdhsa_float_denorm_mode_32 3
		.amdhsa_float_denorm_mode_16_64 3
		.amdhsa_dx10_clamp 1
		.amdhsa_ieee_mode 1
		.amdhsa_fp16_overflow 0
		.amdhsa_tg_split 0
		.amdhsa_exception_fp_ieee_invalid_op 0
		.amdhsa_exception_fp_denorm_src 0
		.amdhsa_exception_fp_ieee_div_zero 0
		.amdhsa_exception_fp_ieee_overflow 0
		.amdhsa_exception_fp_ieee_underflow 0
		.amdhsa_exception_fp_ieee_inexact 0
		.amdhsa_exception_int_div_zero 0
	.end_amdhsa_kernel
	.section	.text._ZN7rocprim17ROCPRIM_400000_NS6detail17trampoline_kernelINS0_14default_configENS1_35radix_sort_onesweep_config_selectorIiiEEZZNS1_29radix_sort_onesweep_iterationIS3_Lb1EN6thrust23THRUST_200600_302600_NS6detail15normal_iteratorINS8_10device_ptrIiEEEESD_SD_SD_jNS0_19identity_decomposerENS1_16block_id_wrapperIjLb0EEEEE10hipError_tT1_PNSt15iterator_traitsISI_E10value_typeET2_T3_PNSJ_ISO_E10value_typeET4_T5_PST_SU_PNS1_23onesweep_lookback_stateEbbT6_jjT7_P12ihipStream_tbENKUlT_T0_SI_SN_E_clISD_SD_SD_SD_EEDaS11_S12_SI_SN_EUlS11_E_NS1_11comp_targetILNS1_3genE4ELNS1_11target_archE910ELNS1_3gpuE8ELNS1_3repE0EEENS1_47radix_sort_onesweep_sort_config_static_selectorELNS0_4arch9wavefront6targetE1EEEvSI_,"axG",@progbits,_ZN7rocprim17ROCPRIM_400000_NS6detail17trampoline_kernelINS0_14default_configENS1_35radix_sort_onesweep_config_selectorIiiEEZZNS1_29radix_sort_onesweep_iterationIS3_Lb1EN6thrust23THRUST_200600_302600_NS6detail15normal_iteratorINS8_10device_ptrIiEEEESD_SD_SD_jNS0_19identity_decomposerENS1_16block_id_wrapperIjLb0EEEEE10hipError_tT1_PNSt15iterator_traitsISI_E10value_typeET2_T3_PNSJ_ISO_E10value_typeET4_T5_PST_SU_PNS1_23onesweep_lookback_stateEbbT6_jjT7_P12ihipStream_tbENKUlT_T0_SI_SN_E_clISD_SD_SD_SD_EEDaS11_S12_SI_SN_EUlS11_E_NS1_11comp_targetILNS1_3genE4ELNS1_11target_archE910ELNS1_3gpuE8ELNS1_3repE0EEENS1_47radix_sort_onesweep_sort_config_static_selectorELNS0_4arch9wavefront6targetE1EEEvSI_,comdat
.Lfunc_end1030:
	.size	_ZN7rocprim17ROCPRIM_400000_NS6detail17trampoline_kernelINS0_14default_configENS1_35radix_sort_onesweep_config_selectorIiiEEZZNS1_29radix_sort_onesweep_iterationIS3_Lb1EN6thrust23THRUST_200600_302600_NS6detail15normal_iteratorINS8_10device_ptrIiEEEESD_SD_SD_jNS0_19identity_decomposerENS1_16block_id_wrapperIjLb0EEEEE10hipError_tT1_PNSt15iterator_traitsISI_E10value_typeET2_T3_PNSJ_ISO_E10value_typeET4_T5_PST_SU_PNS1_23onesweep_lookback_stateEbbT6_jjT7_P12ihipStream_tbENKUlT_T0_SI_SN_E_clISD_SD_SD_SD_EEDaS11_S12_SI_SN_EUlS11_E_NS1_11comp_targetILNS1_3genE4ELNS1_11target_archE910ELNS1_3gpuE8ELNS1_3repE0EEENS1_47radix_sort_onesweep_sort_config_static_selectorELNS0_4arch9wavefront6targetE1EEEvSI_, .Lfunc_end1030-_ZN7rocprim17ROCPRIM_400000_NS6detail17trampoline_kernelINS0_14default_configENS1_35radix_sort_onesweep_config_selectorIiiEEZZNS1_29radix_sort_onesweep_iterationIS3_Lb1EN6thrust23THRUST_200600_302600_NS6detail15normal_iteratorINS8_10device_ptrIiEEEESD_SD_SD_jNS0_19identity_decomposerENS1_16block_id_wrapperIjLb0EEEEE10hipError_tT1_PNSt15iterator_traitsISI_E10value_typeET2_T3_PNSJ_ISO_E10value_typeET4_T5_PST_SU_PNS1_23onesweep_lookback_stateEbbT6_jjT7_P12ihipStream_tbENKUlT_T0_SI_SN_E_clISD_SD_SD_SD_EEDaS11_S12_SI_SN_EUlS11_E_NS1_11comp_targetILNS1_3genE4ELNS1_11target_archE910ELNS1_3gpuE8ELNS1_3repE0EEENS1_47radix_sort_onesweep_sort_config_static_selectorELNS0_4arch9wavefront6targetE1EEEvSI_
                                        ; -- End function
	.set _ZN7rocprim17ROCPRIM_400000_NS6detail17trampoline_kernelINS0_14default_configENS1_35radix_sort_onesweep_config_selectorIiiEEZZNS1_29radix_sort_onesweep_iterationIS3_Lb1EN6thrust23THRUST_200600_302600_NS6detail15normal_iteratorINS8_10device_ptrIiEEEESD_SD_SD_jNS0_19identity_decomposerENS1_16block_id_wrapperIjLb0EEEEE10hipError_tT1_PNSt15iterator_traitsISI_E10value_typeET2_T3_PNSJ_ISO_E10value_typeET4_T5_PST_SU_PNS1_23onesweep_lookback_stateEbbT6_jjT7_P12ihipStream_tbENKUlT_T0_SI_SN_E_clISD_SD_SD_SD_EEDaS11_S12_SI_SN_EUlS11_E_NS1_11comp_targetILNS1_3genE4ELNS1_11target_archE910ELNS1_3gpuE8ELNS1_3repE0EEENS1_47radix_sort_onesweep_sort_config_static_selectorELNS0_4arch9wavefront6targetE1EEEvSI_.num_vgpr, 0
	.set _ZN7rocprim17ROCPRIM_400000_NS6detail17trampoline_kernelINS0_14default_configENS1_35radix_sort_onesweep_config_selectorIiiEEZZNS1_29radix_sort_onesweep_iterationIS3_Lb1EN6thrust23THRUST_200600_302600_NS6detail15normal_iteratorINS8_10device_ptrIiEEEESD_SD_SD_jNS0_19identity_decomposerENS1_16block_id_wrapperIjLb0EEEEE10hipError_tT1_PNSt15iterator_traitsISI_E10value_typeET2_T3_PNSJ_ISO_E10value_typeET4_T5_PST_SU_PNS1_23onesweep_lookback_stateEbbT6_jjT7_P12ihipStream_tbENKUlT_T0_SI_SN_E_clISD_SD_SD_SD_EEDaS11_S12_SI_SN_EUlS11_E_NS1_11comp_targetILNS1_3genE4ELNS1_11target_archE910ELNS1_3gpuE8ELNS1_3repE0EEENS1_47radix_sort_onesweep_sort_config_static_selectorELNS0_4arch9wavefront6targetE1EEEvSI_.num_agpr, 0
	.set _ZN7rocprim17ROCPRIM_400000_NS6detail17trampoline_kernelINS0_14default_configENS1_35radix_sort_onesweep_config_selectorIiiEEZZNS1_29radix_sort_onesweep_iterationIS3_Lb1EN6thrust23THRUST_200600_302600_NS6detail15normal_iteratorINS8_10device_ptrIiEEEESD_SD_SD_jNS0_19identity_decomposerENS1_16block_id_wrapperIjLb0EEEEE10hipError_tT1_PNSt15iterator_traitsISI_E10value_typeET2_T3_PNSJ_ISO_E10value_typeET4_T5_PST_SU_PNS1_23onesweep_lookback_stateEbbT6_jjT7_P12ihipStream_tbENKUlT_T0_SI_SN_E_clISD_SD_SD_SD_EEDaS11_S12_SI_SN_EUlS11_E_NS1_11comp_targetILNS1_3genE4ELNS1_11target_archE910ELNS1_3gpuE8ELNS1_3repE0EEENS1_47radix_sort_onesweep_sort_config_static_selectorELNS0_4arch9wavefront6targetE1EEEvSI_.numbered_sgpr, 0
	.set _ZN7rocprim17ROCPRIM_400000_NS6detail17trampoline_kernelINS0_14default_configENS1_35radix_sort_onesweep_config_selectorIiiEEZZNS1_29radix_sort_onesweep_iterationIS3_Lb1EN6thrust23THRUST_200600_302600_NS6detail15normal_iteratorINS8_10device_ptrIiEEEESD_SD_SD_jNS0_19identity_decomposerENS1_16block_id_wrapperIjLb0EEEEE10hipError_tT1_PNSt15iterator_traitsISI_E10value_typeET2_T3_PNSJ_ISO_E10value_typeET4_T5_PST_SU_PNS1_23onesweep_lookback_stateEbbT6_jjT7_P12ihipStream_tbENKUlT_T0_SI_SN_E_clISD_SD_SD_SD_EEDaS11_S12_SI_SN_EUlS11_E_NS1_11comp_targetILNS1_3genE4ELNS1_11target_archE910ELNS1_3gpuE8ELNS1_3repE0EEENS1_47radix_sort_onesweep_sort_config_static_selectorELNS0_4arch9wavefront6targetE1EEEvSI_.num_named_barrier, 0
	.set _ZN7rocprim17ROCPRIM_400000_NS6detail17trampoline_kernelINS0_14default_configENS1_35radix_sort_onesweep_config_selectorIiiEEZZNS1_29radix_sort_onesweep_iterationIS3_Lb1EN6thrust23THRUST_200600_302600_NS6detail15normal_iteratorINS8_10device_ptrIiEEEESD_SD_SD_jNS0_19identity_decomposerENS1_16block_id_wrapperIjLb0EEEEE10hipError_tT1_PNSt15iterator_traitsISI_E10value_typeET2_T3_PNSJ_ISO_E10value_typeET4_T5_PST_SU_PNS1_23onesweep_lookback_stateEbbT6_jjT7_P12ihipStream_tbENKUlT_T0_SI_SN_E_clISD_SD_SD_SD_EEDaS11_S12_SI_SN_EUlS11_E_NS1_11comp_targetILNS1_3genE4ELNS1_11target_archE910ELNS1_3gpuE8ELNS1_3repE0EEENS1_47radix_sort_onesweep_sort_config_static_selectorELNS0_4arch9wavefront6targetE1EEEvSI_.private_seg_size, 0
	.set _ZN7rocprim17ROCPRIM_400000_NS6detail17trampoline_kernelINS0_14default_configENS1_35radix_sort_onesweep_config_selectorIiiEEZZNS1_29radix_sort_onesweep_iterationIS3_Lb1EN6thrust23THRUST_200600_302600_NS6detail15normal_iteratorINS8_10device_ptrIiEEEESD_SD_SD_jNS0_19identity_decomposerENS1_16block_id_wrapperIjLb0EEEEE10hipError_tT1_PNSt15iterator_traitsISI_E10value_typeET2_T3_PNSJ_ISO_E10value_typeET4_T5_PST_SU_PNS1_23onesweep_lookback_stateEbbT6_jjT7_P12ihipStream_tbENKUlT_T0_SI_SN_E_clISD_SD_SD_SD_EEDaS11_S12_SI_SN_EUlS11_E_NS1_11comp_targetILNS1_3genE4ELNS1_11target_archE910ELNS1_3gpuE8ELNS1_3repE0EEENS1_47radix_sort_onesweep_sort_config_static_selectorELNS0_4arch9wavefront6targetE1EEEvSI_.uses_vcc, 0
	.set _ZN7rocprim17ROCPRIM_400000_NS6detail17trampoline_kernelINS0_14default_configENS1_35radix_sort_onesweep_config_selectorIiiEEZZNS1_29radix_sort_onesweep_iterationIS3_Lb1EN6thrust23THRUST_200600_302600_NS6detail15normal_iteratorINS8_10device_ptrIiEEEESD_SD_SD_jNS0_19identity_decomposerENS1_16block_id_wrapperIjLb0EEEEE10hipError_tT1_PNSt15iterator_traitsISI_E10value_typeET2_T3_PNSJ_ISO_E10value_typeET4_T5_PST_SU_PNS1_23onesweep_lookback_stateEbbT6_jjT7_P12ihipStream_tbENKUlT_T0_SI_SN_E_clISD_SD_SD_SD_EEDaS11_S12_SI_SN_EUlS11_E_NS1_11comp_targetILNS1_3genE4ELNS1_11target_archE910ELNS1_3gpuE8ELNS1_3repE0EEENS1_47radix_sort_onesweep_sort_config_static_selectorELNS0_4arch9wavefront6targetE1EEEvSI_.uses_flat_scratch, 0
	.set _ZN7rocprim17ROCPRIM_400000_NS6detail17trampoline_kernelINS0_14default_configENS1_35radix_sort_onesweep_config_selectorIiiEEZZNS1_29radix_sort_onesweep_iterationIS3_Lb1EN6thrust23THRUST_200600_302600_NS6detail15normal_iteratorINS8_10device_ptrIiEEEESD_SD_SD_jNS0_19identity_decomposerENS1_16block_id_wrapperIjLb0EEEEE10hipError_tT1_PNSt15iterator_traitsISI_E10value_typeET2_T3_PNSJ_ISO_E10value_typeET4_T5_PST_SU_PNS1_23onesweep_lookback_stateEbbT6_jjT7_P12ihipStream_tbENKUlT_T0_SI_SN_E_clISD_SD_SD_SD_EEDaS11_S12_SI_SN_EUlS11_E_NS1_11comp_targetILNS1_3genE4ELNS1_11target_archE910ELNS1_3gpuE8ELNS1_3repE0EEENS1_47radix_sort_onesweep_sort_config_static_selectorELNS0_4arch9wavefront6targetE1EEEvSI_.has_dyn_sized_stack, 0
	.set _ZN7rocprim17ROCPRIM_400000_NS6detail17trampoline_kernelINS0_14default_configENS1_35radix_sort_onesweep_config_selectorIiiEEZZNS1_29radix_sort_onesweep_iterationIS3_Lb1EN6thrust23THRUST_200600_302600_NS6detail15normal_iteratorINS8_10device_ptrIiEEEESD_SD_SD_jNS0_19identity_decomposerENS1_16block_id_wrapperIjLb0EEEEE10hipError_tT1_PNSt15iterator_traitsISI_E10value_typeET2_T3_PNSJ_ISO_E10value_typeET4_T5_PST_SU_PNS1_23onesweep_lookback_stateEbbT6_jjT7_P12ihipStream_tbENKUlT_T0_SI_SN_E_clISD_SD_SD_SD_EEDaS11_S12_SI_SN_EUlS11_E_NS1_11comp_targetILNS1_3genE4ELNS1_11target_archE910ELNS1_3gpuE8ELNS1_3repE0EEENS1_47radix_sort_onesweep_sort_config_static_selectorELNS0_4arch9wavefront6targetE1EEEvSI_.has_recursion, 0
	.set _ZN7rocprim17ROCPRIM_400000_NS6detail17trampoline_kernelINS0_14default_configENS1_35radix_sort_onesweep_config_selectorIiiEEZZNS1_29radix_sort_onesweep_iterationIS3_Lb1EN6thrust23THRUST_200600_302600_NS6detail15normal_iteratorINS8_10device_ptrIiEEEESD_SD_SD_jNS0_19identity_decomposerENS1_16block_id_wrapperIjLb0EEEEE10hipError_tT1_PNSt15iterator_traitsISI_E10value_typeET2_T3_PNSJ_ISO_E10value_typeET4_T5_PST_SU_PNS1_23onesweep_lookback_stateEbbT6_jjT7_P12ihipStream_tbENKUlT_T0_SI_SN_E_clISD_SD_SD_SD_EEDaS11_S12_SI_SN_EUlS11_E_NS1_11comp_targetILNS1_3genE4ELNS1_11target_archE910ELNS1_3gpuE8ELNS1_3repE0EEENS1_47radix_sort_onesweep_sort_config_static_selectorELNS0_4arch9wavefront6targetE1EEEvSI_.has_indirect_call, 0
	.section	.AMDGPU.csdata,"",@progbits
; Kernel info:
; codeLenInByte = 0
; TotalNumSgprs: 6
; NumVgprs: 0
; NumAgprs: 0
; TotalNumVgprs: 0
; ScratchSize: 0
; MemoryBound: 0
; FloatMode: 240
; IeeeMode: 1
; LDSByteSize: 0 bytes/workgroup (compile time only)
; SGPRBlocks: 0
; VGPRBlocks: 0
; NumSGPRsForWavesPerEU: 6
; NumVGPRsForWavesPerEU: 1
; AccumOffset: 4
; Occupancy: 8
; WaveLimiterHint : 0
; COMPUTE_PGM_RSRC2:SCRATCH_EN: 0
; COMPUTE_PGM_RSRC2:USER_SGPR: 2
; COMPUTE_PGM_RSRC2:TRAP_HANDLER: 0
; COMPUTE_PGM_RSRC2:TGID_X_EN: 1
; COMPUTE_PGM_RSRC2:TGID_Y_EN: 0
; COMPUTE_PGM_RSRC2:TGID_Z_EN: 0
; COMPUTE_PGM_RSRC2:TIDIG_COMP_CNT: 0
; COMPUTE_PGM_RSRC3_GFX90A:ACCUM_OFFSET: 0
; COMPUTE_PGM_RSRC3_GFX90A:TG_SPLIT: 0
	.section	.text._ZN7rocprim17ROCPRIM_400000_NS6detail17trampoline_kernelINS0_14default_configENS1_35radix_sort_onesweep_config_selectorIiiEEZZNS1_29radix_sort_onesweep_iterationIS3_Lb1EN6thrust23THRUST_200600_302600_NS6detail15normal_iteratorINS8_10device_ptrIiEEEESD_SD_SD_jNS0_19identity_decomposerENS1_16block_id_wrapperIjLb0EEEEE10hipError_tT1_PNSt15iterator_traitsISI_E10value_typeET2_T3_PNSJ_ISO_E10value_typeET4_T5_PST_SU_PNS1_23onesweep_lookback_stateEbbT6_jjT7_P12ihipStream_tbENKUlT_T0_SI_SN_E_clISD_SD_SD_SD_EEDaS11_S12_SI_SN_EUlS11_E_NS1_11comp_targetILNS1_3genE3ELNS1_11target_archE908ELNS1_3gpuE7ELNS1_3repE0EEENS1_47radix_sort_onesweep_sort_config_static_selectorELNS0_4arch9wavefront6targetE1EEEvSI_,"axG",@progbits,_ZN7rocprim17ROCPRIM_400000_NS6detail17trampoline_kernelINS0_14default_configENS1_35radix_sort_onesweep_config_selectorIiiEEZZNS1_29radix_sort_onesweep_iterationIS3_Lb1EN6thrust23THRUST_200600_302600_NS6detail15normal_iteratorINS8_10device_ptrIiEEEESD_SD_SD_jNS0_19identity_decomposerENS1_16block_id_wrapperIjLb0EEEEE10hipError_tT1_PNSt15iterator_traitsISI_E10value_typeET2_T3_PNSJ_ISO_E10value_typeET4_T5_PST_SU_PNS1_23onesweep_lookback_stateEbbT6_jjT7_P12ihipStream_tbENKUlT_T0_SI_SN_E_clISD_SD_SD_SD_EEDaS11_S12_SI_SN_EUlS11_E_NS1_11comp_targetILNS1_3genE3ELNS1_11target_archE908ELNS1_3gpuE7ELNS1_3repE0EEENS1_47radix_sort_onesweep_sort_config_static_selectorELNS0_4arch9wavefront6targetE1EEEvSI_,comdat
	.protected	_ZN7rocprim17ROCPRIM_400000_NS6detail17trampoline_kernelINS0_14default_configENS1_35radix_sort_onesweep_config_selectorIiiEEZZNS1_29radix_sort_onesweep_iterationIS3_Lb1EN6thrust23THRUST_200600_302600_NS6detail15normal_iteratorINS8_10device_ptrIiEEEESD_SD_SD_jNS0_19identity_decomposerENS1_16block_id_wrapperIjLb0EEEEE10hipError_tT1_PNSt15iterator_traitsISI_E10value_typeET2_T3_PNSJ_ISO_E10value_typeET4_T5_PST_SU_PNS1_23onesweep_lookback_stateEbbT6_jjT7_P12ihipStream_tbENKUlT_T0_SI_SN_E_clISD_SD_SD_SD_EEDaS11_S12_SI_SN_EUlS11_E_NS1_11comp_targetILNS1_3genE3ELNS1_11target_archE908ELNS1_3gpuE7ELNS1_3repE0EEENS1_47radix_sort_onesweep_sort_config_static_selectorELNS0_4arch9wavefront6targetE1EEEvSI_ ; -- Begin function _ZN7rocprim17ROCPRIM_400000_NS6detail17trampoline_kernelINS0_14default_configENS1_35radix_sort_onesweep_config_selectorIiiEEZZNS1_29radix_sort_onesweep_iterationIS3_Lb1EN6thrust23THRUST_200600_302600_NS6detail15normal_iteratorINS8_10device_ptrIiEEEESD_SD_SD_jNS0_19identity_decomposerENS1_16block_id_wrapperIjLb0EEEEE10hipError_tT1_PNSt15iterator_traitsISI_E10value_typeET2_T3_PNSJ_ISO_E10value_typeET4_T5_PST_SU_PNS1_23onesweep_lookback_stateEbbT6_jjT7_P12ihipStream_tbENKUlT_T0_SI_SN_E_clISD_SD_SD_SD_EEDaS11_S12_SI_SN_EUlS11_E_NS1_11comp_targetILNS1_3genE3ELNS1_11target_archE908ELNS1_3gpuE7ELNS1_3repE0EEENS1_47radix_sort_onesweep_sort_config_static_selectorELNS0_4arch9wavefront6targetE1EEEvSI_
	.globl	_ZN7rocprim17ROCPRIM_400000_NS6detail17trampoline_kernelINS0_14default_configENS1_35radix_sort_onesweep_config_selectorIiiEEZZNS1_29radix_sort_onesweep_iterationIS3_Lb1EN6thrust23THRUST_200600_302600_NS6detail15normal_iteratorINS8_10device_ptrIiEEEESD_SD_SD_jNS0_19identity_decomposerENS1_16block_id_wrapperIjLb0EEEEE10hipError_tT1_PNSt15iterator_traitsISI_E10value_typeET2_T3_PNSJ_ISO_E10value_typeET4_T5_PST_SU_PNS1_23onesweep_lookback_stateEbbT6_jjT7_P12ihipStream_tbENKUlT_T0_SI_SN_E_clISD_SD_SD_SD_EEDaS11_S12_SI_SN_EUlS11_E_NS1_11comp_targetILNS1_3genE3ELNS1_11target_archE908ELNS1_3gpuE7ELNS1_3repE0EEENS1_47radix_sort_onesweep_sort_config_static_selectorELNS0_4arch9wavefront6targetE1EEEvSI_
	.p2align	8
	.type	_ZN7rocprim17ROCPRIM_400000_NS6detail17trampoline_kernelINS0_14default_configENS1_35radix_sort_onesweep_config_selectorIiiEEZZNS1_29radix_sort_onesweep_iterationIS3_Lb1EN6thrust23THRUST_200600_302600_NS6detail15normal_iteratorINS8_10device_ptrIiEEEESD_SD_SD_jNS0_19identity_decomposerENS1_16block_id_wrapperIjLb0EEEEE10hipError_tT1_PNSt15iterator_traitsISI_E10value_typeET2_T3_PNSJ_ISO_E10value_typeET4_T5_PST_SU_PNS1_23onesweep_lookback_stateEbbT6_jjT7_P12ihipStream_tbENKUlT_T0_SI_SN_E_clISD_SD_SD_SD_EEDaS11_S12_SI_SN_EUlS11_E_NS1_11comp_targetILNS1_3genE3ELNS1_11target_archE908ELNS1_3gpuE7ELNS1_3repE0EEENS1_47radix_sort_onesweep_sort_config_static_selectorELNS0_4arch9wavefront6targetE1EEEvSI_,@function
_ZN7rocprim17ROCPRIM_400000_NS6detail17trampoline_kernelINS0_14default_configENS1_35radix_sort_onesweep_config_selectorIiiEEZZNS1_29radix_sort_onesweep_iterationIS3_Lb1EN6thrust23THRUST_200600_302600_NS6detail15normal_iteratorINS8_10device_ptrIiEEEESD_SD_SD_jNS0_19identity_decomposerENS1_16block_id_wrapperIjLb0EEEEE10hipError_tT1_PNSt15iterator_traitsISI_E10value_typeET2_T3_PNSJ_ISO_E10value_typeET4_T5_PST_SU_PNS1_23onesweep_lookback_stateEbbT6_jjT7_P12ihipStream_tbENKUlT_T0_SI_SN_E_clISD_SD_SD_SD_EEDaS11_S12_SI_SN_EUlS11_E_NS1_11comp_targetILNS1_3genE3ELNS1_11target_archE908ELNS1_3gpuE7ELNS1_3repE0EEENS1_47radix_sort_onesweep_sort_config_static_selectorELNS0_4arch9wavefront6targetE1EEEvSI_: ; @_ZN7rocprim17ROCPRIM_400000_NS6detail17trampoline_kernelINS0_14default_configENS1_35radix_sort_onesweep_config_selectorIiiEEZZNS1_29radix_sort_onesweep_iterationIS3_Lb1EN6thrust23THRUST_200600_302600_NS6detail15normal_iteratorINS8_10device_ptrIiEEEESD_SD_SD_jNS0_19identity_decomposerENS1_16block_id_wrapperIjLb0EEEEE10hipError_tT1_PNSt15iterator_traitsISI_E10value_typeET2_T3_PNSJ_ISO_E10value_typeET4_T5_PST_SU_PNS1_23onesweep_lookback_stateEbbT6_jjT7_P12ihipStream_tbENKUlT_T0_SI_SN_E_clISD_SD_SD_SD_EEDaS11_S12_SI_SN_EUlS11_E_NS1_11comp_targetILNS1_3genE3ELNS1_11target_archE908ELNS1_3gpuE7ELNS1_3repE0EEENS1_47radix_sort_onesweep_sort_config_static_selectorELNS0_4arch9wavefront6targetE1EEEvSI_
; %bb.0:
	.section	.rodata,"a",@progbits
	.p2align	6, 0x0
	.amdhsa_kernel _ZN7rocprim17ROCPRIM_400000_NS6detail17trampoline_kernelINS0_14default_configENS1_35radix_sort_onesweep_config_selectorIiiEEZZNS1_29radix_sort_onesweep_iterationIS3_Lb1EN6thrust23THRUST_200600_302600_NS6detail15normal_iteratorINS8_10device_ptrIiEEEESD_SD_SD_jNS0_19identity_decomposerENS1_16block_id_wrapperIjLb0EEEEE10hipError_tT1_PNSt15iterator_traitsISI_E10value_typeET2_T3_PNSJ_ISO_E10value_typeET4_T5_PST_SU_PNS1_23onesweep_lookback_stateEbbT6_jjT7_P12ihipStream_tbENKUlT_T0_SI_SN_E_clISD_SD_SD_SD_EEDaS11_S12_SI_SN_EUlS11_E_NS1_11comp_targetILNS1_3genE3ELNS1_11target_archE908ELNS1_3gpuE7ELNS1_3repE0EEENS1_47radix_sort_onesweep_sort_config_static_selectorELNS0_4arch9wavefront6targetE1EEEvSI_
		.amdhsa_group_segment_fixed_size 0
		.amdhsa_private_segment_fixed_size 0
		.amdhsa_kernarg_size 88
		.amdhsa_user_sgpr_count 2
		.amdhsa_user_sgpr_dispatch_ptr 0
		.amdhsa_user_sgpr_queue_ptr 0
		.amdhsa_user_sgpr_kernarg_segment_ptr 1
		.amdhsa_user_sgpr_dispatch_id 0
		.amdhsa_user_sgpr_kernarg_preload_length 0
		.amdhsa_user_sgpr_kernarg_preload_offset 0
		.amdhsa_user_sgpr_private_segment_size 0
		.amdhsa_uses_dynamic_stack 0
		.amdhsa_enable_private_segment 0
		.amdhsa_system_sgpr_workgroup_id_x 1
		.amdhsa_system_sgpr_workgroup_id_y 0
		.amdhsa_system_sgpr_workgroup_id_z 0
		.amdhsa_system_sgpr_workgroup_info 0
		.amdhsa_system_vgpr_workitem_id 0
		.amdhsa_next_free_vgpr 1
		.amdhsa_next_free_sgpr 0
		.amdhsa_accum_offset 4
		.amdhsa_reserve_vcc 0
		.amdhsa_float_round_mode_32 0
		.amdhsa_float_round_mode_16_64 0
		.amdhsa_float_denorm_mode_32 3
		.amdhsa_float_denorm_mode_16_64 3
		.amdhsa_dx10_clamp 1
		.amdhsa_ieee_mode 1
		.amdhsa_fp16_overflow 0
		.amdhsa_tg_split 0
		.amdhsa_exception_fp_ieee_invalid_op 0
		.amdhsa_exception_fp_denorm_src 0
		.amdhsa_exception_fp_ieee_div_zero 0
		.amdhsa_exception_fp_ieee_overflow 0
		.amdhsa_exception_fp_ieee_underflow 0
		.amdhsa_exception_fp_ieee_inexact 0
		.amdhsa_exception_int_div_zero 0
	.end_amdhsa_kernel
	.section	.text._ZN7rocprim17ROCPRIM_400000_NS6detail17trampoline_kernelINS0_14default_configENS1_35radix_sort_onesweep_config_selectorIiiEEZZNS1_29radix_sort_onesweep_iterationIS3_Lb1EN6thrust23THRUST_200600_302600_NS6detail15normal_iteratorINS8_10device_ptrIiEEEESD_SD_SD_jNS0_19identity_decomposerENS1_16block_id_wrapperIjLb0EEEEE10hipError_tT1_PNSt15iterator_traitsISI_E10value_typeET2_T3_PNSJ_ISO_E10value_typeET4_T5_PST_SU_PNS1_23onesweep_lookback_stateEbbT6_jjT7_P12ihipStream_tbENKUlT_T0_SI_SN_E_clISD_SD_SD_SD_EEDaS11_S12_SI_SN_EUlS11_E_NS1_11comp_targetILNS1_3genE3ELNS1_11target_archE908ELNS1_3gpuE7ELNS1_3repE0EEENS1_47radix_sort_onesweep_sort_config_static_selectorELNS0_4arch9wavefront6targetE1EEEvSI_,"axG",@progbits,_ZN7rocprim17ROCPRIM_400000_NS6detail17trampoline_kernelINS0_14default_configENS1_35radix_sort_onesweep_config_selectorIiiEEZZNS1_29radix_sort_onesweep_iterationIS3_Lb1EN6thrust23THRUST_200600_302600_NS6detail15normal_iteratorINS8_10device_ptrIiEEEESD_SD_SD_jNS0_19identity_decomposerENS1_16block_id_wrapperIjLb0EEEEE10hipError_tT1_PNSt15iterator_traitsISI_E10value_typeET2_T3_PNSJ_ISO_E10value_typeET4_T5_PST_SU_PNS1_23onesweep_lookback_stateEbbT6_jjT7_P12ihipStream_tbENKUlT_T0_SI_SN_E_clISD_SD_SD_SD_EEDaS11_S12_SI_SN_EUlS11_E_NS1_11comp_targetILNS1_3genE3ELNS1_11target_archE908ELNS1_3gpuE7ELNS1_3repE0EEENS1_47radix_sort_onesweep_sort_config_static_selectorELNS0_4arch9wavefront6targetE1EEEvSI_,comdat
.Lfunc_end1031:
	.size	_ZN7rocprim17ROCPRIM_400000_NS6detail17trampoline_kernelINS0_14default_configENS1_35radix_sort_onesweep_config_selectorIiiEEZZNS1_29radix_sort_onesweep_iterationIS3_Lb1EN6thrust23THRUST_200600_302600_NS6detail15normal_iteratorINS8_10device_ptrIiEEEESD_SD_SD_jNS0_19identity_decomposerENS1_16block_id_wrapperIjLb0EEEEE10hipError_tT1_PNSt15iterator_traitsISI_E10value_typeET2_T3_PNSJ_ISO_E10value_typeET4_T5_PST_SU_PNS1_23onesweep_lookback_stateEbbT6_jjT7_P12ihipStream_tbENKUlT_T0_SI_SN_E_clISD_SD_SD_SD_EEDaS11_S12_SI_SN_EUlS11_E_NS1_11comp_targetILNS1_3genE3ELNS1_11target_archE908ELNS1_3gpuE7ELNS1_3repE0EEENS1_47radix_sort_onesweep_sort_config_static_selectorELNS0_4arch9wavefront6targetE1EEEvSI_, .Lfunc_end1031-_ZN7rocprim17ROCPRIM_400000_NS6detail17trampoline_kernelINS0_14default_configENS1_35radix_sort_onesweep_config_selectorIiiEEZZNS1_29radix_sort_onesweep_iterationIS3_Lb1EN6thrust23THRUST_200600_302600_NS6detail15normal_iteratorINS8_10device_ptrIiEEEESD_SD_SD_jNS0_19identity_decomposerENS1_16block_id_wrapperIjLb0EEEEE10hipError_tT1_PNSt15iterator_traitsISI_E10value_typeET2_T3_PNSJ_ISO_E10value_typeET4_T5_PST_SU_PNS1_23onesweep_lookback_stateEbbT6_jjT7_P12ihipStream_tbENKUlT_T0_SI_SN_E_clISD_SD_SD_SD_EEDaS11_S12_SI_SN_EUlS11_E_NS1_11comp_targetILNS1_3genE3ELNS1_11target_archE908ELNS1_3gpuE7ELNS1_3repE0EEENS1_47radix_sort_onesweep_sort_config_static_selectorELNS0_4arch9wavefront6targetE1EEEvSI_
                                        ; -- End function
	.set _ZN7rocprim17ROCPRIM_400000_NS6detail17trampoline_kernelINS0_14default_configENS1_35radix_sort_onesweep_config_selectorIiiEEZZNS1_29radix_sort_onesweep_iterationIS3_Lb1EN6thrust23THRUST_200600_302600_NS6detail15normal_iteratorINS8_10device_ptrIiEEEESD_SD_SD_jNS0_19identity_decomposerENS1_16block_id_wrapperIjLb0EEEEE10hipError_tT1_PNSt15iterator_traitsISI_E10value_typeET2_T3_PNSJ_ISO_E10value_typeET4_T5_PST_SU_PNS1_23onesweep_lookback_stateEbbT6_jjT7_P12ihipStream_tbENKUlT_T0_SI_SN_E_clISD_SD_SD_SD_EEDaS11_S12_SI_SN_EUlS11_E_NS1_11comp_targetILNS1_3genE3ELNS1_11target_archE908ELNS1_3gpuE7ELNS1_3repE0EEENS1_47radix_sort_onesweep_sort_config_static_selectorELNS0_4arch9wavefront6targetE1EEEvSI_.num_vgpr, 0
	.set _ZN7rocprim17ROCPRIM_400000_NS6detail17trampoline_kernelINS0_14default_configENS1_35radix_sort_onesweep_config_selectorIiiEEZZNS1_29radix_sort_onesweep_iterationIS3_Lb1EN6thrust23THRUST_200600_302600_NS6detail15normal_iteratorINS8_10device_ptrIiEEEESD_SD_SD_jNS0_19identity_decomposerENS1_16block_id_wrapperIjLb0EEEEE10hipError_tT1_PNSt15iterator_traitsISI_E10value_typeET2_T3_PNSJ_ISO_E10value_typeET4_T5_PST_SU_PNS1_23onesweep_lookback_stateEbbT6_jjT7_P12ihipStream_tbENKUlT_T0_SI_SN_E_clISD_SD_SD_SD_EEDaS11_S12_SI_SN_EUlS11_E_NS1_11comp_targetILNS1_3genE3ELNS1_11target_archE908ELNS1_3gpuE7ELNS1_3repE0EEENS1_47radix_sort_onesweep_sort_config_static_selectorELNS0_4arch9wavefront6targetE1EEEvSI_.num_agpr, 0
	.set _ZN7rocprim17ROCPRIM_400000_NS6detail17trampoline_kernelINS0_14default_configENS1_35radix_sort_onesweep_config_selectorIiiEEZZNS1_29radix_sort_onesweep_iterationIS3_Lb1EN6thrust23THRUST_200600_302600_NS6detail15normal_iteratorINS8_10device_ptrIiEEEESD_SD_SD_jNS0_19identity_decomposerENS1_16block_id_wrapperIjLb0EEEEE10hipError_tT1_PNSt15iterator_traitsISI_E10value_typeET2_T3_PNSJ_ISO_E10value_typeET4_T5_PST_SU_PNS1_23onesweep_lookback_stateEbbT6_jjT7_P12ihipStream_tbENKUlT_T0_SI_SN_E_clISD_SD_SD_SD_EEDaS11_S12_SI_SN_EUlS11_E_NS1_11comp_targetILNS1_3genE3ELNS1_11target_archE908ELNS1_3gpuE7ELNS1_3repE0EEENS1_47radix_sort_onesweep_sort_config_static_selectorELNS0_4arch9wavefront6targetE1EEEvSI_.numbered_sgpr, 0
	.set _ZN7rocprim17ROCPRIM_400000_NS6detail17trampoline_kernelINS0_14default_configENS1_35radix_sort_onesweep_config_selectorIiiEEZZNS1_29radix_sort_onesweep_iterationIS3_Lb1EN6thrust23THRUST_200600_302600_NS6detail15normal_iteratorINS8_10device_ptrIiEEEESD_SD_SD_jNS0_19identity_decomposerENS1_16block_id_wrapperIjLb0EEEEE10hipError_tT1_PNSt15iterator_traitsISI_E10value_typeET2_T3_PNSJ_ISO_E10value_typeET4_T5_PST_SU_PNS1_23onesweep_lookback_stateEbbT6_jjT7_P12ihipStream_tbENKUlT_T0_SI_SN_E_clISD_SD_SD_SD_EEDaS11_S12_SI_SN_EUlS11_E_NS1_11comp_targetILNS1_3genE3ELNS1_11target_archE908ELNS1_3gpuE7ELNS1_3repE0EEENS1_47radix_sort_onesweep_sort_config_static_selectorELNS0_4arch9wavefront6targetE1EEEvSI_.num_named_barrier, 0
	.set _ZN7rocprim17ROCPRIM_400000_NS6detail17trampoline_kernelINS0_14default_configENS1_35radix_sort_onesweep_config_selectorIiiEEZZNS1_29radix_sort_onesweep_iterationIS3_Lb1EN6thrust23THRUST_200600_302600_NS6detail15normal_iteratorINS8_10device_ptrIiEEEESD_SD_SD_jNS0_19identity_decomposerENS1_16block_id_wrapperIjLb0EEEEE10hipError_tT1_PNSt15iterator_traitsISI_E10value_typeET2_T3_PNSJ_ISO_E10value_typeET4_T5_PST_SU_PNS1_23onesweep_lookback_stateEbbT6_jjT7_P12ihipStream_tbENKUlT_T0_SI_SN_E_clISD_SD_SD_SD_EEDaS11_S12_SI_SN_EUlS11_E_NS1_11comp_targetILNS1_3genE3ELNS1_11target_archE908ELNS1_3gpuE7ELNS1_3repE0EEENS1_47radix_sort_onesweep_sort_config_static_selectorELNS0_4arch9wavefront6targetE1EEEvSI_.private_seg_size, 0
	.set _ZN7rocprim17ROCPRIM_400000_NS6detail17trampoline_kernelINS0_14default_configENS1_35radix_sort_onesweep_config_selectorIiiEEZZNS1_29radix_sort_onesweep_iterationIS3_Lb1EN6thrust23THRUST_200600_302600_NS6detail15normal_iteratorINS8_10device_ptrIiEEEESD_SD_SD_jNS0_19identity_decomposerENS1_16block_id_wrapperIjLb0EEEEE10hipError_tT1_PNSt15iterator_traitsISI_E10value_typeET2_T3_PNSJ_ISO_E10value_typeET4_T5_PST_SU_PNS1_23onesweep_lookback_stateEbbT6_jjT7_P12ihipStream_tbENKUlT_T0_SI_SN_E_clISD_SD_SD_SD_EEDaS11_S12_SI_SN_EUlS11_E_NS1_11comp_targetILNS1_3genE3ELNS1_11target_archE908ELNS1_3gpuE7ELNS1_3repE0EEENS1_47radix_sort_onesweep_sort_config_static_selectorELNS0_4arch9wavefront6targetE1EEEvSI_.uses_vcc, 0
	.set _ZN7rocprim17ROCPRIM_400000_NS6detail17trampoline_kernelINS0_14default_configENS1_35radix_sort_onesweep_config_selectorIiiEEZZNS1_29radix_sort_onesweep_iterationIS3_Lb1EN6thrust23THRUST_200600_302600_NS6detail15normal_iteratorINS8_10device_ptrIiEEEESD_SD_SD_jNS0_19identity_decomposerENS1_16block_id_wrapperIjLb0EEEEE10hipError_tT1_PNSt15iterator_traitsISI_E10value_typeET2_T3_PNSJ_ISO_E10value_typeET4_T5_PST_SU_PNS1_23onesweep_lookback_stateEbbT6_jjT7_P12ihipStream_tbENKUlT_T0_SI_SN_E_clISD_SD_SD_SD_EEDaS11_S12_SI_SN_EUlS11_E_NS1_11comp_targetILNS1_3genE3ELNS1_11target_archE908ELNS1_3gpuE7ELNS1_3repE0EEENS1_47radix_sort_onesweep_sort_config_static_selectorELNS0_4arch9wavefront6targetE1EEEvSI_.uses_flat_scratch, 0
	.set _ZN7rocprim17ROCPRIM_400000_NS6detail17trampoline_kernelINS0_14default_configENS1_35radix_sort_onesweep_config_selectorIiiEEZZNS1_29radix_sort_onesweep_iterationIS3_Lb1EN6thrust23THRUST_200600_302600_NS6detail15normal_iteratorINS8_10device_ptrIiEEEESD_SD_SD_jNS0_19identity_decomposerENS1_16block_id_wrapperIjLb0EEEEE10hipError_tT1_PNSt15iterator_traitsISI_E10value_typeET2_T3_PNSJ_ISO_E10value_typeET4_T5_PST_SU_PNS1_23onesweep_lookback_stateEbbT6_jjT7_P12ihipStream_tbENKUlT_T0_SI_SN_E_clISD_SD_SD_SD_EEDaS11_S12_SI_SN_EUlS11_E_NS1_11comp_targetILNS1_3genE3ELNS1_11target_archE908ELNS1_3gpuE7ELNS1_3repE0EEENS1_47radix_sort_onesweep_sort_config_static_selectorELNS0_4arch9wavefront6targetE1EEEvSI_.has_dyn_sized_stack, 0
	.set _ZN7rocprim17ROCPRIM_400000_NS6detail17trampoline_kernelINS0_14default_configENS1_35radix_sort_onesweep_config_selectorIiiEEZZNS1_29radix_sort_onesweep_iterationIS3_Lb1EN6thrust23THRUST_200600_302600_NS6detail15normal_iteratorINS8_10device_ptrIiEEEESD_SD_SD_jNS0_19identity_decomposerENS1_16block_id_wrapperIjLb0EEEEE10hipError_tT1_PNSt15iterator_traitsISI_E10value_typeET2_T3_PNSJ_ISO_E10value_typeET4_T5_PST_SU_PNS1_23onesweep_lookback_stateEbbT6_jjT7_P12ihipStream_tbENKUlT_T0_SI_SN_E_clISD_SD_SD_SD_EEDaS11_S12_SI_SN_EUlS11_E_NS1_11comp_targetILNS1_3genE3ELNS1_11target_archE908ELNS1_3gpuE7ELNS1_3repE0EEENS1_47radix_sort_onesweep_sort_config_static_selectorELNS0_4arch9wavefront6targetE1EEEvSI_.has_recursion, 0
	.set _ZN7rocprim17ROCPRIM_400000_NS6detail17trampoline_kernelINS0_14default_configENS1_35radix_sort_onesweep_config_selectorIiiEEZZNS1_29radix_sort_onesweep_iterationIS3_Lb1EN6thrust23THRUST_200600_302600_NS6detail15normal_iteratorINS8_10device_ptrIiEEEESD_SD_SD_jNS0_19identity_decomposerENS1_16block_id_wrapperIjLb0EEEEE10hipError_tT1_PNSt15iterator_traitsISI_E10value_typeET2_T3_PNSJ_ISO_E10value_typeET4_T5_PST_SU_PNS1_23onesweep_lookback_stateEbbT6_jjT7_P12ihipStream_tbENKUlT_T0_SI_SN_E_clISD_SD_SD_SD_EEDaS11_S12_SI_SN_EUlS11_E_NS1_11comp_targetILNS1_3genE3ELNS1_11target_archE908ELNS1_3gpuE7ELNS1_3repE0EEENS1_47radix_sort_onesweep_sort_config_static_selectorELNS0_4arch9wavefront6targetE1EEEvSI_.has_indirect_call, 0
	.section	.AMDGPU.csdata,"",@progbits
; Kernel info:
; codeLenInByte = 0
; TotalNumSgprs: 6
; NumVgprs: 0
; NumAgprs: 0
; TotalNumVgprs: 0
; ScratchSize: 0
; MemoryBound: 0
; FloatMode: 240
; IeeeMode: 1
; LDSByteSize: 0 bytes/workgroup (compile time only)
; SGPRBlocks: 0
; VGPRBlocks: 0
; NumSGPRsForWavesPerEU: 6
; NumVGPRsForWavesPerEU: 1
; AccumOffset: 4
; Occupancy: 8
; WaveLimiterHint : 0
; COMPUTE_PGM_RSRC2:SCRATCH_EN: 0
; COMPUTE_PGM_RSRC2:USER_SGPR: 2
; COMPUTE_PGM_RSRC2:TRAP_HANDLER: 0
; COMPUTE_PGM_RSRC2:TGID_X_EN: 1
; COMPUTE_PGM_RSRC2:TGID_Y_EN: 0
; COMPUTE_PGM_RSRC2:TGID_Z_EN: 0
; COMPUTE_PGM_RSRC2:TIDIG_COMP_CNT: 0
; COMPUTE_PGM_RSRC3_GFX90A:ACCUM_OFFSET: 0
; COMPUTE_PGM_RSRC3_GFX90A:TG_SPLIT: 0
	.section	.text._ZN7rocprim17ROCPRIM_400000_NS6detail17trampoline_kernelINS0_14default_configENS1_35radix_sort_onesweep_config_selectorIiiEEZZNS1_29radix_sort_onesweep_iterationIS3_Lb1EN6thrust23THRUST_200600_302600_NS6detail15normal_iteratorINS8_10device_ptrIiEEEESD_SD_SD_jNS0_19identity_decomposerENS1_16block_id_wrapperIjLb0EEEEE10hipError_tT1_PNSt15iterator_traitsISI_E10value_typeET2_T3_PNSJ_ISO_E10value_typeET4_T5_PST_SU_PNS1_23onesweep_lookback_stateEbbT6_jjT7_P12ihipStream_tbENKUlT_T0_SI_SN_E_clISD_SD_SD_SD_EEDaS11_S12_SI_SN_EUlS11_E_NS1_11comp_targetILNS1_3genE10ELNS1_11target_archE1201ELNS1_3gpuE5ELNS1_3repE0EEENS1_47radix_sort_onesweep_sort_config_static_selectorELNS0_4arch9wavefront6targetE1EEEvSI_,"axG",@progbits,_ZN7rocprim17ROCPRIM_400000_NS6detail17trampoline_kernelINS0_14default_configENS1_35radix_sort_onesweep_config_selectorIiiEEZZNS1_29radix_sort_onesweep_iterationIS3_Lb1EN6thrust23THRUST_200600_302600_NS6detail15normal_iteratorINS8_10device_ptrIiEEEESD_SD_SD_jNS0_19identity_decomposerENS1_16block_id_wrapperIjLb0EEEEE10hipError_tT1_PNSt15iterator_traitsISI_E10value_typeET2_T3_PNSJ_ISO_E10value_typeET4_T5_PST_SU_PNS1_23onesweep_lookback_stateEbbT6_jjT7_P12ihipStream_tbENKUlT_T0_SI_SN_E_clISD_SD_SD_SD_EEDaS11_S12_SI_SN_EUlS11_E_NS1_11comp_targetILNS1_3genE10ELNS1_11target_archE1201ELNS1_3gpuE5ELNS1_3repE0EEENS1_47radix_sort_onesweep_sort_config_static_selectorELNS0_4arch9wavefront6targetE1EEEvSI_,comdat
	.protected	_ZN7rocprim17ROCPRIM_400000_NS6detail17trampoline_kernelINS0_14default_configENS1_35radix_sort_onesweep_config_selectorIiiEEZZNS1_29radix_sort_onesweep_iterationIS3_Lb1EN6thrust23THRUST_200600_302600_NS6detail15normal_iteratorINS8_10device_ptrIiEEEESD_SD_SD_jNS0_19identity_decomposerENS1_16block_id_wrapperIjLb0EEEEE10hipError_tT1_PNSt15iterator_traitsISI_E10value_typeET2_T3_PNSJ_ISO_E10value_typeET4_T5_PST_SU_PNS1_23onesweep_lookback_stateEbbT6_jjT7_P12ihipStream_tbENKUlT_T0_SI_SN_E_clISD_SD_SD_SD_EEDaS11_S12_SI_SN_EUlS11_E_NS1_11comp_targetILNS1_3genE10ELNS1_11target_archE1201ELNS1_3gpuE5ELNS1_3repE0EEENS1_47radix_sort_onesweep_sort_config_static_selectorELNS0_4arch9wavefront6targetE1EEEvSI_ ; -- Begin function _ZN7rocprim17ROCPRIM_400000_NS6detail17trampoline_kernelINS0_14default_configENS1_35radix_sort_onesweep_config_selectorIiiEEZZNS1_29radix_sort_onesweep_iterationIS3_Lb1EN6thrust23THRUST_200600_302600_NS6detail15normal_iteratorINS8_10device_ptrIiEEEESD_SD_SD_jNS0_19identity_decomposerENS1_16block_id_wrapperIjLb0EEEEE10hipError_tT1_PNSt15iterator_traitsISI_E10value_typeET2_T3_PNSJ_ISO_E10value_typeET4_T5_PST_SU_PNS1_23onesweep_lookback_stateEbbT6_jjT7_P12ihipStream_tbENKUlT_T0_SI_SN_E_clISD_SD_SD_SD_EEDaS11_S12_SI_SN_EUlS11_E_NS1_11comp_targetILNS1_3genE10ELNS1_11target_archE1201ELNS1_3gpuE5ELNS1_3repE0EEENS1_47radix_sort_onesweep_sort_config_static_selectorELNS0_4arch9wavefront6targetE1EEEvSI_
	.globl	_ZN7rocprim17ROCPRIM_400000_NS6detail17trampoline_kernelINS0_14default_configENS1_35radix_sort_onesweep_config_selectorIiiEEZZNS1_29radix_sort_onesweep_iterationIS3_Lb1EN6thrust23THRUST_200600_302600_NS6detail15normal_iteratorINS8_10device_ptrIiEEEESD_SD_SD_jNS0_19identity_decomposerENS1_16block_id_wrapperIjLb0EEEEE10hipError_tT1_PNSt15iterator_traitsISI_E10value_typeET2_T3_PNSJ_ISO_E10value_typeET4_T5_PST_SU_PNS1_23onesweep_lookback_stateEbbT6_jjT7_P12ihipStream_tbENKUlT_T0_SI_SN_E_clISD_SD_SD_SD_EEDaS11_S12_SI_SN_EUlS11_E_NS1_11comp_targetILNS1_3genE10ELNS1_11target_archE1201ELNS1_3gpuE5ELNS1_3repE0EEENS1_47radix_sort_onesweep_sort_config_static_selectorELNS0_4arch9wavefront6targetE1EEEvSI_
	.p2align	8
	.type	_ZN7rocprim17ROCPRIM_400000_NS6detail17trampoline_kernelINS0_14default_configENS1_35radix_sort_onesweep_config_selectorIiiEEZZNS1_29radix_sort_onesweep_iterationIS3_Lb1EN6thrust23THRUST_200600_302600_NS6detail15normal_iteratorINS8_10device_ptrIiEEEESD_SD_SD_jNS0_19identity_decomposerENS1_16block_id_wrapperIjLb0EEEEE10hipError_tT1_PNSt15iterator_traitsISI_E10value_typeET2_T3_PNSJ_ISO_E10value_typeET4_T5_PST_SU_PNS1_23onesweep_lookback_stateEbbT6_jjT7_P12ihipStream_tbENKUlT_T0_SI_SN_E_clISD_SD_SD_SD_EEDaS11_S12_SI_SN_EUlS11_E_NS1_11comp_targetILNS1_3genE10ELNS1_11target_archE1201ELNS1_3gpuE5ELNS1_3repE0EEENS1_47radix_sort_onesweep_sort_config_static_selectorELNS0_4arch9wavefront6targetE1EEEvSI_,@function
_ZN7rocprim17ROCPRIM_400000_NS6detail17trampoline_kernelINS0_14default_configENS1_35radix_sort_onesweep_config_selectorIiiEEZZNS1_29radix_sort_onesweep_iterationIS3_Lb1EN6thrust23THRUST_200600_302600_NS6detail15normal_iteratorINS8_10device_ptrIiEEEESD_SD_SD_jNS0_19identity_decomposerENS1_16block_id_wrapperIjLb0EEEEE10hipError_tT1_PNSt15iterator_traitsISI_E10value_typeET2_T3_PNSJ_ISO_E10value_typeET4_T5_PST_SU_PNS1_23onesweep_lookback_stateEbbT6_jjT7_P12ihipStream_tbENKUlT_T0_SI_SN_E_clISD_SD_SD_SD_EEDaS11_S12_SI_SN_EUlS11_E_NS1_11comp_targetILNS1_3genE10ELNS1_11target_archE1201ELNS1_3gpuE5ELNS1_3repE0EEENS1_47radix_sort_onesweep_sort_config_static_selectorELNS0_4arch9wavefront6targetE1EEEvSI_: ; @_ZN7rocprim17ROCPRIM_400000_NS6detail17trampoline_kernelINS0_14default_configENS1_35radix_sort_onesweep_config_selectorIiiEEZZNS1_29radix_sort_onesweep_iterationIS3_Lb1EN6thrust23THRUST_200600_302600_NS6detail15normal_iteratorINS8_10device_ptrIiEEEESD_SD_SD_jNS0_19identity_decomposerENS1_16block_id_wrapperIjLb0EEEEE10hipError_tT1_PNSt15iterator_traitsISI_E10value_typeET2_T3_PNSJ_ISO_E10value_typeET4_T5_PST_SU_PNS1_23onesweep_lookback_stateEbbT6_jjT7_P12ihipStream_tbENKUlT_T0_SI_SN_E_clISD_SD_SD_SD_EEDaS11_S12_SI_SN_EUlS11_E_NS1_11comp_targetILNS1_3genE10ELNS1_11target_archE1201ELNS1_3gpuE5ELNS1_3repE0EEENS1_47radix_sort_onesweep_sort_config_static_selectorELNS0_4arch9wavefront6targetE1EEEvSI_
; %bb.0:
	.section	.rodata,"a",@progbits
	.p2align	6, 0x0
	.amdhsa_kernel _ZN7rocprim17ROCPRIM_400000_NS6detail17trampoline_kernelINS0_14default_configENS1_35radix_sort_onesweep_config_selectorIiiEEZZNS1_29radix_sort_onesweep_iterationIS3_Lb1EN6thrust23THRUST_200600_302600_NS6detail15normal_iteratorINS8_10device_ptrIiEEEESD_SD_SD_jNS0_19identity_decomposerENS1_16block_id_wrapperIjLb0EEEEE10hipError_tT1_PNSt15iterator_traitsISI_E10value_typeET2_T3_PNSJ_ISO_E10value_typeET4_T5_PST_SU_PNS1_23onesweep_lookback_stateEbbT6_jjT7_P12ihipStream_tbENKUlT_T0_SI_SN_E_clISD_SD_SD_SD_EEDaS11_S12_SI_SN_EUlS11_E_NS1_11comp_targetILNS1_3genE10ELNS1_11target_archE1201ELNS1_3gpuE5ELNS1_3repE0EEENS1_47radix_sort_onesweep_sort_config_static_selectorELNS0_4arch9wavefront6targetE1EEEvSI_
		.amdhsa_group_segment_fixed_size 0
		.amdhsa_private_segment_fixed_size 0
		.amdhsa_kernarg_size 88
		.amdhsa_user_sgpr_count 2
		.amdhsa_user_sgpr_dispatch_ptr 0
		.amdhsa_user_sgpr_queue_ptr 0
		.amdhsa_user_sgpr_kernarg_segment_ptr 1
		.amdhsa_user_sgpr_dispatch_id 0
		.amdhsa_user_sgpr_kernarg_preload_length 0
		.amdhsa_user_sgpr_kernarg_preload_offset 0
		.amdhsa_user_sgpr_private_segment_size 0
		.amdhsa_uses_dynamic_stack 0
		.amdhsa_enable_private_segment 0
		.amdhsa_system_sgpr_workgroup_id_x 1
		.amdhsa_system_sgpr_workgroup_id_y 0
		.amdhsa_system_sgpr_workgroup_id_z 0
		.amdhsa_system_sgpr_workgroup_info 0
		.amdhsa_system_vgpr_workitem_id 0
		.amdhsa_next_free_vgpr 1
		.amdhsa_next_free_sgpr 0
		.amdhsa_accum_offset 4
		.amdhsa_reserve_vcc 0
		.amdhsa_float_round_mode_32 0
		.amdhsa_float_round_mode_16_64 0
		.amdhsa_float_denorm_mode_32 3
		.amdhsa_float_denorm_mode_16_64 3
		.amdhsa_dx10_clamp 1
		.amdhsa_ieee_mode 1
		.amdhsa_fp16_overflow 0
		.amdhsa_tg_split 0
		.amdhsa_exception_fp_ieee_invalid_op 0
		.amdhsa_exception_fp_denorm_src 0
		.amdhsa_exception_fp_ieee_div_zero 0
		.amdhsa_exception_fp_ieee_overflow 0
		.amdhsa_exception_fp_ieee_underflow 0
		.amdhsa_exception_fp_ieee_inexact 0
		.amdhsa_exception_int_div_zero 0
	.end_amdhsa_kernel
	.section	.text._ZN7rocprim17ROCPRIM_400000_NS6detail17trampoline_kernelINS0_14default_configENS1_35radix_sort_onesweep_config_selectorIiiEEZZNS1_29radix_sort_onesweep_iterationIS3_Lb1EN6thrust23THRUST_200600_302600_NS6detail15normal_iteratorINS8_10device_ptrIiEEEESD_SD_SD_jNS0_19identity_decomposerENS1_16block_id_wrapperIjLb0EEEEE10hipError_tT1_PNSt15iterator_traitsISI_E10value_typeET2_T3_PNSJ_ISO_E10value_typeET4_T5_PST_SU_PNS1_23onesweep_lookback_stateEbbT6_jjT7_P12ihipStream_tbENKUlT_T0_SI_SN_E_clISD_SD_SD_SD_EEDaS11_S12_SI_SN_EUlS11_E_NS1_11comp_targetILNS1_3genE10ELNS1_11target_archE1201ELNS1_3gpuE5ELNS1_3repE0EEENS1_47radix_sort_onesweep_sort_config_static_selectorELNS0_4arch9wavefront6targetE1EEEvSI_,"axG",@progbits,_ZN7rocprim17ROCPRIM_400000_NS6detail17trampoline_kernelINS0_14default_configENS1_35radix_sort_onesweep_config_selectorIiiEEZZNS1_29radix_sort_onesweep_iterationIS3_Lb1EN6thrust23THRUST_200600_302600_NS6detail15normal_iteratorINS8_10device_ptrIiEEEESD_SD_SD_jNS0_19identity_decomposerENS1_16block_id_wrapperIjLb0EEEEE10hipError_tT1_PNSt15iterator_traitsISI_E10value_typeET2_T3_PNSJ_ISO_E10value_typeET4_T5_PST_SU_PNS1_23onesweep_lookback_stateEbbT6_jjT7_P12ihipStream_tbENKUlT_T0_SI_SN_E_clISD_SD_SD_SD_EEDaS11_S12_SI_SN_EUlS11_E_NS1_11comp_targetILNS1_3genE10ELNS1_11target_archE1201ELNS1_3gpuE5ELNS1_3repE0EEENS1_47radix_sort_onesweep_sort_config_static_selectorELNS0_4arch9wavefront6targetE1EEEvSI_,comdat
.Lfunc_end1032:
	.size	_ZN7rocprim17ROCPRIM_400000_NS6detail17trampoline_kernelINS0_14default_configENS1_35radix_sort_onesweep_config_selectorIiiEEZZNS1_29radix_sort_onesweep_iterationIS3_Lb1EN6thrust23THRUST_200600_302600_NS6detail15normal_iteratorINS8_10device_ptrIiEEEESD_SD_SD_jNS0_19identity_decomposerENS1_16block_id_wrapperIjLb0EEEEE10hipError_tT1_PNSt15iterator_traitsISI_E10value_typeET2_T3_PNSJ_ISO_E10value_typeET4_T5_PST_SU_PNS1_23onesweep_lookback_stateEbbT6_jjT7_P12ihipStream_tbENKUlT_T0_SI_SN_E_clISD_SD_SD_SD_EEDaS11_S12_SI_SN_EUlS11_E_NS1_11comp_targetILNS1_3genE10ELNS1_11target_archE1201ELNS1_3gpuE5ELNS1_3repE0EEENS1_47radix_sort_onesweep_sort_config_static_selectorELNS0_4arch9wavefront6targetE1EEEvSI_, .Lfunc_end1032-_ZN7rocprim17ROCPRIM_400000_NS6detail17trampoline_kernelINS0_14default_configENS1_35radix_sort_onesweep_config_selectorIiiEEZZNS1_29radix_sort_onesweep_iterationIS3_Lb1EN6thrust23THRUST_200600_302600_NS6detail15normal_iteratorINS8_10device_ptrIiEEEESD_SD_SD_jNS0_19identity_decomposerENS1_16block_id_wrapperIjLb0EEEEE10hipError_tT1_PNSt15iterator_traitsISI_E10value_typeET2_T3_PNSJ_ISO_E10value_typeET4_T5_PST_SU_PNS1_23onesweep_lookback_stateEbbT6_jjT7_P12ihipStream_tbENKUlT_T0_SI_SN_E_clISD_SD_SD_SD_EEDaS11_S12_SI_SN_EUlS11_E_NS1_11comp_targetILNS1_3genE10ELNS1_11target_archE1201ELNS1_3gpuE5ELNS1_3repE0EEENS1_47radix_sort_onesweep_sort_config_static_selectorELNS0_4arch9wavefront6targetE1EEEvSI_
                                        ; -- End function
	.set _ZN7rocprim17ROCPRIM_400000_NS6detail17trampoline_kernelINS0_14default_configENS1_35radix_sort_onesweep_config_selectorIiiEEZZNS1_29radix_sort_onesweep_iterationIS3_Lb1EN6thrust23THRUST_200600_302600_NS6detail15normal_iteratorINS8_10device_ptrIiEEEESD_SD_SD_jNS0_19identity_decomposerENS1_16block_id_wrapperIjLb0EEEEE10hipError_tT1_PNSt15iterator_traitsISI_E10value_typeET2_T3_PNSJ_ISO_E10value_typeET4_T5_PST_SU_PNS1_23onesweep_lookback_stateEbbT6_jjT7_P12ihipStream_tbENKUlT_T0_SI_SN_E_clISD_SD_SD_SD_EEDaS11_S12_SI_SN_EUlS11_E_NS1_11comp_targetILNS1_3genE10ELNS1_11target_archE1201ELNS1_3gpuE5ELNS1_3repE0EEENS1_47radix_sort_onesweep_sort_config_static_selectorELNS0_4arch9wavefront6targetE1EEEvSI_.num_vgpr, 0
	.set _ZN7rocprim17ROCPRIM_400000_NS6detail17trampoline_kernelINS0_14default_configENS1_35radix_sort_onesweep_config_selectorIiiEEZZNS1_29radix_sort_onesweep_iterationIS3_Lb1EN6thrust23THRUST_200600_302600_NS6detail15normal_iteratorINS8_10device_ptrIiEEEESD_SD_SD_jNS0_19identity_decomposerENS1_16block_id_wrapperIjLb0EEEEE10hipError_tT1_PNSt15iterator_traitsISI_E10value_typeET2_T3_PNSJ_ISO_E10value_typeET4_T5_PST_SU_PNS1_23onesweep_lookback_stateEbbT6_jjT7_P12ihipStream_tbENKUlT_T0_SI_SN_E_clISD_SD_SD_SD_EEDaS11_S12_SI_SN_EUlS11_E_NS1_11comp_targetILNS1_3genE10ELNS1_11target_archE1201ELNS1_3gpuE5ELNS1_3repE0EEENS1_47radix_sort_onesweep_sort_config_static_selectorELNS0_4arch9wavefront6targetE1EEEvSI_.num_agpr, 0
	.set _ZN7rocprim17ROCPRIM_400000_NS6detail17trampoline_kernelINS0_14default_configENS1_35radix_sort_onesweep_config_selectorIiiEEZZNS1_29radix_sort_onesweep_iterationIS3_Lb1EN6thrust23THRUST_200600_302600_NS6detail15normal_iteratorINS8_10device_ptrIiEEEESD_SD_SD_jNS0_19identity_decomposerENS1_16block_id_wrapperIjLb0EEEEE10hipError_tT1_PNSt15iterator_traitsISI_E10value_typeET2_T3_PNSJ_ISO_E10value_typeET4_T5_PST_SU_PNS1_23onesweep_lookback_stateEbbT6_jjT7_P12ihipStream_tbENKUlT_T0_SI_SN_E_clISD_SD_SD_SD_EEDaS11_S12_SI_SN_EUlS11_E_NS1_11comp_targetILNS1_3genE10ELNS1_11target_archE1201ELNS1_3gpuE5ELNS1_3repE0EEENS1_47radix_sort_onesweep_sort_config_static_selectorELNS0_4arch9wavefront6targetE1EEEvSI_.numbered_sgpr, 0
	.set _ZN7rocprim17ROCPRIM_400000_NS6detail17trampoline_kernelINS0_14default_configENS1_35radix_sort_onesweep_config_selectorIiiEEZZNS1_29radix_sort_onesweep_iterationIS3_Lb1EN6thrust23THRUST_200600_302600_NS6detail15normal_iteratorINS8_10device_ptrIiEEEESD_SD_SD_jNS0_19identity_decomposerENS1_16block_id_wrapperIjLb0EEEEE10hipError_tT1_PNSt15iterator_traitsISI_E10value_typeET2_T3_PNSJ_ISO_E10value_typeET4_T5_PST_SU_PNS1_23onesweep_lookback_stateEbbT6_jjT7_P12ihipStream_tbENKUlT_T0_SI_SN_E_clISD_SD_SD_SD_EEDaS11_S12_SI_SN_EUlS11_E_NS1_11comp_targetILNS1_3genE10ELNS1_11target_archE1201ELNS1_3gpuE5ELNS1_3repE0EEENS1_47radix_sort_onesweep_sort_config_static_selectorELNS0_4arch9wavefront6targetE1EEEvSI_.num_named_barrier, 0
	.set _ZN7rocprim17ROCPRIM_400000_NS6detail17trampoline_kernelINS0_14default_configENS1_35radix_sort_onesweep_config_selectorIiiEEZZNS1_29radix_sort_onesweep_iterationIS3_Lb1EN6thrust23THRUST_200600_302600_NS6detail15normal_iteratorINS8_10device_ptrIiEEEESD_SD_SD_jNS0_19identity_decomposerENS1_16block_id_wrapperIjLb0EEEEE10hipError_tT1_PNSt15iterator_traitsISI_E10value_typeET2_T3_PNSJ_ISO_E10value_typeET4_T5_PST_SU_PNS1_23onesweep_lookback_stateEbbT6_jjT7_P12ihipStream_tbENKUlT_T0_SI_SN_E_clISD_SD_SD_SD_EEDaS11_S12_SI_SN_EUlS11_E_NS1_11comp_targetILNS1_3genE10ELNS1_11target_archE1201ELNS1_3gpuE5ELNS1_3repE0EEENS1_47radix_sort_onesweep_sort_config_static_selectorELNS0_4arch9wavefront6targetE1EEEvSI_.private_seg_size, 0
	.set _ZN7rocprim17ROCPRIM_400000_NS6detail17trampoline_kernelINS0_14default_configENS1_35radix_sort_onesweep_config_selectorIiiEEZZNS1_29radix_sort_onesweep_iterationIS3_Lb1EN6thrust23THRUST_200600_302600_NS6detail15normal_iteratorINS8_10device_ptrIiEEEESD_SD_SD_jNS0_19identity_decomposerENS1_16block_id_wrapperIjLb0EEEEE10hipError_tT1_PNSt15iterator_traitsISI_E10value_typeET2_T3_PNSJ_ISO_E10value_typeET4_T5_PST_SU_PNS1_23onesweep_lookback_stateEbbT6_jjT7_P12ihipStream_tbENKUlT_T0_SI_SN_E_clISD_SD_SD_SD_EEDaS11_S12_SI_SN_EUlS11_E_NS1_11comp_targetILNS1_3genE10ELNS1_11target_archE1201ELNS1_3gpuE5ELNS1_3repE0EEENS1_47radix_sort_onesweep_sort_config_static_selectorELNS0_4arch9wavefront6targetE1EEEvSI_.uses_vcc, 0
	.set _ZN7rocprim17ROCPRIM_400000_NS6detail17trampoline_kernelINS0_14default_configENS1_35radix_sort_onesweep_config_selectorIiiEEZZNS1_29radix_sort_onesweep_iterationIS3_Lb1EN6thrust23THRUST_200600_302600_NS6detail15normal_iteratorINS8_10device_ptrIiEEEESD_SD_SD_jNS0_19identity_decomposerENS1_16block_id_wrapperIjLb0EEEEE10hipError_tT1_PNSt15iterator_traitsISI_E10value_typeET2_T3_PNSJ_ISO_E10value_typeET4_T5_PST_SU_PNS1_23onesweep_lookback_stateEbbT6_jjT7_P12ihipStream_tbENKUlT_T0_SI_SN_E_clISD_SD_SD_SD_EEDaS11_S12_SI_SN_EUlS11_E_NS1_11comp_targetILNS1_3genE10ELNS1_11target_archE1201ELNS1_3gpuE5ELNS1_3repE0EEENS1_47radix_sort_onesweep_sort_config_static_selectorELNS0_4arch9wavefront6targetE1EEEvSI_.uses_flat_scratch, 0
	.set _ZN7rocprim17ROCPRIM_400000_NS6detail17trampoline_kernelINS0_14default_configENS1_35radix_sort_onesweep_config_selectorIiiEEZZNS1_29radix_sort_onesweep_iterationIS3_Lb1EN6thrust23THRUST_200600_302600_NS6detail15normal_iteratorINS8_10device_ptrIiEEEESD_SD_SD_jNS0_19identity_decomposerENS1_16block_id_wrapperIjLb0EEEEE10hipError_tT1_PNSt15iterator_traitsISI_E10value_typeET2_T3_PNSJ_ISO_E10value_typeET4_T5_PST_SU_PNS1_23onesweep_lookback_stateEbbT6_jjT7_P12ihipStream_tbENKUlT_T0_SI_SN_E_clISD_SD_SD_SD_EEDaS11_S12_SI_SN_EUlS11_E_NS1_11comp_targetILNS1_3genE10ELNS1_11target_archE1201ELNS1_3gpuE5ELNS1_3repE0EEENS1_47radix_sort_onesweep_sort_config_static_selectorELNS0_4arch9wavefront6targetE1EEEvSI_.has_dyn_sized_stack, 0
	.set _ZN7rocprim17ROCPRIM_400000_NS6detail17trampoline_kernelINS0_14default_configENS1_35radix_sort_onesweep_config_selectorIiiEEZZNS1_29radix_sort_onesweep_iterationIS3_Lb1EN6thrust23THRUST_200600_302600_NS6detail15normal_iteratorINS8_10device_ptrIiEEEESD_SD_SD_jNS0_19identity_decomposerENS1_16block_id_wrapperIjLb0EEEEE10hipError_tT1_PNSt15iterator_traitsISI_E10value_typeET2_T3_PNSJ_ISO_E10value_typeET4_T5_PST_SU_PNS1_23onesweep_lookback_stateEbbT6_jjT7_P12ihipStream_tbENKUlT_T0_SI_SN_E_clISD_SD_SD_SD_EEDaS11_S12_SI_SN_EUlS11_E_NS1_11comp_targetILNS1_3genE10ELNS1_11target_archE1201ELNS1_3gpuE5ELNS1_3repE0EEENS1_47radix_sort_onesweep_sort_config_static_selectorELNS0_4arch9wavefront6targetE1EEEvSI_.has_recursion, 0
	.set _ZN7rocprim17ROCPRIM_400000_NS6detail17trampoline_kernelINS0_14default_configENS1_35radix_sort_onesweep_config_selectorIiiEEZZNS1_29radix_sort_onesweep_iterationIS3_Lb1EN6thrust23THRUST_200600_302600_NS6detail15normal_iteratorINS8_10device_ptrIiEEEESD_SD_SD_jNS0_19identity_decomposerENS1_16block_id_wrapperIjLb0EEEEE10hipError_tT1_PNSt15iterator_traitsISI_E10value_typeET2_T3_PNSJ_ISO_E10value_typeET4_T5_PST_SU_PNS1_23onesweep_lookback_stateEbbT6_jjT7_P12ihipStream_tbENKUlT_T0_SI_SN_E_clISD_SD_SD_SD_EEDaS11_S12_SI_SN_EUlS11_E_NS1_11comp_targetILNS1_3genE10ELNS1_11target_archE1201ELNS1_3gpuE5ELNS1_3repE0EEENS1_47radix_sort_onesweep_sort_config_static_selectorELNS0_4arch9wavefront6targetE1EEEvSI_.has_indirect_call, 0
	.section	.AMDGPU.csdata,"",@progbits
; Kernel info:
; codeLenInByte = 0
; TotalNumSgprs: 6
; NumVgprs: 0
; NumAgprs: 0
; TotalNumVgprs: 0
; ScratchSize: 0
; MemoryBound: 0
; FloatMode: 240
; IeeeMode: 1
; LDSByteSize: 0 bytes/workgroup (compile time only)
; SGPRBlocks: 0
; VGPRBlocks: 0
; NumSGPRsForWavesPerEU: 6
; NumVGPRsForWavesPerEU: 1
; AccumOffset: 4
; Occupancy: 8
; WaveLimiterHint : 0
; COMPUTE_PGM_RSRC2:SCRATCH_EN: 0
; COMPUTE_PGM_RSRC2:USER_SGPR: 2
; COMPUTE_PGM_RSRC2:TRAP_HANDLER: 0
; COMPUTE_PGM_RSRC2:TGID_X_EN: 1
; COMPUTE_PGM_RSRC2:TGID_Y_EN: 0
; COMPUTE_PGM_RSRC2:TGID_Z_EN: 0
; COMPUTE_PGM_RSRC2:TIDIG_COMP_CNT: 0
; COMPUTE_PGM_RSRC3_GFX90A:ACCUM_OFFSET: 0
; COMPUTE_PGM_RSRC3_GFX90A:TG_SPLIT: 0
	.section	.text._ZN7rocprim17ROCPRIM_400000_NS6detail17trampoline_kernelINS0_14default_configENS1_35radix_sort_onesweep_config_selectorIiiEEZZNS1_29radix_sort_onesweep_iterationIS3_Lb1EN6thrust23THRUST_200600_302600_NS6detail15normal_iteratorINS8_10device_ptrIiEEEESD_SD_SD_jNS0_19identity_decomposerENS1_16block_id_wrapperIjLb0EEEEE10hipError_tT1_PNSt15iterator_traitsISI_E10value_typeET2_T3_PNSJ_ISO_E10value_typeET4_T5_PST_SU_PNS1_23onesweep_lookback_stateEbbT6_jjT7_P12ihipStream_tbENKUlT_T0_SI_SN_E_clISD_SD_SD_SD_EEDaS11_S12_SI_SN_EUlS11_E_NS1_11comp_targetILNS1_3genE9ELNS1_11target_archE1100ELNS1_3gpuE3ELNS1_3repE0EEENS1_47radix_sort_onesweep_sort_config_static_selectorELNS0_4arch9wavefront6targetE1EEEvSI_,"axG",@progbits,_ZN7rocprim17ROCPRIM_400000_NS6detail17trampoline_kernelINS0_14default_configENS1_35radix_sort_onesweep_config_selectorIiiEEZZNS1_29radix_sort_onesweep_iterationIS3_Lb1EN6thrust23THRUST_200600_302600_NS6detail15normal_iteratorINS8_10device_ptrIiEEEESD_SD_SD_jNS0_19identity_decomposerENS1_16block_id_wrapperIjLb0EEEEE10hipError_tT1_PNSt15iterator_traitsISI_E10value_typeET2_T3_PNSJ_ISO_E10value_typeET4_T5_PST_SU_PNS1_23onesweep_lookback_stateEbbT6_jjT7_P12ihipStream_tbENKUlT_T0_SI_SN_E_clISD_SD_SD_SD_EEDaS11_S12_SI_SN_EUlS11_E_NS1_11comp_targetILNS1_3genE9ELNS1_11target_archE1100ELNS1_3gpuE3ELNS1_3repE0EEENS1_47radix_sort_onesweep_sort_config_static_selectorELNS0_4arch9wavefront6targetE1EEEvSI_,comdat
	.protected	_ZN7rocprim17ROCPRIM_400000_NS6detail17trampoline_kernelINS0_14default_configENS1_35radix_sort_onesweep_config_selectorIiiEEZZNS1_29radix_sort_onesweep_iterationIS3_Lb1EN6thrust23THRUST_200600_302600_NS6detail15normal_iteratorINS8_10device_ptrIiEEEESD_SD_SD_jNS0_19identity_decomposerENS1_16block_id_wrapperIjLb0EEEEE10hipError_tT1_PNSt15iterator_traitsISI_E10value_typeET2_T3_PNSJ_ISO_E10value_typeET4_T5_PST_SU_PNS1_23onesweep_lookback_stateEbbT6_jjT7_P12ihipStream_tbENKUlT_T0_SI_SN_E_clISD_SD_SD_SD_EEDaS11_S12_SI_SN_EUlS11_E_NS1_11comp_targetILNS1_3genE9ELNS1_11target_archE1100ELNS1_3gpuE3ELNS1_3repE0EEENS1_47radix_sort_onesweep_sort_config_static_selectorELNS0_4arch9wavefront6targetE1EEEvSI_ ; -- Begin function _ZN7rocprim17ROCPRIM_400000_NS6detail17trampoline_kernelINS0_14default_configENS1_35radix_sort_onesweep_config_selectorIiiEEZZNS1_29radix_sort_onesweep_iterationIS3_Lb1EN6thrust23THRUST_200600_302600_NS6detail15normal_iteratorINS8_10device_ptrIiEEEESD_SD_SD_jNS0_19identity_decomposerENS1_16block_id_wrapperIjLb0EEEEE10hipError_tT1_PNSt15iterator_traitsISI_E10value_typeET2_T3_PNSJ_ISO_E10value_typeET4_T5_PST_SU_PNS1_23onesweep_lookback_stateEbbT6_jjT7_P12ihipStream_tbENKUlT_T0_SI_SN_E_clISD_SD_SD_SD_EEDaS11_S12_SI_SN_EUlS11_E_NS1_11comp_targetILNS1_3genE9ELNS1_11target_archE1100ELNS1_3gpuE3ELNS1_3repE0EEENS1_47radix_sort_onesweep_sort_config_static_selectorELNS0_4arch9wavefront6targetE1EEEvSI_
	.globl	_ZN7rocprim17ROCPRIM_400000_NS6detail17trampoline_kernelINS0_14default_configENS1_35radix_sort_onesweep_config_selectorIiiEEZZNS1_29radix_sort_onesweep_iterationIS3_Lb1EN6thrust23THRUST_200600_302600_NS6detail15normal_iteratorINS8_10device_ptrIiEEEESD_SD_SD_jNS0_19identity_decomposerENS1_16block_id_wrapperIjLb0EEEEE10hipError_tT1_PNSt15iterator_traitsISI_E10value_typeET2_T3_PNSJ_ISO_E10value_typeET4_T5_PST_SU_PNS1_23onesweep_lookback_stateEbbT6_jjT7_P12ihipStream_tbENKUlT_T0_SI_SN_E_clISD_SD_SD_SD_EEDaS11_S12_SI_SN_EUlS11_E_NS1_11comp_targetILNS1_3genE9ELNS1_11target_archE1100ELNS1_3gpuE3ELNS1_3repE0EEENS1_47radix_sort_onesweep_sort_config_static_selectorELNS0_4arch9wavefront6targetE1EEEvSI_
	.p2align	8
	.type	_ZN7rocprim17ROCPRIM_400000_NS6detail17trampoline_kernelINS0_14default_configENS1_35radix_sort_onesweep_config_selectorIiiEEZZNS1_29radix_sort_onesweep_iterationIS3_Lb1EN6thrust23THRUST_200600_302600_NS6detail15normal_iteratorINS8_10device_ptrIiEEEESD_SD_SD_jNS0_19identity_decomposerENS1_16block_id_wrapperIjLb0EEEEE10hipError_tT1_PNSt15iterator_traitsISI_E10value_typeET2_T3_PNSJ_ISO_E10value_typeET4_T5_PST_SU_PNS1_23onesweep_lookback_stateEbbT6_jjT7_P12ihipStream_tbENKUlT_T0_SI_SN_E_clISD_SD_SD_SD_EEDaS11_S12_SI_SN_EUlS11_E_NS1_11comp_targetILNS1_3genE9ELNS1_11target_archE1100ELNS1_3gpuE3ELNS1_3repE0EEENS1_47radix_sort_onesweep_sort_config_static_selectorELNS0_4arch9wavefront6targetE1EEEvSI_,@function
_ZN7rocprim17ROCPRIM_400000_NS6detail17trampoline_kernelINS0_14default_configENS1_35radix_sort_onesweep_config_selectorIiiEEZZNS1_29radix_sort_onesweep_iterationIS3_Lb1EN6thrust23THRUST_200600_302600_NS6detail15normal_iteratorINS8_10device_ptrIiEEEESD_SD_SD_jNS0_19identity_decomposerENS1_16block_id_wrapperIjLb0EEEEE10hipError_tT1_PNSt15iterator_traitsISI_E10value_typeET2_T3_PNSJ_ISO_E10value_typeET4_T5_PST_SU_PNS1_23onesweep_lookback_stateEbbT6_jjT7_P12ihipStream_tbENKUlT_T0_SI_SN_E_clISD_SD_SD_SD_EEDaS11_S12_SI_SN_EUlS11_E_NS1_11comp_targetILNS1_3genE9ELNS1_11target_archE1100ELNS1_3gpuE3ELNS1_3repE0EEENS1_47radix_sort_onesweep_sort_config_static_selectorELNS0_4arch9wavefront6targetE1EEEvSI_: ; @_ZN7rocprim17ROCPRIM_400000_NS6detail17trampoline_kernelINS0_14default_configENS1_35radix_sort_onesweep_config_selectorIiiEEZZNS1_29radix_sort_onesweep_iterationIS3_Lb1EN6thrust23THRUST_200600_302600_NS6detail15normal_iteratorINS8_10device_ptrIiEEEESD_SD_SD_jNS0_19identity_decomposerENS1_16block_id_wrapperIjLb0EEEEE10hipError_tT1_PNSt15iterator_traitsISI_E10value_typeET2_T3_PNSJ_ISO_E10value_typeET4_T5_PST_SU_PNS1_23onesweep_lookback_stateEbbT6_jjT7_P12ihipStream_tbENKUlT_T0_SI_SN_E_clISD_SD_SD_SD_EEDaS11_S12_SI_SN_EUlS11_E_NS1_11comp_targetILNS1_3genE9ELNS1_11target_archE1100ELNS1_3gpuE3ELNS1_3repE0EEENS1_47radix_sort_onesweep_sort_config_static_selectorELNS0_4arch9wavefront6targetE1EEEvSI_
; %bb.0:
	.section	.rodata,"a",@progbits
	.p2align	6, 0x0
	.amdhsa_kernel _ZN7rocprim17ROCPRIM_400000_NS6detail17trampoline_kernelINS0_14default_configENS1_35radix_sort_onesweep_config_selectorIiiEEZZNS1_29radix_sort_onesweep_iterationIS3_Lb1EN6thrust23THRUST_200600_302600_NS6detail15normal_iteratorINS8_10device_ptrIiEEEESD_SD_SD_jNS0_19identity_decomposerENS1_16block_id_wrapperIjLb0EEEEE10hipError_tT1_PNSt15iterator_traitsISI_E10value_typeET2_T3_PNSJ_ISO_E10value_typeET4_T5_PST_SU_PNS1_23onesweep_lookback_stateEbbT6_jjT7_P12ihipStream_tbENKUlT_T0_SI_SN_E_clISD_SD_SD_SD_EEDaS11_S12_SI_SN_EUlS11_E_NS1_11comp_targetILNS1_3genE9ELNS1_11target_archE1100ELNS1_3gpuE3ELNS1_3repE0EEENS1_47radix_sort_onesweep_sort_config_static_selectorELNS0_4arch9wavefront6targetE1EEEvSI_
		.amdhsa_group_segment_fixed_size 0
		.amdhsa_private_segment_fixed_size 0
		.amdhsa_kernarg_size 88
		.amdhsa_user_sgpr_count 2
		.amdhsa_user_sgpr_dispatch_ptr 0
		.amdhsa_user_sgpr_queue_ptr 0
		.amdhsa_user_sgpr_kernarg_segment_ptr 1
		.amdhsa_user_sgpr_dispatch_id 0
		.amdhsa_user_sgpr_kernarg_preload_length 0
		.amdhsa_user_sgpr_kernarg_preload_offset 0
		.amdhsa_user_sgpr_private_segment_size 0
		.amdhsa_uses_dynamic_stack 0
		.amdhsa_enable_private_segment 0
		.amdhsa_system_sgpr_workgroup_id_x 1
		.amdhsa_system_sgpr_workgroup_id_y 0
		.amdhsa_system_sgpr_workgroup_id_z 0
		.amdhsa_system_sgpr_workgroup_info 0
		.amdhsa_system_vgpr_workitem_id 0
		.amdhsa_next_free_vgpr 1
		.amdhsa_next_free_sgpr 0
		.amdhsa_accum_offset 4
		.amdhsa_reserve_vcc 0
		.amdhsa_float_round_mode_32 0
		.amdhsa_float_round_mode_16_64 0
		.amdhsa_float_denorm_mode_32 3
		.amdhsa_float_denorm_mode_16_64 3
		.amdhsa_dx10_clamp 1
		.amdhsa_ieee_mode 1
		.amdhsa_fp16_overflow 0
		.amdhsa_tg_split 0
		.amdhsa_exception_fp_ieee_invalid_op 0
		.amdhsa_exception_fp_denorm_src 0
		.amdhsa_exception_fp_ieee_div_zero 0
		.amdhsa_exception_fp_ieee_overflow 0
		.amdhsa_exception_fp_ieee_underflow 0
		.amdhsa_exception_fp_ieee_inexact 0
		.amdhsa_exception_int_div_zero 0
	.end_amdhsa_kernel
	.section	.text._ZN7rocprim17ROCPRIM_400000_NS6detail17trampoline_kernelINS0_14default_configENS1_35radix_sort_onesweep_config_selectorIiiEEZZNS1_29radix_sort_onesweep_iterationIS3_Lb1EN6thrust23THRUST_200600_302600_NS6detail15normal_iteratorINS8_10device_ptrIiEEEESD_SD_SD_jNS0_19identity_decomposerENS1_16block_id_wrapperIjLb0EEEEE10hipError_tT1_PNSt15iterator_traitsISI_E10value_typeET2_T3_PNSJ_ISO_E10value_typeET4_T5_PST_SU_PNS1_23onesweep_lookback_stateEbbT6_jjT7_P12ihipStream_tbENKUlT_T0_SI_SN_E_clISD_SD_SD_SD_EEDaS11_S12_SI_SN_EUlS11_E_NS1_11comp_targetILNS1_3genE9ELNS1_11target_archE1100ELNS1_3gpuE3ELNS1_3repE0EEENS1_47radix_sort_onesweep_sort_config_static_selectorELNS0_4arch9wavefront6targetE1EEEvSI_,"axG",@progbits,_ZN7rocprim17ROCPRIM_400000_NS6detail17trampoline_kernelINS0_14default_configENS1_35radix_sort_onesweep_config_selectorIiiEEZZNS1_29radix_sort_onesweep_iterationIS3_Lb1EN6thrust23THRUST_200600_302600_NS6detail15normal_iteratorINS8_10device_ptrIiEEEESD_SD_SD_jNS0_19identity_decomposerENS1_16block_id_wrapperIjLb0EEEEE10hipError_tT1_PNSt15iterator_traitsISI_E10value_typeET2_T3_PNSJ_ISO_E10value_typeET4_T5_PST_SU_PNS1_23onesweep_lookback_stateEbbT6_jjT7_P12ihipStream_tbENKUlT_T0_SI_SN_E_clISD_SD_SD_SD_EEDaS11_S12_SI_SN_EUlS11_E_NS1_11comp_targetILNS1_3genE9ELNS1_11target_archE1100ELNS1_3gpuE3ELNS1_3repE0EEENS1_47radix_sort_onesweep_sort_config_static_selectorELNS0_4arch9wavefront6targetE1EEEvSI_,comdat
.Lfunc_end1033:
	.size	_ZN7rocprim17ROCPRIM_400000_NS6detail17trampoline_kernelINS0_14default_configENS1_35radix_sort_onesweep_config_selectorIiiEEZZNS1_29radix_sort_onesweep_iterationIS3_Lb1EN6thrust23THRUST_200600_302600_NS6detail15normal_iteratorINS8_10device_ptrIiEEEESD_SD_SD_jNS0_19identity_decomposerENS1_16block_id_wrapperIjLb0EEEEE10hipError_tT1_PNSt15iterator_traitsISI_E10value_typeET2_T3_PNSJ_ISO_E10value_typeET4_T5_PST_SU_PNS1_23onesweep_lookback_stateEbbT6_jjT7_P12ihipStream_tbENKUlT_T0_SI_SN_E_clISD_SD_SD_SD_EEDaS11_S12_SI_SN_EUlS11_E_NS1_11comp_targetILNS1_3genE9ELNS1_11target_archE1100ELNS1_3gpuE3ELNS1_3repE0EEENS1_47radix_sort_onesweep_sort_config_static_selectorELNS0_4arch9wavefront6targetE1EEEvSI_, .Lfunc_end1033-_ZN7rocprim17ROCPRIM_400000_NS6detail17trampoline_kernelINS0_14default_configENS1_35radix_sort_onesweep_config_selectorIiiEEZZNS1_29radix_sort_onesweep_iterationIS3_Lb1EN6thrust23THRUST_200600_302600_NS6detail15normal_iteratorINS8_10device_ptrIiEEEESD_SD_SD_jNS0_19identity_decomposerENS1_16block_id_wrapperIjLb0EEEEE10hipError_tT1_PNSt15iterator_traitsISI_E10value_typeET2_T3_PNSJ_ISO_E10value_typeET4_T5_PST_SU_PNS1_23onesweep_lookback_stateEbbT6_jjT7_P12ihipStream_tbENKUlT_T0_SI_SN_E_clISD_SD_SD_SD_EEDaS11_S12_SI_SN_EUlS11_E_NS1_11comp_targetILNS1_3genE9ELNS1_11target_archE1100ELNS1_3gpuE3ELNS1_3repE0EEENS1_47radix_sort_onesweep_sort_config_static_selectorELNS0_4arch9wavefront6targetE1EEEvSI_
                                        ; -- End function
	.set _ZN7rocprim17ROCPRIM_400000_NS6detail17trampoline_kernelINS0_14default_configENS1_35radix_sort_onesweep_config_selectorIiiEEZZNS1_29radix_sort_onesweep_iterationIS3_Lb1EN6thrust23THRUST_200600_302600_NS6detail15normal_iteratorINS8_10device_ptrIiEEEESD_SD_SD_jNS0_19identity_decomposerENS1_16block_id_wrapperIjLb0EEEEE10hipError_tT1_PNSt15iterator_traitsISI_E10value_typeET2_T3_PNSJ_ISO_E10value_typeET4_T5_PST_SU_PNS1_23onesweep_lookback_stateEbbT6_jjT7_P12ihipStream_tbENKUlT_T0_SI_SN_E_clISD_SD_SD_SD_EEDaS11_S12_SI_SN_EUlS11_E_NS1_11comp_targetILNS1_3genE9ELNS1_11target_archE1100ELNS1_3gpuE3ELNS1_3repE0EEENS1_47radix_sort_onesweep_sort_config_static_selectorELNS0_4arch9wavefront6targetE1EEEvSI_.num_vgpr, 0
	.set _ZN7rocprim17ROCPRIM_400000_NS6detail17trampoline_kernelINS0_14default_configENS1_35radix_sort_onesweep_config_selectorIiiEEZZNS1_29radix_sort_onesweep_iterationIS3_Lb1EN6thrust23THRUST_200600_302600_NS6detail15normal_iteratorINS8_10device_ptrIiEEEESD_SD_SD_jNS0_19identity_decomposerENS1_16block_id_wrapperIjLb0EEEEE10hipError_tT1_PNSt15iterator_traitsISI_E10value_typeET2_T3_PNSJ_ISO_E10value_typeET4_T5_PST_SU_PNS1_23onesweep_lookback_stateEbbT6_jjT7_P12ihipStream_tbENKUlT_T0_SI_SN_E_clISD_SD_SD_SD_EEDaS11_S12_SI_SN_EUlS11_E_NS1_11comp_targetILNS1_3genE9ELNS1_11target_archE1100ELNS1_3gpuE3ELNS1_3repE0EEENS1_47radix_sort_onesweep_sort_config_static_selectorELNS0_4arch9wavefront6targetE1EEEvSI_.num_agpr, 0
	.set _ZN7rocprim17ROCPRIM_400000_NS6detail17trampoline_kernelINS0_14default_configENS1_35radix_sort_onesweep_config_selectorIiiEEZZNS1_29radix_sort_onesweep_iterationIS3_Lb1EN6thrust23THRUST_200600_302600_NS6detail15normal_iteratorINS8_10device_ptrIiEEEESD_SD_SD_jNS0_19identity_decomposerENS1_16block_id_wrapperIjLb0EEEEE10hipError_tT1_PNSt15iterator_traitsISI_E10value_typeET2_T3_PNSJ_ISO_E10value_typeET4_T5_PST_SU_PNS1_23onesweep_lookback_stateEbbT6_jjT7_P12ihipStream_tbENKUlT_T0_SI_SN_E_clISD_SD_SD_SD_EEDaS11_S12_SI_SN_EUlS11_E_NS1_11comp_targetILNS1_3genE9ELNS1_11target_archE1100ELNS1_3gpuE3ELNS1_3repE0EEENS1_47radix_sort_onesweep_sort_config_static_selectorELNS0_4arch9wavefront6targetE1EEEvSI_.numbered_sgpr, 0
	.set _ZN7rocprim17ROCPRIM_400000_NS6detail17trampoline_kernelINS0_14default_configENS1_35radix_sort_onesweep_config_selectorIiiEEZZNS1_29radix_sort_onesweep_iterationIS3_Lb1EN6thrust23THRUST_200600_302600_NS6detail15normal_iteratorINS8_10device_ptrIiEEEESD_SD_SD_jNS0_19identity_decomposerENS1_16block_id_wrapperIjLb0EEEEE10hipError_tT1_PNSt15iterator_traitsISI_E10value_typeET2_T3_PNSJ_ISO_E10value_typeET4_T5_PST_SU_PNS1_23onesweep_lookback_stateEbbT6_jjT7_P12ihipStream_tbENKUlT_T0_SI_SN_E_clISD_SD_SD_SD_EEDaS11_S12_SI_SN_EUlS11_E_NS1_11comp_targetILNS1_3genE9ELNS1_11target_archE1100ELNS1_3gpuE3ELNS1_3repE0EEENS1_47radix_sort_onesweep_sort_config_static_selectorELNS0_4arch9wavefront6targetE1EEEvSI_.num_named_barrier, 0
	.set _ZN7rocprim17ROCPRIM_400000_NS6detail17trampoline_kernelINS0_14default_configENS1_35radix_sort_onesweep_config_selectorIiiEEZZNS1_29radix_sort_onesweep_iterationIS3_Lb1EN6thrust23THRUST_200600_302600_NS6detail15normal_iteratorINS8_10device_ptrIiEEEESD_SD_SD_jNS0_19identity_decomposerENS1_16block_id_wrapperIjLb0EEEEE10hipError_tT1_PNSt15iterator_traitsISI_E10value_typeET2_T3_PNSJ_ISO_E10value_typeET4_T5_PST_SU_PNS1_23onesweep_lookback_stateEbbT6_jjT7_P12ihipStream_tbENKUlT_T0_SI_SN_E_clISD_SD_SD_SD_EEDaS11_S12_SI_SN_EUlS11_E_NS1_11comp_targetILNS1_3genE9ELNS1_11target_archE1100ELNS1_3gpuE3ELNS1_3repE0EEENS1_47radix_sort_onesweep_sort_config_static_selectorELNS0_4arch9wavefront6targetE1EEEvSI_.private_seg_size, 0
	.set _ZN7rocprim17ROCPRIM_400000_NS6detail17trampoline_kernelINS0_14default_configENS1_35radix_sort_onesweep_config_selectorIiiEEZZNS1_29radix_sort_onesweep_iterationIS3_Lb1EN6thrust23THRUST_200600_302600_NS6detail15normal_iteratorINS8_10device_ptrIiEEEESD_SD_SD_jNS0_19identity_decomposerENS1_16block_id_wrapperIjLb0EEEEE10hipError_tT1_PNSt15iterator_traitsISI_E10value_typeET2_T3_PNSJ_ISO_E10value_typeET4_T5_PST_SU_PNS1_23onesweep_lookback_stateEbbT6_jjT7_P12ihipStream_tbENKUlT_T0_SI_SN_E_clISD_SD_SD_SD_EEDaS11_S12_SI_SN_EUlS11_E_NS1_11comp_targetILNS1_3genE9ELNS1_11target_archE1100ELNS1_3gpuE3ELNS1_3repE0EEENS1_47radix_sort_onesweep_sort_config_static_selectorELNS0_4arch9wavefront6targetE1EEEvSI_.uses_vcc, 0
	.set _ZN7rocprim17ROCPRIM_400000_NS6detail17trampoline_kernelINS0_14default_configENS1_35radix_sort_onesweep_config_selectorIiiEEZZNS1_29radix_sort_onesweep_iterationIS3_Lb1EN6thrust23THRUST_200600_302600_NS6detail15normal_iteratorINS8_10device_ptrIiEEEESD_SD_SD_jNS0_19identity_decomposerENS1_16block_id_wrapperIjLb0EEEEE10hipError_tT1_PNSt15iterator_traitsISI_E10value_typeET2_T3_PNSJ_ISO_E10value_typeET4_T5_PST_SU_PNS1_23onesweep_lookback_stateEbbT6_jjT7_P12ihipStream_tbENKUlT_T0_SI_SN_E_clISD_SD_SD_SD_EEDaS11_S12_SI_SN_EUlS11_E_NS1_11comp_targetILNS1_3genE9ELNS1_11target_archE1100ELNS1_3gpuE3ELNS1_3repE0EEENS1_47radix_sort_onesweep_sort_config_static_selectorELNS0_4arch9wavefront6targetE1EEEvSI_.uses_flat_scratch, 0
	.set _ZN7rocprim17ROCPRIM_400000_NS6detail17trampoline_kernelINS0_14default_configENS1_35radix_sort_onesweep_config_selectorIiiEEZZNS1_29radix_sort_onesweep_iterationIS3_Lb1EN6thrust23THRUST_200600_302600_NS6detail15normal_iteratorINS8_10device_ptrIiEEEESD_SD_SD_jNS0_19identity_decomposerENS1_16block_id_wrapperIjLb0EEEEE10hipError_tT1_PNSt15iterator_traitsISI_E10value_typeET2_T3_PNSJ_ISO_E10value_typeET4_T5_PST_SU_PNS1_23onesweep_lookback_stateEbbT6_jjT7_P12ihipStream_tbENKUlT_T0_SI_SN_E_clISD_SD_SD_SD_EEDaS11_S12_SI_SN_EUlS11_E_NS1_11comp_targetILNS1_3genE9ELNS1_11target_archE1100ELNS1_3gpuE3ELNS1_3repE0EEENS1_47radix_sort_onesweep_sort_config_static_selectorELNS0_4arch9wavefront6targetE1EEEvSI_.has_dyn_sized_stack, 0
	.set _ZN7rocprim17ROCPRIM_400000_NS6detail17trampoline_kernelINS0_14default_configENS1_35radix_sort_onesweep_config_selectorIiiEEZZNS1_29radix_sort_onesweep_iterationIS3_Lb1EN6thrust23THRUST_200600_302600_NS6detail15normal_iteratorINS8_10device_ptrIiEEEESD_SD_SD_jNS0_19identity_decomposerENS1_16block_id_wrapperIjLb0EEEEE10hipError_tT1_PNSt15iterator_traitsISI_E10value_typeET2_T3_PNSJ_ISO_E10value_typeET4_T5_PST_SU_PNS1_23onesweep_lookback_stateEbbT6_jjT7_P12ihipStream_tbENKUlT_T0_SI_SN_E_clISD_SD_SD_SD_EEDaS11_S12_SI_SN_EUlS11_E_NS1_11comp_targetILNS1_3genE9ELNS1_11target_archE1100ELNS1_3gpuE3ELNS1_3repE0EEENS1_47radix_sort_onesweep_sort_config_static_selectorELNS0_4arch9wavefront6targetE1EEEvSI_.has_recursion, 0
	.set _ZN7rocprim17ROCPRIM_400000_NS6detail17trampoline_kernelINS0_14default_configENS1_35radix_sort_onesweep_config_selectorIiiEEZZNS1_29radix_sort_onesweep_iterationIS3_Lb1EN6thrust23THRUST_200600_302600_NS6detail15normal_iteratorINS8_10device_ptrIiEEEESD_SD_SD_jNS0_19identity_decomposerENS1_16block_id_wrapperIjLb0EEEEE10hipError_tT1_PNSt15iterator_traitsISI_E10value_typeET2_T3_PNSJ_ISO_E10value_typeET4_T5_PST_SU_PNS1_23onesweep_lookback_stateEbbT6_jjT7_P12ihipStream_tbENKUlT_T0_SI_SN_E_clISD_SD_SD_SD_EEDaS11_S12_SI_SN_EUlS11_E_NS1_11comp_targetILNS1_3genE9ELNS1_11target_archE1100ELNS1_3gpuE3ELNS1_3repE0EEENS1_47radix_sort_onesweep_sort_config_static_selectorELNS0_4arch9wavefront6targetE1EEEvSI_.has_indirect_call, 0
	.section	.AMDGPU.csdata,"",@progbits
; Kernel info:
; codeLenInByte = 0
; TotalNumSgprs: 6
; NumVgprs: 0
; NumAgprs: 0
; TotalNumVgprs: 0
; ScratchSize: 0
; MemoryBound: 0
; FloatMode: 240
; IeeeMode: 1
; LDSByteSize: 0 bytes/workgroup (compile time only)
; SGPRBlocks: 0
; VGPRBlocks: 0
; NumSGPRsForWavesPerEU: 6
; NumVGPRsForWavesPerEU: 1
; AccumOffset: 4
; Occupancy: 8
; WaveLimiterHint : 0
; COMPUTE_PGM_RSRC2:SCRATCH_EN: 0
; COMPUTE_PGM_RSRC2:USER_SGPR: 2
; COMPUTE_PGM_RSRC2:TRAP_HANDLER: 0
; COMPUTE_PGM_RSRC2:TGID_X_EN: 1
; COMPUTE_PGM_RSRC2:TGID_Y_EN: 0
; COMPUTE_PGM_RSRC2:TGID_Z_EN: 0
; COMPUTE_PGM_RSRC2:TIDIG_COMP_CNT: 0
; COMPUTE_PGM_RSRC3_GFX90A:ACCUM_OFFSET: 0
; COMPUTE_PGM_RSRC3_GFX90A:TG_SPLIT: 0
	.section	.text._ZN7rocprim17ROCPRIM_400000_NS6detail17trampoline_kernelINS0_14default_configENS1_35radix_sort_onesweep_config_selectorIiiEEZZNS1_29radix_sort_onesweep_iterationIS3_Lb1EN6thrust23THRUST_200600_302600_NS6detail15normal_iteratorINS8_10device_ptrIiEEEESD_SD_SD_jNS0_19identity_decomposerENS1_16block_id_wrapperIjLb0EEEEE10hipError_tT1_PNSt15iterator_traitsISI_E10value_typeET2_T3_PNSJ_ISO_E10value_typeET4_T5_PST_SU_PNS1_23onesweep_lookback_stateEbbT6_jjT7_P12ihipStream_tbENKUlT_T0_SI_SN_E_clISD_SD_SD_SD_EEDaS11_S12_SI_SN_EUlS11_E_NS1_11comp_targetILNS1_3genE8ELNS1_11target_archE1030ELNS1_3gpuE2ELNS1_3repE0EEENS1_47radix_sort_onesweep_sort_config_static_selectorELNS0_4arch9wavefront6targetE1EEEvSI_,"axG",@progbits,_ZN7rocprim17ROCPRIM_400000_NS6detail17trampoline_kernelINS0_14default_configENS1_35radix_sort_onesweep_config_selectorIiiEEZZNS1_29radix_sort_onesweep_iterationIS3_Lb1EN6thrust23THRUST_200600_302600_NS6detail15normal_iteratorINS8_10device_ptrIiEEEESD_SD_SD_jNS0_19identity_decomposerENS1_16block_id_wrapperIjLb0EEEEE10hipError_tT1_PNSt15iterator_traitsISI_E10value_typeET2_T3_PNSJ_ISO_E10value_typeET4_T5_PST_SU_PNS1_23onesweep_lookback_stateEbbT6_jjT7_P12ihipStream_tbENKUlT_T0_SI_SN_E_clISD_SD_SD_SD_EEDaS11_S12_SI_SN_EUlS11_E_NS1_11comp_targetILNS1_3genE8ELNS1_11target_archE1030ELNS1_3gpuE2ELNS1_3repE0EEENS1_47radix_sort_onesweep_sort_config_static_selectorELNS0_4arch9wavefront6targetE1EEEvSI_,comdat
	.protected	_ZN7rocprim17ROCPRIM_400000_NS6detail17trampoline_kernelINS0_14default_configENS1_35radix_sort_onesweep_config_selectorIiiEEZZNS1_29radix_sort_onesweep_iterationIS3_Lb1EN6thrust23THRUST_200600_302600_NS6detail15normal_iteratorINS8_10device_ptrIiEEEESD_SD_SD_jNS0_19identity_decomposerENS1_16block_id_wrapperIjLb0EEEEE10hipError_tT1_PNSt15iterator_traitsISI_E10value_typeET2_T3_PNSJ_ISO_E10value_typeET4_T5_PST_SU_PNS1_23onesweep_lookback_stateEbbT6_jjT7_P12ihipStream_tbENKUlT_T0_SI_SN_E_clISD_SD_SD_SD_EEDaS11_S12_SI_SN_EUlS11_E_NS1_11comp_targetILNS1_3genE8ELNS1_11target_archE1030ELNS1_3gpuE2ELNS1_3repE0EEENS1_47radix_sort_onesweep_sort_config_static_selectorELNS0_4arch9wavefront6targetE1EEEvSI_ ; -- Begin function _ZN7rocprim17ROCPRIM_400000_NS6detail17trampoline_kernelINS0_14default_configENS1_35radix_sort_onesweep_config_selectorIiiEEZZNS1_29radix_sort_onesweep_iterationIS3_Lb1EN6thrust23THRUST_200600_302600_NS6detail15normal_iteratorINS8_10device_ptrIiEEEESD_SD_SD_jNS0_19identity_decomposerENS1_16block_id_wrapperIjLb0EEEEE10hipError_tT1_PNSt15iterator_traitsISI_E10value_typeET2_T3_PNSJ_ISO_E10value_typeET4_T5_PST_SU_PNS1_23onesweep_lookback_stateEbbT6_jjT7_P12ihipStream_tbENKUlT_T0_SI_SN_E_clISD_SD_SD_SD_EEDaS11_S12_SI_SN_EUlS11_E_NS1_11comp_targetILNS1_3genE8ELNS1_11target_archE1030ELNS1_3gpuE2ELNS1_3repE0EEENS1_47radix_sort_onesweep_sort_config_static_selectorELNS0_4arch9wavefront6targetE1EEEvSI_
	.globl	_ZN7rocprim17ROCPRIM_400000_NS6detail17trampoline_kernelINS0_14default_configENS1_35radix_sort_onesweep_config_selectorIiiEEZZNS1_29radix_sort_onesweep_iterationIS3_Lb1EN6thrust23THRUST_200600_302600_NS6detail15normal_iteratorINS8_10device_ptrIiEEEESD_SD_SD_jNS0_19identity_decomposerENS1_16block_id_wrapperIjLb0EEEEE10hipError_tT1_PNSt15iterator_traitsISI_E10value_typeET2_T3_PNSJ_ISO_E10value_typeET4_T5_PST_SU_PNS1_23onesweep_lookback_stateEbbT6_jjT7_P12ihipStream_tbENKUlT_T0_SI_SN_E_clISD_SD_SD_SD_EEDaS11_S12_SI_SN_EUlS11_E_NS1_11comp_targetILNS1_3genE8ELNS1_11target_archE1030ELNS1_3gpuE2ELNS1_3repE0EEENS1_47radix_sort_onesweep_sort_config_static_selectorELNS0_4arch9wavefront6targetE1EEEvSI_
	.p2align	8
	.type	_ZN7rocprim17ROCPRIM_400000_NS6detail17trampoline_kernelINS0_14default_configENS1_35radix_sort_onesweep_config_selectorIiiEEZZNS1_29radix_sort_onesweep_iterationIS3_Lb1EN6thrust23THRUST_200600_302600_NS6detail15normal_iteratorINS8_10device_ptrIiEEEESD_SD_SD_jNS0_19identity_decomposerENS1_16block_id_wrapperIjLb0EEEEE10hipError_tT1_PNSt15iterator_traitsISI_E10value_typeET2_T3_PNSJ_ISO_E10value_typeET4_T5_PST_SU_PNS1_23onesweep_lookback_stateEbbT6_jjT7_P12ihipStream_tbENKUlT_T0_SI_SN_E_clISD_SD_SD_SD_EEDaS11_S12_SI_SN_EUlS11_E_NS1_11comp_targetILNS1_3genE8ELNS1_11target_archE1030ELNS1_3gpuE2ELNS1_3repE0EEENS1_47radix_sort_onesweep_sort_config_static_selectorELNS0_4arch9wavefront6targetE1EEEvSI_,@function
_ZN7rocprim17ROCPRIM_400000_NS6detail17trampoline_kernelINS0_14default_configENS1_35radix_sort_onesweep_config_selectorIiiEEZZNS1_29radix_sort_onesweep_iterationIS3_Lb1EN6thrust23THRUST_200600_302600_NS6detail15normal_iteratorINS8_10device_ptrIiEEEESD_SD_SD_jNS0_19identity_decomposerENS1_16block_id_wrapperIjLb0EEEEE10hipError_tT1_PNSt15iterator_traitsISI_E10value_typeET2_T3_PNSJ_ISO_E10value_typeET4_T5_PST_SU_PNS1_23onesweep_lookback_stateEbbT6_jjT7_P12ihipStream_tbENKUlT_T0_SI_SN_E_clISD_SD_SD_SD_EEDaS11_S12_SI_SN_EUlS11_E_NS1_11comp_targetILNS1_3genE8ELNS1_11target_archE1030ELNS1_3gpuE2ELNS1_3repE0EEENS1_47radix_sort_onesweep_sort_config_static_selectorELNS0_4arch9wavefront6targetE1EEEvSI_: ; @_ZN7rocprim17ROCPRIM_400000_NS6detail17trampoline_kernelINS0_14default_configENS1_35radix_sort_onesweep_config_selectorIiiEEZZNS1_29radix_sort_onesweep_iterationIS3_Lb1EN6thrust23THRUST_200600_302600_NS6detail15normal_iteratorINS8_10device_ptrIiEEEESD_SD_SD_jNS0_19identity_decomposerENS1_16block_id_wrapperIjLb0EEEEE10hipError_tT1_PNSt15iterator_traitsISI_E10value_typeET2_T3_PNSJ_ISO_E10value_typeET4_T5_PST_SU_PNS1_23onesweep_lookback_stateEbbT6_jjT7_P12ihipStream_tbENKUlT_T0_SI_SN_E_clISD_SD_SD_SD_EEDaS11_S12_SI_SN_EUlS11_E_NS1_11comp_targetILNS1_3genE8ELNS1_11target_archE1030ELNS1_3gpuE2ELNS1_3repE0EEENS1_47radix_sort_onesweep_sort_config_static_selectorELNS0_4arch9wavefront6targetE1EEEvSI_
; %bb.0:
	.section	.rodata,"a",@progbits
	.p2align	6, 0x0
	.amdhsa_kernel _ZN7rocprim17ROCPRIM_400000_NS6detail17trampoline_kernelINS0_14default_configENS1_35radix_sort_onesweep_config_selectorIiiEEZZNS1_29radix_sort_onesweep_iterationIS3_Lb1EN6thrust23THRUST_200600_302600_NS6detail15normal_iteratorINS8_10device_ptrIiEEEESD_SD_SD_jNS0_19identity_decomposerENS1_16block_id_wrapperIjLb0EEEEE10hipError_tT1_PNSt15iterator_traitsISI_E10value_typeET2_T3_PNSJ_ISO_E10value_typeET4_T5_PST_SU_PNS1_23onesweep_lookback_stateEbbT6_jjT7_P12ihipStream_tbENKUlT_T0_SI_SN_E_clISD_SD_SD_SD_EEDaS11_S12_SI_SN_EUlS11_E_NS1_11comp_targetILNS1_3genE8ELNS1_11target_archE1030ELNS1_3gpuE2ELNS1_3repE0EEENS1_47radix_sort_onesweep_sort_config_static_selectorELNS0_4arch9wavefront6targetE1EEEvSI_
		.amdhsa_group_segment_fixed_size 0
		.amdhsa_private_segment_fixed_size 0
		.amdhsa_kernarg_size 88
		.amdhsa_user_sgpr_count 2
		.amdhsa_user_sgpr_dispatch_ptr 0
		.amdhsa_user_sgpr_queue_ptr 0
		.amdhsa_user_sgpr_kernarg_segment_ptr 1
		.amdhsa_user_sgpr_dispatch_id 0
		.amdhsa_user_sgpr_kernarg_preload_length 0
		.amdhsa_user_sgpr_kernarg_preload_offset 0
		.amdhsa_user_sgpr_private_segment_size 0
		.amdhsa_uses_dynamic_stack 0
		.amdhsa_enable_private_segment 0
		.amdhsa_system_sgpr_workgroup_id_x 1
		.amdhsa_system_sgpr_workgroup_id_y 0
		.amdhsa_system_sgpr_workgroup_id_z 0
		.amdhsa_system_sgpr_workgroup_info 0
		.amdhsa_system_vgpr_workitem_id 0
		.amdhsa_next_free_vgpr 1
		.amdhsa_next_free_sgpr 0
		.amdhsa_accum_offset 4
		.amdhsa_reserve_vcc 0
		.amdhsa_float_round_mode_32 0
		.amdhsa_float_round_mode_16_64 0
		.amdhsa_float_denorm_mode_32 3
		.amdhsa_float_denorm_mode_16_64 3
		.amdhsa_dx10_clamp 1
		.amdhsa_ieee_mode 1
		.amdhsa_fp16_overflow 0
		.amdhsa_tg_split 0
		.amdhsa_exception_fp_ieee_invalid_op 0
		.amdhsa_exception_fp_denorm_src 0
		.amdhsa_exception_fp_ieee_div_zero 0
		.amdhsa_exception_fp_ieee_overflow 0
		.amdhsa_exception_fp_ieee_underflow 0
		.amdhsa_exception_fp_ieee_inexact 0
		.amdhsa_exception_int_div_zero 0
	.end_amdhsa_kernel
	.section	.text._ZN7rocprim17ROCPRIM_400000_NS6detail17trampoline_kernelINS0_14default_configENS1_35radix_sort_onesweep_config_selectorIiiEEZZNS1_29radix_sort_onesweep_iterationIS3_Lb1EN6thrust23THRUST_200600_302600_NS6detail15normal_iteratorINS8_10device_ptrIiEEEESD_SD_SD_jNS0_19identity_decomposerENS1_16block_id_wrapperIjLb0EEEEE10hipError_tT1_PNSt15iterator_traitsISI_E10value_typeET2_T3_PNSJ_ISO_E10value_typeET4_T5_PST_SU_PNS1_23onesweep_lookback_stateEbbT6_jjT7_P12ihipStream_tbENKUlT_T0_SI_SN_E_clISD_SD_SD_SD_EEDaS11_S12_SI_SN_EUlS11_E_NS1_11comp_targetILNS1_3genE8ELNS1_11target_archE1030ELNS1_3gpuE2ELNS1_3repE0EEENS1_47radix_sort_onesweep_sort_config_static_selectorELNS0_4arch9wavefront6targetE1EEEvSI_,"axG",@progbits,_ZN7rocprim17ROCPRIM_400000_NS6detail17trampoline_kernelINS0_14default_configENS1_35radix_sort_onesweep_config_selectorIiiEEZZNS1_29radix_sort_onesweep_iterationIS3_Lb1EN6thrust23THRUST_200600_302600_NS6detail15normal_iteratorINS8_10device_ptrIiEEEESD_SD_SD_jNS0_19identity_decomposerENS1_16block_id_wrapperIjLb0EEEEE10hipError_tT1_PNSt15iterator_traitsISI_E10value_typeET2_T3_PNSJ_ISO_E10value_typeET4_T5_PST_SU_PNS1_23onesweep_lookback_stateEbbT6_jjT7_P12ihipStream_tbENKUlT_T0_SI_SN_E_clISD_SD_SD_SD_EEDaS11_S12_SI_SN_EUlS11_E_NS1_11comp_targetILNS1_3genE8ELNS1_11target_archE1030ELNS1_3gpuE2ELNS1_3repE0EEENS1_47radix_sort_onesweep_sort_config_static_selectorELNS0_4arch9wavefront6targetE1EEEvSI_,comdat
.Lfunc_end1034:
	.size	_ZN7rocprim17ROCPRIM_400000_NS6detail17trampoline_kernelINS0_14default_configENS1_35radix_sort_onesweep_config_selectorIiiEEZZNS1_29radix_sort_onesweep_iterationIS3_Lb1EN6thrust23THRUST_200600_302600_NS6detail15normal_iteratorINS8_10device_ptrIiEEEESD_SD_SD_jNS0_19identity_decomposerENS1_16block_id_wrapperIjLb0EEEEE10hipError_tT1_PNSt15iterator_traitsISI_E10value_typeET2_T3_PNSJ_ISO_E10value_typeET4_T5_PST_SU_PNS1_23onesweep_lookback_stateEbbT6_jjT7_P12ihipStream_tbENKUlT_T0_SI_SN_E_clISD_SD_SD_SD_EEDaS11_S12_SI_SN_EUlS11_E_NS1_11comp_targetILNS1_3genE8ELNS1_11target_archE1030ELNS1_3gpuE2ELNS1_3repE0EEENS1_47radix_sort_onesweep_sort_config_static_selectorELNS0_4arch9wavefront6targetE1EEEvSI_, .Lfunc_end1034-_ZN7rocprim17ROCPRIM_400000_NS6detail17trampoline_kernelINS0_14default_configENS1_35radix_sort_onesweep_config_selectorIiiEEZZNS1_29radix_sort_onesweep_iterationIS3_Lb1EN6thrust23THRUST_200600_302600_NS6detail15normal_iteratorINS8_10device_ptrIiEEEESD_SD_SD_jNS0_19identity_decomposerENS1_16block_id_wrapperIjLb0EEEEE10hipError_tT1_PNSt15iterator_traitsISI_E10value_typeET2_T3_PNSJ_ISO_E10value_typeET4_T5_PST_SU_PNS1_23onesweep_lookback_stateEbbT6_jjT7_P12ihipStream_tbENKUlT_T0_SI_SN_E_clISD_SD_SD_SD_EEDaS11_S12_SI_SN_EUlS11_E_NS1_11comp_targetILNS1_3genE8ELNS1_11target_archE1030ELNS1_3gpuE2ELNS1_3repE0EEENS1_47radix_sort_onesweep_sort_config_static_selectorELNS0_4arch9wavefront6targetE1EEEvSI_
                                        ; -- End function
	.set _ZN7rocprim17ROCPRIM_400000_NS6detail17trampoline_kernelINS0_14default_configENS1_35radix_sort_onesweep_config_selectorIiiEEZZNS1_29radix_sort_onesweep_iterationIS3_Lb1EN6thrust23THRUST_200600_302600_NS6detail15normal_iteratorINS8_10device_ptrIiEEEESD_SD_SD_jNS0_19identity_decomposerENS1_16block_id_wrapperIjLb0EEEEE10hipError_tT1_PNSt15iterator_traitsISI_E10value_typeET2_T3_PNSJ_ISO_E10value_typeET4_T5_PST_SU_PNS1_23onesweep_lookback_stateEbbT6_jjT7_P12ihipStream_tbENKUlT_T0_SI_SN_E_clISD_SD_SD_SD_EEDaS11_S12_SI_SN_EUlS11_E_NS1_11comp_targetILNS1_3genE8ELNS1_11target_archE1030ELNS1_3gpuE2ELNS1_3repE0EEENS1_47radix_sort_onesweep_sort_config_static_selectorELNS0_4arch9wavefront6targetE1EEEvSI_.num_vgpr, 0
	.set _ZN7rocprim17ROCPRIM_400000_NS6detail17trampoline_kernelINS0_14default_configENS1_35radix_sort_onesweep_config_selectorIiiEEZZNS1_29radix_sort_onesweep_iterationIS3_Lb1EN6thrust23THRUST_200600_302600_NS6detail15normal_iteratorINS8_10device_ptrIiEEEESD_SD_SD_jNS0_19identity_decomposerENS1_16block_id_wrapperIjLb0EEEEE10hipError_tT1_PNSt15iterator_traitsISI_E10value_typeET2_T3_PNSJ_ISO_E10value_typeET4_T5_PST_SU_PNS1_23onesweep_lookback_stateEbbT6_jjT7_P12ihipStream_tbENKUlT_T0_SI_SN_E_clISD_SD_SD_SD_EEDaS11_S12_SI_SN_EUlS11_E_NS1_11comp_targetILNS1_3genE8ELNS1_11target_archE1030ELNS1_3gpuE2ELNS1_3repE0EEENS1_47radix_sort_onesweep_sort_config_static_selectorELNS0_4arch9wavefront6targetE1EEEvSI_.num_agpr, 0
	.set _ZN7rocprim17ROCPRIM_400000_NS6detail17trampoline_kernelINS0_14default_configENS1_35radix_sort_onesweep_config_selectorIiiEEZZNS1_29radix_sort_onesweep_iterationIS3_Lb1EN6thrust23THRUST_200600_302600_NS6detail15normal_iteratorINS8_10device_ptrIiEEEESD_SD_SD_jNS0_19identity_decomposerENS1_16block_id_wrapperIjLb0EEEEE10hipError_tT1_PNSt15iterator_traitsISI_E10value_typeET2_T3_PNSJ_ISO_E10value_typeET4_T5_PST_SU_PNS1_23onesweep_lookback_stateEbbT6_jjT7_P12ihipStream_tbENKUlT_T0_SI_SN_E_clISD_SD_SD_SD_EEDaS11_S12_SI_SN_EUlS11_E_NS1_11comp_targetILNS1_3genE8ELNS1_11target_archE1030ELNS1_3gpuE2ELNS1_3repE0EEENS1_47radix_sort_onesweep_sort_config_static_selectorELNS0_4arch9wavefront6targetE1EEEvSI_.numbered_sgpr, 0
	.set _ZN7rocprim17ROCPRIM_400000_NS6detail17trampoline_kernelINS0_14default_configENS1_35radix_sort_onesweep_config_selectorIiiEEZZNS1_29radix_sort_onesweep_iterationIS3_Lb1EN6thrust23THRUST_200600_302600_NS6detail15normal_iteratorINS8_10device_ptrIiEEEESD_SD_SD_jNS0_19identity_decomposerENS1_16block_id_wrapperIjLb0EEEEE10hipError_tT1_PNSt15iterator_traitsISI_E10value_typeET2_T3_PNSJ_ISO_E10value_typeET4_T5_PST_SU_PNS1_23onesweep_lookback_stateEbbT6_jjT7_P12ihipStream_tbENKUlT_T0_SI_SN_E_clISD_SD_SD_SD_EEDaS11_S12_SI_SN_EUlS11_E_NS1_11comp_targetILNS1_3genE8ELNS1_11target_archE1030ELNS1_3gpuE2ELNS1_3repE0EEENS1_47radix_sort_onesweep_sort_config_static_selectorELNS0_4arch9wavefront6targetE1EEEvSI_.num_named_barrier, 0
	.set _ZN7rocprim17ROCPRIM_400000_NS6detail17trampoline_kernelINS0_14default_configENS1_35radix_sort_onesweep_config_selectorIiiEEZZNS1_29radix_sort_onesweep_iterationIS3_Lb1EN6thrust23THRUST_200600_302600_NS6detail15normal_iteratorINS8_10device_ptrIiEEEESD_SD_SD_jNS0_19identity_decomposerENS1_16block_id_wrapperIjLb0EEEEE10hipError_tT1_PNSt15iterator_traitsISI_E10value_typeET2_T3_PNSJ_ISO_E10value_typeET4_T5_PST_SU_PNS1_23onesweep_lookback_stateEbbT6_jjT7_P12ihipStream_tbENKUlT_T0_SI_SN_E_clISD_SD_SD_SD_EEDaS11_S12_SI_SN_EUlS11_E_NS1_11comp_targetILNS1_3genE8ELNS1_11target_archE1030ELNS1_3gpuE2ELNS1_3repE0EEENS1_47radix_sort_onesweep_sort_config_static_selectorELNS0_4arch9wavefront6targetE1EEEvSI_.private_seg_size, 0
	.set _ZN7rocprim17ROCPRIM_400000_NS6detail17trampoline_kernelINS0_14default_configENS1_35radix_sort_onesweep_config_selectorIiiEEZZNS1_29radix_sort_onesweep_iterationIS3_Lb1EN6thrust23THRUST_200600_302600_NS6detail15normal_iteratorINS8_10device_ptrIiEEEESD_SD_SD_jNS0_19identity_decomposerENS1_16block_id_wrapperIjLb0EEEEE10hipError_tT1_PNSt15iterator_traitsISI_E10value_typeET2_T3_PNSJ_ISO_E10value_typeET4_T5_PST_SU_PNS1_23onesweep_lookback_stateEbbT6_jjT7_P12ihipStream_tbENKUlT_T0_SI_SN_E_clISD_SD_SD_SD_EEDaS11_S12_SI_SN_EUlS11_E_NS1_11comp_targetILNS1_3genE8ELNS1_11target_archE1030ELNS1_3gpuE2ELNS1_3repE0EEENS1_47radix_sort_onesweep_sort_config_static_selectorELNS0_4arch9wavefront6targetE1EEEvSI_.uses_vcc, 0
	.set _ZN7rocprim17ROCPRIM_400000_NS6detail17trampoline_kernelINS0_14default_configENS1_35radix_sort_onesweep_config_selectorIiiEEZZNS1_29radix_sort_onesweep_iterationIS3_Lb1EN6thrust23THRUST_200600_302600_NS6detail15normal_iteratorINS8_10device_ptrIiEEEESD_SD_SD_jNS0_19identity_decomposerENS1_16block_id_wrapperIjLb0EEEEE10hipError_tT1_PNSt15iterator_traitsISI_E10value_typeET2_T3_PNSJ_ISO_E10value_typeET4_T5_PST_SU_PNS1_23onesweep_lookback_stateEbbT6_jjT7_P12ihipStream_tbENKUlT_T0_SI_SN_E_clISD_SD_SD_SD_EEDaS11_S12_SI_SN_EUlS11_E_NS1_11comp_targetILNS1_3genE8ELNS1_11target_archE1030ELNS1_3gpuE2ELNS1_3repE0EEENS1_47radix_sort_onesweep_sort_config_static_selectorELNS0_4arch9wavefront6targetE1EEEvSI_.uses_flat_scratch, 0
	.set _ZN7rocprim17ROCPRIM_400000_NS6detail17trampoline_kernelINS0_14default_configENS1_35radix_sort_onesweep_config_selectorIiiEEZZNS1_29radix_sort_onesweep_iterationIS3_Lb1EN6thrust23THRUST_200600_302600_NS6detail15normal_iteratorINS8_10device_ptrIiEEEESD_SD_SD_jNS0_19identity_decomposerENS1_16block_id_wrapperIjLb0EEEEE10hipError_tT1_PNSt15iterator_traitsISI_E10value_typeET2_T3_PNSJ_ISO_E10value_typeET4_T5_PST_SU_PNS1_23onesweep_lookback_stateEbbT6_jjT7_P12ihipStream_tbENKUlT_T0_SI_SN_E_clISD_SD_SD_SD_EEDaS11_S12_SI_SN_EUlS11_E_NS1_11comp_targetILNS1_3genE8ELNS1_11target_archE1030ELNS1_3gpuE2ELNS1_3repE0EEENS1_47radix_sort_onesweep_sort_config_static_selectorELNS0_4arch9wavefront6targetE1EEEvSI_.has_dyn_sized_stack, 0
	.set _ZN7rocprim17ROCPRIM_400000_NS6detail17trampoline_kernelINS0_14default_configENS1_35radix_sort_onesweep_config_selectorIiiEEZZNS1_29radix_sort_onesweep_iterationIS3_Lb1EN6thrust23THRUST_200600_302600_NS6detail15normal_iteratorINS8_10device_ptrIiEEEESD_SD_SD_jNS0_19identity_decomposerENS1_16block_id_wrapperIjLb0EEEEE10hipError_tT1_PNSt15iterator_traitsISI_E10value_typeET2_T3_PNSJ_ISO_E10value_typeET4_T5_PST_SU_PNS1_23onesweep_lookback_stateEbbT6_jjT7_P12ihipStream_tbENKUlT_T0_SI_SN_E_clISD_SD_SD_SD_EEDaS11_S12_SI_SN_EUlS11_E_NS1_11comp_targetILNS1_3genE8ELNS1_11target_archE1030ELNS1_3gpuE2ELNS1_3repE0EEENS1_47radix_sort_onesweep_sort_config_static_selectorELNS0_4arch9wavefront6targetE1EEEvSI_.has_recursion, 0
	.set _ZN7rocprim17ROCPRIM_400000_NS6detail17trampoline_kernelINS0_14default_configENS1_35radix_sort_onesweep_config_selectorIiiEEZZNS1_29radix_sort_onesweep_iterationIS3_Lb1EN6thrust23THRUST_200600_302600_NS6detail15normal_iteratorINS8_10device_ptrIiEEEESD_SD_SD_jNS0_19identity_decomposerENS1_16block_id_wrapperIjLb0EEEEE10hipError_tT1_PNSt15iterator_traitsISI_E10value_typeET2_T3_PNSJ_ISO_E10value_typeET4_T5_PST_SU_PNS1_23onesweep_lookback_stateEbbT6_jjT7_P12ihipStream_tbENKUlT_T0_SI_SN_E_clISD_SD_SD_SD_EEDaS11_S12_SI_SN_EUlS11_E_NS1_11comp_targetILNS1_3genE8ELNS1_11target_archE1030ELNS1_3gpuE2ELNS1_3repE0EEENS1_47radix_sort_onesweep_sort_config_static_selectorELNS0_4arch9wavefront6targetE1EEEvSI_.has_indirect_call, 0
	.section	.AMDGPU.csdata,"",@progbits
; Kernel info:
; codeLenInByte = 0
; TotalNumSgprs: 6
; NumVgprs: 0
; NumAgprs: 0
; TotalNumVgprs: 0
; ScratchSize: 0
; MemoryBound: 0
; FloatMode: 240
; IeeeMode: 1
; LDSByteSize: 0 bytes/workgroup (compile time only)
; SGPRBlocks: 0
; VGPRBlocks: 0
; NumSGPRsForWavesPerEU: 6
; NumVGPRsForWavesPerEU: 1
; AccumOffset: 4
; Occupancy: 8
; WaveLimiterHint : 0
; COMPUTE_PGM_RSRC2:SCRATCH_EN: 0
; COMPUTE_PGM_RSRC2:USER_SGPR: 2
; COMPUTE_PGM_RSRC2:TRAP_HANDLER: 0
; COMPUTE_PGM_RSRC2:TGID_X_EN: 1
; COMPUTE_PGM_RSRC2:TGID_Y_EN: 0
; COMPUTE_PGM_RSRC2:TGID_Z_EN: 0
; COMPUTE_PGM_RSRC2:TIDIG_COMP_CNT: 0
; COMPUTE_PGM_RSRC3_GFX90A:ACCUM_OFFSET: 0
; COMPUTE_PGM_RSRC3_GFX90A:TG_SPLIT: 0
	.section	.text._ZN7rocprim17ROCPRIM_400000_NS6detail17trampoline_kernelINS0_14default_configENS1_35radix_sort_onesweep_config_selectorIiiEEZZNS1_29radix_sort_onesweep_iterationIS3_Lb1EN6thrust23THRUST_200600_302600_NS6detail15normal_iteratorINS8_10device_ptrIiEEEESD_SD_SD_jNS0_19identity_decomposerENS1_16block_id_wrapperIjLb0EEEEE10hipError_tT1_PNSt15iterator_traitsISI_E10value_typeET2_T3_PNSJ_ISO_E10value_typeET4_T5_PST_SU_PNS1_23onesweep_lookback_stateEbbT6_jjT7_P12ihipStream_tbENKUlT_T0_SI_SN_E_clISD_PiSD_S15_EEDaS11_S12_SI_SN_EUlS11_E_NS1_11comp_targetILNS1_3genE0ELNS1_11target_archE4294967295ELNS1_3gpuE0ELNS1_3repE0EEENS1_47radix_sort_onesweep_sort_config_static_selectorELNS0_4arch9wavefront6targetE1EEEvSI_,"axG",@progbits,_ZN7rocprim17ROCPRIM_400000_NS6detail17trampoline_kernelINS0_14default_configENS1_35radix_sort_onesweep_config_selectorIiiEEZZNS1_29radix_sort_onesweep_iterationIS3_Lb1EN6thrust23THRUST_200600_302600_NS6detail15normal_iteratorINS8_10device_ptrIiEEEESD_SD_SD_jNS0_19identity_decomposerENS1_16block_id_wrapperIjLb0EEEEE10hipError_tT1_PNSt15iterator_traitsISI_E10value_typeET2_T3_PNSJ_ISO_E10value_typeET4_T5_PST_SU_PNS1_23onesweep_lookback_stateEbbT6_jjT7_P12ihipStream_tbENKUlT_T0_SI_SN_E_clISD_PiSD_S15_EEDaS11_S12_SI_SN_EUlS11_E_NS1_11comp_targetILNS1_3genE0ELNS1_11target_archE4294967295ELNS1_3gpuE0ELNS1_3repE0EEENS1_47radix_sort_onesweep_sort_config_static_selectorELNS0_4arch9wavefront6targetE1EEEvSI_,comdat
	.protected	_ZN7rocprim17ROCPRIM_400000_NS6detail17trampoline_kernelINS0_14default_configENS1_35radix_sort_onesweep_config_selectorIiiEEZZNS1_29radix_sort_onesweep_iterationIS3_Lb1EN6thrust23THRUST_200600_302600_NS6detail15normal_iteratorINS8_10device_ptrIiEEEESD_SD_SD_jNS0_19identity_decomposerENS1_16block_id_wrapperIjLb0EEEEE10hipError_tT1_PNSt15iterator_traitsISI_E10value_typeET2_T3_PNSJ_ISO_E10value_typeET4_T5_PST_SU_PNS1_23onesweep_lookback_stateEbbT6_jjT7_P12ihipStream_tbENKUlT_T0_SI_SN_E_clISD_PiSD_S15_EEDaS11_S12_SI_SN_EUlS11_E_NS1_11comp_targetILNS1_3genE0ELNS1_11target_archE4294967295ELNS1_3gpuE0ELNS1_3repE0EEENS1_47radix_sort_onesweep_sort_config_static_selectorELNS0_4arch9wavefront6targetE1EEEvSI_ ; -- Begin function _ZN7rocprim17ROCPRIM_400000_NS6detail17trampoline_kernelINS0_14default_configENS1_35radix_sort_onesweep_config_selectorIiiEEZZNS1_29radix_sort_onesweep_iterationIS3_Lb1EN6thrust23THRUST_200600_302600_NS6detail15normal_iteratorINS8_10device_ptrIiEEEESD_SD_SD_jNS0_19identity_decomposerENS1_16block_id_wrapperIjLb0EEEEE10hipError_tT1_PNSt15iterator_traitsISI_E10value_typeET2_T3_PNSJ_ISO_E10value_typeET4_T5_PST_SU_PNS1_23onesweep_lookback_stateEbbT6_jjT7_P12ihipStream_tbENKUlT_T0_SI_SN_E_clISD_PiSD_S15_EEDaS11_S12_SI_SN_EUlS11_E_NS1_11comp_targetILNS1_3genE0ELNS1_11target_archE4294967295ELNS1_3gpuE0ELNS1_3repE0EEENS1_47radix_sort_onesweep_sort_config_static_selectorELNS0_4arch9wavefront6targetE1EEEvSI_
	.globl	_ZN7rocprim17ROCPRIM_400000_NS6detail17trampoline_kernelINS0_14default_configENS1_35radix_sort_onesweep_config_selectorIiiEEZZNS1_29radix_sort_onesweep_iterationIS3_Lb1EN6thrust23THRUST_200600_302600_NS6detail15normal_iteratorINS8_10device_ptrIiEEEESD_SD_SD_jNS0_19identity_decomposerENS1_16block_id_wrapperIjLb0EEEEE10hipError_tT1_PNSt15iterator_traitsISI_E10value_typeET2_T3_PNSJ_ISO_E10value_typeET4_T5_PST_SU_PNS1_23onesweep_lookback_stateEbbT6_jjT7_P12ihipStream_tbENKUlT_T0_SI_SN_E_clISD_PiSD_S15_EEDaS11_S12_SI_SN_EUlS11_E_NS1_11comp_targetILNS1_3genE0ELNS1_11target_archE4294967295ELNS1_3gpuE0ELNS1_3repE0EEENS1_47radix_sort_onesweep_sort_config_static_selectorELNS0_4arch9wavefront6targetE1EEEvSI_
	.p2align	8
	.type	_ZN7rocprim17ROCPRIM_400000_NS6detail17trampoline_kernelINS0_14default_configENS1_35radix_sort_onesweep_config_selectorIiiEEZZNS1_29radix_sort_onesweep_iterationIS3_Lb1EN6thrust23THRUST_200600_302600_NS6detail15normal_iteratorINS8_10device_ptrIiEEEESD_SD_SD_jNS0_19identity_decomposerENS1_16block_id_wrapperIjLb0EEEEE10hipError_tT1_PNSt15iterator_traitsISI_E10value_typeET2_T3_PNSJ_ISO_E10value_typeET4_T5_PST_SU_PNS1_23onesweep_lookback_stateEbbT6_jjT7_P12ihipStream_tbENKUlT_T0_SI_SN_E_clISD_PiSD_S15_EEDaS11_S12_SI_SN_EUlS11_E_NS1_11comp_targetILNS1_3genE0ELNS1_11target_archE4294967295ELNS1_3gpuE0ELNS1_3repE0EEENS1_47radix_sort_onesweep_sort_config_static_selectorELNS0_4arch9wavefront6targetE1EEEvSI_,@function
_ZN7rocprim17ROCPRIM_400000_NS6detail17trampoline_kernelINS0_14default_configENS1_35radix_sort_onesweep_config_selectorIiiEEZZNS1_29radix_sort_onesweep_iterationIS3_Lb1EN6thrust23THRUST_200600_302600_NS6detail15normal_iteratorINS8_10device_ptrIiEEEESD_SD_SD_jNS0_19identity_decomposerENS1_16block_id_wrapperIjLb0EEEEE10hipError_tT1_PNSt15iterator_traitsISI_E10value_typeET2_T3_PNSJ_ISO_E10value_typeET4_T5_PST_SU_PNS1_23onesweep_lookback_stateEbbT6_jjT7_P12ihipStream_tbENKUlT_T0_SI_SN_E_clISD_PiSD_S15_EEDaS11_S12_SI_SN_EUlS11_E_NS1_11comp_targetILNS1_3genE0ELNS1_11target_archE4294967295ELNS1_3gpuE0ELNS1_3repE0EEENS1_47radix_sort_onesweep_sort_config_static_selectorELNS0_4arch9wavefront6targetE1EEEvSI_: ; @_ZN7rocprim17ROCPRIM_400000_NS6detail17trampoline_kernelINS0_14default_configENS1_35radix_sort_onesweep_config_selectorIiiEEZZNS1_29radix_sort_onesweep_iterationIS3_Lb1EN6thrust23THRUST_200600_302600_NS6detail15normal_iteratorINS8_10device_ptrIiEEEESD_SD_SD_jNS0_19identity_decomposerENS1_16block_id_wrapperIjLb0EEEEE10hipError_tT1_PNSt15iterator_traitsISI_E10value_typeET2_T3_PNSJ_ISO_E10value_typeET4_T5_PST_SU_PNS1_23onesweep_lookback_stateEbbT6_jjT7_P12ihipStream_tbENKUlT_T0_SI_SN_E_clISD_PiSD_S15_EEDaS11_S12_SI_SN_EUlS11_E_NS1_11comp_targetILNS1_3genE0ELNS1_11target_archE4294967295ELNS1_3gpuE0ELNS1_3repE0EEENS1_47radix_sort_onesweep_sort_config_static_selectorELNS0_4arch9wavefront6targetE1EEEvSI_
; %bb.0:
	.section	.rodata,"a",@progbits
	.p2align	6, 0x0
	.amdhsa_kernel _ZN7rocprim17ROCPRIM_400000_NS6detail17trampoline_kernelINS0_14default_configENS1_35radix_sort_onesweep_config_selectorIiiEEZZNS1_29radix_sort_onesweep_iterationIS3_Lb1EN6thrust23THRUST_200600_302600_NS6detail15normal_iteratorINS8_10device_ptrIiEEEESD_SD_SD_jNS0_19identity_decomposerENS1_16block_id_wrapperIjLb0EEEEE10hipError_tT1_PNSt15iterator_traitsISI_E10value_typeET2_T3_PNSJ_ISO_E10value_typeET4_T5_PST_SU_PNS1_23onesweep_lookback_stateEbbT6_jjT7_P12ihipStream_tbENKUlT_T0_SI_SN_E_clISD_PiSD_S15_EEDaS11_S12_SI_SN_EUlS11_E_NS1_11comp_targetILNS1_3genE0ELNS1_11target_archE4294967295ELNS1_3gpuE0ELNS1_3repE0EEENS1_47radix_sort_onesweep_sort_config_static_selectorELNS0_4arch9wavefront6targetE1EEEvSI_
		.amdhsa_group_segment_fixed_size 0
		.amdhsa_private_segment_fixed_size 0
		.amdhsa_kernarg_size 88
		.amdhsa_user_sgpr_count 2
		.amdhsa_user_sgpr_dispatch_ptr 0
		.amdhsa_user_sgpr_queue_ptr 0
		.amdhsa_user_sgpr_kernarg_segment_ptr 1
		.amdhsa_user_sgpr_dispatch_id 0
		.amdhsa_user_sgpr_kernarg_preload_length 0
		.amdhsa_user_sgpr_kernarg_preload_offset 0
		.amdhsa_user_sgpr_private_segment_size 0
		.amdhsa_uses_dynamic_stack 0
		.amdhsa_enable_private_segment 0
		.amdhsa_system_sgpr_workgroup_id_x 1
		.amdhsa_system_sgpr_workgroup_id_y 0
		.amdhsa_system_sgpr_workgroup_id_z 0
		.amdhsa_system_sgpr_workgroup_info 0
		.amdhsa_system_vgpr_workitem_id 0
		.amdhsa_next_free_vgpr 1
		.amdhsa_next_free_sgpr 0
		.amdhsa_accum_offset 4
		.amdhsa_reserve_vcc 0
		.amdhsa_float_round_mode_32 0
		.amdhsa_float_round_mode_16_64 0
		.amdhsa_float_denorm_mode_32 3
		.amdhsa_float_denorm_mode_16_64 3
		.amdhsa_dx10_clamp 1
		.amdhsa_ieee_mode 1
		.amdhsa_fp16_overflow 0
		.amdhsa_tg_split 0
		.amdhsa_exception_fp_ieee_invalid_op 0
		.amdhsa_exception_fp_denorm_src 0
		.amdhsa_exception_fp_ieee_div_zero 0
		.amdhsa_exception_fp_ieee_overflow 0
		.amdhsa_exception_fp_ieee_underflow 0
		.amdhsa_exception_fp_ieee_inexact 0
		.amdhsa_exception_int_div_zero 0
	.end_amdhsa_kernel
	.section	.text._ZN7rocprim17ROCPRIM_400000_NS6detail17trampoline_kernelINS0_14default_configENS1_35radix_sort_onesweep_config_selectorIiiEEZZNS1_29radix_sort_onesweep_iterationIS3_Lb1EN6thrust23THRUST_200600_302600_NS6detail15normal_iteratorINS8_10device_ptrIiEEEESD_SD_SD_jNS0_19identity_decomposerENS1_16block_id_wrapperIjLb0EEEEE10hipError_tT1_PNSt15iterator_traitsISI_E10value_typeET2_T3_PNSJ_ISO_E10value_typeET4_T5_PST_SU_PNS1_23onesweep_lookback_stateEbbT6_jjT7_P12ihipStream_tbENKUlT_T0_SI_SN_E_clISD_PiSD_S15_EEDaS11_S12_SI_SN_EUlS11_E_NS1_11comp_targetILNS1_3genE0ELNS1_11target_archE4294967295ELNS1_3gpuE0ELNS1_3repE0EEENS1_47radix_sort_onesweep_sort_config_static_selectorELNS0_4arch9wavefront6targetE1EEEvSI_,"axG",@progbits,_ZN7rocprim17ROCPRIM_400000_NS6detail17trampoline_kernelINS0_14default_configENS1_35radix_sort_onesweep_config_selectorIiiEEZZNS1_29radix_sort_onesweep_iterationIS3_Lb1EN6thrust23THRUST_200600_302600_NS6detail15normal_iteratorINS8_10device_ptrIiEEEESD_SD_SD_jNS0_19identity_decomposerENS1_16block_id_wrapperIjLb0EEEEE10hipError_tT1_PNSt15iterator_traitsISI_E10value_typeET2_T3_PNSJ_ISO_E10value_typeET4_T5_PST_SU_PNS1_23onesweep_lookback_stateEbbT6_jjT7_P12ihipStream_tbENKUlT_T0_SI_SN_E_clISD_PiSD_S15_EEDaS11_S12_SI_SN_EUlS11_E_NS1_11comp_targetILNS1_3genE0ELNS1_11target_archE4294967295ELNS1_3gpuE0ELNS1_3repE0EEENS1_47radix_sort_onesweep_sort_config_static_selectorELNS0_4arch9wavefront6targetE1EEEvSI_,comdat
.Lfunc_end1035:
	.size	_ZN7rocprim17ROCPRIM_400000_NS6detail17trampoline_kernelINS0_14default_configENS1_35radix_sort_onesweep_config_selectorIiiEEZZNS1_29radix_sort_onesweep_iterationIS3_Lb1EN6thrust23THRUST_200600_302600_NS6detail15normal_iteratorINS8_10device_ptrIiEEEESD_SD_SD_jNS0_19identity_decomposerENS1_16block_id_wrapperIjLb0EEEEE10hipError_tT1_PNSt15iterator_traitsISI_E10value_typeET2_T3_PNSJ_ISO_E10value_typeET4_T5_PST_SU_PNS1_23onesweep_lookback_stateEbbT6_jjT7_P12ihipStream_tbENKUlT_T0_SI_SN_E_clISD_PiSD_S15_EEDaS11_S12_SI_SN_EUlS11_E_NS1_11comp_targetILNS1_3genE0ELNS1_11target_archE4294967295ELNS1_3gpuE0ELNS1_3repE0EEENS1_47radix_sort_onesweep_sort_config_static_selectorELNS0_4arch9wavefront6targetE1EEEvSI_, .Lfunc_end1035-_ZN7rocprim17ROCPRIM_400000_NS6detail17trampoline_kernelINS0_14default_configENS1_35radix_sort_onesweep_config_selectorIiiEEZZNS1_29radix_sort_onesweep_iterationIS3_Lb1EN6thrust23THRUST_200600_302600_NS6detail15normal_iteratorINS8_10device_ptrIiEEEESD_SD_SD_jNS0_19identity_decomposerENS1_16block_id_wrapperIjLb0EEEEE10hipError_tT1_PNSt15iterator_traitsISI_E10value_typeET2_T3_PNSJ_ISO_E10value_typeET4_T5_PST_SU_PNS1_23onesweep_lookback_stateEbbT6_jjT7_P12ihipStream_tbENKUlT_T0_SI_SN_E_clISD_PiSD_S15_EEDaS11_S12_SI_SN_EUlS11_E_NS1_11comp_targetILNS1_3genE0ELNS1_11target_archE4294967295ELNS1_3gpuE0ELNS1_3repE0EEENS1_47radix_sort_onesweep_sort_config_static_selectorELNS0_4arch9wavefront6targetE1EEEvSI_
                                        ; -- End function
	.set _ZN7rocprim17ROCPRIM_400000_NS6detail17trampoline_kernelINS0_14default_configENS1_35radix_sort_onesweep_config_selectorIiiEEZZNS1_29radix_sort_onesweep_iterationIS3_Lb1EN6thrust23THRUST_200600_302600_NS6detail15normal_iteratorINS8_10device_ptrIiEEEESD_SD_SD_jNS0_19identity_decomposerENS1_16block_id_wrapperIjLb0EEEEE10hipError_tT1_PNSt15iterator_traitsISI_E10value_typeET2_T3_PNSJ_ISO_E10value_typeET4_T5_PST_SU_PNS1_23onesweep_lookback_stateEbbT6_jjT7_P12ihipStream_tbENKUlT_T0_SI_SN_E_clISD_PiSD_S15_EEDaS11_S12_SI_SN_EUlS11_E_NS1_11comp_targetILNS1_3genE0ELNS1_11target_archE4294967295ELNS1_3gpuE0ELNS1_3repE0EEENS1_47radix_sort_onesweep_sort_config_static_selectorELNS0_4arch9wavefront6targetE1EEEvSI_.num_vgpr, 0
	.set _ZN7rocprim17ROCPRIM_400000_NS6detail17trampoline_kernelINS0_14default_configENS1_35radix_sort_onesweep_config_selectorIiiEEZZNS1_29radix_sort_onesweep_iterationIS3_Lb1EN6thrust23THRUST_200600_302600_NS6detail15normal_iteratorINS8_10device_ptrIiEEEESD_SD_SD_jNS0_19identity_decomposerENS1_16block_id_wrapperIjLb0EEEEE10hipError_tT1_PNSt15iterator_traitsISI_E10value_typeET2_T3_PNSJ_ISO_E10value_typeET4_T5_PST_SU_PNS1_23onesweep_lookback_stateEbbT6_jjT7_P12ihipStream_tbENKUlT_T0_SI_SN_E_clISD_PiSD_S15_EEDaS11_S12_SI_SN_EUlS11_E_NS1_11comp_targetILNS1_3genE0ELNS1_11target_archE4294967295ELNS1_3gpuE0ELNS1_3repE0EEENS1_47radix_sort_onesweep_sort_config_static_selectorELNS0_4arch9wavefront6targetE1EEEvSI_.num_agpr, 0
	.set _ZN7rocprim17ROCPRIM_400000_NS6detail17trampoline_kernelINS0_14default_configENS1_35radix_sort_onesweep_config_selectorIiiEEZZNS1_29radix_sort_onesweep_iterationIS3_Lb1EN6thrust23THRUST_200600_302600_NS6detail15normal_iteratorINS8_10device_ptrIiEEEESD_SD_SD_jNS0_19identity_decomposerENS1_16block_id_wrapperIjLb0EEEEE10hipError_tT1_PNSt15iterator_traitsISI_E10value_typeET2_T3_PNSJ_ISO_E10value_typeET4_T5_PST_SU_PNS1_23onesweep_lookback_stateEbbT6_jjT7_P12ihipStream_tbENKUlT_T0_SI_SN_E_clISD_PiSD_S15_EEDaS11_S12_SI_SN_EUlS11_E_NS1_11comp_targetILNS1_3genE0ELNS1_11target_archE4294967295ELNS1_3gpuE0ELNS1_3repE0EEENS1_47radix_sort_onesweep_sort_config_static_selectorELNS0_4arch9wavefront6targetE1EEEvSI_.numbered_sgpr, 0
	.set _ZN7rocprim17ROCPRIM_400000_NS6detail17trampoline_kernelINS0_14default_configENS1_35radix_sort_onesweep_config_selectorIiiEEZZNS1_29radix_sort_onesweep_iterationIS3_Lb1EN6thrust23THRUST_200600_302600_NS6detail15normal_iteratorINS8_10device_ptrIiEEEESD_SD_SD_jNS0_19identity_decomposerENS1_16block_id_wrapperIjLb0EEEEE10hipError_tT1_PNSt15iterator_traitsISI_E10value_typeET2_T3_PNSJ_ISO_E10value_typeET4_T5_PST_SU_PNS1_23onesweep_lookback_stateEbbT6_jjT7_P12ihipStream_tbENKUlT_T0_SI_SN_E_clISD_PiSD_S15_EEDaS11_S12_SI_SN_EUlS11_E_NS1_11comp_targetILNS1_3genE0ELNS1_11target_archE4294967295ELNS1_3gpuE0ELNS1_3repE0EEENS1_47radix_sort_onesweep_sort_config_static_selectorELNS0_4arch9wavefront6targetE1EEEvSI_.num_named_barrier, 0
	.set _ZN7rocprim17ROCPRIM_400000_NS6detail17trampoline_kernelINS0_14default_configENS1_35radix_sort_onesweep_config_selectorIiiEEZZNS1_29radix_sort_onesweep_iterationIS3_Lb1EN6thrust23THRUST_200600_302600_NS6detail15normal_iteratorINS8_10device_ptrIiEEEESD_SD_SD_jNS0_19identity_decomposerENS1_16block_id_wrapperIjLb0EEEEE10hipError_tT1_PNSt15iterator_traitsISI_E10value_typeET2_T3_PNSJ_ISO_E10value_typeET4_T5_PST_SU_PNS1_23onesweep_lookback_stateEbbT6_jjT7_P12ihipStream_tbENKUlT_T0_SI_SN_E_clISD_PiSD_S15_EEDaS11_S12_SI_SN_EUlS11_E_NS1_11comp_targetILNS1_3genE0ELNS1_11target_archE4294967295ELNS1_3gpuE0ELNS1_3repE0EEENS1_47radix_sort_onesweep_sort_config_static_selectorELNS0_4arch9wavefront6targetE1EEEvSI_.private_seg_size, 0
	.set _ZN7rocprim17ROCPRIM_400000_NS6detail17trampoline_kernelINS0_14default_configENS1_35radix_sort_onesweep_config_selectorIiiEEZZNS1_29radix_sort_onesweep_iterationIS3_Lb1EN6thrust23THRUST_200600_302600_NS6detail15normal_iteratorINS8_10device_ptrIiEEEESD_SD_SD_jNS0_19identity_decomposerENS1_16block_id_wrapperIjLb0EEEEE10hipError_tT1_PNSt15iterator_traitsISI_E10value_typeET2_T3_PNSJ_ISO_E10value_typeET4_T5_PST_SU_PNS1_23onesweep_lookback_stateEbbT6_jjT7_P12ihipStream_tbENKUlT_T0_SI_SN_E_clISD_PiSD_S15_EEDaS11_S12_SI_SN_EUlS11_E_NS1_11comp_targetILNS1_3genE0ELNS1_11target_archE4294967295ELNS1_3gpuE0ELNS1_3repE0EEENS1_47radix_sort_onesweep_sort_config_static_selectorELNS0_4arch9wavefront6targetE1EEEvSI_.uses_vcc, 0
	.set _ZN7rocprim17ROCPRIM_400000_NS6detail17trampoline_kernelINS0_14default_configENS1_35radix_sort_onesweep_config_selectorIiiEEZZNS1_29radix_sort_onesweep_iterationIS3_Lb1EN6thrust23THRUST_200600_302600_NS6detail15normal_iteratorINS8_10device_ptrIiEEEESD_SD_SD_jNS0_19identity_decomposerENS1_16block_id_wrapperIjLb0EEEEE10hipError_tT1_PNSt15iterator_traitsISI_E10value_typeET2_T3_PNSJ_ISO_E10value_typeET4_T5_PST_SU_PNS1_23onesweep_lookback_stateEbbT6_jjT7_P12ihipStream_tbENKUlT_T0_SI_SN_E_clISD_PiSD_S15_EEDaS11_S12_SI_SN_EUlS11_E_NS1_11comp_targetILNS1_3genE0ELNS1_11target_archE4294967295ELNS1_3gpuE0ELNS1_3repE0EEENS1_47radix_sort_onesweep_sort_config_static_selectorELNS0_4arch9wavefront6targetE1EEEvSI_.uses_flat_scratch, 0
	.set _ZN7rocprim17ROCPRIM_400000_NS6detail17trampoline_kernelINS0_14default_configENS1_35radix_sort_onesweep_config_selectorIiiEEZZNS1_29radix_sort_onesweep_iterationIS3_Lb1EN6thrust23THRUST_200600_302600_NS6detail15normal_iteratorINS8_10device_ptrIiEEEESD_SD_SD_jNS0_19identity_decomposerENS1_16block_id_wrapperIjLb0EEEEE10hipError_tT1_PNSt15iterator_traitsISI_E10value_typeET2_T3_PNSJ_ISO_E10value_typeET4_T5_PST_SU_PNS1_23onesweep_lookback_stateEbbT6_jjT7_P12ihipStream_tbENKUlT_T0_SI_SN_E_clISD_PiSD_S15_EEDaS11_S12_SI_SN_EUlS11_E_NS1_11comp_targetILNS1_3genE0ELNS1_11target_archE4294967295ELNS1_3gpuE0ELNS1_3repE0EEENS1_47radix_sort_onesweep_sort_config_static_selectorELNS0_4arch9wavefront6targetE1EEEvSI_.has_dyn_sized_stack, 0
	.set _ZN7rocprim17ROCPRIM_400000_NS6detail17trampoline_kernelINS0_14default_configENS1_35radix_sort_onesweep_config_selectorIiiEEZZNS1_29radix_sort_onesweep_iterationIS3_Lb1EN6thrust23THRUST_200600_302600_NS6detail15normal_iteratorINS8_10device_ptrIiEEEESD_SD_SD_jNS0_19identity_decomposerENS1_16block_id_wrapperIjLb0EEEEE10hipError_tT1_PNSt15iterator_traitsISI_E10value_typeET2_T3_PNSJ_ISO_E10value_typeET4_T5_PST_SU_PNS1_23onesweep_lookback_stateEbbT6_jjT7_P12ihipStream_tbENKUlT_T0_SI_SN_E_clISD_PiSD_S15_EEDaS11_S12_SI_SN_EUlS11_E_NS1_11comp_targetILNS1_3genE0ELNS1_11target_archE4294967295ELNS1_3gpuE0ELNS1_3repE0EEENS1_47radix_sort_onesweep_sort_config_static_selectorELNS0_4arch9wavefront6targetE1EEEvSI_.has_recursion, 0
	.set _ZN7rocprim17ROCPRIM_400000_NS6detail17trampoline_kernelINS0_14default_configENS1_35radix_sort_onesweep_config_selectorIiiEEZZNS1_29radix_sort_onesweep_iterationIS3_Lb1EN6thrust23THRUST_200600_302600_NS6detail15normal_iteratorINS8_10device_ptrIiEEEESD_SD_SD_jNS0_19identity_decomposerENS1_16block_id_wrapperIjLb0EEEEE10hipError_tT1_PNSt15iterator_traitsISI_E10value_typeET2_T3_PNSJ_ISO_E10value_typeET4_T5_PST_SU_PNS1_23onesweep_lookback_stateEbbT6_jjT7_P12ihipStream_tbENKUlT_T0_SI_SN_E_clISD_PiSD_S15_EEDaS11_S12_SI_SN_EUlS11_E_NS1_11comp_targetILNS1_3genE0ELNS1_11target_archE4294967295ELNS1_3gpuE0ELNS1_3repE0EEENS1_47radix_sort_onesweep_sort_config_static_selectorELNS0_4arch9wavefront6targetE1EEEvSI_.has_indirect_call, 0
	.section	.AMDGPU.csdata,"",@progbits
; Kernel info:
; codeLenInByte = 0
; TotalNumSgprs: 6
; NumVgprs: 0
; NumAgprs: 0
; TotalNumVgprs: 0
; ScratchSize: 0
; MemoryBound: 0
; FloatMode: 240
; IeeeMode: 1
; LDSByteSize: 0 bytes/workgroup (compile time only)
; SGPRBlocks: 0
; VGPRBlocks: 0
; NumSGPRsForWavesPerEU: 6
; NumVGPRsForWavesPerEU: 1
; AccumOffset: 4
; Occupancy: 8
; WaveLimiterHint : 0
; COMPUTE_PGM_RSRC2:SCRATCH_EN: 0
; COMPUTE_PGM_RSRC2:USER_SGPR: 2
; COMPUTE_PGM_RSRC2:TRAP_HANDLER: 0
; COMPUTE_PGM_RSRC2:TGID_X_EN: 1
; COMPUTE_PGM_RSRC2:TGID_Y_EN: 0
; COMPUTE_PGM_RSRC2:TGID_Z_EN: 0
; COMPUTE_PGM_RSRC2:TIDIG_COMP_CNT: 0
; COMPUTE_PGM_RSRC3_GFX90A:ACCUM_OFFSET: 0
; COMPUTE_PGM_RSRC3_GFX90A:TG_SPLIT: 0
	.section	.text._ZN7rocprim17ROCPRIM_400000_NS6detail17trampoline_kernelINS0_14default_configENS1_35radix_sort_onesweep_config_selectorIiiEEZZNS1_29radix_sort_onesweep_iterationIS3_Lb1EN6thrust23THRUST_200600_302600_NS6detail15normal_iteratorINS8_10device_ptrIiEEEESD_SD_SD_jNS0_19identity_decomposerENS1_16block_id_wrapperIjLb0EEEEE10hipError_tT1_PNSt15iterator_traitsISI_E10value_typeET2_T3_PNSJ_ISO_E10value_typeET4_T5_PST_SU_PNS1_23onesweep_lookback_stateEbbT6_jjT7_P12ihipStream_tbENKUlT_T0_SI_SN_E_clISD_PiSD_S15_EEDaS11_S12_SI_SN_EUlS11_E_NS1_11comp_targetILNS1_3genE6ELNS1_11target_archE950ELNS1_3gpuE13ELNS1_3repE0EEENS1_47radix_sort_onesweep_sort_config_static_selectorELNS0_4arch9wavefront6targetE1EEEvSI_,"axG",@progbits,_ZN7rocprim17ROCPRIM_400000_NS6detail17trampoline_kernelINS0_14default_configENS1_35radix_sort_onesweep_config_selectorIiiEEZZNS1_29radix_sort_onesweep_iterationIS3_Lb1EN6thrust23THRUST_200600_302600_NS6detail15normal_iteratorINS8_10device_ptrIiEEEESD_SD_SD_jNS0_19identity_decomposerENS1_16block_id_wrapperIjLb0EEEEE10hipError_tT1_PNSt15iterator_traitsISI_E10value_typeET2_T3_PNSJ_ISO_E10value_typeET4_T5_PST_SU_PNS1_23onesweep_lookback_stateEbbT6_jjT7_P12ihipStream_tbENKUlT_T0_SI_SN_E_clISD_PiSD_S15_EEDaS11_S12_SI_SN_EUlS11_E_NS1_11comp_targetILNS1_3genE6ELNS1_11target_archE950ELNS1_3gpuE13ELNS1_3repE0EEENS1_47radix_sort_onesweep_sort_config_static_selectorELNS0_4arch9wavefront6targetE1EEEvSI_,comdat
	.protected	_ZN7rocprim17ROCPRIM_400000_NS6detail17trampoline_kernelINS0_14default_configENS1_35radix_sort_onesweep_config_selectorIiiEEZZNS1_29radix_sort_onesweep_iterationIS3_Lb1EN6thrust23THRUST_200600_302600_NS6detail15normal_iteratorINS8_10device_ptrIiEEEESD_SD_SD_jNS0_19identity_decomposerENS1_16block_id_wrapperIjLb0EEEEE10hipError_tT1_PNSt15iterator_traitsISI_E10value_typeET2_T3_PNSJ_ISO_E10value_typeET4_T5_PST_SU_PNS1_23onesweep_lookback_stateEbbT6_jjT7_P12ihipStream_tbENKUlT_T0_SI_SN_E_clISD_PiSD_S15_EEDaS11_S12_SI_SN_EUlS11_E_NS1_11comp_targetILNS1_3genE6ELNS1_11target_archE950ELNS1_3gpuE13ELNS1_3repE0EEENS1_47radix_sort_onesweep_sort_config_static_selectorELNS0_4arch9wavefront6targetE1EEEvSI_ ; -- Begin function _ZN7rocprim17ROCPRIM_400000_NS6detail17trampoline_kernelINS0_14default_configENS1_35radix_sort_onesweep_config_selectorIiiEEZZNS1_29radix_sort_onesweep_iterationIS3_Lb1EN6thrust23THRUST_200600_302600_NS6detail15normal_iteratorINS8_10device_ptrIiEEEESD_SD_SD_jNS0_19identity_decomposerENS1_16block_id_wrapperIjLb0EEEEE10hipError_tT1_PNSt15iterator_traitsISI_E10value_typeET2_T3_PNSJ_ISO_E10value_typeET4_T5_PST_SU_PNS1_23onesweep_lookback_stateEbbT6_jjT7_P12ihipStream_tbENKUlT_T0_SI_SN_E_clISD_PiSD_S15_EEDaS11_S12_SI_SN_EUlS11_E_NS1_11comp_targetILNS1_3genE6ELNS1_11target_archE950ELNS1_3gpuE13ELNS1_3repE0EEENS1_47radix_sort_onesweep_sort_config_static_selectorELNS0_4arch9wavefront6targetE1EEEvSI_
	.globl	_ZN7rocprim17ROCPRIM_400000_NS6detail17trampoline_kernelINS0_14default_configENS1_35radix_sort_onesweep_config_selectorIiiEEZZNS1_29radix_sort_onesweep_iterationIS3_Lb1EN6thrust23THRUST_200600_302600_NS6detail15normal_iteratorINS8_10device_ptrIiEEEESD_SD_SD_jNS0_19identity_decomposerENS1_16block_id_wrapperIjLb0EEEEE10hipError_tT1_PNSt15iterator_traitsISI_E10value_typeET2_T3_PNSJ_ISO_E10value_typeET4_T5_PST_SU_PNS1_23onesweep_lookback_stateEbbT6_jjT7_P12ihipStream_tbENKUlT_T0_SI_SN_E_clISD_PiSD_S15_EEDaS11_S12_SI_SN_EUlS11_E_NS1_11comp_targetILNS1_3genE6ELNS1_11target_archE950ELNS1_3gpuE13ELNS1_3repE0EEENS1_47radix_sort_onesweep_sort_config_static_selectorELNS0_4arch9wavefront6targetE1EEEvSI_
	.p2align	8
	.type	_ZN7rocprim17ROCPRIM_400000_NS6detail17trampoline_kernelINS0_14default_configENS1_35radix_sort_onesweep_config_selectorIiiEEZZNS1_29radix_sort_onesweep_iterationIS3_Lb1EN6thrust23THRUST_200600_302600_NS6detail15normal_iteratorINS8_10device_ptrIiEEEESD_SD_SD_jNS0_19identity_decomposerENS1_16block_id_wrapperIjLb0EEEEE10hipError_tT1_PNSt15iterator_traitsISI_E10value_typeET2_T3_PNSJ_ISO_E10value_typeET4_T5_PST_SU_PNS1_23onesweep_lookback_stateEbbT6_jjT7_P12ihipStream_tbENKUlT_T0_SI_SN_E_clISD_PiSD_S15_EEDaS11_S12_SI_SN_EUlS11_E_NS1_11comp_targetILNS1_3genE6ELNS1_11target_archE950ELNS1_3gpuE13ELNS1_3repE0EEENS1_47radix_sort_onesweep_sort_config_static_selectorELNS0_4arch9wavefront6targetE1EEEvSI_,@function
_ZN7rocprim17ROCPRIM_400000_NS6detail17trampoline_kernelINS0_14default_configENS1_35radix_sort_onesweep_config_selectorIiiEEZZNS1_29radix_sort_onesweep_iterationIS3_Lb1EN6thrust23THRUST_200600_302600_NS6detail15normal_iteratorINS8_10device_ptrIiEEEESD_SD_SD_jNS0_19identity_decomposerENS1_16block_id_wrapperIjLb0EEEEE10hipError_tT1_PNSt15iterator_traitsISI_E10value_typeET2_T3_PNSJ_ISO_E10value_typeET4_T5_PST_SU_PNS1_23onesweep_lookback_stateEbbT6_jjT7_P12ihipStream_tbENKUlT_T0_SI_SN_E_clISD_PiSD_S15_EEDaS11_S12_SI_SN_EUlS11_E_NS1_11comp_targetILNS1_3genE6ELNS1_11target_archE950ELNS1_3gpuE13ELNS1_3repE0EEENS1_47radix_sort_onesweep_sort_config_static_selectorELNS0_4arch9wavefront6targetE1EEEvSI_: ; @_ZN7rocprim17ROCPRIM_400000_NS6detail17trampoline_kernelINS0_14default_configENS1_35radix_sort_onesweep_config_selectorIiiEEZZNS1_29radix_sort_onesweep_iterationIS3_Lb1EN6thrust23THRUST_200600_302600_NS6detail15normal_iteratorINS8_10device_ptrIiEEEESD_SD_SD_jNS0_19identity_decomposerENS1_16block_id_wrapperIjLb0EEEEE10hipError_tT1_PNSt15iterator_traitsISI_E10value_typeET2_T3_PNSJ_ISO_E10value_typeET4_T5_PST_SU_PNS1_23onesweep_lookback_stateEbbT6_jjT7_P12ihipStream_tbENKUlT_T0_SI_SN_E_clISD_PiSD_S15_EEDaS11_S12_SI_SN_EUlS11_E_NS1_11comp_targetILNS1_3genE6ELNS1_11target_archE950ELNS1_3gpuE13ELNS1_3repE0EEENS1_47radix_sort_onesweep_sort_config_static_selectorELNS0_4arch9wavefront6targetE1EEEvSI_
; %bb.0:
	s_load_dwordx8 s[52:59], s[0:1], 0x0
	s_load_dwordx4 s[64:67], s[0:1], 0x44
	s_load_dwordx4 s[60:63], s[0:1], 0x28
	s_load_dwordx2 s[50:51], s[0:1], 0x38
	s_mov_b64 s[4:5], -1
	v_mbcnt_lo_u32_b32 v1, -1, 0
	s_waitcnt lgkmcnt(0)
	s_cmp_ge_u32 s2, s66
	s_cbranch_scc0 .LBB1036_204
; %bb.1:
	s_load_dword s3, s[0:1], 0x20
	s_lshl_b32 s6, s66, 14
	s_lshl_b32 s4, s2, 14
	s_mov_b32 s5, 0
	v_and_b32_e32 v2, 0x3ff, v0
	s_waitcnt lgkmcnt(0)
	s_sub_i32 s3, s3, s6
	s_lshl_b64 s[66:67], s[4:5], 2
	v_mbcnt_hi_u32_b32 v12, -1, v1
	s_add_u32 s4, s52, s66
	v_and_b32_e32 v10, 63, v12
	v_lshlrev_b32_e32 v4, 4, v2
	s_addc_u32 s5, s53, s67
	v_and_b32_e32 v11, 0x3c00, v4
	v_mov_b32_e32 v5, 0
	v_lshlrev_b32_e32 v4, 2, v10
	v_lshl_add_u64 v[8:9], s[4:5], 0, v[4:5]
	v_lshlrev_b32_e32 v6, 2, v11
	v_mov_b32_e32 v7, v5
	v_or_b32_e32 v10, v10, v11
	v_mov_b32_e32 v3, -1
	v_lshl_add_u64 v[8:9], v[8:9], 0, v[6:7]
	v_cmp_gt_u32_e32 vcc, s3, v10
	v_mov_b32_e32 v5, -1
	s_and_saveexec_b64 s[4:5], vcc
	s_cbranch_execz .LBB1036_3
; %bb.2:
	global_load_dword v5, v[8:9], off
	s_waitcnt vmcnt(0)
	v_xor_b32_e32 v5, 0x7fffffff, v5
.LBB1036_3:
	s_or_b64 exec, exec, s[4:5]
	v_or_b32_e32 v7, 64, v10
	v_cmp_gt_u32_e64 s[42:43], s3, v7
	s_and_saveexec_b64 s[4:5], s[42:43]
	s_cbranch_execz .LBB1036_5
; %bb.4:
	global_load_dword v3, v[8:9], off offset:256
	s_waitcnt vmcnt(0)
	v_xor_b32_e32 v3, 0x7fffffff, v3
.LBB1036_5:
	s_or_b64 exec, exec, s[4:5]
	v_or_b32_e32 v7, 0x80, v10
	v_cmp_gt_u32_e64 s[4:5], s3, v7
	v_mov_b32_e32 v7, -1
	v_mov_b32_e32 v14, -1
	s_and_saveexec_b64 s[6:7], s[4:5]
	s_cbranch_execz .LBB1036_7
; %bb.6:
	global_load_dword v11, v[8:9], off offset:512
	s_waitcnt vmcnt(0)
	v_xor_b32_e32 v14, 0x7fffffff, v11
.LBB1036_7:
	s_or_b64 exec, exec, s[6:7]
	v_or_b32_e32 v11, 0xc0, v10
	v_cmp_gt_u32_e64 s[6:7], s3, v11
	s_and_saveexec_b64 s[8:9], s[6:7]
	s_cbranch_execz .LBB1036_9
; %bb.8:
	global_load_dword v7, v[8:9], off offset:768
	s_waitcnt vmcnt(0)
	v_xor_b32_e32 v7, 0x7fffffff, v7
.LBB1036_9:
	s_or_b64 exec, exec, s[8:9]
	v_or_b32_e32 v11, 0x100, v10
	v_cmp_gt_u32_e64 s[8:9], s3, v11
	v_mov_b32_e32 v15, -1
	v_mov_b32_e32 v16, -1
	s_and_saveexec_b64 s[10:11], s[8:9]
	s_cbranch_execz .LBB1036_11
; %bb.10:
	global_load_dword v11, v[8:9], off offset:1024
	s_waitcnt vmcnt(0)
	v_xor_b32_e32 v16, 0x7fffffff, v11
.LBB1036_11:
	;; [unrolled: 22-line block ×7, first 2 shown]
	s_or_b64 exec, exec, s[30:31]
	v_or_b32_e32 v10, 0x3c0, v10
	v_cmp_gt_u32_e64 s[30:31], s3, v10
	s_and_saveexec_b64 s[34:35], s[30:31]
	s_cbranch_execz .LBB1036_33
; %bb.32:
	global_load_dword v8, v[8:9], off offset:3840
	s_waitcnt vmcnt(0)
	v_xor_b32_e32 v25, 0x7fffffff, v8
.LBB1036_33:
	s_or_b64 exec, exec, s[34:35]
	s_load_dword s34, s[0:1], 0x64
	s_load_dword s33, s[0:1], 0x58
	s_add_u32 s35, s0, 0x58
	s_addc_u32 s36, s1, 0
	v_mov_b32_e32 v9, 0
	s_waitcnt lgkmcnt(0)
	s_lshr_b32 s37, s34, 16
	s_cmp_lt_u32 s2, s33
	s_cselect_b32 s34, 12, 18
	s_add_u32 s34, s35, s34
	s_addc_u32 s35, s36, 0
	global_load_ushort v27, v9, s[34:35]
	v_lshrrev_b32_e32 v29, s64, v5
	s_lshl_b32 s34, -1, s65
	v_bfe_u32 v8, v0, 10, 10
	v_bfe_u32 v11, v0, 20, 10
	v_bitop3_b32 v38, v29, s34, v29 bitop3:0x30
	s_movk_i32 s69, 0x44
	v_mad_u32_u24 v40, v11, s37, v8
	v_and_b32_e32 v8, 1, v38
	v_lshlrev_b32_e32 v11, 30, v38
	v_mov_b32_e32 v10, v9
	v_mov_b32_e32 v30, v9
	s_not_b32 s68, s34
	v_mul_lo_u32 v42, v38, s69
	v_lshlrev_b32_e32 v29, 29, v38
	v_lshlrev_b32_e32 v31, 28, v38
	;; [unrolled: 1-line block ×6, first 2 shown]
	v_lshl_add_u64 v[38:39], v[8:9], 0, -1
	v_cmp_ne_u32_e64 s[34:35], 0, v8
	v_not_b32_e32 v8, v11
	v_mov_b32_e32 v28, v9
	v_mov_b32_e32 v32, v9
	v_cmp_gt_i64_e64 s[36:37], 0, v[10:11]
	v_not_b32_e32 v10, v29
	v_cmp_gt_i64_e64 s[40:41], 0, v[30:31]
	v_not_b32_e32 v11, v31
	v_xor_b32_e32 v31, s35, v39
	v_ashrrev_i32_e32 v8, 31, v8
	v_mov_b32_e32 v34, v9
	v_cmp_gt_i64_e64 s[38:39], 0, v[28:29]
	v_cmp_gt_i64_e64 s[44:45], 0, v[32:33]
	v_not_b32_e32 v28, v33
	v_xor_b32_e32 v32, s34, v38
	v_ashrrev_i32_e32 v10, 31, v10
	v_and_b32_e32 v31, exec_hi, v31
	v_xor_b32_e32 v33, s37, v8
	v_cmp_gt_i64_e64 s[46:47], 0, v[34:35]
	v_ashrrev_i32_e32 v11, 31, v11
	v_and_b32_e32 v32, exec_lo, v32
	v_xor_b32_e32 v8, s36, v8
	v_xor_b32_e32 v34, s39, v10
	v_and_b32_e32 v31, v31, v33
	v_mov_b32_e32 v36, v9
	v_not_b32_e32 v29, v35
	v_ashrrev_i32_e32 v28, 31, v28
	v_xor_b32_e32 v10, s38, v10
	v_xor_b32_e32 v35, s41, v11
	v_and_b32_e32 v8, v32, v8
	v_and_b32_e32 v31, v31, v34
	v_cmp_gt_i64_e64 s[48:49], 0, v[36:37]
	v_not_b32_e32 v30, v37
	v_ashrrev_i32_e32 v29, 31, v29
	v_xor_b32_e32 v36, s45, v28
	v_and_b32_e32 v8, v8, v10
	v_and_b32_e32 v10, v31, v35
	v_ashrrev_i32_e32 v30, 31, v30
	v_xor_b32_e32 v11, s40, v11
	v_xor_b32_e32 v37, s47, v29
	v_and_b32_e32 v10, v10, v36
	v_xor_b32_e32 v28, s44, v28
	v_xor_b32_e32 v38, s49, v30
	v_and_b32_e32 v8, v8, v11
	v_and_b32_e32 v10, v10, v37
	;; [unrolled: 1-line block ×4, first 2 shown]
	v_xor_b32_e32 v29, s46, v29
	v_xor_b32_e32 v30, s48, v30
	v_and_b32_e32 v8, v8, v29
	v_and_b32_e32 v8, v8, v30
	v_mul_u32_u24_e32 v13, 20, v2
	ds_write2_b32 v13, v9, v9 offset0:16 offset1:17
	ds_write2_b32 v13, v9, v9 offset0:18 offset1:19
	ds_write_b32 v13, v9 offset:80
	s_waitcnt lgkmcnt(0)
	s_barrier
	s_waitcnt vmcnt(0)
	; wave barrier
	v_mad_u64_u32 v[10:11], s[34:35], v40, v27, v[2:3]
	v_lshrrev_b32_e32 v38, 6, v10
	v_mov_b32_e32 v40, v9
	v_not_b32_e32 v10, v41
	v_cmp_gt_i64_e64 s[34:35], 0, v[40:41]
	v_ashrrev_i32_e32 v10, 31, v10
	v_lshl_add_u32 v31, v38, 2, v42
	v_xor_b32_e32 v11, s35, v10
	v_xor_b32_e32 v10, s34, v10
	v_and_b32_e32 v10, v8, v10
	v_and_b32_e32 v11, v28, v11
	v_mbcnt_lo_u32_b32 v8, v10, 0
	v_mbcnt_hi_u32_b32 v28, v11, v8
	v_cmp_eq_u32_e64 s[34:35], 0, v28
	v_cmp_ne_u64_e64 s[36:37], 0, v[10:11]
	s_and_b64 s[36:37], s[36:37], s[34:35]
	s_and_saveexec_b64 s[34:35], s[36:37]
; %bb.34:
	v_bcnt_u32_b32 v8, v10, 0
	v_bcnt_u32_b32 v8, v11, v8
	ds_write_b32 v31, v8 offset:64
; %bb.35:
	s_or_b64 exec, exec, s[34:35]
	v_lshrrev_b32_e32 v8, s64, v3
	v_and_b32_e32 v29, s68, v8
	v_mul_lo_u32 v8, v29, s69
	v_lshl_add_u32 v33, v38, 2, v8
	v_and_b32_e32 v8, 1, v29
	v_lshl_add_u64 v[10:11], v[8:9], 0, -1
	v_cmp_ne_u32_e64 s[34:35], 0, v8
	; wave barrier
	s_nop 1
	v_xor_b32_e32 v10, s34, v10
	v_xor_b32_e32 v8, s35, v11
	v_and_b32_e32 v30, exec_lo, v10
	v_lshlrev_b32_e32 v11, 30, v29
	v_mov_b32_e32 v10, v9
	v_cmp_gt_i64_e64 s[34:35], 0, v[10:11]
	v_not_b32_e32 v10, v11
	v_ashrrev_i32_e32 v10, 31, v10
	v_and_b32_e32 v8, exec_hi, v8
	v_xor_b32_e32 v11, s35, v10
	v_xor_b32_e32 v10, s34, v10
	v_and_b32_e32 v8, v8, v11
	v_and_b32_e32 v30, v30, v10
	v_lshlrev_b32_e32 v11, 29, v29
	v_mov_b32_e32 v10, v9
	v_cmp_gt_i64_e64 s[34:35], 0, v[10:11]
	v_not_b32_e32 v10, v11
	v_ashrrev_i32_e32 v10, 31, v10
	v_xor_b32_e32 v11, s35, v10
	v_xor_b32_e32 v10, s34, v10
	v_and_b32_e32 v8, v8, v11
	v_and_b32_e32 v30, v30, v10
	v_lshlrev_b32_e32 v11, 28, v29
	v_mov_b32_e32 v10, v9
	v_cmp_gt_i64_e64 s[34:35], 0, v[10:11]
	v_not_b32_e32 v10, v11
	v_ashrrev_i32_e32 v10, 31, v10
	;; [unrolled: 9-line block ×5, first 2 shown]
	v_xor_b32_e32 v11, s35, v10
	v_xor_b32_e32 v10, s34, v10
	v_and_b32_e32 v8, v8, v11
	v_lshlrev_b32_e32 v11, 24, v29
	v_and_b32_e32 v30, v30, v10
	v_mov_b32_e32 v10, v9
	v_not_b32_e32 v9, v11
	v_cmp_gt_i64_e64 s[34:35], 0, v[10:11]
	v_ashrrev_i32_e32 v9, 31, v9
	ds_read_b32 v27, v33 offset:64
	v_xor_b32_e32 v10, s35, v9
	v_xor_b32_e32 v11, s34, v9
	v_and_b32_e32 v9, v8, v10
	v_and_b32_e32 v8, v30, v11
	v_mbcnt_lo_u32_b32 v10, v8, 0
	v_mbcnt_hi_u32_b32 v29, v9, v10
	v_cmp_eq_u32_e64 s[34:35], 0, v29
	v_cmp_ne_u64_e64 s[36:37], 0, v[8:9]
	s_and_b64 s[36:37], s[36:37], s[34:35]
	; wave barrier
	s_and_saveexec_b64 s[34:35], s[36:37]
	s_cbranch_execz .LBB1036_37
; %bb.36:
	v_bcnt_u32_b32 v8, v8, 0
	v_bcnt_u32_b32 v8, v9, v8
	s_waitcnt lgkmcnt(0)
	v_add_u32_e32 v8, v27, v8
	ds_write_b32 v33, v8 offset:64
.LBB1036_37:
	s_or_b64 exec, exec, s[34:35]
	v_lshrrev_b32_e32 v8, s64, v14
	v_and_b32_e32 v32, s68, v8
	s_movk_i32 s38, 0x44
	v_mul_lo_u32 v8, v32, s38
	v_lshl_add_u32 v36, v38, 2, v8
	v_and_b32_e32 v8, 1, v32
	v_mov_b32_e32 v9, 0
	v_lshl_add_u64 v[10:11], v[8:9], 0, -1
	v_cmp_ne_u32_e64 s[34:35], 0, v8
	; wave barrier
	s_nop 1
	v_xor_b32_e32 v10, s34, v10
	v_xor_b32_e32 v8, s35, v11
	v_and_b32_e32 v34, exec_lo, v10
	v_lshlrev_b32_e32 v11, 30, v32
	v_mov_b32_e32 v10, v9
	v_cmp_gt_i64_e64 s[34:35], 0, v[10:11]
	v_not_b32_e32 v10, v11
	v_ashrrev_i32_e32 v10, 31, v10
	v_and_b32_e32 v8, exec_hi, v8
	v_xor_b32_e32 v11, s35, v10
	v_xor_b32_e32 v10, s34, v10
	v_and_b32_e32 v8, v8, v11
	v_and_b32_e32 v34, v34, v10
	v_lshlrev_b32_e32 v11, 29, v32
	v_mov_b32_e32 v10, v9
	v_cmp_gt_i64_e64 s[34:35], 0, v[10:11]
	v_not_b32_e32 v10, v11
	v_ashrrev_i32_e32 v10, 31, v10
	v_xor_b32_e32 v11, s35, v10
	v_xor_b32_e32 v10, s34, v10
	v_and_b32_e32 v8, v8, v11
	v_and_b32_e32 v34, v34, v10
	v_lshlrev_b32_e32 v11, 28, v32
	v_mov_b32_e32 v10, v9
	v_cmp_gt_i64_e64 s[34:35], 0, v[10:11]
	v_not_b32_e32 v10, v11
	v_ashrrev_i32_e32 v10, 31, v10
	v_xor_b32_e32 v11, s35, v10
	v_xor_b32_e32 v10, s34, v10
	v_and_b32_e32 v8, v8, v11
	v_and_b32_e32 v34, v34, v10
	v_lshlrev_b32_e32 v11, 27, v32
	v_mov_b32_e32 v10, v9
	v_cmp_gt_i64_e64 s[34:35], 0, v[10:11]
	v_not_b32_e32 v10, v11
	v_ashrrev_i32_e32 v10, 31, v10
	v_xor_b32_e32 v11, s35, v10
	v_xor_b32_e32 v10, s34, v10
	v_and_b32_e32 v8, v8, v11
	v_and_b32_e32 v34, v34, v10
	v_lshlrev_b32_e32 v11, 26, v32
	v_mov_b32_e32 v10, v9
	v_cmp_gt_i64_e64 s[34:35], 0, v[10:11]
	v_not_b32_e32 v10, v11
	v_ashrrev_i32_e32 v10, 31, v10
	v_xor_b32_e32 v11, s35, v10
	v_xor_b32_e32 v10, s34, v10
	v_and_b32_e32 v8, v8, v11
	v_and_b32_e32 v34, v34, v10
	v_lshlrev_b32_e32 v11, 25, v32
	v_mov_b32_e32 v10, v9
	v_cmp_gt_i64_e64 s[34:35], 0, v[10:11]
	v_not_b32_e32 v10, v11
	v_ashrrev_i32_e32 v10, 31, v10
	v_xor_b32_e32 v11, s35, v10
	v_xor_b32_e32 v10, s34, v10
	v_and_b32_e32 v8, v8, v11
	v_and_b32_e32 v34, v34, v10
	v_lshlrev_b32_e32 v11, 24, v32
	v_mov_b32_e32 v10, v9
	v_cmp_gt_i64_e64 s[34:35], 0, v[10:11]
	v_not_b32_e32 v10, v11
	v_ashrrev_i32_e32 v10, 31, v10
	v_xor_b32_e32 v11, s35, v10
	v_xor_b32_e32 v10, s34, v10
	ds_read_b32 v30, v36 offset:64
	v_and_b32_e32 v10, v34, v10
	v_and_b32_e32 v11, v8, v11
	v_mbcnt_lo_u32_b32 v8, v10, 0
	v_mbcnt_hi_u32_b32 v32, v11, v8
	v_cmp_eq_u32_e64 s[34:35], 0, v32
	v_cmp_ne_u64_e64 s[36:37], 0, v[10:11]
	s_and_b64 s[36:37], s[36:37], s[34:35]
	; wave barrier
	s_and_saveexec_b64 s[34:35], s[36:37]
	s_cbranch_execz .LBB1036_39
; %bb.38:
	v_bcnt_u32_b32 v8, v10, 0
	v_bcnt_u32_b32 v8, v11, v8
	s_waitcnt lgkmcnt(0)
	v_add_u32_e32 v8, v30, v8
	ds_write_b32 v36, v8 offset:64
.LBB1036_39:
	s_or_b64 exec, exec, s[34:35]
	v_lshrrev_b32_e32 v8, s64, v7
	v_and_b32_e32 v35, s68, v8
	v_mul_lo_u32 v8, v35, s38
	v_lshl_add_u32 v40, v38, 2, v8
	v_and_b32_e32 v8, 1, v35
	v_lshl_add_u64 v[10:11], v[8:9], 0, -1
	v_cmp_ne_u32_e64 s[34:35], 0, v8
	; wave barrier
	s_nop 1
	v_xor_b32_e32 v10, s34, v10
	v_xor_b32_e32 v8, s35, v11
	v_and_b32_e32 v37, exec_lo, v10
	v_lshlrev_b32_e32 v11, 30, v35
	v_mov_b32_e32 v10, v9
	v_cmp_gt_i64_e64 s[34:35], 0, v[10:11]
	v_not_b32_e32 v10, v11
	v_ashrrev_i32_e32 v10, 31, v10
	v_and_b32_e32 v8, exec_hi, v8
	v_xor_b32_e32 v11, s35, v10
	v_xor_b32_e32 v10, s34, v10
	v_and_b32_e32 v8, v8, v11
	v_and_b32_e32 v37, v37, v10
	v_lshlrev_b32_e32 v11, 29, v35
	v_mov_b32_e32 v10, v9
	v_cmp_gt_i64_e64 s[34:35], 0, v[10:11]
	v_not_b32_e32 v10, v11
	v_ashrrev_i32_e32 v10, 31, v10
	v_xor_b32_e32 v11, s35, v10
	v_xor_b32_e32 v10, s34, v10
	v_and_b32_e32 v8, v8, v11
	v_and_b32_e32 v37, v37, v10
	v_lshlrev_b32_e32 v11, 28, v35
	v_mov_b32_e32 v10, v9
	v_cmp_gt_i64_e64 s[34:35], 0, v[10:11]
	v_not_b32_e32 v10, v11
	v_ashrrev_i32_e32 v10, 31, v10
	;; [unrolled: 9-line block ×5, first 2 shown]
	v_xor_b32_e32 v11, s35, v10
	v_xor_b32_e32 v10, s34, v10
	v_and_b32_e32 v8, v8, v11
	v_lshlrev_b32_e32 v11, 24, v35
	v_and_b32_e32 v37, v37, v10
	v_mov_b32_e32 v10, v9
	v_not_b32_e32 v9, v11
	v_cmp_gt_i64_e64 s[34:35], 0, v[10:11]
	v_ashrrev_i32_e32 v9, 31, v9
	ds_read_b32 v34, v40 offset:64
	v_xor_b32_e32 v10, s35, v9
	v_xor_b32_e32 v11, s34, v9
	v_and_b32_e32 v9, v8, v10
	v_and_b32_e32 v8, v37, v11
	v_mbcnt_lo_u32_b32 v10, v8, 0
	v_mbcnt_hi_u32_b32 v35, v9, v10
	v_cmp_eq_u32_e64 s[34:35], 0, v35
	v_cmp_ne_u64_e64 s[36:37], 0, v[8:9]
	s_and_b64 s[36:37], s[36:37], s[34:35]
	; wave barrier
	s_and_saveexec_b64 s[34:35], s[36:37]
	s_cbranch_execz .LBB1036_41
; %bb.40:
	v_bcnt_u32_b32 v8, v8, 0
	v_bcnt_u32_b32 v8, v9, v8
	s_waitcnt lgkmcnt(0)
	v_add_u32_e32 v8, v34, v8
	ds_write_b32 v40, v8 offset:64
.LBB1036_41:
	s_or_b64 exec, exec, s[34:35]
	v_lshrrev_b32_e32 v8, s64, v16
	v_and_b32_e32 v39, s68, v8
	v_mul_lo_u32 v8, v39, s38
	v_lshl_add_u32 v43, v38, 2, v8
	v_and_b32_e32 v8, 1, v39
	v_mov_b32_e32 v9, 0
	v_lshl_add_u64 v[10:11], v[8:9], 0, -1
	v_cmp_ne_u32_e64 s[34:35], 0, v8
	; wave barrier
	s_nop 1
	v_xor_b32_e32 v10, s34, v10
	v_xor_b32_e32 v8, s35, v11
	v_and_b32_e32 v41, exec_lo, v10
	v_lshlrev_b32_e32 v11, 30, v39
	v_mov_b32_e32 v10, v9
	v_cmp_gt_i64_e64 s[34:35], 0, v[10:11]
	v_not_b32_e32 v10, v11
	v_ashrrev_i32_e32 v10, 31, v10
	v_and_b32_e32 v8, exec_hi, v8
	v_xor_b32_e32 v11, s35, v10
	v_xor_b32_e32 v10, s34, v10
	v_and_b32_e32 v8, v8, v11
	v_and_b32_e32 v41, v41, v10
	v_lshlrev_b32_e32 v11, 29, v39
	v_mov_b32_e32 v10, v9
	v_cmp_gt_i64_e64 s[34:35], 0, v[10:11]
	v_not_b32_e32 v10, v11
	v_ashrrev_i32_e32 v10, 31, v10
	v_xor_b32_e32 v11, s35, v10
	v_xor_b32_e32 v10, s34, v10
	v_and_b32_e32 v8, v8, v11
	v_and_b32_e32 v41, v41, v10
	v_lshlrev_b32_e32 v11, 28, v39
	v_mov_b32_e32 v10, v9
	v_cmp_gt_i64_e64 s[34:35], 0, v[10:11]
	v_not_b32_e32 v10, v11
	v_ashrrev_i32_e32 v10, 31, v10
	;; [unrolled: 9-line block ×6, first 2 shown]
	v_xor_b32_e32 v11, s35, v10
	v_xor_b32_e32 v10, s34, v10
	ds_read_b32 v37, v43 offset:64
	v_and_b32_e32 v10, v41, v10
	v_and_b32_e32 v11, v8, v11
	v_mbcnt_lo_u32_b32 v8, v10, 0
	v_mbcnt_hi_u32_b32 v39, v11, v8
	v_cmp_eq_u32_e64 s[34:35], 0, v39
	v_cmp_ne_u64_e64 s[36:37], 0, v[10:11]
	s_and_b64 s[36:37], s[36:37], s[34:35]
	; wave barrier
	s_and_saveexec_b64 s[34:35], s[36:37]
	s_cbranch_execz .LBB1036_43
; %bb.42:
	v_bcnt_u32_b32 v8, v10, 0
	v_bcnt_u32_b32 v8, v11, v8
	s_waitcnt lgkmcnt(0)
	v_add_u32_e32 v8, v37, v8
	ds_write_b32 v43, v8 offset:64
.LBB1036_43:
	s_or_b64 exec, exec, s[34:35]
	v_lshrrev_b32_e32 v8, s64, v15
	v_and_b32_e32 v42, s68, v8
	v_mul_lo_u32 v8, v42, s38
	v_lshl_add_u32 v45, v38, 2, v8
	v_and_b32_e32 v8, 1, v42
	v_lshl_add_u64 v[10:11], v[8:9], 0, -1
	v_cmp_ne_u32_e64 s[34:35], 0, v8
	; wave barrier
	s_nop 1
	v_xor_b32_e32 v10, s34, v10
	v_xor_b32_e32 v8, s35, v11
	v_and_b32_e32 v44, exec_lo, v10
	v_lshlrev_b32_e32 v11, 30, v42
	v_mov_b32_e32 v10, v9
	v_cmp_gt_i64_e64 s[34:35], 0, v[10:11]
	v_not_b32_e32 v10, v11
	v_ashrrev_i32_e32 v10, 31, v10
	v_and_b32_e32 v8, exec_hi, v8
	v_xor_b32_e32 v11, s35, v10
	v_xor_b32_e32 v10, s34, v10
	v_and_b32_e32 v8, v8, v11
	v_and_b32_e32 v44, v44, v10
	v_lshlrev_b32_e32 v11, 29, v42
	v_mov_b32_e32 v10, v9
	v_cmp_gt_i64_e64 s[34:35], 0, v[10:11]
	v_not_b32_e32 v10, v11
	v_ashrrev_i32_e32 v10, 31, v10
	v_xor_b32_e32 v11, s35, v10
	v_xor_b32_e32 v10, s34, v10
	v_and_b32_e32 v8, v8, v11
	v_and_b32_e32 v44, v44, v10
	v_lshlrev_b32_e32 v11, 28, v42
	v_mov_b32_e32 v10, v9
	v_cmp_gt_i64_e64 s[34:35], 0, v[10:11]
	v_not_b32_e32 v10, v11
	v_ashrrev_i32_e32 v10, 31, v10
	;; [unrolled: 9-line block ×5, first 2 shown]
	v_xor_b32_e32 v11, s35, v10
	v_xor_b32_e32 v10, s34, v10
	v_and_b32_e32 v8, v8, v11
	v_lshlrev_b32_e32 v11, 24, v42
	v_and_b32_e32 v44, v44, v10
	v_mov_b32_e32 v10, v9
	v_not_b32_e32 v9, v11
	v_cmp_gt_i64_e64 s[34:35], 0, v[10:11]
	v_ashrrev_i32_e32 v9, 31, v9
	ds_read_b32 v41, v45 offset:64
	v_xor_b32_e32 v10, s35, v9
	v_xor_b32_e32 v11, s34, v9
	v_and_b32_e32 v9, v8, v10
	v_and_b32_e32 v8, v44, v11
	v_mbcnt_lo_u32_b32 v10, v8, 0
	v_mbcnt_hi_u32_b32 v42, v9, v10
	v_cmp_eq_u32_e64 s[34:35], 0, v42
	v_cmp_ne_u64_e64 s[36:37], 0, v[8:9]
	s_and_b64 s[36:37], s[36:37], s[34:35]
	; wave barrier
	s_and_saveexec_b64 s[34:35], s[36:37]
	s_cbranch_execz .LBB1036_45
; %bb.44:
	v_bcnt_u32_b32 v8, v8, 0
	v_bcnt_u32_b32 v8, v9, v8
	s_waitcnt lgkmcnt(0)
	v_add_u32_e32 v8, v41, v8
	ds_write_b32 v45, v8 offset:64
.LBB1036_45:
	s_or_b64 exec, exec, s[34:35]
	v_lshrrev_b32_e32 v8, s64, v18
	v_and_b32_e32 v46, s68, v8
	v_mul_lo_u32 v8, v46, s38
	v_lshl_add_u32 v48, v38, 2, v8
	v_and_b32_e32 v8, 1, v46
	v_mov_b32_e32 v9, 0
	v_lshl_add_u64 v[10:11], v[8:9], 0, -1
	v_cmp_ne_u32_e64 s[34:35], 0, v8
	; wave barrier
	s_nop 1
	v_xor_b32_e32 v10, s34, v10
	v_xor_b32_e32 v8, s35, v11
	v_and_b32_e32 v47, exec_lo, v10
	v_lshlrev_b32_e32 v11, 30, v46
	v_mov_b32_e32 v10, v9
	v_cmp_gt_i64_e64 s[34:35], 0, v[10:11]
	v_not_b32_e32 v10, v11
	v_ashrrev_i32_e32 v10, 31, v10
	v_and_b32_e32 v8, exec_hi, v8
	v_xor_b32_e32 v11, s35, v10
	v_xor_b32_e32 v10, s34, v10
	v_and_b32_e32 v8, v8, v11
	v_and_b32_e32 v47, v47, v10
	v_lshlrev_b32_e32 v11, 29, v46
	v_mov_b32_e32 v10, v9
	v_cmp_gt_i64_e64 s[34:35], 0, v[10:11]
	v_not_b32_e32 v10, v11
	v_ashrrev_i32_e32 v10, 31, v10
	v_xor_b32_e32 v11, s35, v10
	v_xor_b32_e32 v10, s34, v10
	v_and_b32_e32 v8, v8, v11
	v_and_b32_e32 v47, v47, v10
	v_lshlrev_b32_e32 v11, 28, v46
	v_mov_b32_e32 v10, v9
	v_cmp_gt_i64_e64 s[34:35], 0, v[10:11]
	v_not_b32_e32 v10, v11
	v_ashrrev_i32_e32 v10, 31, v10
	;; [unrolled: 9-line block ×6, first 2 shown]
	v_xor_b32_e32 v11, s35, v10
	v_xor_b32_e32 v10, s34, v10
	ds_read_b32 v44, v48 offset:64
	v_and_b32_e32 v10, v47, v10
	v_and_b32_e32 v11, v8, v11
	v_mbcnt_lo_u32_b32 v8, v10, 0
	v_mbcnt_hi_u32_b32 v46, v11, v8
	v_cmp_eq_u32_e64 s[34:35], 0, v46
	v_cmp_ne_u64_e64 s[36:37], 0, v[10:11]
	s_and_b64 s[36:37], s[36:37], s[34:35]
	; wave barrier
	s_and_saveexec_b64 s[34:35], s[36:37]
	s_cbranch_execz .LBB1036_47
; %bb.46:
	v_bcnt_u32_b32 v8, v10, 0
	v_bcnt_u32_b32 v8, v11, v8
	s_waitcnt lgkmcnt(0)
	v_add_u32_e32 v8, v44, v8
	ds_write_b32 v48, v8 offset:64
.LBB1036_47:
	s_or_b64 exec, exec, s[34:35]
	v_lshrrev_b32_e32 v8, s64, v17
	v_and_b32_e32 v49, s68, v8
	v_mul_lo_u32 v8, v49, s38
	v_lshl_add_u32 v51, v38, 2, v8
	v_and_b32_e32 v8, 1, v49
	v_lshl_add_u64 v[10:11], v[8:9], 0, -1
	v_cmp_ne_u32_e64 s[34:35], 0, v8
	; wave barrier
	s_nop 1
	v_xor_b32_e32 v10, s34, v10
	v_xor_b32_e32 v8, s35, v11
	v_and_b32_e32 v50, exec_lo, v10
	v_lshlrev_b32_e32 v11, 30, v49
	v_mov_b32_e32 v10, v9
	v_cmp_gt_i64_e64 s[34:35], 0, v[10:11]
	v_not_b32_e32 v10, v11
	v_ashrrev_i32_e32 v10, 31, v10
	v_and_b32_e32 v8, exec_hi, v8
	v_xor_b32_e32 v11, s35, v10
	v_xor_b32_e32 v10, s34, v10
	v_and_b32_e32 v8, v8, v11
	v_and_b32_e32 v50, v50, v10
	v_lshlrev_b32_e32 v11, 29, v49
	v_mov_b32_e32 v10, v9
	v_cmp_gt_i64_e64 s[34:35], 0, v[10:11]
	v_not_b32_e32 v10, v11
	v_ashrrev_i32_e32 v10, 31, v10
	v_xor_b32_e32 v11, s35, v10
	v_xor_b32_e32 v10, s34, v10
	v_and_b32_e32 v8, v8, v11
	v_and_b32_e32 v50, v50, v10
	v_lshlrev_b32_e32 v11, 28, v49
	v_mov_b32_e32 v10, v9
	v_cmp_gt_i64_e64 s[34:35], 0, v[10:11]
	v_not_b32_e32 v10, v11
	v_ashrrev_i32_e32 v10, 31, v10
	;; [unrolled: 9-line block ×5, first 2 shown]
	v_xor_b32_e32 v11, s35, v10
	v_xor_b32_e32 v10, s34, v10
	v_and_b32_e32 v8, v8, v11
	v_lshlrev_b32_e32 v11, 24, v49
	v_and_b32_e32 v50, v50, v10
	v_mov_b32_e32 v10, v9
	v_not_b32_e32 v9, v11
	v_cmp_gt_i64_e64 s[34:35], 0, v[10:11]
	v_ashrrev_i32_e32 v9, 31, v9
	ds_read_b32 v47, v51 offset:64
	v_xor_b32_e32 v10, s35, v9
	v_xor_b32_e32 v11, s34, v9
	v_and_b32_e32 v9, v8, v10
	v_and_b32_e32 v8, v50, v11
	v_mbcnt_lo_u32_b32 v10, v8, 0
	v_mbcnt_hi_u32_b32 v49, v9, v10
	v_cmp_eq_u32_e64 s[34:35], 0, v49
	v_cmp_ne_u64_e64 s[36:37], 0, v[8:9]
	s_and_b64 s[36:37], s[36:37], s[34:35]
	; wave barrier
	s_and_saveexec_b64 s[34:35], s[36:37]
	s_cbranch_execz .LBB1036_49
; %bb.48:
	v_bcnt_u32_b32 v8, v8, 0
	v_bcnt_u32_b32 v8, v9, v8
	s_waitcnt lgkmcnt(0)
	v_add_u32_e32 v8, v47, v8
	ds_write_b32 v51, v8 offset:64
.LBB1036_49:
	s_or_b64 exec, exec, s[34:35]
	v_lshrrev_b32_e32 v8, s64, v20
	v_and_b32_e32 v52, s68, v8
	v_mul_lo_u32 v8, v52, s38
	v_lshl_add_u32 v54, v38, 2, v8
	v_and_b32_e32 v8, 1, v52
	v_mov_b32_e32 v9, 0
	v_lshl_add_u64 v[10:11], v[8:9], 0, -1
	v_cmp_ne_u32_e64 s[34:35], 0, v8
	; wave barrier
	s_nop 1
	v_xor_b32_e32 v10, s34, v10
	v_xor_b32_e32 v8, s35, v11
	v_and_b32_e32 v53, exec_lo, v10
	v_lshlrev_b32_e32 v11, 30, v52
	v_mov_b32_e32 v10, v9
	v_cmp_gt_i64_e64 s[34:35], 0, v[10:11]
	v_not_b32_e32 v10, v11
	v_ashrrev_i32_e32 v10, 31, v10
	v_and_b32_e32 v8, exec_hi, v8
	v_xor_b32_e32 v11, s35, v10
	v_xor_b32_e32 v10, s34, v10
	v_and_b32_e32 v8, v8, v11
	v_and_b32_e32 v53, v53, v10
	v_lshlrev_b32_e32 v11, 29, v52
	v_mov_b32_e32 v10, v9
	v_cmp_gt_i64_e64 s[34:35], 0, v[10:11]
	v_not_b32_e32 v10, v11
	v_ashrrev_i32_e32 v10, 31, v10
	v_xor_b32_e32 v11, s35, v10
	v_xor_b32_e32 v10, s34, v10
	v_and_b32_e32 v8, v8, v11
	v_and_b32_e32 v53, v53, v10
	v_lshlrev_b32_e32 v11, 28, v52
	v_mov_b32_e32 v10, v9
	v_cmp_gt_i64_e64 s[34:35], 0, v[10:11]
	v_not_b32_e32 v10, v11
	v_ashrrev_i32_e32 v10, 31, v10
	;; [unrolled: 9-line block ×6, first 2 shown]
	v_xor_b32_e32 v11, s35, v10
	v_xor_b32_e32 v10, s34, v10
	ds_read_b32 v50, v54 offset:64
	v_and_b32_e32 v10, v53, v10
	v_and_b32_e32 v11, v8, v11
	v_mbcnt_lo_u32_b32 v8, v10, 0
	v_mbcnt_hi_u32_b32 v52, v11, v8
	v_cmp_eq_u32_e64 s[34:35], 0, v52
	v_cmp_ne_u64_e64 s[36:37], 0, v[10:11]
	s_and_b64 s[36:37], s[36:37], s[34:35]
	; wave barrier
	s_and_saveexec_b64 s[34:35], s[36:37]
	s_cbranch_execz .LBB1036_51
; %bb.50:
	v_bcnt_u32_b32 v8, v10, 0
	v_bcnt_u32_b32 v8, v11, v8
	s_waitcnt lgkmcnt(0)
	v_add_u32_e32 v8, v50, v8
	ds_write_b32 v54, v8 offset:64
.LBB1036_51:
	s_or_b64 exec, exec, s[34:35]
	v_lshrrev_b32_e32 v8, s64, v19
	v_and_b32_e32 v55, s68, v8
	v_mul_lo_u32 v8, v55, s38
	v_lshl_add_u32 v57, v38, 2, v8
	v_and_b32_e32 v8, 1, v55
	v_lshl_add_u64 v[10:11], v[8:9], 0, -1
	v_cmp_ne_u32_e64 s[34:35], 0, v8
	; wave barrier
	s_nop 1
	v_xor_b32_e32 v10, s34, v10
	v_xor_b32_e32 v8, s35, v11
	v_and_b32_e32 v56, exec_lo, v10
	v_lshlrev_b32_e32 v11, 30, v55
	v_mov_b32_e32 v10, v9
	v_cmp_gt_i64_e64 s[34:35], 0, v[10:11]
	v_not_b32_e32 v10, v11
	v_ashrrev_i32_e32 v10, 31, v10
	v_and_b32_e32 v8, exec_hi, v8
	v_xor_b32_e32 v11, s35, v10
	v_xor_b32_e32 v10, s34, v10
	v_and_b32_e32 v8, v8, v11
	v_and_b32_e32 v56, v56, v10
	v_lshlrev_b32_e32 v11, 29, v55
	v_mov_b32_e32 v10, v9
	v_cmp_gt_i64_e64 s[34:35], 0, v[10:11]
	v_not_b32_e32 v10, v11
	v_ashrrev_i32_e32 v10, 31, v10
	v_xor_b32_e32 v11, s35, v10
	v_xor_b32_e32 v10, s34, v10
	v_and_b32_e32 v8, v8, v11
	v_and_b32_e32 v56, v56, v10
	v_lshlrev_b32_e32 v11, 28, v55
	v_mov_b32_e32 v10, v9
	v_cmp_gt_i64_e64 s[34:35], 0, v[10:11]
	v_not_b32_e32 v10, v11
	v_ashrrev_i32_e32 v10, 31, v10
	;; [unrolled: 9-line block ×5, first 2 shown]
	v_xor_b32_e32 v11, s35, v10
	v_xor_b32_e32 v10, s34, v10
	v_and_b32_e32 v8, v8, v11
	v_lshlrev_b32_e32 v11, 24, v55
	v_and_b32_e32 v56, v56, v10
	v_mov_b32_e32 v10, v9
	v_not_b32_e32 v9, v11
	v_cmp_gt_i64_e64 s[34:35], 0, v[10:11]
	v_ashrrev_i32_e32 v9, 31, v9
	ds_read_b32 v53, v57 offset:64
	v_xor_b32_e32 v10, s35, v9
	v_xor_b32_e32 v11, s34, v9
	v_and_b32_e32 v9, v8, v10
	v_and_b32_e32 v8, v56, v11
	v_mbcnt_lo_u32_b32 v10, v8, 0
	v_mbcnt_hi_u32_b32 v55, v9, v10
	v_cmp_eq_u32_e64 s[34:35], 0, v55
	v_cmp_ne_u64_e64 s[36:37], 0, v[8:9]
	s_and_b64 s[36:37], s[36:37], s[34:35]
	; wave barrier
	s_and_saveexec_b64 s[34:35], s[36:37]
	s_cbranch_execz .LBB1036_53
; %bb.52:
	v_bcnt_u32_b32 v8, v8, 0
	v_bcnt_u32_b32 v8, v9, v8
	s_waitcnt lgkmcnt(0)
	v_add_u32_e32 v8, v53, v8
	ds_write_b32 v57, v8 offset:64
.LBB1036_53:
	s_or_b64 exec, exec, s[34:35]
	v_lshrrev_b32_e32 v8, s64, v22
	v_and_b32_e32 v58, s68, v8
	v_mul_lo_u32 v8, v58, s38
	v_lshl_add_u32 v60, v38, 2, v8
	v_and_b32_e32 v8, 1, v58
	v_mov_b32_e32 v9, 0
	v_lshl_add_u64 v[10:11], v[8:9], 0, -1
	v_cmp_ne_u32_e64 s[34:35], 0, v8
	; wave barrier
	s_nop 1
	v_xor_b32_e32 v10, s34, v10
	v_xor_b32_e32 v8, s35, v11
	v_and_b32_e32 v59, exec_lo, v10
	v_lshlrev_b32_e32 v11, 30, v58
	v_mov_b32_e32 v10, v9
	v_cmp_gt_i64_e64 s[34:35], 0, v[10:11]
	v_not_b32_e32 v10, v11
	v_ashrrev_i32_e32 v10, 31, v10
	v_and_b32_e32 v8, exec_hi, v8
	v_xor_b32_e32 v11, s35, v10
	v_xor_b32_e32 v10, s34, v10
	v_and_b32_e32 v8, v8, v11
	v_and_b32_e32 v59, v59, v10
	v_lshlrev_b32_e32 v11, 29, v58
	v_mov_b32_e32 v10, v9
	v_cmp_gt_i64_e64 s[34:35], 0, v[10:11]
	v_not_b32_e32 v10, v11
	v_ashrrev_i32_e32 v10, 31, v10
	v_xor_b32_e32 v11, s35, v10
	v_xor_b32_e32 v10, s34, v10
	v_and_b32_e32 v8, v8, v11
	v_and_b32_e32 v59, v59, v10
	v_lshlrev_b32_e32 v11, 28, v58
	v_mov_b32_e32 v10, v9
	v_cmp_gt_i64_e64 s[34:35], 0, v[10:11]
	v_not_b32_e32 v10, v11
	v_ashrrev_i32_e32 v10, 31, v10
	;; [unrolled: 9-line block ×6, first 2 shown]
	v_xor_b32_e32 v11, s35, v10
	v_xor_b32_e32 v10, s34, v10
	ds_read_b32 v56, v60 offset:64
	v_and_b32_e32 v10, v59, v10
	v_and_b32_e32 v11, v8, v11
	v_mbcnt_lo_u32_b32 v8, v10, 0
	v_mbcnt_hi_u32_b32 v58, v11, v8
	v_cmp_eq_u32_e64 s[34:35], 0, v58
	v_cmp_ne_u64_e64 s[36:37], 0, v[10:11]
	s_and_b64 s[36:37], s[36:37], s[34:35]
	; wave barrier
	s_and_saveexec_b64 s[34:35], s[36:37]
	s_cbranch_execz .LBB1036_55
; %bb.54:
	v_bcnt_u32_b32 v8, v10, 0
	v_bcnt_u32_b32 v8, v11, v8
	s_waitcnt lgkmcnt(0)
	v_add_u32_e32 v8, v56, v8
	ds_write_b32 v60, v8 offset:64
.LBB1036_55:
	s_or_b64 exec, exec, s[34:35]
	v_lshrrev_b32_e32 v8, s64, v21
	v_and_b32_e32 v61, s68, v8
	v_mul_lo_u32 v8, v61, s38
	v_lshl_add_u32 v63, v38, 2, v8
	v_and_b32_e32 v8, 1, v61
	v_lshl_add_u64 v[10:11], v[8:9], 0, -1
	v_cmp_ne_u32_e64 s[34:35], 0, v8
	; wave barrier
	s_nop 1
	v_xor_b32_e32 v10, s34, v10
	v_xor_b32_e32 v8, s35, v11
	v_and_b32_e32 v62, exec_lo, v10
	v_lshlrev_b32_e32 v11, 30, v61
	v_mov_b32_e32 v10, v9
	v_cmp_gt_i64_e64 s[34:35], 0, v[10:11]
	v_not_b32_e32 v10, v11
	v_ashrrev_i32_e32 v10, 31, v10
	v_and_b32_e32 v8, exec_hi, v8
	v_xor_b32_e32 v11, s35, v10
	v_xor_b32_e32 v10, s34, v10
	v_and_b32_e32 v8, v8, v11
	v_and_b32_e32 v62, v62, v10
	v_lshlrev_b32_e32 v11, 29, v61
	v_mov_b32_e32 v10, v9
	v_cmp_gt_i64_e64 s[34:35], 0, v[10:11]
	v_not_b32_e32 v10, v11
	v_ashrrev_i32_e32 v10, 31, v10
	v_xor_b32_e32 v11, s35, v10
	v_xor_b32_e32 v10, s34, v10
	v_and_b32_e32 v8, v8, v11
	v_and_b32_e32 v62, v62, v10
	v_lshlrev_b32_e32 v11, 28, v61
	v_mov_b32_e32 v10, v9
	v_cmp_gt_i64_e64 s[34:35], 0, v[10:11]
	v_not_b32_e32 v10, v11
	v_ashrrev_i32_e32 v10, 31, v10
	;; [unrolled: 9-line block ×5, first 2 shown]
	v_xor_b32_e32 v11, s35, v10
	v_xor_b32_e32 v10, s34, v10
	v_and_b32_e32 v8, v8, v11
	v_lshlrev_b32_e32 v11, 24, v61
	v_and_b32_e32 v62, v62, v10
	v_mov_b32_e32 v10, v9
	v_not_b32_e32 v9, v11
	v_cmp_gt_i64_e64 s[34:35], 0, v[10:11]
	v_ashrrev_i32_e32 v9, 31, v9
	ds_read_b32 v59, v63 offset:64
	v_xor_b32_e32 v10, s35, v9
	v_xor_b32_e32 v11, s34, v9
	v_and_b32_e32 v9, v8, v10
	v_and_b32_e32 v8, v62, v11
	v_mbcnt_lo_u32_b32 v10, v8, 0
	v_mbcnt_hi_u32_b32 v61, v9, v10
	v_cmp_eq_u32_e64 s[34:35], 0, v61
	v_cmp_ne_u64_e64 s[36:37], 0, v[8:9]
	s_and_b64 s[36:37], s[36:37], s[34:35]
	; wave barrier
	s_and_saveexec_b64 s[34:35], s[36:37]
	s_cbranch_execz .LBB1036_57
; %bb.56:
	v_bcnt_u32_b32 v8, v8, 0
	v_bcnt_u32_b32 v8, v9, v8
	s_waitcnt lgkmcnt(0)
	v_add_u32_e32 v8, v59, v8
	ds_write_b32 v63, v8 offset:64
.LBB1036_57:
	s_or_b64 exec, exec, s[34:35]
	v_lshrrev_b32_e32 v8, s64, v24
	v_and_b32_e32 v64, s68, v8
	v_mul_lo_u32 v8, v64, s38
	v_lshl_add_u32 v66, v38, 2, v8
	v_and_b32_e32 v8, 1, v64
	v_mov_b32_e32 v9, 0
	v_lshl_add_u64 v[10:11], v[8:9], 0, -1
	v_cmp_ne_u32_e64 s[34:35], 0, v8
	; wave barrier
	s_nop 1
	v_xor_b32_e32 v10, s34, v10
	v_xor_b32_e32 v8, s35, v11
	v_and_b32_e32 v65, exec_lo, v10
	v_lshlrev_b32_e32 v11, 30, v64
	v_mov_b32_e32 v10, v9
	v_cmp_gt_i64_e64 s[34:35], 0, v[10:11]
	v_not_b32_e32 v10, v11
	v_ashrrev_i32_e32 v10, 31, v10
	v_and_b32_e32 v8, exec_hi, v8
	v_xor_b32_e32 v11, s35, v10
	v_xor_b32_e32 v10, s34, v10
	v_and_b32_e32 v8, v8, v11
	v_and_b32_e32 v65, v65, v10
	v_lshlrev_b32_e32 v11, 29, v64
	v_mov_b32_e32 v10, v9
	v_cmp_gt_i64_e64 s[34:35], 0, v[10:11]
	v_not_b32_e32 v10, v11
	v_ashrrev_i32_e32 v10, 31, v10
	v_xor_b32_e32 v11, s35, v10
	v_xor_b32_e32 v10, s34, v10
	v_and_b32_e32 v8, v8, v11
	v_and_b32_e32 v65, v65, v10
	v_lshlrev_b32_e32 v11, 28, v64
	v_mov_b32_e32 v10, v9
	v_cmp_gt_i64_e64 s[34:35], 0, v[10:11]
	v_not_b32_e32 v10, v11
	v_ashrrev_i32_e32 v10, 31, v10
	;; [unrolled: 9-line block ×6, first 2 shown]
	v_xor_b32_e32 v11, s35, v10
	v_xor_b32_e32 v10, s34, v10
	ds_read_b32 v62, v66 offset:64
	v_and_b32_e32 v10, v65, v10
	v_and_b32_e32 v11, v8, v11
	v_mbcnt_lo_u32_b32 v8, v10, 0
	v_mbcnt_hi_u32_b32 v64, v11, v8
	v_cmp_eq_u32_e64 s[34:35], 0, v64
	v_cmp_ne_u64_e64 s[36:37], 0, v[10:11]
	s_and_b64 s[36:37], s[36:37], s[34:35]
	; wave barrier
	s_and_saveexec_b64 s[34:35], s[36:37]
	s_cbranch_execz .LBB1036_59
; %bb.58:
	v_bcnt_u32_b32 v8, v10, 0
	v_bcnt_u32_b32 v8, v11, v8
	s_waitcnt lgkmcnt(0)
	v_add_u32_e32 v8, v62, v8
	ds_write_b32 v66, v8 offset:64
.LBB1036_59:
	s_or_b64 exec, exec, s[34:35]
	v_lshrrev_b32_e32 v8, s64, v23
	v_and_b32_e32 v67, s68, v8
	v_mul_lo_u32 v8, v67, s38
	v_lshl_add_u32 v69, v38, 2, v8
	v_and_b32_e32 v8, 1, v67
	v_lshl_add_u64 v[10:11], v[8:9], 0, -1
	v_cmp_ne_u32_e64 s[34:35], 0, v8
	; wave barrier
	s_nop 1
	v_xor_b32_e32 v10, s34, v10
	v_xor_b32_e32 v8, s35, v11
	v_and_b32_e32 v68, exec_lo, v10
	v_lshlrev_b32_e32 v11, 30, v67
	v_mov_b32_e32 v10, v9
	v_cmp_gt_i64_e64 s[34:35], 0, v[10:11]
	v_not_b32_e32 v10, v11
	v_ashrrev_i32_e32 v10, 31, v10
	v_and_b32_e32 v8, exec_hi, v8
	v_xor_b32_e32 v11, s35, v10
	v_xor_b32_e32 v10, s34, v10
	v_and_b32_e32 v8, v8, v11
	v_and_b32_e32 v68, v68, v10
	v_lshlrev_b32_e32 v11, 29, v67
	v_mov_b32_e32 v10, v9
	v_cmp_gt_i64_e64 s[34:35], 0, v[10:11]
	v_not_b32_e32 v10, v11
	v_ashrrev_i32_e32 v10, 31, v10
	v_xor_b32_e32 v11, s35, v10
	v_xor_b32_e32 v10, s34, v10
	v_and_b32_e32 v8, v8, v11
	v_and_b32_e32 v68, v68, v10
	v_lshlrev_b32_e32 v11, 28, v67
	v_mov_b32_e32 v10, v9
	v_cmp_gt_i64_e64 s[34:35], 0, v[10:11]
	v_not_b32_e32 v10, v11
	v_ashrrev_i32_e32 v10, 31, v10
	;; [unrolled: 9-line block ×5, first 2 shown]
	v_xor_b32_e32 v11, s35, v10
	v_xor_b32_e32 v10, s34, v10
	v_and_b32_e32 v8, v8, v11
	v_lshlrev_b32_e32 v11, 24, v67
	v_and_b32_e32 v68, v68, v10
	v_mov_b32_e32 v10, v9
	v_not_b32_e32 v9, v11
	v_cmp_gt_i64_e64 s[34:35], 0, v[10:11]
	v_ashrrev_i32_e32 v9, 31, v9
	ds_read_b32 v65, v69 offset:64
	v_xor_b32_e32 v10, s35, v9
	v_xor_b32_e32 v11, s34, v9
	v_and_b32_e32 v9, v8, v10
	v_and_b32_e32 v8, v68, v11
	v_mbcnt_lo_u32_b32 v10, v8, 0
	v_mbcnt_hi_u32_b32 v67, v9, v10
	v_cmp_eq_u32_e64 s[34:35], 0, v67
	v_cmp_ne_u64_e64 s[36:37], 0, v[8:9]
	s_and_b64 s[36:37], s[36:37], s[34:35]
	; wave barrier
	s_and_saveexec_b64 s[34:35], s[36:37]
	s_cbranch_execz .LBB1036_61
; %bb.60:
	v_bcnt_u32_b32 v8, v8, 0
	v_bcnt_u32_b32 v8, v9, v8
	s_waitcnt lgkmcnt(0)
	v_add_u32_e32 v8, v65, v8
	ds_write_b32 v69, v8 offset:64
.LBB1036_61:
	s_or_b64 exec, exec, s[34:35]
	v_lshrrev_b32_e32 v8, s64, v26
	v_and_b32_e32 v70, s68, v8
	v_mul_lo_u32 v8, v70, s38
	v_lshl_add_u32 v72, v38, 2, v8
	v_and_b32_e32 v8, 1, v70
	v_mov_b32_e32 v9, 0
	v_lshl_add_u64 v[10:11], v[8:9], 0, -1
	v_cmp_ne_u32_e64 s[34:35], 0, v8
	; wave barrier
	s_nop 1
	v_xor_b32_e32 v10, s34, v10
	v_xor_b32_e32 v8, s35, v11
	v_and_b32_e32 v71, exec_lo, v10
	v_lshlrev_b32_e32 v11, 30, v70
	v_mov_b32_e32 v10, v9
	v_cmp_gt_i64_e64 s[34:35], 0, v[10:11]
	v_not_b32_e32 v10, v11
	v_ashrrev_i32_e32 v10, 31, v10
	v_and_b32_e32 v8, exec_hi, v8
	v_xor_b32_e32 v11, s35, v10
	v_xor_b32_e32 v10, s34, v10
	v_and_b32_e32 v8, v8, v11
	v_and_b32_e32 v71, v71, v10
	v_lshlrev_b32_e32 v11, 29, v70
	v_mov_b32_e32 v10, v9
	v_cmp_gt_i64_e64 s[34:35], 0, v[10:11]
	v_not_b32_e32 v10, v11
	v_ashrrev_i32_e32 v10, 31, v10
	v_xor_b32_e32 v11, s35, v10
	v_xor_b32_e32 v10, s34, v10
	v_and_b32_e32 v8, v8, v11
	v_and_b32_e32 v71, v71, v10
	v_lshlrev_b32_e32 v11, 28, v70
	v_mov_b32_e32 v10, v9
	v_cmp_gt_i64_e64 s[34:35], 0, v[10:11]
	v_not_b32_e32 v10, v11
	v_ashrrev_i32_e32 v10, 31, v10
	;; [unrolled: 9-line block ×6, first 2 shown]
	v_xor_b32_e32 v11, s35, v10
	v_xor_b32_e32 v10, s34, v10
	ds_read_b32 v68, v72 offset:64
	v_and_b32_e32 v10, v71, v10
	v_and_b32_e32 v11, v8, v11
	v_mbcnt_lo_u32_b32 v8, v10, 0
	v_mbcnt_hi_u32_b32 v70, v11, v8
	v_cmp_eq_u32_e64 s[34:35], 0, v70
	v_cmp_ne_u64_e64 s[36:37], 0, v[10:11]
	s_and_b64 s[36:37], s[36:37], s[34:35]
	; wave barrier
	s_and_saveexec_b64 s[34:35], s[36:37]
	s_cbranch_execz .LBB1036_63
; %bb.62:
	v_bcnt_u32_b32 v8, v10, 0
	v_bcnt_u32_b32 v8, v11, v8
	s_waitcnt lgkmcnt(0)
	v_add_u32_e32 v8, v68, v8
	ds_write_b32 v72, v8 offset:64
.LBB1036_63:
	s_or_b64 exec, exec, s[34:35]
	v_lshrrev_b32_e32 v8, s64, v25
	v_and_b32_e32 v73, s68, v8
	v_mul_lo_u32 v8, v73, s38
	v_lshl_add_u32 v74, v38, 2, v8
	v_and_b32_e32 v8, 1, v73
	v_lshl_add_u64 v[10:11], v[8:9], 0, -1
	v_cmp_ne_u32_e64 s[34:35], 0, v8
	; wave barrier
	s_nop 1
	v_xor_b32_e32 v10, s34, v10
	v_xor_b32_e32 v8, s35, v11
	v_and_b32_e32 v38, exec_lo, v10
	v_lshlrev_b32_e32 v11, 30, v73
	v_mov_b32_e32 v10, v9
	v_cmp_gt_i64_e64 s[34:35], 0, v[10:11]
	v_not_b32_e32 v10, v11
	v_ashrrev_i32_e32 v10, 31, v10
	v_and_b32_e32 v8, exec_hi, v8
	v_xor_b32_e32 v11, s35, v10
	v_xor_b32_e32 v10, s34, v10
	v_and_b32_e32 v8, v8, v11
	v_and_b32_e32 v38, v38, v10
	v_lshlrev_b32_e32 v11, 29, v73
	v_mov_b32_e32 v10, v9
	v_cmp_gt_i64_e64 s[34:35], 0, v[10:11]
	v_not_b32_e32 v10, v11
	v_ashrrev_i32_e32 v10, 31, v10
	v_xor_b32_e32 v11, s35, v10
	v_xor_b32_e32 v10, s34, v10
	v_and_b32_e32 v8, v8, v11
	v_and_b32_e32 v38, v38, v10
	v_lshlrev_b32_e32 v11, 28, v73
	v_mov_b32_e32 v10, v9
	v_cmp_gt_i64_e64 s[34:35], 0, v[10:11]
	v_not_b32_e32 v10, v11
	v_ashrrev_i32_e32 v10, 31, v10
	;; [unrolled: 9-line block ×5, first 2 shown]
	v_xor_b32_e32 v11, s35, v10
	v_xor_b32_e32 v10, s34, v10
	v_and_b32_e32 v8, v8, v11
	v_lshlrev_b32_e32 v11, 24, v73
	v_and_b32_e32 v38, v38, v10
	v_mov_b32_e32 v10, v9
	v_not_b32_e32 v9, v11
	v_cmp_gt_i64_e64 s[34:35], 0, v[10:11]
	v_ashrrev_i32_e32 v9, 31, v9
	ds_read_b32 v71, v74 offset:64
	v_xor_b32_e32 v10, s35, v9
	v_xor_b32_e32 v11, s34, v9
	v_and_b32_e32 v9, v8, v10
	v_and_b32_e32 v8, v38, v11
	v_mbcnt_lo_u32_b32 v10, v8, 0
	v_mbcnt_hi_u32_b32 v73, v9, v10
	v_cmp_eq_u32_e64 s[34:35], 0, v73
	v_cmp_ne_u64_e64 s[36:37], 0, v[8:9]
	s_and_b64 s[36:37], s[36:37], s[34:35]
	; wave barrier
	s_and_saveexec_b64 s[34:35], s[36:37]
	s_cbranch_execz .LBB1036_65
; %bb.64:
	v_bcnt_u32_b32 v8, v8, 0
	v_bcnt_u32_b32 v8, v9, v8
	s_waitcnt lgkmcnt(0)
	v_add_u32_e32 v8, v71, v8
	ds_write_b32 v74, v8 offset:64
.LBB1036_65:
	s_or_b64 exec, exec, s[34:35]
	; wave barrier
	s_waitcnt lgkmcnt(0)
	s_barrier
	ds_read2_b32 v[10:11], v13 offset0:16 offset1:17
	ds_read2_b32 v[8:9], v13 offset0:18 offset1:19
	ds_read_b32 v38, v13 offset:80
	v_cmp_lt_u32_e64 s[44:45], 31, v12
	s_waitcnt lgkmcnt(1)
	v_add3_u32 v75, v11, v10, v8
	s_waitcnt lgkmcnt(0)
	v_add3_u32 v38, v75, v9, v38
	v_and_b32_e32 v75, 15, v12
	v_cmp_eq_u32_e64 s[34:35], 0, v75
	v_mov_b32_dpp v76, v38 row_shr:1 row_mask:0xf bank_mask:0xf
	v_cmp_lt_u32_e64 s[36:37], 1, v75
	v_cndmask_b32_e64 v76, v76, 0, s[34:35]
	v_add_u32_e32 v38, v76, v38
	v_cmp_lt_u32_e64 s[38:39], 3, v75
	v_cmp_lt_u32_e64 s[40:41], 7, v75
	v_mov_b32_dpp v76, v38 row_shr:2 row_mask:0xf bank_mask:0xf
	v_cndmask_b32_e64 v76, 0, v76, s[36:37]
	v_add_u32_e32 v38, v38, v76
	s_nop 1
	v_mov_b32_dpp v76, v38 row_shr:4 row_mask:0xf bank_mask:0xf
	v_cndmask_b32_e64 v76, 0, v76, s[38:39]
	v_add_u32_e32 v38, v38, v76
	s_nop 1
	v_mov_b32_dpp v76, v38 row_shr:8 row_mask:0xf bank_mask:0xf
	v_cndmask_b32_e64 v75, 0, v76, s[40:41]
	v_add_u32_e32 v38, v38, v75
	v_bfe_i32 v76, v12, 4, 1
	s_nop 0
	v_mov_b32_dpp v75, v38 row_bcast:15 row_mask:0xf bank_mask:0xf
	v_and_b32_e32 v75, v76, v75
	v_add_u32_e32 v38, v38, v75
	v_lshrrev_b32_e32 v76, 6, v2
	s_nop 0
	v_mov_b32_dpp v75, v38 row_bcast:31 row_mask:0xf bank_mask:0xf
	v_cndmask_b32_e64 v75, 0, v75, s[44:45]
	v_add_u32_e32 v75, v38, v75
	v_and_b32_e32 v38, 63, v2
	v_cmp_eq_u32_e64 s[44:45], 63, v38
	s_and_saveexec_b64 s[46:47], s[44:45]
; %bb.66:
	v_lshlrev_b32_e32 v38, 2, v76
	ds_write_b32 v38, v75
; %bb.67:
	s_or_b64 exec, exec, s[46:47]
	v_cmp_gt_u32_e64 s[44:45], 16, v2
	v_lshlrev_b32_e32 v38, 2, v2
	s_waitcnt lgkmcnt(0)
	s_barrier
	s_and_saveexec_b64 s[46:47], s[44:45]
	s_cbranch_execz .LBB1036_69
; %bb.68:
	ds_read_b32 v77, v38
	s_waitcnt lgkmcnt(0)
	s_nop 0
	v_mov_b32_dpp v78, v77 row_shr:1 row_mask:0xf bank_mask:0xf
	v_cndmask_b32_e64 v78, v78, 0, s[34:35]
	v_add_u32_e32 v77, v78, v77
	s_nop 1
	v_mov_b32_dpp v78, v77 row_shr:2 row_mask:0xf bank_mask:0xf
	v_cndmask_b32_e64 v78, 0, v78, s[36:37]
	v_add_u32_e32 v77, v77, v78
	;; [unrolled: 4-line block ×4, first 2 shown]
	ds_write_b32 v38, v77
.LBB1036_69:
	s_or_b64 exec, exec, s[46:47]
	v_cmp_lt_u32_e64 s[34:35], 63, v2
	v_mov_b32_e32 v77, 0
	s_waitcnt lgkmcnt(0)
	s_barrier
	s_and_saveexec_b64 s[36:37], s[34:35]
; %bb.70:
	v_lshl_add_u32 v76, v76, 2, -4
	ds_read_b32 v77, v76
; %bb.71:
	s_or_b64 exec, exec, s[36:37]
	v_subrev_co_u32_e64 v76, s[34:35], 1, v12
	v_and_b32_e32 v78, 64, v12
	v_cmp_lt_i32_e64 s[36:37], v76, v78
	s_waitcnt lgkmcnt(0)
	v_add_u32_e32 v75, v77, v75
	s_movk_i32 s38, 0x100
	v_cndmask_b32_e64 v12, v76, v12, s[36:37]
	v_lshlrev_b32_e32 v12, 2, v12
	ds_bpermute_b32 v12, v12, v75
	v_cmp_gt_u32_e64 s[36:37], s38, v2
	s_waitcnt lgkmcnt(0)
	v_cndmask_b32_e64 v12, v12, v77, s[34:35]
	v_cmp_ne_u32_e64 s[34:35], 0, v2
	s_nop 1
	v_cndmask_b32_e64 v12, 0, v12, s[34:35]
	v_add_u32_e32 v10, v12, v10
	v_add_u32_e32 v11, v10, v11
	;; [unrolled: 1-line block ×4, first 2 shown]
	ds_write2_b32 v13, v12, v10 offset0:16 offset1:17
	ds_write2_b32 v13, v11, v8 offset0:18 offset1:19
	ds_write_b32 v13, v9 offset:80
	s_waitcnt lgkmcnt(0)
	s_barrier
	ds_read_b32 v84, v31 offset:64
	ds_read_b32 v75, v33 offset:64
	;; [unrolled: 1-line block ×16, first 2 shown]
	s_movk_i32 s34, 0xff
	v_cmp_lt_u32_e64 s[34:35], s34, v2
                                        ; implicit-def: $vgpr31
                                        ; implicit-def: $vgpr33
	s_and_saveexec_b64 s[40:41], s[36:37]
	s_cbranch_execz .LBB1036_75
; %bb.72:
	v_mul_u32_u24_e32 v8, 0x44, v2
	ds_read_b32 v31, v8 offset:64
	v_add_u32_e32 v9, 1, v2
	v_cmp_ne_u32_e64 s[38:39], s38, v9
	v_mov_b32_e32 v8, 0x4000
	s_and_saveexec_b64 s[44:45], s[38:39]
; %bb.73:
	v_mul_u32_u24_e32 v8, 0x44, v9
	ds_read_b32 v8, v8 offset:64
; %bb.74:
	s_or_b64 exec, exec, s[44:45]
	s_waitcnt lgkmcnt(0)
	v_sub_u32_e32 v33, v8, v31
.LBB1036_75:
	s_or_b64 exec, exec, s[40:41]
	v_mov_b32_e32 v9, 0
	s_waitcnt lgkmcnt(0)
	s_barrier
	s_and_saveexec_b64 s[38:39], s[36:37]
	s_cbranch_execz .LBB1036_85
; %bb.76:
	v_lshl_add_u32 v8, s2, 8, v2
	v_lshl_add_u64 v[10:11], v[8:9], 2, s[50:51]
	v_or_b32_e32 v8, 2.0, v33
	s_mov_b64 s[40:41], 0
	s_brev_b32 s48, -4
	s_mov_b32 s49, s2
	v_mov_b32_e32 v48, 0
	global_store_dword v[10:11], v8, off sc1
                                        ; implicit-def: $sgpr36_sgpr37
	s_branch .LBB1036_79
.LBB1036_77:                            ;   in Loop: Header=BB1036_79 Depth=1
	s_or_b64 exec, exec, s[46:47]
.LBB1036_78:                            ;   in Loop: Header=BB1036_79 Depth=1
	s_or_b64 exec, exec, s[44:45]
	v_and_b32_e32 v12, 0x3fffffff, v8
	v_add_u32_e32 v48, v12, v48
	v_cmp_gt_i32_e64 s[36:37], -2.0, v8
	s_and_b64 s[44:45], exec, s[36:37]
	s_or_b64 s[40:41], s[44:45], s[40:41]
	s_andn2_b64 exec, exec, s[40:41]
	s_cbranch_execz .LBB1036_84
.LBB1036_79:                            ; =>This Loop Header: Depth=1
                                        ;     Child Loop BB1036_82 Depth 2
	s_or_b64 s[36:37], s[36:37], exec
	s_cmp_eq_u32 s49, 0
	s_cbranch_scc1 .LBB1036_83
; %bb.80:                               ;   in Loop: Header=BB1036_79 Depth=1
	s_add_i32 s49, s49, -1
	v_lshl_or_b32 v8, s49, 8, v2
	v_lshl_add_u64 v[12:13], v[8:9], 2, s[50:51]
	global_load_dword v8, v[12:13], off sc1
	s_waitcnt vmcnt(0)
	v_cmp_gt_u32_e64 s[36:37], 2.0, v8
	s_and_saveexec_b64 s[44:45], s[36:37]
	s_cbranch_execz .LBB1036_78
; %bb.81:                               ;   in Loop: Header=BB1036_79 Depth=1
	s_mov_b64 s[46:47], 0
.LBB1036_82:                            ;   Parent Loop BB1036_79 Depth=1
                                        ; =>  This Inner Loop Header: Depth=2
	global_load_dword v8, v[12:13], off sc1
	s_waitcnt vmcnt(0)
	v_cmp_lt_u32_e64 s[36:37], s48, v8
	s_or_b64 s[46:47], s[36:37], s[46:47]
	s_andn2_b64 exec, exec, s[46:47]
	s_cbranch_execnz .LBB1036_82
	s_branch .LBB1036_77
.LBB1036_83:                            ;   in Loop: Header=BB1036_79 Depth=1
                                        ; implicit-def: $sgpr49
	s_and_b64 s[44:45], exec, s[36:37]
	s_or_b64 s[40:41], s[44:45], s[40:41]
	s_andn2_b64 exec, exec, s[40:41]
	s_cbranch_execnz .LBB1036_79
.LBB1036_84:
	s_or_b64 exec, exec, s[40:41]
	v_add_u32_e32 v8, v48, v33
	v_or_b32_e32 v8, 0x80000000, v8
	global_store_dword v[10:11], v8, off sc1
	global_load_dword v8, v38, s[60:61]
	v_sub_u32_e32 v9, v48, v31
	s_waitcnt vmcnt(0)
	v_add_u32_e32 v8, v9, v8
	ds_write_b32 v38, v8
.LBB1036_85:
	s_or_b64 exec, exec, s[38:39]
	v_add_u32_e32 v10, v84, v28
	v_add3_u32 v8, v29, v27, v75
	v_add3_u32 v9, v32, v30, v76
	v_add3_u32 v60, v35, v34, v77
	v_add3_u32 v63, v39, v37, v78
	v_add3_u32 v66, v42, v41, v79
	v_add3_u32 v69, v46, v44, v80
	v_add3_u32 v72, v49, v47, v81
	v_add3_u32 v74, v52, v50, v82
	v_add3_u32 v84, v55, v53, v83
	v_add3_u32 v54, v58, v56, v57
	v_add3_u32 v48, v61, v59, v51
	v_add3_u32 v85, v64, v62, v45
	v_add3_u32 v86, v67, v65, v40
	v_add3_u32 v13, v70, v68, v36
	v_add3_u32 v11, v73, v71, v43
	v_mov_b32_e32 v87, 0x400
	s_movk_i32 s40, 0x400
	v_lshl_add_u32 v11, v11, 2, v87
	v_add3_u32 v12, v73, v43, v71
	v_lshl_add_u32 v13, v13, 2, v87
	v_add3_u32 v28, v70, v36, v68
	;; [unrolled: 2-line block ×15, first 2 shown]
	v_lshl_add_u32 v29, v10, 2, v87
	s_mov_b32 s41, 0
	s_mov_b32 s44, 0
	s_movk_i32 s45, 0x1000
	v_mov_b32_e32 v9, 0
	s_movk_i32 s46, 0x800
	s_movk_i32 s47, 0xc00
	v_mov_b32_e32 v58, v2
	s_mov_b32 s48, 0
	s_branch .LBB1036_87
.LBB1036_86:                            ;   in Loop: Header=BB1036_87 Depth=1
	s_or_b64 exec, exec, s[38:39]
	s_addk_i32 s48, 0xc000
	s_add_i32 s41, s41, 16
	s_addk_i32 s44, 0xf000
	s_cmp_eq_u32 s48, 0xffff0000
	v_add_u32_e32 v58, 0x1000, v58
	s_barrier
	s_cbranch_scc1 .LBB1036_127
.LBB1036_87:                            ; =>This Inner Loop Header: Depth=1
	v_add_u32_e32 v8, s44, v10
	v_cmp_gt_u32_e64 s[36:37], s45, v8
	s_and_saveexec_b64 s[38:39], s[36:37]
; %bb.88:                               ;   in Loop: Header=BB1036_87 Depth=1
	v_add_u32_e32 v8, s48, v29
	ds_write_b32 v8, v5
; %bb.89:                               ;   in Loop: Header=BB1036_87 Depth=1
	s_or_b64 exec, exec, s[38:39]
	v_add_u32_e32 v8, s44, v27
	v_cmp_gt_u32_e64 s[36:37], s45, v8
	s_and_saveexec_b64 s[38:39], s[36:37]
; %bb.90:                               ;   in Loop: Header=BB1036_87 Depth=1
	v_add_u32_e32 v8, s48, v32
	ds_write_b32 v8, v3
; %bb.91:                               ;   in Loop: Header=BB1036_87 Depth=1
	s_or_b64 exec, exec, s[38:39]
	;; [unrolled: 8-line block ×6, first 2 shown]
	v_add_u32_e32 v8, s44, v44
	v_cmp_gt_u32_e64 s[36:37], s45, v8
	s_and_saveexec_b64 s[38:39], s[36:37]
; %bb.100:                              ;   in Loop: Header=BB1036_87 Depth=1
	v_add_u32_e32 v8, s48, v49
	ds_write_b32 v8, v18
; %bb.101:                              ;   in Loop: Header=BB1036_87 Depth=1
	s_or_b64 exec, exec, s[38:39]
	v_add_u32_e32 v8, s44, v47
	v_cmp_gt_u32_e64 s[36:37], s45, v8
	s_and_saveexec_b64 s[38:39], s[36:37]
; %bb.102:                              ;   in Loop: Header=BB1036_87 Depth=1
	v_add_u32_e32 v8, s48, v52
	ds_write_b32 v8, v17
; %bb.103:                              ;   in Loop: Header=BB1036_87 Depth=1
	s_or_b64 exec, exec, s[38:39]
	;; [unrolled: 8-line block ×10, first 2 shown]
	v_cmp_gt_u32_e64 s[36:37], s3, v58
	s_waitcnt lgkmcnt(0)
	s_barrier
	s_and_saveexec_b64 s[38:39], s[36:37]
	s_cbranch_execz .LBB1036_121
; %bb.120:                              ;   in Loop: Header=BB1036_87 Depth=1
	ds_read_b32 v8, v38 offset:1024
	s_waitcnt lgkmcnt(0)
	v_lshrrev_b32_e32 v59, s64, v8
	v_and_b32_e32 v59, s68, v59
	v_lshlrev_b32_e32 v60, 2, v59
	ds_read_b32 v60, v60
	v_xor_b32_e32 v62, 0x7fffffff, v8
	s_waitcnt lgkmcnt(0)
	v_add_u32_e32 v8, v58, v60
	v_lshl_add_u64 v[60:61], v[8:9], 2, s[54:55]
	global_store_dword v[60:61], v62, off
	scratch_store_dword off, v59, s41
.LBB1036_121:                           ;   in Loop: Header=BB1036_87 Depth=1
	s_or_b64 exec, exec, s[38:39]
	v_add_u32_e32 v8, 0x400, v58
	v_cmp_gt_u32_e64 s[36:37], s3, v8
	s_and_saveexec_b64 s[38:39], s[36:37]
	s_cbranch_execz .LBB1036_123
; %bb.122:                              ;   in Loop: Header=BB1036_87 Depth=1
	ds_read_b32 v8, v38 offset:5120
	s_add_i32 s36, s41, 4
	s_waitcnt lgkmcnt(0)
	v_lshrrev_b32_e32 v59, s64, v8
	v_and_b32_e32 v59, s68, v59
	v_lshlrev_b32_e32 v60, 2, v59
	ds_read_b32 v60, v60
	v_xor_b32_e32 v62, 0x7fffffff, v8
	s_waitcnt lgkmcnt(0)
	v_add3_u32 v8, v58, v60, s40
	v_lshl_add_u64 v[60:61], v[8:9], 2, s[54:55]
	global_store_dword v[60:61], v62, off
	scratch_store_dword off, v59, s36
.LBB1036_123:                           ;   in Loop: Header=BB1036_87 Depth=1
	s_or_b64 exec, exec, s[38:39]
	v_add_u32_e32 v8, 0x800, v58
	v_cmp_gt_u32_e64 s[36:37], s3, v8
	s_and_saveexec_b64 s[38:39], s[36:37]
	s_cbranch_execz .LBB1036_125
; %bb.124:                              ;   in Loop: Header=BB1036_87 Depth=1
	ds_read_b32 v8, v38 offset:9216
	s_add_i32 s36, s41, 8
	s_waitcnt lgkmcnt(0)
	v_lshrrev_b32_e32 v59, s64, v8
	v_and_b32_e32 v59, s68, v59
	v_lshlrev_b32_e32 v60, 2, v59
	ds_read_b32 v60, v60
	v_xor_b32_e32 v62, 0x7fffffff, v8
	s_waitcnt lgkmcnt(0)
	v_add3_u32 v8, v58, v60, s46
	v_lshl_add_u64 v[60:61], v[8:9], 2, s[54:55]
	global_store_dword v[60:61], v62, off
	scratch_store_dword off, v59, s36
.LBB1036_125:                           ;   in Loop: Header=BB1036_87 Depth=1
	s_or_b64 exec, exec, s[38:39]
	v_add_u32_e32 v8, 0xc00, v58
	v_cmp_gt_u32_e64 s[36:37], s3, v8
	s_and_saveexec_b64 s[38:39], s[36:37]
	s_cbranch_execz .LBB1036_86
; %bb.126:                              ;   in Loop: Header=BB1036_87 Depth=1
	ds_read_b32 v8, v38 offset:13312
	s_add_i32 s36, s41, 12
	s_waitcnt lgkmcnt(0)
	v_lshrrev_b32_e32 v59, s64, v8
	v_and_b32_e32 v59, s68, v59
	v_lshlrev_b32_e32 v60, 2, v59
	ds_read_b32 v60, v60
	v_xor_b32_e32 v62, 0x7fffffff, v8
	s_waitcnt lgkmcnt(0)
	v_add3_u32 v8, v58, v60, s47
	v_lshl_add_u64 v[60:61], v[8:9], 2, s[54:55]
	global_store_dword v[60:61], v62, off
	scratch_store_dword off, v59, s36
	s_branch .LBB1036_86
.LBB1036_127:
	s_add_u32 s36, s56, s66
	s_addc_u32 s37, s57, s67
	v_mov_b32_e32 v5, 0
	v_lshl_add_u64 v[8:9], s[36:37], 0, v[4:5]
	v_mov_b32_e32 v7, v5
	v_lshl_add_u64 v[4:5], v[8:9], 0, v[6:7]
                                        ; implicit-def: $vgpr3
	s_and_saveexec_b64 s[36:37], vcc
	s_cbranch_execz .LBB1036_143
; %bb.128:
	global_load_dword v3, v[4:5], off
	s_or_b64 exec, exec, s[36:37]
                                        ; implicit-def: $vgpr6
	s_and_saveexec_b64 s[36:37], s[42:43]
	s_cbranch_execnz .LBB1036_144
.LBB1036_129:
	s_or_b64 exec, exec, s[36:37]
                                        ; implicit-def: $vgpr7
	s_and_saveexec_b64 s[36:37], s[4:5]
	s_cbranch_execz .LBB1036_145
.LBB1036_130:
	global_load_dword v7, v[4:5], off offset:512
	s_or_b64 exec, exec, s[36:37]
                                        ; implicit-def: $vgpr8
	s_and_saveexec_b64 s[4:5], s[6:7]
	s_cbranch_execnz .LBB1036_146
.LBB1036_131:
	s_or_b64 exec, exec, s[4:5]
                                        ; implicit-def: $vgpr9
	s_and_saveexec_b64 s[4:5], s[8:9]
	s_cbranch_execz .LBB1036_147
.LBB1036_132:
	global_load_dword v9, v[4:5], off offset:1024
	s_or_b64 exec, exec, s[4:5]
                                        ; implicit-def: $vgpr14
	s_and_saveexec_b64 s[4:5], s[10:11]
	s_cbranch_execnz .LBB1036_148
.LBB1036_133:
	s_or_b64 exec, exec, s[4:5]
                                        ; implicit-def: $vgpr15
	s_and_saveexec_b64 s[4:5], s[12:13]
	s_cbranch_execz .LBB1036_149
.LBB1036_134:
	global_load_dword v15, v[4:5], off offset:1536
	s_or_b64 exec, exec, s[4:5]
                                        ; implicit-def: $vgpr16
	s_and_saveexec_b64 s[4:5], s[14:15]
	s_cbranch_execnz .LBB1036_150
.LBB1036_135:
	s_or_b64 exec, exec, s[4:5]
                                        ; implicit-def: $vgpr17
	s_and_saveexec_b64 s[4:5], s[16:17]
	s_cbranch_execz .LBB1036_151
.LBB1036_136:
	global_load_dword v17, v[4:5], off offset:2048
	s_or_b64 exec, exec, s[4:5]
                                        ; implicit-def: $vgpr18
	s_and_saveexec_b64 s[4:5], s[18:19]
	s_cbranch_execnz .LBB1036_152
.LBB1036_137:
	s_or_b64 exec, exec, s[4:5]
                                        ; implicit-def: $vgpr19
	s_and_saveexec_b64 s[4:5], s[20:21]
	s_cbranch_execz .LBB1036_153
.LBB1036_138:
	global_load_dword v19, v[4:5], off offset:2560
	s_or_b64 exec, exec, s[4:5]
                                        ; implicit-def: $vgpr20
	s_and_saveexec_b64 s[4:5], s[22:23]
	s_cbranch_execnz .LBB1036_154
.LBB1036_139:
	s_or_b64 exec, exec, s[4:5]
                                        ; implicit-def: $vgpr21
	s_and_saveexec_b64 s[4:5], s[24:25]
	s_cbranch_execz .LBB1036_155
.LBB1036_140:
	global_load_dword v21, v[4:5], off offset:3072
	s_or_b64 exec, exec, s[4:5]
                                        ; implicit-def: $vgpr22
	s_and_saveexec_b64 s[4:5], s[26:27]
	s_cbranch_execnz .LBB1036_156
.LBB1036_141:
	s_or_b64 exec, exec, s[4:5]
                                        ; implicit-def: $vgpr23
	s_and_saveexec_b64 s[4:5], s[28:29]
	s_cbranch_execz .LBB1036_157
.LBB1036_142:
	global_load_dword v23, v[4:5], off offset:3584
	s_or_b64 exec, exec, s[4:5]
                                        ; implicit-def: $vgpr24
	s_and_saveexec_b64 s[4:5], s[30:31]
	s_cbranch_execnz .LBB1036_158
	s_branch .LBB1036_159
.LBB1036_143:
	s_or_b64 exec, exec, s[36:37]
                                        ; implicit-def: $vgpr6
	s_and_saveexec_b64 s[36:37], s[42:43]
	s_cbranch_execz .LBB1036_129
.LBB1036_144:
	global_load_dword v6, v[4:5], off offset:256
	s_or_b64 exec, exec, s[36:37]
                                        ; implicit-def: $vgpr7
	s_and_saveexec_b64 s[36:37], s[4:5]
	s_cbranch_execnz .LBB1036_130
.LBB1036_145:
	s_or_b64 exec, exec, s[36:37]
                                        ; implicit-def: $vgpr8
	s_and_saveexec_b64 s[4:5], s[6:7]
	s_cbranch_execz .LBB1036_131
.LBB1036_146:
	global_load_dword v8, v[4:5], off offset:768
	s_or_b64 exec, exec, s[4:5]
                                        ; implicit-def: $vgpr9
	s_and_saveexec_b64 s[4:5], s[8:9]
	s_cbranch_execnz .LBB1036_132
.LBB1036_147:
	s_or_b64 exec, exec, s[4:5]
                                        ; implicit-def: $vgpr14
	s_and_saveexec_b64 s[4:5], s[10:11]
	s_cbranch_execz .LBB1036_133
.LBB1036_148:
	global_load_dword v14, v[4:5], off offset:1280
	s_or_b64 exec, exec, s[4:5]
                                        ; implicit-def: $vgpr15
	s_and_saveexec_b64 s[4:5], s[12:13]
	s_cbranch_execnz .LBB1036_134
.LBB1036_149:
	s_or_b64 exec, exec, s[4:5]
                                        ; implicit-def: $vgpr16
	s_and_saveexec_b64 s[4:5], s[14:15]
	s_cbranch_execz .LBB1036_135
.LBB1036_150:
	global_load_dword v16, v[4:5], off offset:1792
	s_or_b64 exec, exec, s[4:5]
                                        ; implicit-def: $vgpr17
	s_and_saveexec_b64 s[4:5], s[16:17]
	s_cbranch_execnz .LBB1036_136
.LBB1036_151:
	s_or_b64 exec, exec, s[4:5]
                                        ; implicit-def: $vgpr18
	s_and_saveexec_b64 s[4:5], s[18:19]
	s_cbranch_execz .LBB1036_137
.LBB1036_152:
	global_load_dword v18, v[4:5], off offset:2304
	s_or_b64 exec, exec, s[4:5]
                                        ; implicit-def: $vgpr19
	s_and_saveexec_b64 s[4:5], s[20:21]
	s_cbranch_execnz .LBB1036_138
.LBB1036_153:
	s_or_b64 exec, exec, s[4:5]
                                        ; implicit-def: $vgpr20
	s_and_saveexec_b64 s[4:5], s[22:23]
	s_cbranch_execz .LBB1036_139
.LBB1036_154:
	global_load_dword v20, v[4:5], off offset:2816
	s_or_b64 exec, exec, s[4:5]
                                        ; implicit-def: $vgpr21
	s_and_saveexec_b64 s[4:5], s[24:25]
	s_cbranch_execnz .LBB1036_140
.LBB1036_155:
	s_or_b64 exec, exec, s[4:5]
                                        ; implicit-def: $vgpr22
	s_and_saveexec_b64 s[4:5], s[26:27]
	s_cbranch_execz .LBB1036_141
.LBB1036_156:
	global_load_dword v22, v[4:5], off offset:3328
	s_or_b64 exec, exec, s[4:5]
                                        ; implicit-def: $vgpr23
	s_and_saveexec_b64 s[4:5], s[28:29]
	s_cbranch_execnz .LBB1036_142
.LBB1036_157:
	s_or_b64 exec, exec, s[4:5]
                                        ; implicit-def: $vgpr24
	s_and_saveexec_b64 s[4:5], s[30:31]
	s_cbranch_execz .LBB1036_159
.LBB1036_158:
	global_load_dword v24, v[4:5], off offset:3840
.LBB1036_159:
	s_or_b64 exec, exec, s[4:5]
	s_mov_b32 s6, 0
	s_mov_b32 s7, 0
	s_movk_i32 s8, 0x1000
	v_mov_b32_e32 v5, 0
	s_movk_i32 s9, 0x400
	s_movk_i32 s10, 0x800
	;; [unrolled: 1-line block ×3, first 2 shown]
	s_mov_b32 s12, 0
	s_branch .LBB1036_161
.LBB1036_160:                           ;   in Loop: Header=BB1036_161 Depth=1
	s_or_b64 exec, exec, s[4:5]
	s_addk_i32 s12, 0xc000
	s_addk_i32 s7, 0xf000
	s_add_i32 s6, s6, 16
	s_cmp_eq_u32 s12, 0xffff0000
	v_add_u32_e32 v2, 0x1000, v2
	s_barrier
	s_cbranch_scc1 .LBB1036_201
.LBB1036_161:                           ; =>This Inner Loop Header: Depth=1
	v_add_u32_e32 v4, s7, v10
	v_cmp_gt_u32_e32 vcc, s8, v4
	s_and_saveexec_b64 s[4:5], vcc
	s_cbranch_execz .LBB1036_163
; %bb.162:                              ;   in Loop: Header=BB1036_161 Depth=1
	v_add_u32_e32 v4, s12, v29
	s_waitcnt vmcnt(0)
	ds_write_b32 v4, v3
.LBB1036_163:                           ;   in Loop: Header=BB1036_161 Depth=1
	s_or_b64 exec, exec, s[4:5]
	v_add_u32_e32 v4, s7, v27
	v_cmp_gt_u32_e32 vcc, s8, v4
	s_and_saveexec_b64 s[4:5], vcc
	s_cbranch_execz .LBB1036_165
; %bb.164:                              ;   in Loop: Header=BB1036_161 Depth=1
	v_add_u32_e32 v4, s12, v32
	s_waitcnt vmcnt(0)
	ds_write_b32 v4, v6
.LBB1036_165:                           ;   in Loop: Header=BB1036_161 Depth=1
	s_or_b64 exec, exec, s[4:5]
	;; [unrolled: 10-line block ×16, first 2 shown]
	v_cmp_gt_u32_e32 vcc, s3, v2
	s_waitcnt lgkmcnt(0)
	s_barrier
	s_and_saveexec_b64 s[4:5], vcc
	s_cbranch_execz .LBB1036_195
; %bb.194:                              ;   in Loop: Header=BB1036_161 Depth=1
	scratch_load_dword v4, off, s6
	s_waitcnt vmcnt(0)
	v_lshlrev_b32_e32 v4, 2, v4
	ds_read_b32 v4, v4
	ds_read_b32 v25, v38 offset:1024
	s_waitcnt lgkmcnt(1)
	v_add_u32_e32 v4, v2, v4
	v_lshl_add_u64 v[58:59], v[4:5], 2, s[58:59]
	s_waitcnt lgkmcnt(0)
	global_store_dword v[58:59], v25, off
.LBB1036_195:                           ;   in Loop: Header=BB1036_161 Depth=1
	s_or_b64 exec, exec, s[4:5]
	v_add_u32_e32 v4, 0x400, v2
	v_cmp_gt_u32_e32 vcc, s3, v4
	s_and_saveexec_b64 s[4:5], vcc
	s_cbranch_execz .LBB1036_197
; %bb.196:                              ;   in Loop: Header=BB1036_161 Depth=1
	s_add_i32 s13, s6, 4
	scratch_load_dword v4, off, s13
	s_waitcnt vmcnt(0)
	v_lshlrev_b32_e32 v4, 2, v4
	ds_read_b32 v4, v4
	ds_read_b32 v25, v38 offset:5120
	s_waitcnt lgkmcnt(1)
	v_add3_u32 v4, v2, v4, s9
	v_lshl_add_u64 v[58:59], v[4:5], 2, s[58:59]
	s_waitcnt lgkmcnt(0)
	global_store_dword v[58:59], v25, off
.LBB1036_197:                           ;   in Loop: Header=BB1036_161 Depth=1
	s_or_b64 exec, exec, s[4:5]
	v_add_u32_e32 v4, 0x800, v2
	v_cmp_gt_u32_e32 vcc, s3, v4
	s_and_saveexec_b64 s[4:5], vcc
	s_cbranch_execz .LBB1036_199
; %bb.198:                              ;   in Loop: Header=BB1036_161 Depth=1
	s_add_i32 s13, s6, 8
	scratch_load_dword v4, off, s13
	s_waitcnt vmcnt(0)
	v_lshlrev_b32_e32 v4, 2, v4
	ds_read_b32 v4, v4
	ds_read_b32 v25, v38 offset:9216
	s_waitcnt lgkmcnt(1)
	v_add3_u32 v4, v2, v4, s10
	v_lshl_add_u64 v[58:59], v[4:5], 2, s[58:59]
	s_waitcnt lgkmcnt(0)
	global_store_dword v[58:59], v25, off
.LBB1036_199:                           ;   in Loop: Header=BB1036_161 Depth=1
	s_or_b64 exec, exec, s[4:5]
	v_add_u32_e32 v4, 0xc00, v2
	v_cmp_gt_u32_e32 vcc, s3, v4
	s_and_saveexec_b64 s[4:5], vcc
	s_cbranch_execz .LBB1036_160
; %bb.200:                              ;   in Loop: Header=BB1036_161 Depth=1
	s_add_i32 s13, s6, 12
	scratch_load_dword v4, off, s13
	s_waitcnt vmcnt(0)
	v_lshlrev_b32_e32 v4, 2, v4
	ds_read_b32 v4, v4
	ds_read_b32 v25, v38 offset:13312
	s_waitcnt lgkmcnt(1)
	v_add3_u32 v4, v2, v4, s11
	v_lshl_add_u64 v[58:59], v[4:5], 2, s[58:59]
	s_waitcnt lgkmcnt(0)
	global_store_dword v[58:59], v25, off
	s_branch .LBB1036_160
.LBB1036_201:
	s_add_i32 s33, s33, -1
	s_cmp_eq_u32 s2, s33
	s_cselect_b64 s[4:5], -1, 0
	s_xor_b64 s[6:7], s[34:35], -1
	s_and_b64 s[6:7], s[6:7], s[4:5]
	s_and_saveexec_b64 s[4:5], s[6:7]
	s_cbranch_execz .LBB1036_203
; %bb.202:
	ds_read_b32 v2, v38
	s_waitcnt lgkmcnt(0)
	v_add3_u32 v2, v31, v33, v2
	global_store_dword v38, v2, s[62:63]
.LBB1036_203:
	s_or_b64 exec, exec, s[4:5]
	s_mov_b64 s[4:5], 0
.LBB1036_204:
	s_and_b64 vcc, exec, s[4:5]
	s_cbranch_vccz .LBB1036_327
; %bb.205:
	v_and_b32_e32 v2, 0x3ff, v0
	s_lshl_b32 s4, s2, 14
	s_mov_b32 s5, 0
	s_lshl_b64 s[10:11], s[4:5], 2
	v_mbcnt_hi_u32_b32 v10, -1, v1
	v_lshlrev_b32_e32 v1, 4, v2
	s_add_u32 s4, s52, s10
	s_waitcnt vmcnt(0)
	v_and_b32_e32 v3, 63, v10
	v_and_b32_e32 v6, 0x3c00, v1
	v_mov_b32_e32 v1, 0
	s_addc_u32 s5, s53, s11
	v_lshlrev_b32_e32 v4, 2, v3
	v_mov_b32_e32 v5, v1
	v_lshl_add_u64 v[8:9], s[4:5], 0, v[4:5]
	s_load_dword s3, s[0:1], 0x58
	s_load_dword s4, s[0:1], 0x64
	v_lshlrev_b32_e32 v6, 2, v6
	v_mov_b32_e32 v7, v1
	s_add_u32 s0, s0, 0x58
	v_lshl_add_u64 v[8:9], v[8:9], 0, v[6:7]
	s_addc_u32 s1, s1, 0
	s_waitcnt lgkmcnt(0)
	s_lshr_b32 s4, s4, 16
	global_load_dword v3, v[8:9], off
	s_cmp_lt_u32 s2, s3
	s_cselect_b32 s5, 12, 18
	s_add_u32 s0, s0, s5
	s_addc_u32 s1, s1, 0
	global_load_ushort v13, v1, s[0:1]
	v_mul_u32_u24_e32 v11, 20, v2
	ds_write2_b32 v11, v1, v1 offset0:16 offset1:17
	ds_write2_b32 v11, v1, v1 offset0:18 offset1:19
	ds_write_b32 v11, v1 offset:80
	global_load_dword v5, v[8:9], off offset:256
	global_load_dword v7, v[8:9], off offset:512
	;; [unrolled: 1-line block ×15, first 2 shown]
	v_bfe_u32 v14, v0, 10, 10
	v_bfe_u32 v0, v0, 20, 10
	v_mad_u32_u24 v8, v0, s4, v14
	s_lshl_b32 s0, -1, s65
	v_mov_b32_e32 v16, v1
	s_not_b32 s14, s0
	v_mov_b32_e32 v20, v1
	v_mov_b32_e32 v26, v1
	s_movk_i32 s8, 0x44
	s_waitcnt lgkmcnt(0)
	s_barrier
	s_waitcnt vmcnt(16)
	; wave barrier
	v_xor_b32_e32 v3, 0x7fffffff, v3
	v_lshrrev_b32_e32 v0, s64, v3
	v_bitop3_b32 v14, v0, s0, v0 bitop3:0x30
	v_and_b32_e32 v0, 1, v14
	v_lshlrev_b32_e32 v17, 30, v14
	v_lshlrev_b32_e32 v21, 29, v14
	s_waitcnt vmcnt(15)
	v_mad_u64_u32 v[8:9], s[0:1], v8, v13, v[2:3]
	v_lshl_add_u64 v[32:33], v[0:1], 0, -1
	v_cmp_ne_u32_e32 vcc, 0, v0
	v_not_b32_e32 v0, v17
	v_lshlrev_b32_e32 v27, 28, v14
	v_cmp_gt_i64_e64 s[0:1], 0, v[16:17]
	v_not_b32_e32 v9, v21
	v_lshrrev_b32_e32 v28, 6, v8
	v_xor_b32_e32 v8, vcc_hi, v33
	v_xor_b32_e32 v16, vcc_lo, v32
	v_ashrrev_i32_e32 v0, 31, v0
	v_cmp_gt_i64_e64 s[4:5], 0, v[20:21]
	v_not_b32_e32 v13, v27
	v_ashrrev_i32_e32 v9, 31, v9
	v_and_b32_e32 v8, exec_hi, v8
	v_and_b32_e32 v16, exec_lo, v16
	v_xor_b32_e32 v17, s1, v0
	v_xor_b32_e32 v0, s0, v0
	v_cmp_gt_i64_e64 s[6:7], 0, v[26:27]
	v_ashrrev_i32_e32 v13, 31, v13
	v_xor_b32_e32 v20, s5, v9
	v_xor_b32_e32 v9, s4, v9
	v_and_b32_e32 v8, v8, v17
	v_and_b32_e32 v0, v16, v0
	v_xor_b32_e32 v21, s7, v13
	v_and_b32_e32 v8, v8, v20
	v_and_b32_e32 v0, v0, v9
	;; [unrolled: 3-line block ×3, first 2 shown]
	v_lshlrev_b32_e32 v9, 27, v14
	v_mov_b32_e32 v8, v1
	v_cmp_gt_i64_e32 vcc, 0, v[8:9]
	v_not_b32_e32 v8, v9
	v_ashrrev_i32_e32 v8, 31, v8
	v_xor_b32_e32 v9, vcc_hi, v8
	v_xor_b32_e32 v8, vcc_lo, v8
	v_and_b32_e32 v13, v13, v9
	v_and_b32_e32 v0, v0, v8
	v_lshlrev_b32_e32 v9, 26, v14
	v_mov_b32_e32 v8, v1
	v_cmp_gt_i64_e32 vcc, 0, v[8:9]
	v_not_b32_e32 v8, v9
	v_ashrrev_i32_e32 v8, 31, v8
	v_xor_b32_e32 v9, vcc_hi, v8
	v_xor_b32_e32 v8, vcc_lo, v8
	v_and_b32_e32 v13, v13, v9
	v_and_b32_e32 v0, v0, v8
	;; [unrolled: 9-line block ×4, first 2 shown]
	v_mbcnt_lo_u32_b32 v0, v8, 0
	v_mul_lo_u32 v18, v14, s8
	v_mbcnt_hi_u32_b32 v14, v9, v0
	v_cmp_eq_u32_e32 vcc, 0, v14
	v_cmp_ne_u64_e64 s[0:1], 0, v[8:9]
	v_lshl_add_u32 v18, v28, 2, v18
	s_and_b64 s[4:5], s[0:1], vcc
	s_and_saveexec_b64 s[0:1], s[4:5]
; %bb.206:
	v_bcnt_u32_b32 v0, v8, 0
	v_bcnt_u32_b32 v0, v9, v0
	ds_write_b32 v18, v0 offset:64
; %bb.207:
	s_or_b64 exec, exec, s[0:1]
	s_waitcnt vmcnt(14)
	v_xor_b32_e32 v5, 0x7fffffff, v5
	v_lshrrev_b32_e32 v0, s64, v5
	v_and_b32_e32 v16, s14, v0
	v_mul_lo_u32 v0, v16, s8
	v_lshl_add_u32 v21, v28, 2, v0
	v_and_b32_e32 v0, 1, v16
	v_lshl_add_u64 v[8:9], v[0:1], 0, -1
	v_cmp_ne_u32_e32 vcc, 0, v0
	; wave barrier
	s_nop 1
	v_xor_b32_e32 v8, vcc_lo, v8
	v_xor_b32_e32 v0, vcc_hi, v9
	v_and_b32_e32 v17, exec_lo, v8
	v_lshlrev_b32_e32 v9, 30, v16
	v_mov_b32_e32 v8, v1
	v_cmp_gt_i64_e32 vcc, 0, v[8:9]
	v_not_b32_e32 v8, v9
	v_ashrrev_i32_e32 v8, 31, v8
	v_and_b32_e32 v0, exec_hi, v0
	v_xor_b32_e32 v9, vcc_hi, v8
	v_xor_b32_e32 v8, vcc_lo, v8
	v_and_b32_e32 v0, v0, v9
	v_and_b32_e32 v17, v17, v8
	v_lshlrev_b32_e32 v9, 29, v16
	v_mov_b32_e32 v8, v1
	v_cmp_gt_i64_e32 vcc, 0, v[8:9]
	v_not_b32_e32 v8, v9
	v_ashrrev_i32_e32 v8, 31, v8
	v_xor_b32_e32 v9, vcc_hi, v8
	v_xor_b32_e32 v8, vcc_lo, v8
	v_and_b32_e32 v0, v0, v9
	v_and_b32_e32 v17, v17, v8
	v_lshlrev_b32_e32 v9, 28, v16
	v_mov_b32_e32 v8, v1
	v_cmp_gt_i64_e32 vcc, 0, v[8:9]
	v_not_b32_e32 v8, v9
	v_ashrrev_i32_e32 v8, 31, v8
	;; [unrolled: 9-line block ×5, first 2 shown]
	v_xor_b32_e32 v9, vcc_hi, v8
	v_xor_b32_e32 v8, vcc_lo, v8
	v_and_b32_e32 v0, v0, v9
	v_lshlrev_b32_e32 v9, 24, v16
	v_and_b32_e32 v17, v17, v8
	v_mov_b32_e32 v8, v1
	v_not_b32_e32 v1, v9
	v_cmp_gt_i64_e32 vcc, 0, v[8:9]
	v_ashrrev_i32_e32 v1, 31, v1
	ds_read_b32 v13, v21 offset:64
	v_xor_b32_e32 v8, vcc_hi, v1
	v_xor_b32_e32 v9, vcc_lo, v1
	v_and_b32_e32 v1, v0, v8
	v_and_b32_e32 v0, v17, v9
	v_mbcnt_lo_u32_b32 v8, v0, 0
	v_mbcnt_hi_u32_b32 v16, v1, v8
	v_cmp_eq_u32_e32 vcc, 0, v16
	v_cmp_ne_u64_e64 s[0:1], 0, v[0:1]
	s_and_b64 s[4:5], s[0:1], vcc
	; wave barrier
	s_and_saveexec_b64 s[0:1], s[4:5]
	s_cbranch_execz .LBB1036_209
; %bb.208:
	v_bcnt_u32_b32 v0, v0, 0
	v_bcnt_u32_b32 v0, v1, v0
	s_waitcnt lgkmcnt(0)
	v_add_u32_e32 v0, v13, v0
	ds_write_b32 v21, v0 offset:64
.LBB1036_209:
	s_or_b64 exec, exec, s[0:1]
	s_waitcnt vmcnt(13)
	v_xor_b32_e32 v7, 0x7fffffff, v7
	v_lshrrev_b32_e32 v0, s64, v7
	v_and_b32_e32 v20, s14, v0
	s_movk_i32 s4, 0x44
	v_mul_lo_u32 v0, v20, s4
	v_lshl_add_u32 v26, v28, 2, v0
	v_and_b32_e32 v0, 1, v20
	v_mov_b32_e32 v1, 0
	v_lshl_add_u64 v[8:9], v[0:1], 0, -1
	v_cmp_ne_u32_e32 vcc, 0, v0
	; wave barrier
	s_nop 1
	v_xor_b32_e32 v8, vcc_lo, v8
	v_xor_b32_e32 v0, vcc_hi, v9
	v_and_b32_e32 v22, exec_lo, v8
	v_lshlrev_b32_e32 v9, 30, v20
	v_mov_b32_e32 v8, v1
	v_cmp_gt_i64_e32 vcc, 0, v[8:9]
	v_not_b32_e32 v8, v9
	v_ashrrev_i32_e32 v8, 31, v8
	v_and_b32_e32 v0, exec_hi, v0
	v_xor_b32_e32 v9, vcc_hi, v8
	v_xor_b32_e32 v8, vcc_lo, v8
	v_and_b32_e32 v0, v0, v9
	v_and_b32_e32 v22, v22, v8
	v_lshlrev_b32_e32 v9, 29, v20
	v_mov_b32_e32 v8, v1
	v_cmp_gt_i64_e32 vcc, 0, v[8:9]
	v_not_b32_e32 v8, v9
	v_ashrrev_i32_e32 v8, 31, v8
	v_xor_b32_e32 v9, vcc_hi, v8
	v_xor_b32_e32 v8, vcc_lo, v8
	v_and_b32_e32 v0, v0, v9
	v_and_b32_e32 v22, v22, v8
	v_lshlrev_b32_e32 v9, 28, v20
	v_mov_b32_e32 v8, v1
	v_cmp_gt_i64_e32 vcc, 0, v[8:9]
	v_not_b32_e32 v8, v9
	v_ashrrev_i32_e32 v8, 31, v8
	;; [unrolled: 9-line block ×6, first 2 shown]
	v_xor_b32_e32 v9, vcc_hi, v8
	v_xor_b32_e32 v8, vcc_lo, v8
	ds_read_b32 v17, v26 offset:64
	v_and_b32_e32 v8, v22, v8
	v_and_b32_e32 v9, v0, v9
	v_mbcnt_lo_u32_b32 v0, v8, 0
	v_mbcnt_hi_u32_b32 v20, v9, v0
	v_cmp_eq_u32_e32 vcc, 0, v20
	v_cmp_ne_u64_e64 s[0:1], 0, v[8:9]
	s_and_b64 s[6:7], s[0:1], vcc
	; wave barrier
	s_and_saveexec_b64 s[0:1], s[6:7]
	s_cbranch_execz .LBB1036_211
; %bb.210:
	v_bcnt_u32_b32 v0, v8, 0
	v_bcnt_u32_b32 v0, v9, v0
	s_waitcnt lgkmcnt(0)
	v_add_u32_e32 v0, v17, v0
	ds_write_b32 v26, v0 offset:64
.LBB1036_211:
	s_or_b64 exec, exec, s[0:1]
	s_waitcnt vmcnt(12)
	v_xor_b32_e32 v12, 0x7fffffff, v12
	v_lshrrev_b32_e32 v0, s64, v12
	v_and_b32_e32 v24, s14, v0
	v_mul_lo_u32 v0, v24, s4
	v_lshl_add_u32 v32, v28, 2, v0
	v_and_b32_e32 v0, 1, v24
	v_lshl_add_u64 v[8:9], v[0:1], 0, -1
	v_cmp_ne_u32_e32 vcc, 0, v0
	; wave barrier
	s_nop 1
	v_xor_b32_e32 v8, vcc_lo, v8
	v_xor_b32_e32 v0, vcc_hi, v9
	v_and_b32_e32 v27, exec_lo, v8
	v_lshlrev_b32_e32 v9, 30, v24
	v_mov_b32_e32 v8, v1
	v_cmp_gt_i64_e32 vcc, 0, v[8:9]
	v_not_b32_e32 v8, v9
	v_ashrrev_i32_e32 v8, 31, v8
	v_and_b32_e32 v0, exec_hi, v0
	v_xor_b32_e32 v9, vcc_hi, v8
	v_xor_b32_e32 v8, vcc_lo, v8
	v_and_b32_e32 v0, v0, v9
	v_and_b32_e32 v27, v27, v8
	v_lshlrev_b32_e32 v9, 29, v24
	v_mov_b32_e32 v8, v1
	v_cmp_gt_i64_e32 vcc, 0, v[8:9]
	v_not_b32_e32 v8, v9
	v_ashrrev_i32_e32 v8, 31, v8
	v_xor_b32_e32 v9, vcc_hi, v8
	v_xor_b32_e32 v8, vcc_lo, v8
	v_and_b32_e32 v0, v0, v9
	v_and_b32_e32 v27, v27, v8
	v_lshlrev_b32_e32 v9, 28, v24
	v_mov_b32_e32 v8, v1
	v_cmp_gt_i64_e32 vcc, 0, v[8:9]
	v_not_b32_e32 v8, v9
	v_ashrrev_i32_e32 v8, 31, v8
	;; [unrolled: 9-line block ×5, first 2 shown]
	v_xor_b32_e32 v9, vcc_hi, v8
	v_xor_b32_e32 v8, vcc_lo, v8
	v_and_b32_e32 v0, v0, v9
	v_lshlrev_b32_e32 v9, 24, v24
	v_and_b32_e32 v27, v27, v8
	v_mov_b32_e32 v8, v1
	v_not_b32_e32 v1, v9
	v_cmp_gt_i64_e32 vcc, 0, v[8:9]
	v_ashrrev_i32_e32 v1, 31, v1
	ds_read_b32 v22, v32 offset:64
	v_xor_b32_e32 v8, vcc_hi, v1
	v_xor_b32_e32 v9, vcc_lo, v1
	v_and_b32_e32 v1, v0, v8
	v_and_b32_e32 v0, v27, v9
	v_mbcnt_lo_u32_b32 v8, v0, 0
	v_mbcnt_hi_u32_b32 v24, v1, v8
	v_cmp_eq_u32_e32 vcc, 0, v24
	v_cmp_ne_u64_e64 s[0:1], 0, v[0:1]
	s_and_b64 s[4:5], s[0:1], vcc
	; wave barrier
	s_and_saveexec_b64 s[0:1], s[4:5]
	s_cbranch_execz .LBB1036_213
; %bb.212:
	v_bcnt_u32_b32 v0, v0, 0
	v_bcnt_u32_b32 v0, v1, v0
	s_waitcnt lgkmcnt(0)
	v_add_u32_e32 v0, v22, v0
	ds_write_b32 v32, v0 offset:64
.LBB1036_213:
	s_or_b64 exec, exec, s[0:1]
	s_waitcnt vmcnt(11)
	v_xor_b32_e32 v15, 0x7fffffff, v15
	v_lshrrev_b32_e32 v0, s64, v15
	v_and_b32_e32 v30, s14, v0
	s_movk_i32 s4, 0x44
	v_mul_lo_u32 v0, v30, s4
	v_lshl_add_u32 v37, v28, 2, v0
	v_and_b32_e32 v0, 1, v30
	v_mov_b32_e32 v1, 0
	v_lshl_add_u64 v[8:9], v[0:1], 0, -1
	v_cmp_ne_u32_e32 vcc, 0, v0
	; wave barrier
	s_nop 1
	v_xor_b32_e32 v8, vcc_lo, v8
	v_xor_b32_e32 v0, vcc_hi, v9
	v_and_b32_e32 v33, exec_lo, v8
	v_lshlrev_b32_e32 v9, 30, v30
	v_mov_b32_e32 v8, v1
	v_cmp_gt_i64_e32 vcc, 0, v[8:9]
	v_not_b32_e32 v8, v9
	v_ashrrev_i32_e32 v8, 31, v8
	v_and_b32_e32 v0, exec_hi, v0
	v_xor_b32_e32 v9, vcc_hi, v8
	v_xor_b32_e32 v8, vcc_lo, v8
	v_and_b32_e32 v0, v0, v9
	v_and_b32_e32 v33, v33, v8
	v_lshlrev_b32_e32 v9, 29, v30
	v_mov_b32_e32 v8, v1
	v_cmp_gt_i64_e32 vcc, 0, v[8:9]
	v_not_b32_e32 v8, v9
	v_ashrrev_i32_e32 v8, 31, v8
	v_xor_b32_e32 v9, vcc_hi, v8
	v_xor_b32_e32 v8, vcc_lo, v8
	v_and_b32_e32 v0, v0, v9
	v_and_b32_e32 v33, v33, v8
	v_lshlrev_b32_e32 v9, 28, v30
	v_mov_b32_e32 v8, v1
	v_cmp_gt_i64_e32 vcc, 0, v[8:9]
	v_not_b32_e32 v8, v9
	v_ashrrev_i32_e32 v8, 31, v8
	;; [unrolled: 9-line block ×6, first 2 shown]
	v_xor_b32_e32 v9, vcc_hi, v8
	v_xor_b32_e32 v8, vcc_lo, v8
	ds_read_b32 v27, v37 offset:64
	v_and_b32_e32 v8, v33, v8
	v_and_b32_e32 v9, v0, v9
	v_mbcnt_lo_u32_b32 v0, v8, 0
	v_mbcnt_hi_u32_b32 v30, v9, v0
	v_cmp_eq_u32_e32 vcc, 0, v30
	v_cmp_ne_u64_e64 s[0:1], 0, v[8:9]
	s_and_b64 s[6:7], s[0:1], vcc
	; wave barrier
	s_and_saveexec_b64 s[0:1], s[6:7]
	s_cbranch_execz .LBB1036_215
; %bb.214:
	v_bcnt_u32_b32 v0, v8, 0
	v_bcnt_u32_b32 v0, v9, v0
	s_waitcnt lgkmcnt(0)
	v_add_u32_e32 v0, v27, v0
	ds_write_b32 v37, v0 offset:64
.LBB1036_215:
	s_or_b64 exec, exec, s[0:1]
	s_waitcnt vmcnt(10)
	v_xor_b32_e32 v19, 0x7fffffff, v19
	v_lshrrev_b32_e32 v0, s64, v19
	v_and_b32_e32 v35, s14, v0
	v_mul_lo_u32 v0, v35, s4
	v_lshl_add_u32 v41, v28, 2, v0
	v_and_b32_e32 v0, 1, v35
	v_lshl_add_u64 v[8:9], v[0:1], 0, -1
	v_cmp_ne_u32_e32 vcc, 0, v0
	; wave barrier
	s_nop 1
	v_xor_b32_e32 v8, vcc_lo, v8
	v_xor_b32_e32 v0, vcc_hi, v9
	v_and_b32_e32 v38, exec_lo, v8
	v_lshlrev_b32_e32 v9, 30, v35
	v_mov_b32_e32 v8, v1
	v_cmp_gt_i64_e32 vcc, 0, v[8:9]
	v_not_b32_e32 v8, v9
	v_ashrrev_i32_e32 v8, 31, v8
	v_and_b32_e32 v0, exec_hi, v0
	v_xor_b32_e32 v9, vcc_hi, v8
	v_xor_b32_e32 v8, vcc_lo, v8
	v_and_b32_e32 v0, v0, v9
	v_and_b32_e32 v38, v38, v8
	v_lshlrev_b32_e32 v9, 29, v35
	v_mov_b32_e32 v8, v1
	v_cmp_gt_i64_e32 vcc, 0, v[8:9]
	v_not_b32_e32 v8, v9
	v_ashrrev_i32_e32 v8, 31, v8
	v_xor_b32_e32 v9, vcc_hi, v8
	v_xor_b32_e32 v8, vcc_lo, v8
	v_and_b32_e32 v0, v0, v9
	v_and_b32_e32 v38, v38, v8
	v_lshlrev_b32_e32 v9, 28, v35
	v_mov_b32_e32 v8, v1
	v_cmp_gt_i64_e32 vcc, 0, v[8:9]
	v_not_b32_e32 v8, v9
	v_ashrrev_i32_e32 v8, 31, v8
	;; [unrolled: 9-line block ×5, first 2 shown]
	v_xor_b32_e32 v9, vcc_hi, v8
	v_xor_b32_e32 v8, vcc_lo, v8
	v_and_b32_e32 v0, v0, v9
	v_lshlrev_b32_e32 v9, 24, v35
	v_and_b32_e32 v38, v38, v8
	v_mov_b32_e32 v8, v1
	v_not_b32_e32 v1, v9
	v_cmp_gt_i64_e32 vcc, 0, v[8:9]
	v_ashrrev_i32_e32 v1, 31, v1
	ds_read_b32 v33, v41 offset:64
	v_xor_b32_e32 v8, vcc_hi, v1
	v_xor_b32_e32 v9, vcc_lo, v1
	v_and_b32_e32 v1, v0, v8
	v_and_b32_e32 v0, v38, v9
	v_mbcnt_lo_u32_b32 v8, v0, 0
	v_mbcnt_hi_u32_b32 v35, v1, v8
	v_cmp_eq_u32_e32 vcc, 0, v35
	v_cmp_ne_u64_e64 s[0:1], 0, v[0:1]
	s_and_b64 s[4:5], s[0:1], vcc
	; wave barrier
	s_and_saveexec_b64 s[0:1], s[4:5]
	s_cbranch_execz .LBB1036_217
; %bb.216:
	v_bcnt_u32_b32 v0, v0, 0
	v_bcnt_u32_b32 v0, v1, v0
	s_waitcnt lgkmcnt(0)
	v_add_u32_e32 v0, v33, v0
	ds_write_b32 v41, v0 offset:64
.LBB1036_217:
	s_or_b64 exec, exec, s[0:1]
	s_waitcnt vmcnt(9)
	v_xor_b32_e32 v23, 0x7fffffff, v23
	v_lshrrev_b32_e32 v0, s64, v23
	v_and_b32_e32 v42, s14, v0
	s_movk_i32 s4, 0x44
	v_mul_lo_u32 v0, v42, s4
	v_lshl_add_u32 v46, v28, 2, v0
	v_and_b32_e32 v0, 1, v42
	v_mov_b32_e32 v1, 0
	v_lshl_add_u64 v[8:9], v[0:1], 0, -1
	v_cmp_ne_u32_e32 vcc, 0, v0
	; wave barrier
	s_nop 1
	v_xor_b32_e32 v8, vcc_lo, v8
	v_xor_b32_e32 v0, vcc_hi, v9
	v_and_b32_e32 v43, exec_lo, v8
	v_lshlrev_b32_e32 v9, 30, v42
	v_mov_b32_e32 v8, v1
	v_cmp_gt_i64_e32 vcc, 0, v[8:9]
	v_not_b32_e32 v8, v9
	v_ashrrev_i32_e32 v8, 31, v8
	v_and_b32_e32 v0, exec_hi, v0
	v_xor_b32_e32 v9, vcc_hi, v8
	v_xor_b32_e32 v8, vcc_lo, v8
	v_and_b32_e32 v0, v0, v9
	v_and_b32_e32 v43, v43, v8
	v_lshlrev_b32_e32 v9, 29, v42
	v_mov_b32_e32 v8, v1
	v_cmp_gt_i64_e32 vcc, 0, v[8:9]
	v_not_b32_e32 v8, v9
	v_ashrrev_i32_e32 v8, 31, v8
	v_xor_b32_e32 v9, vcc_hi, v8
	v_xor_b32_e32 v8, vcc_lo, v8
	v_and_b32_e32 v0, v0, v9
	v_and_b32_e32 v43, v43, v8
	v_lshlrev_b32_e32 v9, 28, v42
	v_mov_b32_e32 v8, v1
	v_cmp_gt_i64_e32 vcc, 0, v[8:9]
	v_not_b32_e32 v8, v9
	v_ashrrev_i32_e32 v8, 31, v8
	;; [unrolled: 9-line block ×6, first 2 shown]
	v_xor_b32_e32 v9, vcc_hi, v8
	v_xor_b32_e32 v8, vcc_lo, v8
	ds_read_b32 v38, v46 offset:64
	v_and_b32_e32 v8, v43, v8
	v_and_b32_e32 v9, v0, v9
	v_mbcnt_lo_u32_b32 v0, v8, 0
	v_mbcnt_hi_u32_b32 v42, v9, v0
	v_cmp_eq_u32_e32 vcc, 0, v42
	v_cmp_ne_u64_e64 s[0:1], 0, v[8:9]
	s_and_b64 s[6:7], s[0:1], vcc
	; wave barrier
	s_and_saveexec_b64 s[0:1], s[6:7]
	s_cbranch_execz .LBB1036_219
; %bb.218:
	v_bcnt_u32_b32 v0, v8, 0
	v_bcnt_u32_b32 v0, v9, v0
	s_waitcnt lgkmcnt(0)
	v_add_u32_e32 v0, v38, v0
	ds_write_b32 v46, v0 offset:64
.LBB1036_219:
	s_or_b64 exec, exec, s[0:1]
	s_waitcnt vmcnt(8)
	v_xor_b32_e32 v29, 0x7fffffff, v29
	v_lshrrev_b32_e32 v0, s64, v29
	v_and_b32_e32 v47, s14, v0
	v_mul_lo_u32 v0, v47, s4
	v_lshl_add_u32 v49, v28, 2, v0
	v_and_b32_e32 v0, 1, v47
	v_lshl_add_u64 v[8:9], v[0:1], 0, -1
	v_cmp_ne_u32_e32 vcc, 0, v0
	; wave barrier
	s_nop 1
	v_xor_b32_e32 v8, vcc_lo, v8
	v_xor_b32_e32 v0, vcc_hi, v9
	v_and_b32_e32 v48, exec_lo, v8
	v_lshlrev_b32_e32 v9, 30, v47
	v_mov_b32_e32 v8, v1
	v_cmp_gt_i64_e32 vcc, 0, v[8:9]
	v_not_b32_e32 v8, v9
	v_ashrrev_i32_e32 v8, 31, v8
	v_and_b32_e32 v0, exec_hi, v0
	v_xor_b32_e32 v9, vcc_hi, v8
	v_xor_b32_e32 v8, vcc_lo, v8
	v_and_b32_e32 v0, v0, v9
	v_and_b32_e32 v48, v48, v8
	v_lshlrev_b32_e32 v9, 29, v47
	v_mov_b32_e32 v8, v1
	v_cmp_gt_i64_e32 vcc, 0, v[8:9]
	v_not_b32_e32 v8, v9
	v_ashrrev_i32_e32 v8, 31, v8
	v_xor_b32_e32 v9, vcc_hi, v8
	v_xor_b32_e32 v8, vcc_lo, v8
	v_and_b32_e32 v0, v0, v9
	v_and_b32_e32 v48, v48, v8
	v_lshlrev_b32_e32 v9, 28, v47
	v_mov_b32_e32 v8, v1
	v_cmp_gt_i64_e32 vcc, 0, v[8:9]
	v_not_b32_e32 v8, v9
	v_ashrrev_i32_e32 v8, 31, v8
	;; [unrolled: 9-line block ×5, first 2 shown]
	v_xor_b32_e32 v9, vcc_hi, v8
	v_xor_b32_e32 v8, vcc_lo, v8
	v_and_b32_e32 v0, v0, v9
	v_lshlrev_b32_e32 v9, 24, v47
	v_and_b32_e32 v48, v48, v8
	v_mov_b32_e32 v8, v1
	v_not_b32_e32 v1, v9
	v_cmp_gt_i64_e32 vcc, 0, v[8:9]
	v_ashrrev_i32_e32 v1, 31, v1
	ds_read_b32 v43, v49 offset:64
	v_xor_b32_e32 v8, vcc_hi, v1
	v_xor_b32_e32 v9, vcc_lo, v1
	v_and_b32_e32 v1, v0, v8
	v_and_b32_e32 v0, v48, v9
	v_mbcnt_lo_u32_b32 v8, v0, 0
	v_mbcnt_hi_u32_b32 v47, v1, v8
	v_cmp_eq_u32_e32 vcc, 0, v47
	v_cmp_ne_u64_e64 s[0:1], 0, v[0:1]
	s_and_b64 s[4:5], s[0:1], vcc
	; wave barrier
	s_and_saveexec_b64 s[0:1], s[4:5]
	s_cbranch_execz .LBB1036_221
; %bb.220:
	v_bcnt_u32_b32 v0, v0, 0
	v_bcnt_u32_b32 v0, v1, v0
	s_waitcnt lgkmcnt(0)
	v_add_u32_e32 v0, v43, v0
	ds_write_b32 v49, v0 offset:64
.LBB1036_221:
	s_or_b64 exec, exec, s[0:1]
	s_waitcnt vmcnt(7)
	v_xor_b32_e32 v34, 0x7fffffff, v34
	v_lshrrev_b32_e32 v0, s64, v34
	v_and_b32_e32 v50, s14, v0
	s_movk_i32 s4, 0x44
	v_mul_lo_u32 v0, v50, s4
	v_lshl_add_u32 v52, v28, 2, v0
	v_and_b32_e32 v0, 1, v50
	v_mov_b32_e32 v1, 0
	v_lshl_add_u64 v[8:9], v[0:1], 0, -1
	v_cmp_ne_u32_e32 vcc, 0, v0
	; wave barrier
	s_nop 1
	v_xor_b32_e32 v8, vcc_lo, v8
	v_xor_b32_e32 v0, vcc_hi, v9
	v_and_b32_e32 v51, exec_lo, v8
	v_lshlrev_b32_e32 v9, 30, v50
	v_mov_b32_e32 v8, v1
	v_cmp_gt_i64_e32 vcc, 0, v[8:9]
	v_not_b32_e32 v8, v9
	v_ashrrev_i32_e32 v8, 31, v8
	v_and_b32_e32 v0, exec_hi, v0
	v_xor_b32_e32 v9, vcc_hi, v8
	v_xor_b32_e32 v8, vcc_lo, v8
	v_and_b32_e32 v0, v0, v9
	v_and_b32_e32 v51, v51, v8
	v_lshlrev_b32_e32 v9, 29, v50
	v_mov_b32_e32 v8, v1
	v_cmp_gt_i64_e32 vcc, 0, v[8:9]
	v_not_b32_e32 v8, v9
	v_ashrrev_i32_e32 v8, 31, v8
	v_xor_b32_e32 v9, vcc_hi, v8
	v_xor_b32_e32 v8, vcc_lo, v8
	v_and_b32_e32 v0, v0, v9
	v_and_b32_e32 v51, v51, v8
	v_lshlrev_b32_e32 v9, 28, v50
	v_mov_b32_e32 v8, v1
	v_cmp_gt_i64_e32 vcc, 0, v[8:9]
	v_not_b32_e32 v8, v9
	v_ashrrev_i32_e32 v8, 31, v8
	;; [unrolled: 9-line block ×6, first 2 shown]
	v_xor_b32_e32 v9, vcc_hi, v8
	v_xor_b32_e32 v8, vcc_lo, v8
	ds_read_b32 v48, v52 offset:64
	v_and_b32_e32 v8, v51, v8
	v_and_b32_e32 v9, v0, v9
	v_mbcnt_lo_u32_b32 v0, v8, 0
	v_mbcnt_hi_u32_b32 v50, v9, v0
	v_cmp_eq_u32_e32 vcc, 0, v50
	v_cmp_ne_u64_e64 s[0:1], 0, v[8:9]
	s_and_b64 s[6:7], s[0:1], vcc
	; wave barrier
	s_and_saveexec_b64 s[0:1], s[6:7]
	s_cbranch_execz .LBB1036_223
; %bb.222:
	v_bcnt_u32_b32 v0, v8, 0
	v_bcnt_u32_b32 v0, v9, v0
	s_waitcnt lgkmcnt(0)
	v_add_u32_e32 v0, v48, v0
	ds_write_b32 v52, v0 offset:64
.LBB1036_223:
	s_or_b64 exec, exec, s[0:1]
	s_waitcnt vmcnt(6)
	v_xor_b32_e32 v39, 0x7fffffff, v39
	v_lshrrev_b32_e32 v0, s64, v39
	v_and_b32_e32 v53, s14, v0
	v_mul_lo_u32 v0, v53, s4
	v_lshl_add_u32 v55, v28, 2, v0
	v_and_b32_e32 v0, 1, v53
	v_lshl_add_u64 v[8:9], v[0:1], 0, -1
	v_cmp_ne_u32_e32 vcc, 0, v0
	; wave barrier
	s_nop 1
	v_xor_b32_e32 v8, vcc_lo, v8
	v_xor_b32_e32 v0, vcc_hi, v9
	v_and_b32_e32 v54, exec_lo, v8
	v_lshlrev_b32_e32 v9, 30, v53
	v_mov_b32_e32 v8, v1
	v_cmp_gt_i64_e32 vcc, 0, v[8:9]
	v_not_b32_e32 v8, v9
	v_ashrrev_i32_e32 v8, 31, v8
	v_and_b32_e32 v0, exec_hi, v0
	v_xor_b32_e32 v9, vcc_hi, v8
	v_xor_b32_e32 v8, vcc_lo, v8
	v_and_b32_e32 v0, v0, v9
	v_and_b32_e32 v54, v54, v8
	v_lshlrev_b32_e32 v9, 29, v53
	v_mov_b32_e32 v8, v1
	v_cmp_gt_i64_e32 vcc, 0, v[8:9]
	v_not_b32_e32 v8, v9
	v_ashrrev_i32_e32 v8, 31, v8
	v_xor_b32_e32 v9, vcc_hi, v8
	v_xor_b32_e32 v8, vcc_lo, v8
	v_and_b32_e32 v0, v0, v9
	v_and_b32_e32 v54, v54, v8
	v_lshlrev_b32_e32 v9, 28, v53
	v_mov_b32_e32 v8, v1
	v_cmp_gt_i64_e32 vcc, 0, v[8:9]
	v_not_b32_e32 v8, v9
	v_ashrrev_i32_e32 v8, 31, v8
	;; [unrolled: 9-line block ×5, first 2 shown]
	v_xor_b32_e32 v9, vcc_hi, v8
	v_xor_b32_e32 v8, vcc_lo, v8
	v_and_b32_e32 v0, v0, v9
	v_lshlrev_b32_e32 v9, 24, v53
	v_and_b32_e32 v54, v54, v8
	v_mov_b32_e32 v8, v1
	v_not_b32_e32 v1, v9
	v_cmp_gt_i64_e32 vcc, 0, v[8:9]
	v_ashrrev_i32_e32 v1, 31, v1
	ds_read_b32 v51, v55 offset:64
	v_xor_b32_e32 v8, vcc_hi, v1
	v_xor_b32_e32 v9, vcc_lo, v1
	v_and_b32_e32 v1, v0, v8
	v_and_b32_e32 v0, v54, v9
	v_mbcnt_lo_u32_b32 v8, v0, 0
	v_mbcnt_hi_u32_b32 v53, v1, v8
	v_cmp_eq_u32_e32 vcc, 0, v53
	v_cmp_ne_u64_e64 s[0:1], 0, v[0:1]
	s_and_b64 s[4:5], s[0:1], vcc
	; wave barrier
	s_and_saveexec_b64 s[0:1], s[4:5]
	s_cbranch_execz .LBB1036_225
; %bb.224:
	v_bcnt_u32_b32 v0, v0, 0
	v_bcnt_u32_b32 v0, v1, v0
	s_waitcnt lgkmcnt(0)
	v_add_u32_e32 v0, v51, v0
	ds_write_b32 v55, v0 offset:64
.LBB1036_225:
	s_or_b64 exec, exec, s[0:1]
	s_waitcnt vmcnt(5)
	v_xor_b32_e32 v44, 0x7fffffff, v44
	v_lshrrev_b32_e32 v0, s64, v44
	v_and_b32_e32 v56, s14, v0
	s_movk_i32 s4, 0x44
	v_mul_lo_u32 v0, v56, s4
	v_lshl_add_u32 v58, v28, 2, v0
	v_and_b32_e32 v0, 1, v56
	v_mov_b32_e32 v1, 0
	v_lshl_add_u64 v[8:9], v[0:1], 0, -1
	v_cmp_ne_u32_e32 vcc, 0, v0
	; wave barrier
	s_nop 1
	v_xor_b32_e32 v8, vcc_lo, v8
	v_xor_b32_e32 v0, vcc_hi, v9
	v_and_b32_e32 v57, exec_lo, v8
	v_lshlrev_b32_e32 v9, 30, v56
	v_mov_b32_e32 v8, v1
	v_cmp_gt_i64_e32 vcc, 0, v[8:9]
	v_not_b32_e32 v8, v9
	v_ashrrev_i32_e32 v8, 31, v8
	v_and_b32_e32 v0, exec_hi, v0
	v_xor_b32_e32 v9, vcc_hi, v8
	v_xor_b32_e32 v8, vcc_lo, v8
	v_and_b32_e32 v0, v0, v9
	v_and_b32_e32 v57, v57, v8
	v_lshlrev_b32_e32 v9, 29, v56
	v_mov_b32_e32 v8, v1
	v_cmp_gt_i64_e32 vcc, 0, v[8:9]
	v_not_b32_e32 v8, v9
	v_ashrrev_i32_e32 v8, 31, v8
	v_xor_b32_e32 v9, vcc_hi, v8
	v_xor_b32_e32 v8, vcc_lo, v8
	v_and_b32_e32 v0, v0, v9
	v_and_b32_e32 v57, v57, v8
	v_lshlrev_b32_e32 v9, 28, v56
	v_mov_b32_e32 v8, v1
	v_cmp_gt_i64_e32 vcc, 0, v[8:9]
	v_not_b32_e32 v8, v9
	v_ashrrev_i32_e32 v8, 31, v8
	;; [unrolled: 9-line block ×6, first 2 shown]
	v_xor_b32_e32 v9, vcc_hi, v8
	v_xor_b32_e32 v8, vcc_lo, v8
	ds_read_b32 v54, v58 offset:64
	v_and_b32_e32 v8, v57, v8
	v_and_b32_e32 v9, v0, v9
	v_mbcnt_lo_u32_b32 v0, v8, 0
	v_mbcnt_hi_u32_b32 v56, v9, v0
	v_cmp_eq_u32_e32 vcc, 0, v56
	v_cmp_ne_u64_e64 s[0:1], 0, v[8:9]
	s_and_b64 s[6:7], s[0:1], vcc
	; wave barrier
	s_and_saveexec_b64 s[0:1], s[6:7]
	s_cbranch_execz .LBB1036_227
; %bb.226:
	v_bcnt_u32_b32 v0, v8, 0
	v_bcnt_u32_b32 v0, v9, v0
	s_waitcnt lgkmcnt(0)
	v_add_u32_e32 v0, v54, v0
	ds_write_b32 v58, v0 offset:64
.LBB1036_227:
	s_or_b64 exec, exec, s[0:1]
	s_waitcnt vmcnt(4)
	v_xor_b32_e32 v45, 0x7fffffff, v45
	v_lshrrev_b32_e32 v0, s64, v45
	v_and_b32_e32 v59, s14, v0
	v_mul_lo_u32 v0, v59, s4
	v_lshl_add_u32 v62, v28, 2, v0
	v_and_b32_e32 v0, 1, v59
	v_lshl_add_u64 v[8:9], v[0:1], 0, -1
	v_cmp_ne_u32_e32 vcc, 0, v0
	; wave barrier
	s_nop 1
	v_xor_b32_e32 v8, vcc_lo, v8
	v_xor_b32_e32 v0, vcc_hi, v9
	v_and_b32_e32 v60, exec_lo, v8
	v_lshlrev_b32_e32 v9, 30, v59
	v_mov_b32_e32 v8, v1
	v_cmp_gt_i64_e32 vcc, 0, v[8:9]
	v_not_b32_e32 v8, v9
	v_ashrrev_i32_e32 v8, 31, v8
	v_and_b32_e32 v0, exec_hi, v0
	v_xor_b32_e32 v9, vcc_hi, v8
	v_xor_b32_e32 v8, vcc_lo, v8
	v_and_b32_e32 v0, v0, v9
	v_and_b32_e32 v60, v60, v8
	v_lshlrev_b32_e32 v9, 29, v59
	v_mov_b32_e32 v8, v1
	v_cmp_gt_i64_e32 vcc, 0, v[8:9]
	v_not_b32_e32 v8, v9
	v_ashrrev_i32_e32 v8, 31, v8
	v_xor_b32_e32 v9, vcc_hi, v8
	v_xor_b32_e32 v8, vcc_lo, v8
	v_and_b32_e32 v0, v0, v9
	v_and_b32_e32 v60, v60, v8
	v_lshlrev_b32_e32 v9, 28, v59
	v_mov_b32_e32 v8, v1
	v_cmp_gt_i64_e32 vcc, 0, v[8:9]
	v_not_b32_e32 v8, v9
	v_ashrrev_i32_e32 v8, 31, v8
	;; [unrolled: 9-line block ×5, first 2 shown]
	v_xor_b32_e32 v9, vcc_hi, v8
	v_xor_b32_e32 v8, vcc_lo, v8
	v_and_b32_e32 v0, v0, v9
	v_lshlrev_b32_e32 v9, 24, v59
	v_and_b32_e32 v60, v60, v8
	v_mov_b32_e32 v8, v1
	v_not_b32_e32 v1, v9
	v_cmp_gt_i64_e32 vcc, 0, v[8:9]
	v_ashrrev_i32_e32 v1, 31, v1
	ds_read_b32 v57, v62 offset:64
	v_xor_b32_e32 v8, vcc_hi, v1
	v_xor_b32_e32 v9, vcc_lo, v1
	v_and_b32_e32 v1, v0, v8
	v_and_b32_e32 v0, v60, v9
	v_mbcnt_lo_u32_b32 v8, v0, 0
	v_mbcnt_hi_u32_b32 v59, v1, v8
	v_cmp_eq_u32_e32 vcc, 0, v59
	v_cmp_ne_u64_e64 s[0:1], 0, v[0:1]
	s_and_b64 s[4:5], s[0:1], vcc
	; wave barrier
	s_and_saveexec_b64 s[0:1], s[4:5]
	s_cbranch_execz .LBB1036_229
; %bb.228:
	v_bcnt_u32_b32 v0, v0, 0
	v_bcnt_u32_b32 v0, v1, v0
	s_waitcnt lgkmcnt(0)
	v_add_u32_e32 v0, v57, v0
	ds_write_b32 v62, v0 offset:64
.LBB1036_229:
	s_or_b64 exec, exec, s[0:1]
	s_waitcnt vmcnt(3)
	v_xor_b32_e32 v40, 0x7fffffff, v40
	v_lshrrev_b32_e32 v0, s64, v40
	v_and_b32_e32 v61, s14, v0
	s_movk_i32 s4, 0x44
	v_mul_lo_u32 v0, v61, s4
	v_lshl_add_u32 v65, v28, 2, v0
	v_and_b32_e32 v0, 1, v61
	v_mov_b32_e32 v1, 0
	v_lshl_add_u64 v[8:9], v[0:1], 0, -1
	v_cmp_ne_u32_e32 vcc, 0, v0
	; wave barrier
	s_nop 1
	v_xor_b32_e32 v8, vcc_lo, v8
	v_xor_b32_e32 v0, vcc_hi, v9
	v_and_b32_e32 v63, exec_lo, v8
	v_lshlrev_b32_e32 v9, 30, v61
	v_mov_b32_e32 v8, v1
	v_cmp_gt_i64_e32 vcc, 0, v[8:9]
	v_not_b32_e32 v8, v9
	v_ashrrev_i32_e32 v8, 31, v8
	v_and_b32_e32 v0, exec_hi, v0
	v_xor_b32_e32 v9, vcc_hi, v8
	v_xor_b32_e32 v8, vcc_lo, v8
	v_and_b32_e32 v0, v0, v9
	v_and_b32_e32 v63, v63, v8
	v_lshlrev_b32_e32 v9, 29, v61
	v_mov_b32_e32 v8, v1
	v_cmp_gt_i64_e32 vcc, 0, v[8:9]
	v_not_b32_e32 v8, v9
	v_ashrrev_i32_e32 v8, 31, v8
	v_xor_b32_e32 v9, vcc_hi, v8
	v_xor_b32_e32 v8, vcc_lo, v8
	v_and_b32_e32 v0, v0, v9
	v_and_b32_e32 v63, v63, v8
	v_lshlrev_b32_e32 v9, 28, v61
	v_mov_b32_e32 v8, v1
	v_cmp_gt_i64_e32 vcc, 0, v[8:9]
	v_not_b32_e32 v8, v9
	v_ashrrev_i32_e32 v8, 31, v8
	;; [unrolled: 9-line block ×6, first 2 shown]
	v_xor_b32_e32 v9, vcc_hi, v8
	v_xor_b32_e32 v8, vcc_lo, v8
	ds_read_b32 v60, v65 offset:64
	v_and_b32_e32 v8, v63, v8
	v_and_b32_e32 v9, v0, v9
	v_mbcnt_lo_u32_b32 v0, v8, 0
	v_mbcnt_hi_u32_b32 v63, v9, v0
	v_cmp_eq_u32_e32 vcc, 0, v63
	v_cmp_ne_u64_e64 s[0:1], 0, v[8:9]
	s_and_b64 s[6:7], s[0:1], vcc
	; wave barrier
	s_and_saveexec_b64 s[0:1], s[6:7]
	s_cbranch_execz .LBB1036_231
; %bb.230:
	v_bcnt_u32_b32 v0, v8, 0
	v_bcnt_u32_b32 v0, v9, v0
	s_waitcnt lgkmcnt(0)
	v_add_u32_e32 v0, v60, v0
	ds_write_b32 v65, v0 offset:64
.LBB1036_231:
	s_or_b64 exec, exec, s[0:1]
	s_waitcnt vmcnt(2)
	v_xor_b32_e32 v36, 0x7fffffff, v36
	v_lshrrev_b32_e32 v0, s64, v36
	v_and_b32_e32 v61, s14, v0
	v_mul_lo_u32 v0, v61, s4
	v_lshl_add_u32 v68, v28, 2, v0
	v_and_b32_e32 v0, 1, v61
	v_lshl_add_u64 v[8:9], v[0:1], 0, -1
	v_cmp_ne_u32_e32 vcc, 0, v0
	; wave barrier
	s_nop 1
	v_xor_b32_e32 v8, vcc_lo, v8
	v_xor_b32_e32 v0, vcc_hi, v9
	v_and_b32_e32 v66, exec_lo, v8
	v_lshlrev_b32_e32 v9, 30, v61
	v_mov_b32_e32 v8, v1
	v_cmp_gt_i64_e32 vcc, 0, v[8:9]
	v_not_b32_e32 v8, v9
	v_ashrrev_i32_e32 v8, 31, v8
	v_and_b32_e32 v0, exec_hi, v0
	v_xor_b32_e32 v9, vcc_hi, v8
	v_xor_b32_e32 v8, vcc_lo, v8
	v_and_b32_e32 v0, v0, v9
	v_and_b32_e32 v66, v66, v8
	v_lshlrev_b32_e32 v9, 29, v61
	v_mov_b32_e32 v8, v1
	v_cmp_gt_i64_e32 vcc, 0, v[8:9]
	v_not_b32_e32 v8, v9
	v_ashrrev_i32_e32 v8, 31, v8
	v_xor_b32_e32 v9, vcc_hi, v8
	v_xor_b32_e32 v8, vcc_lo, v8
	v_and_b32_e32 v0, v0, v9
	v_and_b32_e32 v66, v66, v8
	v_lshlrev_b32_e32 v9, 28, v61
	v_mov_b32_e32 v8, v1
	v_cmp_gt_i64_e32 vcc, 0, v[8:9]
	v_not_b32_e32 v8, v9
	v_ashrrev_i32_e32 v8, 31, v8
	v_xor_b32_e32 v9, vcc_hi, v8
	v_xor_b32_e32 v8, vcc_lo, v8
	v_and_b32_e32 v0, v0, v9
	v_and_b32_e32 v66, v66, v8
	v_lshlrev_b32_e32 v9, 27, v61
	v_mov_b32_e32 v8, v1
	v_cmp_gt_i64_e32 vcc, 0, v[8:9]
	v_not_b32_e32 v8, v9
	v_ashrrev_i32_e32 v8, 31, v8
	v_xor_b32_e32 v9, vcc_hi, v8
	v_xor_b32_e32 v8, vcc_lo, v8
	v_and_b32_e32 v0, v0, v9
	v_and_b32_e32 v66, v66, v8
	v_lshlrev_b32_e32 v9, 26, v61
	v_mov_b32_e32 v8, v1
	v_cmp_gt_i64_e32 vcc, 0, v[8:9]
	v_not_b32_e32 v8, v9
	v_ashrrev_i32_e32 v8, 31, v8
	v_xor_b32_e32 v9, vcc_hi, v8
	v_xor_b32_e32 v8, vcc_lo, v8
	v_and_b32_e32 v0, v0, v9
	v_and_b32_e32 v66, v66, v8
	v_lshlrev_b32_e32 v9, 25, v61
	v_mov_b32_e32 v8, v1
	v_cmp_gt_i64_e32 vcc, 0, v[8:9]
	v_not_b32_e32 v8, v9
	v_ashrrev_i32_e32 v8, 31, v8
	v_xor_b32_e32 v9, vcc_hi, v8
	v_xor_b32_e32 v8, vcc_lo, v8
	v_and_b32_e32 v0, v0, v9
	v_lshlrev_b32_e32 v9, 24, v61
	v_and_b32_e32 v66, v66, v8
	v_mov_b32_e32 v8, v1
	v_not_b32_e32 v1, v9
	v_cmp_gt_i64_e32 vcc, 0, v[8:9]
	v_ashrrev_i32_e32 v1, 31, v1
	ds_read_b32 v64, v68 offset:64
	v_xor_b32_e32 v8, vcc_hi, v1
	v_xor_b32_e32 v9, vcc_lo, v1
	v_and_b32_e32 v1, v0, v8
	v_and_b32_e32 v0, v66, v9
	v_mbcnt_lo_u32_b32 v8, v0, 0
	v_mbcnt_hi_u32_b32 v66, v1, v8
	v_cmp_eq_u32_e32 vcc, 0, v66
	v_cmp_ne_u64_e64 s[0:1], 0, v[0:1]
	s_and_b64 s[4:5], s[0:1], vcc
	; wave barrier
	s_and_saveexec_b64 s[0:1], s[4:5]
	s_cbranch_execz .LBB1036_233
; %bb.232:
	v_bcnt_u32_b32 v0, v0, 0
	v_bcnt_u32_b32 v0, v1, v0
	s_waitcnt lgkmcnt(0)
	v_add_u32_e32 v0, v64, v0
	ds_write_b32 v68, v0 offset:64
.LBB1036_233:
	s_or_b64 exec, exec, s[0:1]
	s_waitcnt vmcnt(1)
	v_xor_b32_e32 v31, 0x7fffffff, v31
	v_lshrrev_b32_e32 v0, s64, v31
	v_and_b32_e32 v61, s14, v0
	s_movk_i32 s4, 0x44
	v_mul_lo_u32 v0, v61, s4
	v_lshl_add_u32 v70, v28, 2, v0
	v_and_b32_e32 v0, 1, v61
	v_mov_b32_e32 v1, 0
	v_lshl_add_u64 v[8:9], v[0:1], 0, -1
	v_cmp_ne_u32_e32 vcc, 0, v0
	; wave barrier
	s_nop 1
	v_xor_b32_e32 v8, vcc_lo, v8
	v_xor_b32_e32 v0, vcc_hi, v9
	v_and_b32_e32 v69, exec_lo, v8
	v_lshlrev_b32_e32 v9, 30, v61
	v_mov_b32_e32 v8, v1
	v_cmp_gt_i64_e32 vcc, 0, v[8:9]
	v_not_b32_e32 v8, v9
	v_ashrrev_i32_e32 v8, 31, v8
	v_and_b32_e32 v0, exec_hi, v0
	v_xor_b32_e32 v9, vcc_hi, v8
	v_xor_b32_e32 v8, vcc_lo, v8
	v_and_b32_e32 v0, v0, v9
	v_and_b32_e32 v69, v69, v8
	v_lshlrev_b32_e32 v9, 29, v61
	v_mov_b32_e32 v8, v1
	v_cmp_gt_i64_e32 vcc, 0, v[8:9]
	v_not_b32_e32 v8, v9
	v_ashrrev_i32_e32 v8, 31, v8
	v_xor_b32_e32 v9, vcc_hi, v8
	v_xor_b32_e32 v8, vcc_lo, v8
	v_and_b32_e32 v0, v0, v9
	v_and_b32_e32 v69, v69, v8
	v_lshlrev_b32_e32 v9, 28, v61
	v_mov_b32_e32 v8, v1
	v_cmp_gt_i64_e32 vcc, 0, v[8:9]
	v_not_b32_e32 v8, v9
	v_ashrrev_i32_e32 v8, 31, v8
	;; [unrolled: 9-line block ×6, first 2 shown]
	v_xor_b32_e32 v9, vcc_hi, v8
	v_xor_b32_e32 v8, vcc_lo, v8
	ds_read_b32 v67, v70 offset:64
	v_and_b32_e32 v8, v69, v8
	v_and_b32_e32 v9, v0, v9
	v_mbcnt_lo_u32_b32 v0, v8, 0
	v_mbcnt_hi_u32_b32 v69, v9, v0
	v_cmp_eq_u32_e32 vcc, 0, v69
	v_cmp_ne_u64_e64 s[0:1], 0, v[8:9]
	s_and_b64 s[6:7], s[0:1], vcc
	; wave barrier
	s_and_saveexec_b64 s[0:1], s[6:7]
	s_cbranch_execz .LBB1036_235
; %bb.234:
	v_bcnt_u32_b32 v0, v8, 0
	v_bcnt_u32_b32 v0, v9, v0
	s_waitcnt lgkmcnt(0)
	v_add_u32_e32 v0, v67, v0
	ds_write_b32 v70, v0 offset:64
.LBB1036_235:
	s_or_b64 exec, exec, s[0:1]
	s_waitcnt vmcnt(0)
	v_xor_b32_e32 v61, 0x7fffffff, v25
	v_lshrrev_b32_e32 v0, s64, v61
	v_and_b32_e32 v25, s14, v0
	v_mul_lo_u32 v0, v25, s4
	v_lshl_add_u32 v72, v28, 2, v0
	v_and_b32_e32 v0, 1, v25
	v_lshl_add_u64 v[8:9], v[0:1], 0, -1
	v_cmp_ne_u32_e32 vcc, 0, v0
	; wave barrier
	s_nop 1
	v_xor_b32_e32 v8, vcc_lo, v8
	v_xor_b32_e32 v0, vcc_hi, v9
	v_and_b32_e32 v71, exec_lo, v8
	v_lshlrev_b32_e32 v9, 30, v25
	v_mov_b32_e32 v8, v1
	v_cmp_gt_i64_e32 vcc, 0, v[8:9]
	v_not_b32_e32 v8, v9
	v_ashrrev_i32_e32 v8, 31, v8
	v_and_b32_e32 v0, exec_hi, v0
	v_xor_b32_e32 v9, vcc_hi, v8
	v_xor_b32_e32 v8, vcc_lo, v8
	v_and_b32_e32 v0, v0, v9
	v_and_b32_e32 v71, v71, v8
	v_lshlrev_b32_e32 v9, 29, v25
	v_mov_b32_e32 v8, v1
	v_cmp_gt_i64_e32 vcc, 0, v[8:9]
	v_not_b32_e32 v8, v9
	v_ashrrev_i32_e32 v8, 31, v8
	v_xor_b32_e32 v9, vcc_hi, v8
	v_xor_b32_e32 v8, vcc_lo, v8
	v_and_b32_e32 v0, v0, v9
	v_and_b32_e32 v71, v71, v8
	v_lshlrev_b32_e32 v9, 28, v25
	v_mov_b32_e32 v8, v1
	v_cmp_gt_i64_e32 vcc, 0, v[8:9]
	v_not_b32_e32 v8, v9
	v_ashrrev_i32_e32 v8, 31, v8
	;; [unrolled: 9-line block ×5, first 2 shown]
	v_xor_b32_e32 v9, vcc_hi, v8
	v_xor_b32_e32 v8, vcc_lo, v8
	v_and_b32_e32 v0, v0, v9
	v_lshlrev_b32_e32 v9, 24, v25
	v_and_b32_e32 v71, v71, v8
	v_mov_b32_e32 v8, v1
	v_not_b32_e32 v1, v9
	v_cmp_gt_i64_e32 vcc, 0, v[8:9]
	v_ashrrev_i32_e32 v1, 31, v1
	ds_read_b32 v28, v72 offset:64
	v_xor_b32_e32 v8, vcc_hi, v1
	v_xor_b32_e32 v9, vcc_lo, v1
	v_and_b32_e32 v1, v0, v8
	v_and_b32_e32 v0, v71, v9
	v_mbcnt_lo_u32_b32 v8, v0, 0
	v_mbcnt_hi_u32_b32 v71, v1, v8
	v_cmp_eq_u32_e32 vcc, 0, v71
	v_cmp_ne_u64_e64 s[0:1], 0, v[0:1]
	s_and_b64 s[4:5], s[0:1], vcc
	; wave barrier
	s_and_saveexec_b64 s[0:1], s[4:5]
	s_cbranch_execz .LBB1036_237
; %bb.236:
	v_bcnt_u32_b32 v0, v0, 0
	v_bcnt_u32_b32 v0, v1, v0
	s_waitcnt lgkmcnt(0)
	v_add_u32_e32 v0, v28, v0
	ds_write_b32 v72, v0 offset:64
.LBB1036_237:
	s_or_b64 exec, exec, s[0:1]
	; wave barrier
	s_waitcnt lgkmcnt(0)
	s_barrier
	ds_read2_b32 v[8:9], v11 offset0:16 offset1:17
	ds_read2_b32 v[0:1], v11 offset0:18 offset1:19
	ds_read_b32 v25, v11 offset:80
	v_cmp_lt_u32_e64 s[8:9], 31, v10
	s_waitcnt lgkmcnt(1)
	v_add3_u32 v73, v9, v8, v0
	s_waitcnt lgkmcnt(0)
	v_add3_u32 v25, v73, v1, v25
	v_and_b32_e32 v73, 15, v10
	v_cmp_eq_u32_e32 vcc, 0, v73
	v_mov_b32_dpp v74, v25 row_shr:1 row_mask:0xf bank_mask:0xf
	v_cmp_lt_u32_e64 s[0:1], 1, v73
	v_cndmask_b32_e64 v74, v74, 0, vcc
	v_add_u32_e32 v25, v74, v25
	v_cmp_lt_u32_e64 s[6:7], 3, v73
	v_cmp_lt_u32_e64 s[4:5], 7, v73
	v_mov_b32_dpp v74, v25 row_shr:2 row_mask:0xf bank_mask:0xf
	v_cndmask_b32_e64 v74, 0, v74, s[0:1]
	v_add_u32_e32 v25, v25, v74
	s_nop 1
	v_mov_b32_dpp v74, v25 row_shr:4 row_mask:0xf bank_mask:0xf
	v_cndmask_b32_e64 v74, 0, v74, s[6:7]
	v_add_u32_e32 v25, v25, v74
	s_nop 1
	v_mov_b32_dpp v74, v25 row_shr:8 row_mask:0xf bank_mask:0xf
	v_cndmask_b32_e64 v73, 0, v74, s[4:5]
	v_add_u32_e32 v25, v25, v73
	v_bfe_i32 v74, v10, 4, 1
	s_nop 0
	v_mov_b32_dpp v73, v25 row_bcast:15 row_mask:0xf bank_mask:0xf
	v_and_b32_e32 v73, v74, v73
	v_add_u32_e32 v25, v25, v73
	v_lshrrev_b32_e32 v74, 6, v2
	s_nop 0
	v_mov_b32_dpp v73, v25 row_bcast:31 row_mask:0xf bank_mask:0xf
	v_cndmask_b32_e64 v73, 0, v73, s[8:9]
	v_add_u32_e32 v73, v25, v73
	v_and_b32_e32 v25, 63, v2
	v_cmp_eq_u32_e64 s[8:9], 63, v25
	s_and_saveexec_b64 s[12:13], s[8:9]
; %bb.238:
	v_lshlrev_b32_e32 v25, 2, v74
	ds_write_b32 v25, v73
; %bb.239:
	s_or_b64 exec, exec, s[12:13]
	v_cmp_gt_u32_e64 s[8:9], 16, v2
	v_lshlrev_b32_e32 v25, 2, v2
	s_waitcnt lgkmcnt(0)
	s_barrier
	s_and_saveexec_b64 s[12:13], s[8:9]
	s_cbranch_execz .LBB1036_241
; %bb.240:
	ds_read_b32 v75, v25
	s_waitcnt lgkmcnt(0)
	s_nop 0
	v_mov_b32_dpp v76, v75 row_shr:1 row_mask:0xf bank_mask:0xf
	v_cndmask_b32_e64 v76, v76, 0, vcc
	v_add_u32_e32 v75, v76, v75
	s_nop 1
	v_mov_b32_dpp v76, v75 row_shr:2 row_mask:0xf bank_mask:0xf
	v_cndmask_b32_e64 v76, 0, v76, s[0:1]
	v_add_u32_e32 v75, v75, v76
	s_nop 1
	v_mov_b32_dpp v76, v75 row_shr:4 row_mask:0xf bank_mask:0xf
	v_cndmask_b32_e64 v76, 0, v76, s[6:7]
	;; [unrolled: 4-line block ×3, first 2 shown]
	v_add_u32_e32 v75, v75, v76
	ds_write_b32 v25, v75
.LBB1036_241:
	s_or_b64 exec, exec, s[12:13]
	v_cmp_lt_u32_e32 vcc, 63, v2
	v_mov_b32_e32 v75, 0
	s_waitcnt lgkmcnt(0)
	s_barrier
	s_and_saveexec_b64 s[0:1], vcc
; %bb.242:
	v_lshl_add_u32 v74, v74, 2, -4
	ds_read_b32 v75, v74
; %bb.243:
	s_or_b64 exec, exec, s[0:1]
	v_subrev_co_u32_e32 v74, vcc, 1, v10
	v_and_b32_e32 v76, 64, v10
	v_cmp_lt_i32_e64 s[0:1], v74, v76
	s_waitcnt lgkmcnt(0)
	v_add_u32_e32 v73, v75, v73
	s_movk_i32 s4, 0x100
	v_cndmask_b32_e64 v10, v74, v10, s[0:1]
	v_lshlrev_b32_e32 v10, 2, v10
	ds_bpermute_b32 v10, v10, v73
	s_movk_i32 s0, 0xff
	s_waitcnt lgkmcnt(0)
	v_cndmask_b32_e32 v10, v10, v75, vcc
	v_cmp_ne_u32_e32 vcc, 0, v2
	s_nop 1
	v_cndmask_b32_e32 v10, 0, v10, vcc
	v_add_u32_e32 v8, v10, v8
	v_add_u32_e32 v9, v8, v9
	;; [unrolled: 1-line block ×4, first 2 shown]
	ds_write2_b32 v11, v10, v8 offset0:16 offset1:17
	ds_write2_b32 v11, v9, v0 offset0:18 offset1:19
	ds_write_b32 v11, v1 offset:80
	s_waitcnt lgkmcnt(0)
	s_barrier
	ds_read_b32 v81, v18 offset:64
	ds_read_b32 v73, v21 offset:64
	;; [unrolled: 1-line block ×16, first 2 shown]
	v_cmp_lt_u32_e32 vcc, s0, v2
	v_cmp_gt_u32_e64 s[0:1], s4, v2
                                        ; implicit-def: $vgpr18
                                        ; implicit-def: $vgpr21
	s_and_saveexec_b64 s[6:7], s[0:1]
	s_cbranch_execz .LBB1036_247
; %bb.244:
	v_mul_u32_u24_e32 v0, 0x44, v2
	ds_read_b32 v18, v0 offset:64
	v_add_u32_e32 v1, 1, v2
	v_cmp_ne_u32_e64 s[4:5], s4, v1
	v_mov_b32_e32 v0, 0x4000
	s_and_saveexec_b64 s[8:9], s[4:5]
; %bb.245:
	v_mul_u32_u24_e32 v0, 0x44, v1
	ds_read_b32 v0, v0 offset:64
; %bb.246:
	s_or_b64 exec, exec, s[8:9]
	s_waitcnt lgkmcnt(0)
	v_sub_u32_e32 v21, v0, v18
.LBB1036_247:
	s_or_b64 exec, exec, s[6:7]
	v_mov_b32_e32 v1, 0
	s_waitcnt lgkmcnt(0)
	s_barrier
	s_and_saveexec_b64 s[4:5], s[0:1]
	s_cbranch_execz .LBB1036_257
; %bb.248:
	v_lshl_add_u32 v0, s2, 8, v2
	v_lshl_add_u64 v[8:9], v[0:1], 2, s[50:51]
	v_or_b32_e32 v0, 2.0, v21
	s_mov_b64 s[6:7], 0
	s_brev_b32 s15, -4
	s_mov_b32 s16, s2
	v_mov_b32_e32 v49, 0
	global_store_dword v[8:9], v0, off sc1
                                        ; implicit-def: $sgpr0_sgpr1
	s_branch .LBB1036_251
.LBB1036_249:                           ;   in Loop: Header=BB1036_251 Depth=1
	s_or_b64 exec, exec, s[12:13]
.LBB1036_250:                           ;   in Loop: Header=BB1036_251 Depth=1
	s_or_b64 exec, exec, s[8:9]
	v_and_b32_e32 v10, 0x3fffffff, v0
	v_add_u32_e32 v49, v10, v49
	v_cmp_gt_i32_e64 s[0:1], -2.0, v0
	s_and_b64 s[8:9], exec, s[0:1]
	s_or_b64 s[6:7], s[8:9], s[6:7]
	s_andn2_b64 exec, exec, s[6:7]
	s_cbranch_execz .LBB1036_256
.LBB1036_251:                           ; =>This Loop Header: Depth=1
                                        ;     Child Loop BB1036_254 Depth 2
	s_or_b64 s[0:1], s[0:1], exec
	s_cmp_eq_u32 s16, 0
	s_cbranch_scc1 .LBB1036_255
; %bb.252:                              ;   in Loop: Header=BB1036_251 Depth=1
	s_add_i32 s16, s16, -1
	v_lshl_or_b32 v0, s16, 8, v2
	v_lshl_add_u64 v[10:11], v[0:1], 2, s[50:51]
	global_load_dword v0, v[10:11], off sc1
	s_waitcnt vmcnt(0)
	v_cmp_gt_u32_e64 s[0:1], 2.0, v0
	s_and_saveexec_b64 s[8:9], s[0:1]
	s_cbranch_execz .LBB1036_250
; %bb.253:                              ;   in Loop: Header=BB1036_251 Depth=1
	s_mov_b64 s[12:13], 0
.LBB1036_254:                           ;   Parent Loop BB1036_251 Depth=1
                                        ; =>  This Inner Loop Header: Depth=2
	global_load_dword v0, v[10:11], off sc1
	s_waitcnt vmcnt(0)
	v_cmp_lt_u32_e64 s[0:1], s15, v0
	s_or_b64 s[12:13], s[0:1], s[12:13]
	s_andn2_b64 exec, exec, s[12:13]
	s_cbranch_execnz .LBB1036_254
	s_branch .LBB1036_249
.LBB1036_255:                           ;   in Loop: Header=BB1036_251 Depth=1
                                        ; implicit-def: $sgpr16
	s_and_b64 s[8:9], exec, s[0:1]
	s_or_b64 s[6:7], s[8:9], s[6:7]
	s_andn2_b64 exec, exec, s[6:7]
	s_cbranch_execnz .LBB1036_251
.LBB1036_256:
	s_or_b64 exec, exec, s[6:7]
	v_add_u32_e32 v0, v49, v21
	v_or_b32_e32 v0, 0x80000000, v0
	global_store_dword v[8:9], v0, off sc1
	global_load_dword v0, v25, s[60:61]
	v_sub_u32_e32 v1, v49, v18
	s_waitcnt vmcnt(0)
	v_add_u32_e32 v0, v1, v0
	ds_write_b32 v25, v0
.LBB1036_257:
	s_or_b64 exec, exec, s[4:5]
	v_add_u32_e32 v8, v81, v14
	v_add3_u32 v0, v16, v13, v73
	v_add3_u32 v1, v20, v17, v74
	;; [unrolled: 1-line block ×15, first 2 shown]
	v_mov_b32_e32 v85, 0x400
	s_mov_b32 s6, s64
	s_mov_b32 s7, s14
	s_movk_i32 s8, 0x400
	v_lshl_add_u32 v9, v9, 2, v85
	v_add3_u32 v10, v71, v41, v28
	v_lshl_add_u32 v11, v11, 2, v85
	v_add3_u32 v14, v69, v26, v67
	;; [unrolled: 2-line block ×15, first 2 shown]
	v_lshl_add_u32 v16, v8, 2, v85
	s_mov_b32 s9, 0
	s_mov_b32 s12, 0
	s_movk_i32 s13, 0x1000
	v_mov_b32_e32 v1, 0
	s_movk_i32 s15, 0x800
	s_movk_i32 s16, 0xc00
	v_mov_b32_e32 v55, v2
	s_mov_b32 s17, 0
	s_branch .LBB1036_259
.LBB1036_258:                           ;   in Loop: Header=BB1036_259 Depth=1
	s_or_b64 exec, exec, s[4:5]
	s_waitcnt lgkmcnt(0)
	s_barrier
	ds_read2st64_b32 v[56:57], v25 offset0:4 offset1:20
	ds_read2st64_b32 v[62:63], v25 offset0:36 offset1:52
	s_addk_i32 s17, 0xc000
	s_addk_i32 s12, 0xf000
	s_waitcnt lgkmcnt(1)
	v_xor_b32_e32 v60, 0x7fffffff, v56
	v_lshrrev_b32_e32 v56, s64, v56
	v_lshrrev_b32_e32 v0, s6, v57
	v_and_b32_e32 v56, s14, v56
	v_xor_b32_e32 v66, 0x7fffffff, v57
	v_and_b32_e32 v57, s7, v0
	v_lshlrev_b32_e32 v0, 2, v56
	ds_read_b32 v0, v0
	s_waitcnt lgkmcnt(1)
	v_lshrrev_b32_e32 v58, s6, v63
	v_lshrrev_b32_e32 v65, s64, v62
	v_and_b32_e32 v59, s7, v58
	v_lshlrev_b32_e32 v64, 2, v57
	v_and_b32_e32 v58, s14, v65
	v_lshlrev_b32_e32 v67, 2, v59
	v_lshlrev_b32_e32 v65, 2, v58
	ds_read_b32 v68, v64
	ds_read_b32 v69, v65
	;; [unrolled: 1-line block ×3, first 2 shown]
	s_waitcnt lgkmcnt(3)
	v_add_u32_e32 v0, v55, v0
	v_lshl_add_u64 v[64:65], v[0:1], 2, s[54:55]
	s_waitcnt lgkmcnt(2)
	v_add3_u32 v0, v55, v68, s8
	global_store_dword v[64:65], v60, off
	v_lshl_add_u64 v[64:65], v[0:1], 2, s[54:55]
	s_waitcnt lgkmcnt(1)
	v_add3_u32 v0, v55, v69, s15
	global_store_dword v[64:65], v66, off
	v_xor_b32_e32 v60, 0x7fffffff, v62
	v_xor_b32_e32 v64, 0x7fffffff, v63
	v_lshl_add_u64 v[62:63], v[0:1], 2, s[54:55]
	s_waitcnt lgkmcnt(0)
	v_add3_u32 v0, v55, v67, s16
	global_store_dword v[62:63], v60, off
	v_lshl_add_u64 v[62:63], v[0:1], 2, s[54:55]
	global_store_dword v[62:63], v64, off
	scratch_store_dwordx4 off, v[56:59], s9
	s_add_i32 s9, s9, 16
	s_cmp_eq_u32 s17, 0xffff0000
	v_add_u32_e32 v55, 0x1000, v55
	s_barrier
	s_cbranch_scc1 .LBB1036_291
.LBB1036_259:                           ; =>This Inner Loop Header: Depth=1
	v_add_u32_e32 v0, s12, v8
	v_cmp_gt_u32_e64 s[0:1], s13, v0
	s_and_saveexec_b64 s[4:5], s[0:1]
; %bb.260:                              ;   in Loop: Header=BB1036_259 Depth=1
	v_add_u32_e32 v0, s17, v16
	ds_write_b32 v0, v3
; %bb.261:                              ;   in Loop: Header=BB1036_259 Depth=1
	s_or_b64 exec, exec, s[4:5]
	v_add_u32_e32 v0, s12, v13
	v_cmp_gt_u32_e64 s[0:1], s13, v0
	s_and_saveexec_b64 s[4:5], s[0:1]
; %bb.262:                              ;   in Loop: Header=BB1036_259 Depth=1
	v_add_u32_e32 v0, s17, v20
	ds_write_b32 v0, v5
; %bb.263:                              ;   in Loop: Header=BB1036_259 Depth=1
	s_or_b64 exec, exec, s[4:5]
	;; [unrolled: 8-line block ×15, first 2 shown]
	v_add_u32_e32 v0, s12, v10
	v_cmp_gt_u32_e64 s[0:1], s13, v0
	s_and_saveexec_b64 s[4:5], s[0:1]
	s_cbranch_execz .LBB1036_258
; %bb.290:                              ;   in Loop: Header=BB1036_259 Depth=1
	v_add_u32_e32 v0, s17, v9
	ds_write_b32 v0, v61
	s_branch .LBB1036_258
.LBB1036_291:
	s_add_u32 s0, s56, s10
	s_addc_u32 s1, s57, s11
	v_mov_b32_e32 v5, 0
	v_lshl_add_u64 v[0:1], s[0:1], 0, v[4:5]
	v_mov_b32_e32 v7, v5
	v_lshl_add_u64 v[44:45], v[0:1], 0, v[6:7]
	global_load_dword v0, v[44:45], off
	global_load_dword v1, v[44:45], off offset:256
	global_load_dword v3, v[44:45], off offset:512
	;; [unrolled: 1-line block ×14, first 2 shown]
	s_nop 0
	global_load_dword v44, v[44:45], off offset:3840
	s_mov_b32 s6, 0
	s_mov_b32 s7, 0
	s_movk_i32 s8, 0x1000
	s_movk_i32 s9, 0x400
	;; [unrolled: 1-line block ×4, first 2 shown]
	s_mov_b32 s12, 0
	s_branch .LBB1036_293
.LBB1036_292:                           ;   in Loop: Header=BB1036_293 Depth=1
	s_or_b64 exec, exec, s[4:5]
	s_waitcnt lgkmcnt(0)
	s_barrier
	scratch_load_dwordx4 v[56:59], off, s6
	ds_read2st64_b32 v[60:61], v25 offset0:4 offset1:20
	ds_read2st64_b32 v[62:63], v25 offset0:36 offset1:52
	s_addk_i32 s12, 0xc000
	s_addk_i32 s7, 0xf000
	s_add_i32 s6, s6, 16
	s_cmp_eq_u32 s12, 0xffff0000
	s_waitcnt vmcnt(0)
	v_lshlrev_b32_e32 v4, 2, v56
	ds_read_b32 v4, v4
	v_lshlrev_b32_e32 v45, 2, v57
	v_lshlrev_b32_e32 v55, 2, v58
	;; [unrolled: 1-line block ×3, first 2 shown]
	ds_read_b32 v45, v45
	ds_read_b32 v55, v55
	ds_read_b32 v58, v56
	s_waitcnt lgkmcnt(3)
	v_add_u32_e32 v4, v2, v4
	v_lshl_add_u64 v[56:57], v[4:5], 2, s[58:59]
	s_waitcnt lgkmcnt(2)
	v_add3_u32 v4, v2, v45, s9
	global_store_dword v[56:57], v60, off
	v_lshl_add_u64 v[56:57], v[4:5], 2, s[58:59]
	s_waitcnt lgkmcnt(1)
	v_add3_u32 v4, v2, v55, s10
	global_store_dword v[56:57], v61, off
	;; [unrolled: 4-line block ×3, first 2 shown]
	v_lshl_add_u64 v[56:57], v[4:5], 2, s[58:59]
	v_add_u32_e32 v2, 0x1000, v2
	global_store_dword v[56:57], v63, off
	s_barrier
	s_cbranch_scc1 .LBB1036_325
.LBB1036_293:                           ; =>This Inner Loop Header: Depth=1
	v_add_u32_e32 v4, s7, v8
	v_cmp_gt_u32_e64 s[0:1], s8, v4
	s_and_saveexec_b64 s[4:5], s[0:1]
	s_cbranch_execz .LBB1036_295
; %bb.294:                              ;   in Loop: Header=BB1036_293 Depth=1
	v_add_u32_e32 v4, s12, v16
	s_waitcnt vmcnt(15)
	ds_write_b32 v4, v0
.LBB1036_295:                           ;   in Loop: Header=BB1036_293 Depth=1
	s_or_b64 exec, exec, s[4:5]
	v_add_u32_e32 v4, s7, v13
	v_cmp_gt_u32_e64 s[0:1], s8, v4
	s_and_saveexec_b64 s[4:5], s[0:1]
	s_cbranch_execz .LBB1036_297
; %bb.296:                              ;   in Loop: Header=BB1036_293 Depth=1
	v_add_u32_e32 v4, s12, v20
	s_waitcnt vmcnt(14)
	ds_write_b32 v4, v1
.LBB1036_297:                           ;   in Loop: Header=BB1036_293 Depth=1
	s_or_b64 exec, exec, s[4:5]
	;; [unrolled: 10-line block ×15, first 2 shown]
	v_add_u32_e32 v4, s7, v10
	v_cmp_gt_u32_e64 s[0:1], s8, v4
	s_and_saveexec_b64 s[4:5], s[0:1]
	s_cbranch_execz .LBB1036_292
; %bb.324:                              ;   in Loop: Header=BB1036_293 Depth=1
	v_add_u32_e32 v4, s12, v9
	s_waitcnt vmcnt(0)
	ds_write_b32 v4, v44
	s_branch .LBB1036_292
.LBB1036_325:
	s_add_i32 s3, s3, -1
	s_cmp_eq_u32 s2, s3
	s_cselect_b64 s[0:1], -1, 0
	s_xor_b64 s[2:3], vcc, -1
	s_and_b64 s[0:1], s[2:3], s[0:1]
	s_and_saveexec_b64 s[2:3], s[0:1]
	s_cbranch_execz .LBB1036_327
; %bb.326:
	ds_read_b32 v0, v25
	s_waitcnt lgkmcnt(0)
	v_add3_u32 v0, v18, v21, v0
	global_store_dword v25, v0, s[62:63]
.LBB1036_327:
	s_endpgm
	.section	.rodata,"a",@progbits
	.p2align	6, 0x0
	.amdhsa_kernel _ZN7rocprim17ROCPRIM_400000_NS6detail17trampoline_kernelINS0_14default_configENS1_35radix_sort_onesweep_config_selectorIiiEEZZNS1_29radix_sort_onesweep_iterationIS3_Lb1EN6thrust23THRUST_200600_302600_NS6detail15normal_iteratorINS8_10device_ptrIiEEEESD_SD_SD_jNS0_19identity_decomposerENS1_16block_id_wrapperIjLb0EEEEE10hipError_tT1_PNSt15iterator_traitsISI_E10value_typeET2_T3_PNSJ_ISO_E10value_typeET4_T5_PST_SU_PNS1_23onesweep_lookback_stateEbbT6_jjT7_P12ihipStream_tbENKUlT_T0_SI_SN_E_clISD_PiSD_S15_EEDaS11_S12_SI_SN_EUlS11_E_NS1_11comp_targetILNS1_3genE6ELNS1_11target_archE950ELNS1_3gpuE13ELNS1_3repE0EEENS1_47radix_sort_onesweep_sort_config_static_selectorELNS0_4arch9wavefront6targetE1EEEvSI_
		.amdhsa_group_segment_fixed_size 20552
		.amdhsa_private_segment_fixed_size 80
		.amdhsa_kernarg_size 344
		.amdhsa_user_sgpr_count 2
		.amdhsa_user_sgpr_dispatch_ptr 0
		.amdhsa_user_sgpr_queue_ptr 0
		.amdhsa_user_sgpr_kernarg_segment_ptr 1
		.amdhsa_user_sgpr_dispatch_id 0
		.amdhsa_user_sgpr_kernarg_preload_length 0
		.amdhsa_user_sgpr_kernarg_preload_offset 0
		.amdhsa_user_sgpr_private_segment_size 0
		.amdhsa_uses_dynamic_stack 0
		.amdhsa_enable_private_segment 1
		.amdhsa_system_sgpr_workgroup_id_x 1
		.amdhsa_system_sgpr_workgroup_id_y 0
		.amdhsa_system_sgpr_workgroup_id_z 0
		.amdhsa_system_sgpr_workgroup_info 0
		.amdhsa_system_vgpr_workitem_id 2
		.amdhsa_next_free_vgpr 88
		.amdhsa_next_free_sgpr 70
		.amdhsa_accum_offset 88
		.amdhsa_reserve_vcc 1
		.amdhsa_float_round_mode_32 0
		.amdhsa_float_round_mode_16_64 0
		.amdhsa_float_denorm_mode_32 3
		.amdhsa_float_denorm_mode_16_64 3
		.amdhsa_dx10_clamp 1
		.amdhsa_ieee_mode 1
		.amdhsa_fp16_overflow 0
		.amdhsa_tg_split 0
		.amdhsa_exception_fp_ieee_invalid_op 0
		.amdhsa_exception_fp_denorm_src 0
		.amdhsa_exception_fp_ieee_div_zero 0
		.amdhsa_exception_fp_ieee_overflow 0
		.amdhsa_exception_fp_ieee_underflow 0
		.amdhsa_exception_fp_ieee_inexact 0
		.amdhsa_exception_int_div_zero 0
	.end_amdhsa_kernel
	.section	.text._ZN7rocprim17ROCPRIM_400000_NS6detail17trampoline_kernelINS0_14default_configENS1_35radix_sort_onesweep_config_selectorIiiEEZZNS1_29radix_sort_onesweep_iterationIS3_Lb1EN6thrust23THRUST_200600_302600_NS6detail15normal_iteratorINS8_10device_ptrIiEEEESD_SD_SD_jNS0_19identity_decomposerENS1_16block_id_wrapperIjLb0EEEEE10hipError_tT1_PNSt15iterator_traitsISI_E10value_typeET2_T3_PNSJ_ISO_E10value_typeET4_T5_PST_SU_PNS1_23onesweep_lookback_stateEbbT6_jjT7_P12ihipStream_tbENKUlT_T0_SI_SN_E_clISD_PiSD_S15_EEDaS11_S12_SI_SN_EUlS11_E_NS1_11comp_targetILNS1_3genE6ELNS1_11target_archE950ELNS1_3gpuE13ELNS1_3repE0EEENS1_47radix_sort_onesweep_sort_config_static_selectorELNS0_4arch9wavefront6targetE1EEEvSI_,"axG",@progbits,_ZN7rocprim17ROCPRIM_400000_NS6detail17trampoline_kernelINS0_14default_configENS1_35radix_sort_onesweep_config_selectorIiiEEZZNS1_29radix_sort_onesweep_iterationIS3_Lb1EN6thrust23THRUST_200600_302600_NS6detail15normal_iteratorINS8_10device_ptrIiEEEESD_SD_SD_jNS0_19identity_decomposerENS1_16block_id_wrapperIjLb0EEEEE10hipError_tT1_PNSt15iterator_traitsISI_E10value_typeET2_T3_PNSJ_ISO_E10value_typeET4_T5_PST_SU_PNS1_23onesweep_lookback_stateEbbT6_jjT7_P12ihipStream_tbENKUlT_T0_SI_SN_E_clISD_PiSD_S15_EEDaS11_S12_SI_SN_EUlS11_E_NS1_11comp_targetILNS1_3genE6ELNS1_11target_archE950ELNS1_3gpuE13ELNS1_3repE0EEENS1_47radix_sort_onesweep_sort_config_static_selectorELNS0_4arch9wavefront6targetE1EEEvSI_,comdat
.Lfunc_end1036:
	.size	_ZN7rocprim17ROCPRIM_400000_NS6detail17trampoline_kernelINS0_14default_configENS1_35radix_sort_onesweep_config_selectorIiiEEZZNS1_29radix_sort_onesweep_iterationIS3_Lb1EN6thrust23THRUST_200600_302600_NS6detail15normal_iteratorINS8_10device_ptrIiEEEESD_SD_SD_jNS0_19identity_decomposerENS1_16block_id_wrapperIjLb0EEEEE10hipError_tT1_PNSt15iterator_traitsISI_E10value_typeET2_T3_PNSJ_ISO_E10value_typeET4_T5_PST_SU_PNS1_23onesweep_lookback_stateEbbT6_jjT7_P12ihipStream_tbENKUlT_T0_SI_SN_E_clISD_PiSD_S15_EEDaS11_S12_SI_SN_EUlS11_E_NS1_11comp_targetILNS1_3genE6ELNS1_11target_archE950ELNS1_3gpuE13ELNS1_3repE0EEENS1_47radix_sort_onesweep_sort_config_static_selectorELNS0_4arch9wavefront6targetE1EEEvSI_, .Lfunc_end1036-_ZN7rocprim17ROCPRIM_400000_NS6detail17trampoline_kernelINS0_14default_configENS1_35radix_sort_onesweep_config_selectorIiiEEZZNS1_29radix_sort_onesweep_iterationIS3_Lb1EN6thrust23THRUST_200600_302600_NS6detail15normal_iteratorINS8_10device_ptrIiEEEESD_SD_SD_jNS0_19identity_decomposerENS1_16block_id_wrapperIjLb0EEEEE10hipError_tT1_PNSt15iterator_traitsISI_E10value_typeET2_T3_PNSJ_ISO_E10value_typeET4_T5_PST_SU_PNS1_23onesweep_lookback_stateEbbT6_jjT7_P12ihipStream_tbENKUlT_T0_SI_SN_E_clISD_PiSD_S15_EEDaS11_S12_SI_SN_EUlS11_E_NS1_11comp_targetILNS1_3genE6ELNS1_11target_archE950ELNS1_3gpuE13ELNS1_3repE0EEENS1_47radix_sort_onesweep_sort_config_static_selectorELNS0_4arch9wavefront6targetE1EEEvSI_
                                        ; -- End function
	.set _ZN7rocprim17ROCPRIM_400000_NS6detail17trampoline_kernelINS0_14default_configENS1_35radix_sort_onesweep_config_selectorIiiEEZZNS1_29radix_sort_onesweep_iterationIS3_Lb1EN6thrust23THRUST_200600_302600_NS6detail15normal_iteratorINS8_10device_ptrIiEEEESD_SD_SD_jNS0_19identity_decomposerENS1_16block_id_wrapperIjLb0EEEEE10hipError_tT1_PNSt15iterator_traitsISI_E10value_typeET2_T3_PNSJ_ISO_E10value_typeET4_T5_PST_SU_PNS1_23onesweep_lookback_stateEbbT6_jjT7_P12ihipStream_tbENKUlT_T0_SI_SN_E_clISD_PiSD_S15_EEDaS11_S12_SI_SN_EUlS11_E_NS1_11comp_targetILNS1_3genE6ELNS1_11target_archE950ELNS1_3gpuE13ELNS1_3repE0EEENS1_47radix_sort_onesweep_sort_config_static_selectorELNS0_4arch9wavefront6targetE1EEEvSI_.num_vgpr, 88
	.set _ZN7rocprim17ROCPRIM_400000_NS6detail17trampoline_kernelINS0_14default_configENS1_35radix_sort_onesweep_config_selectorIiiEEZZNS1_29radix_sort_onesweep_iterationIS3_Lb1EN6thrust23THRUST_200600_302600_NS6detail15normal_iteratorINS8_10device_ptrIiEEEESD_SD_SD_jNS0_19identity_decomposerENS1_16block_id_wrapperIjLb0EEEEE10hipError_tT1_PNSt15iterator_traitsISI_E10value_typeET2_T3_PNSJ_ISO_E10value_typeET4_T5_PST_SU_PNS1_23onesweep_lookback_stateEbbT6_jjT7_P12ihipStream_tbENKUlT_T0_SI_SN_E_clISD_PiSD_S15_EEDaS11_S12_SI_SN_EUlS11_E_NS1_11comp_targetILNS1_3genE6ELNS1_11target_archE950ELNS1_3gpuE13ELNS1_3repE0EEENS1_47radix_sort_onesweep_sort_config_static_selectorELNS0_4arch9wavefront6targetE1EEEvSI_.num_agpr, 0
	.set _ZN7rocprim17ROCPRIM_400000_NS6detail17trampoline_kernelINS0_14default_configENS1_35radix_sort_onesweep_config_selectorIiiEEZZNS1_29radix_sort_onesweep_iterationIS3_Lb1EN6thrust23THRUST_200600_302600_NS6detail15normal_iteratorINS8_10device_ptrIiEEEESD_SD_SD_jNS0_19identity_decomposerENS1_16block_id_wrapperIjLb0EEEEE10hipError_tT1_PNSt15iterator_traitsISI_E10value_typeET2_T3_PNSJ_ISO_E10value_typeET4_T5_PST_SU_PNS1_23onesweep_lookback_stateEbbT6_jjT7_P12ihipStream_tbENKUlT_T0_SI_SN_E_clISD_PiSD_S15_EEDaS11_S12_SI_SN_EUlS11_E_NS1_11comp_targetILNS1_3genE6ELNS1_11target_archE950ELNS1_3gpuE13ELNS1_3repE0EEENS1_47radix_sort_onesweep_sort_config_static_selectorELNS0_4arch9wavefront6targetE1EEEvSI_.numbered_sgpr, 70
	.set _ZN7rocprim17ROCPRIM_400000_NS6detail17trampoline_kernelINS0_14default_configENS1_35radix_sort_onesweep_config_selectorIiiEEZZNS1_29radix_sort_onesweep_iterationIS3_Lb1EN6thrust23THRUST_200600_302600_NS6detail15normal_iteratorINS8_10device_ptrIiEEEESD_SD_SD_jNS0_19identity_decomposerENS1_16block_id_wrapperIjLb0EEEEE10hipError_tT1_PNSt15iterator_traitsISI_E10value_typeET2_T3_PNSJ_ISO_E10value_typeET4_T5_PST_SU_PNS1_23onesweep_lookback_stateEbbT6_jjT7_P12ihipStream_tbENKUlT_T0_SI_SN_E_clISD_PiSD_S15_EEDaS11_S12_SI_SN_EUlS11_E_NS1_11comp_targetILNS1_3genE6ELNS1_11target_archE950ELNS1_3gpuE13ELNS1_3repE0EEENS1_47radix_sort_onesweep_sort_config_static_selectorELNS0_4arch9wavefront6targetE1EEEvSI_.num_named_barrier, 0
	.set _ZN7rocprim17ROCPRIM_400000_NS6detail17trampoline_kernelINS0_14default_configENS1_35radix_sort_onesweep_config_selectorIiiEEZZNS1_29radix_sort_onesweep_iterationIS3_Lb1EN6thrust23THRUST_200600_302600_NS6detail15normal_iteratorINS8_10device_ptrIiEEEESD_SD_SD_jNS0_19identity_decomposerENS1_16block_id_wrapperIjLb0EEEEE10hipError_tT1_PNSt15iterator_traitsISI_E10value_typeET2_T3_PNSJ_ISO_E10value_typeET4_T5_PST_SU_PNS1_23onesweep_lookback_stateEbbT6_jjT7_P12ihipStream_tbENKUlT_T0_SI_SN_E_clISD_PiSD_S15_EEDaS11_S12_SI_SN_EUlS11_E_NS1_11comp_targetILNS1_3genE6ELNS1_11target_archE950ELNS1_3gpuE13ELNS1_3repE0EEENS1_47radix_sort_onesweep_sort_config_static_selectorELNS0_4arch9wavefront6targetE1EEEvSI_.private_seg_size, 80
	.set _ZN7rocprim17ROCPRIM_400000_NS6detail17trampoline_kernelINS0_14default_configENS1_35radix_sort_onesweep_config_selectorIiiEEZZNS1_29radix_sort_onesweep_iterationIS3_Lb1EN6thrust23THRUST_200600_302600_NS6detail15normal_iteratorINS8_10device_ptrIiEEEESD_SD_SD_jNS0_19identity_decomposerENS1_16block_id_wrapperIjLb0EEEEE10hipError_tT1_PNSt15iterator_traitsISI_E10value_typeET2_T3_PNSJ_ISO_E10value_typeET4_T5_PST_SU_PNS1_23onesweep_lookback_stateEbbT6_jjT7_P12ihipStream_tbENKUlT_T0_SI_SN_E_clISD_PiSD_S15_EEDaS11_S12_SI_SN_EUlS11_E_NS1_11comp_targetILNS1_3genE6ELNS1_11target_archE950ELNS1_3gpuE13ELNS1_3repE0EEENS1_47radix_sort_onesweep_sort_config_static_selectorELNS0_4arch9wavefront6targetE1EEEvSI_.uses_vcc, 1
	.set _ZN7rocprim17ROCPRIM_400000_NS6detail17trampoline_kernelINS0_14default_configENS1_35radix_sort_onesweep_config_selectorIiiEEZZNS1_29radix_sort_onesweep_iterationIS3_Lb1EN6thrust23THRUST_200600_302600_NS6detail15normal_iteratorINS8_10device_ptrIiEEEESD_SD_SD_jNS0_19identity_decomposerENS1_16block_id_wrapperIjLb0EEEEE10hipError_tT1_PNSt15iterator_traitsISI_E10value_typeET2_T3_PNSJ_ISO_E10value_typeET4_T5_PST_SU_PNS1_23onesweep_lookback_stateEbbT6_jjT7_P12ihipStream_tbENKUlT_T0_SI_SN_E_clISD_PiSD_S15_EEDaS11_S12_SI_SN_EUlS11_E_NS1_11comp_targetILNS1_3genE6ELNS1_11target_archE950ELNS1_3gpuE13ELNS1_3repE0EEENS1_47radix_sort_onesweep_sort_config_static_selectorELNS0_4arch9wavefront6targetE1EEEvSI_.uses_flat_scratch, 0
	.set _ZN7rocprim17ROCPRIM_400000_NS6detail17trampoline_kernelINS0_14default_configENS1_35radix_sort_onesweep_config_selectorIiiEEZZNS1_29radix_sort_onesweep_iterationIS3_Lb1EN6thrust23THRUST_200600_302600_NS6detail15normal_iteratorINS8_10device_ptrIiEEEESD_SD_SD_jNS0_19identity_decomposerENS1_16block_id_wrapperIjLb0EEEEE10hipError_tT1_PNSt15iterator_traitsISI_E10value_typeET2_T3_PNSJ_ISO_E10value_typeET4_T5_PST_SU_PNS1_23onesweep_lookback_stateEbbT6_jjT7_P12ihipStream_tbENKUlT_T0_SI_SN_E_clISD_PiSD_S15_EEDaS11_S12_SI_SN_EUlS11_E_NS1_11comp_targetILNS1_3genE6ELNS1_11target_archE950ELNS1_3gpuE13ELNS1_3repE0EEENS1_47radix_sort_onesweep_sort_config_static_selectorELNS0_4arch9wavefront6targetE1EEEvSI_.has_dyn_sized_stack, 0
	.set _ZN7rocprim17ROCPRIM_400000_NS6detail17trampoline_kernelINS0_14default_configENS1_35radix_sort_onesweep_config_selectorIiiEEZZNS1_29radix_sort_onesweep_iterationIS3_Lb1EN6thrust23THRUST_200600_302600_NS6detail15normal_iteratorINS8_10device_ptrIiEEEESD_SD_SD_jNS0_19identity_decomposerENS1_16block_id_wrapperIjLb0EEEEE10hipError_tT1_PNSt15iterator_traitsISI_E10value_typeET2_T3_PNSJ_ISO_E10value_typeET4_T5_PST_SU_PNS1_23onesweep_lookback_stateEbbT6_jjT7_P12ihipStream_tbENKUlT_T0_SI_SN_E_clISD_PiSD_S15_EEDaS11_S12_SI_SN_EUlS11_E_NS1_11comp_targetILNS1_3genE6ELNS1_11target_archE950ELNS1_3gpuE13ELNS1_3repE0EEENS1_47radix_sort_onesweep_sort_config_static_selectorELNS0_4arch9wavefront6targetE1EEEvSI_.has_recursion, 0
	.set _ZN7rocprim17ROCPRIM_400000_NS6detail17trampoline_kernelINS0_14default_configENS1_35radix_sort_onesweep_config_selectorIiiEEZZNS1_29radix_sort_onesweep_iterationIS3_Lb1EN6thrust23THRUST_200600_302600_NS6detail15normal_iteratorINS8_10device_ptrIiEEEESD_SD_SD_jNS0_19identity_decomposerENS1_16block_id_wrapperIjLb0EEEEE10hipError_tT1_PNSt15iterator_traitsISI_E10value_typeET2_T3_PNSJ_ISO_E10value_typeET4_T5_PST_SU_PNS1_23onesweep_lookback_stateEbbT6_jjT7_P12ihipStream_tbENKUlT_T0_SI_SN_E_clISD_PiSD_S15_EEDaS11_S12_SI_SN_EUlS11_E_NS1_11comp_targetILNS1_3genE6ELNS1_11target_archE950ELNS1_3gpuE13ELNS1_3repE0EEENS1_47radix_sort_onesweep_sort_config_static_selectorELNS0_4arch9wavefront6targetE1EEEvSI_.has_indirect_call, 0
	.section	.AMDGPU.csdata,"",@progbits
; Kernel info:
; codeLenInByte = 22584
; TotalNumSgprs: 76
; NumVgprs: 88
; NumAgprs: 0
; TotalNumVgprs: 88
; ScratchSize: 80
; MemoryBound: 0
; FloatMode: 240
; IeeeMode: 1
; LDSByteSize: 20552 bytes/workgroup (compile time only)
; SGPRBlocks: 9
; VGPRBlocks: 10
; NumSGPRsForWavesPerEU: 76
; NumVGPRsForWavesPerEU: 88
; AccumOffset: 88
; Occupancy: 5
; WaveLimiterHint : 1
; COMPUTE_PGM_RSRC2:SCRATCH_EN: 1
; COMPUTE_PGM_RSRC2:USER_SGPR: 2
; COMPUTE_PGM_RSRC2:TRAP_HANDLER: 0
; COMPUTE_PGM_RSRC2:TGID_X_EN: 1
; COMPUTE_PGM_RSRC2:TGID_Y_EN: 0
; COMPUTE_PGM_RSRC2:TGID_Z_EN: 0
; COMPUTE_PGM_RSRC2:TIDIG_COMP_CNT: 2
; COMPUTE_PGM_RSRC3_GFX90A:ACCUM_OFFSET: 21
; COMPUTE_PGM_RSRC3_GFX90A:TG_SPLIT: 0
	.section	.text._ZN7rocprim17ROCPRIM_400000_NS6detail17trampoline_kernelINS0_14default_configENS1_35radix_sort_onesweep_config_selectorIiiEEZZNS1_29radix_sort_onesweep_iterationIS3_Lb1EN6thrust23THRUST_200600_302600_NS6detail15normal_iteratorINS8_10device_ptrIiEEEESD_SD_SD_jNS0_19identity_decomposerENS1_16block_id_wrapperIjLb0EEEEE10hipError_tT1_PNSt15iterator_traitsISI_E10value_typeET2_T3_PNSJ_ISO_E10value_typeET4_T5_PST_SU_PNS1_23onesweep_lookback_stateEbbT6_jjT7_P12ihipStream_tbENKUlT_T0_SI_SN_E_clISD_PiSD_S15_EEDaS11_S12_SI_SN_EUlS11_E_NS1_11comp_targetILNS1_3genE5ELNS1_11target_archE942ELNS1_3gpuE9ELNS1_3repE0EEENS1_47radix_sort_onesweep_sort_config_static_selectorELNS0_4arch9wavefront6targetE1EEEvSI_,"axG",@progbits,_ZN7rocprim17ROCPRIM_400000_NS6detail17trampoline_kernelINS0_14default_configENS1_35radix_sort_onesweep_config_selectorIiiEEZZNS1_29radix_sort_onesweep_iterationIS3_Lb1EN6thrust23THRUST_200600_302600_NS6detail15normal_iteratorINS8_10device_ptrIiEEEESD_SD_SD_jNS0_19identity_decomposerENS1_16block_id_wrapperIjLb0EEEEE10hipError_tT1_PNSt15iterator_traitsISI_E10value_typeET2_T3_PNSJ_ISO_E10value_typeET4_T5_PST_SU_PNS1_23onesweep_lookback_stateEbbT6_jjT7_P12ihipStream_tbENKUlT_T0_SI_SN_E_clISD_PiSD_S15_EEDaS11_S12_SI_SN_EUlS11_E_NS1_11comp_targetILNS1_3genE5ELNS1_11target_archE942ELNS1_3gpuE9ELNS1_3repE0EEENS1_47radix_sort_onesweep_sort_config_static_selectorELNS0_4arch9wavefront6targetE1EEEvSI_,comdat
	.protected	_ZN7rocprim17ROCPRIM_400000_NS6detail17trampoline_kernelINS0_14default_configENS1_35radix_sort_onesweep_config_selectorIiiEEZZNS1_29radix_sort_onesweep_iterationIS3_Lb1EN6thrust23THRUST_200600_302600_NS6detail15normal_iteratorINS8_10device_ptrIiEEEESD_SD_SD_jNS0_19identity_decomposerENS1_16block_id_wrapperIjLb0EEEEE10hipError_tT1_PNSt15iterator_traitsISI_E10value_typeET2_T3_PNSJ_ISO_E10value_typeET4_T5_PST_SU_PNS1_23onesweep_lookback_stateEbbT6_jjT7_P12ihipStream_tbENKUlT_T0_SI_SN_E_clISD_PiSD_S15_EEDaS11_S12_SI_SN_EUlS11_E_NS1_11comp_targetILNS1_3genE5ELNS1_11target_archE942ELNS1_3gpuE9ELNS1_3repE0EEENS1_47radix_sort_onesweep_sort_config_static_selectorELNS0_4arch9wavefront6targetE1EEEvSI_ ; -- Begin function _ZN7rocprim17ROCPRIM_400000_NS6detail17trampoline_kernelINS0_14default_configENS1_35radix_sort_onesweep_config_selectorIiiEEZZNS1_29radix_sort_onesweep_iterationIS3_Lb1EN6thrust23THRUST_200600_302600_NS6detail15normal_iteratorINS8_10device_ptrIiEEEESD_SD_SD_jNS0_19identity_decomposerENS1_16block_id_wrapperIjLb0EEEEE10hipError_tT1_PNSt15iterator_traitsISI_E10value_typeET2_T3_PNSJ_ISO_E10value_typeET4_T5_PST_SU_PNS1_23onesweep_lookback_stateEbbT6_jjT7_P12ihipStream_tbENKUlT_T0_SI_SN_E_clISD_PiSD_S15_EEDaS11_S12_SI_SN_EUlS11_E_NS1_11comp_targetILNS1_3genE5ELNS1_11target_archE942ELNS1_3gpuE9ELNS1_3repE0EEENS1_47radix_sort_onesweep_sort_config_static_selectorELNS0_4arch9wavefront6targetE1EEEvSI_
	.globl	_ZN7rocprim17ROCPRIM_400000_NS6detail17trampoline_kernelINS0_14default_configENS1_35radix_sort_onesweep_config_selectorIiiEEZZNS1_29radix_sort_onesweep_iterationIS3_Lb1EN6thrust23THRUST_200600_302600_NS6detail15normal_iteratorINS8_10device_ptrIiEEEESD_SD_SD_jNS0_19identity_decomposerENS1_16block_id_wrapperIjLb0EEEEE10hipError_tT1_PNSt15iterator_traitsISI_E10value_typeET2_T3_PNSJ_ISO_E10value_typeET4_T5_PST_SU_PNS1_23onesweep_lookback_stateEbbT6_jjT7_P12ihipStream_tbENKUlT_T0_SI_SN_E_clISD_PiSD_S15_EEDaS11_S12_SI_SN_EUlS11_E_NS1_11comp_targetILNS1_3genE5ELNS1_11target_archE942ELNS1_3gpuE9ELNS1_3repE0EEENS1_47radix_sort_onesweep_sort_config_static_selectorELNS0_4arch9wavefront6targetE1EEEvSI_
	.p2align	8
	.type	_ZN7rocprim17ROCPRIM_400000_NS6detail17trampoline_kernelINS0_14default_configENS1_35radix_sort_onesweep_config_selectorIiiEEZZNS1_29radix_sort_onesweep_iterationIS3_Lb1EN6thrust23THRUST_200600_302600_NS6detail15normal_iteratorINS8_10device_ptrIiEEEESD_SD_SD_jNS0_19identity_decomposerENS1_16block_id_wrapperIjLb0EEEEE10hipError_tT1_PNSt15iterator_traitsISI_E10value_typeET2_T3_PNSJ_ISO_E10value_typeET4_T5_PST_SU_PNS1_23onesweep_lookback_stateEbbT6_jjT7_P12ihipStream_tbENKUlT_T0_SI_SN_E_clISD_PiSD_S15_EEDaS11_S12_SI_SN_EUlS11_E_NS1_11comp_targetILNS1_3genE5ELNS1_11target_archE942ELNS1_3gpuE9ELNS1_3repE0EEENS1_47radix_sort_onesweep_sort_config_static_selectorELNS0_4arch9wavefront6targetE1EEEvSI_,@function
_ZN7rocprim17ROCPRIM_400000_NS6detail17trampoline_kernelINS0_14default_configENS1_35radix_sort_onesweep_config_selectorIiiEEZZNS1_29radix_sort_onesweep_iterationIS3_Lb1EN6thrust23THRUST_200600_302600_NS6detail15normal_iteratorINS8_10device_ptrIiEEEESD_SD_SD_jNS0_19identity_decomposerENS1_16block_id_wrapperIjLb0EEEEE10hipError_tT1_PNSt15iterator_traitsISI_E10value_typeET2_T3_PNSJ_ISO_E10value_typeET4_T5_PST_SU_PNS1_23onesweep_lookback_stateEbbT6_jjT7_P12ihipStream_tbENKUlT_T0_SI_SN_E_clISD_PiSD_S15_EEDaS11_S12_SI_SN_EUlS11_E_NS1_11comp_targetILNS1_3genE5ELNS1_11target_archE942ELNS1_3gpuE9ELNS1_3repE0EEENS1_47radix_sort_onesweep_sort_config_static_selectorELNS0_4arch9wavefront6targetE1EEEvSI_: ; @_ZN7rocprim17ROCPRIM_400000_NS6detail17trampoline_kernelINS0_14default_configENS1_35radix_sort_onesweep_config_selectorIiiEEZZNS1_29radix_sort_onesweep_iterationIS3_Lb1EN6thrust23THRUST_200600_302600_NS6detail15normal_iteratorINS8_10device_ptrIiEEEESD_SD_SD_jNS0_19identity_decomposerENS1_16block_id_wrapperIjLb0EEEEE10hipError_tT1_PNSt15iterator_traitsISI_E10value_typeET2_T3_PNSJ_ISO_E10value_typeET4_T5_PST_SU_PNS1_23onesweep_lookback_stateEbbT6_jjT7_P12ihipStream_tbENKUlT_T0_SI_SN_E_clISD_PiSD_S15_EEDaS11_S12_SI_SN_EUlS11_E_NS1_11comp_targetILNS1_3genE5ELNS1_11target_archE942ELNS1_3gpuE9ELNS1_3repE0EEENS1_47radix_sort_onesweep_sort_config_static_selectorELNS0_4arch9wavefront6targetE1EEEvSI_
; %bb.0:
	.section	.rodata,"a",@progbits
	.p2align	6, 0x0
	.amdhsa_kernel _ZN7rocprim17ROCPRIM_400000_NS6detail17trampoline_kernelINS0_14default_configENS1_35radix_sort_onesweep_config_selectorIiiEEZZNS1_29radix_sort_onesweep_iterationIS3_Lb1EN6thrust23THRUST_200600_302600_NS6detail15normal_iteratorINS8_10device_ptrIiEEEESD_SD_SD_jNS0_19identity_decomposerENS1_16block_id_wrapperIjLb0EEEEE10hipError_tT1_PNSt15iterator_traitsISI_E10value_typeET2_T3_PNSJ_ISO_E10value_typeET4_T5_PST_SU_PNS1_23onesweep_lookback_stateEbbT6_jjT7_P12ihipStream_tbENKUlT_T0_SI_SN_E_clISD_PiSD_S15_EEDaS11_S12_SI_SN_EUlS11_E_NS1_11comp_targetILNS1_3genE5ELNS1_11target_archE942ELNS1_3gpuE9ELNS1_3repE0EEENS1_47radix_sort_onesweep_sort_config_static_selectorELNS0_4arch9wavefront6targetE1EEEvSI_
		.amdhsa_group_segment_fixed_size 0
		.amdhsa_private_segment_fixed_size 0
		.amdhsa_kernarg_size 88
		.amdhsa_user_sgpr_count 2
		.amdhsa_user_sgpr_dispatch_ptr 0
		.amdhsa_user_sgpr_queue_ptr 0
		.amdhsa_user_sgpr_kernarg_segment_ptr 1
		.amdhsa_user_sgpr_dispatch_id 0
		.amdhsa_user_sgpr_kernarg_preload_length 0
		.amdhsa_user_sgpr_kernarg_preload_offset 0
		.amdhsa_user_sgpr_private_segment_size 0
		.amdhsa_uses_dynamic_stack 0
		.amdhsa_enable_private_segment 0
		.amdhsa_system_sgpr_workgroup_id_x 1
		.amdhsa_system_sgpr_workgroup_id_y 0
		.amdhsa_system_sgpr_workgroup_id_z 0
		.amdhsa_system_sgpr_workgroup_info 0
		.amdhsa_system_vgpr_workitem_id 0
		.amdhsa_next_free_vgpr 1
		.amdhsa_next_free_sgpr 0
		.amdhsa_accum_offset 4
		.amdhsa_reserve_vcc 0
		.amdhsa_float_round_mode_32 0
		.amdhsa_float_round_mode_16_64 0
		.amdhsa_float_denorm_mode_32 3
		.amdhsa_float_denorm_mode_16_64 3
		.amdhsa_dx10_clamp 1
		.amdhsa_ieee_mode 1
		.amdhsa_fp16_overflow 0
		.amdhsa_tg_split 0
		.amdhsa_exception_fp_ieee_invalid_op 0
		.amdhsa_exception_fp_denorm_src 0
		.amdhsa_exception_fp_ieee_div_zero 0
		.amdhsa_exception_fp_ieee_overflow 0
		.amdhsa_exception_fp_ieee_underflow 0
		.amdhsa_exception_fp_ieee_inexact 0
		.amdhsa_exception_int_div_zero 0
	.end_amdhsa_kernel
	.section	.text._ZN7rocprim17ROCPRIM_400000_NS6detail17trampoline_kernelINS0_14default_configENS1_35radix_sort_onesweep_config_selectorIiiEEZZNS1_29radix_sort_onesweep_iterationIS3_Lb1EN6thrust23THRUST_200600_302600_NS6detail15normal_iteratorINS8_10device_ptrIiEEEESD_SD_SD_jNS0_19identity_decomposerENS1_16block_id_wrapperIjLb0EEEEE10hipError_tT1_PNSt15iterator_traitsISI_E10value_typeET2_T3_PNSJ_ISO_E10value_typeET4_T5_PST_SU_PNS1_23onesweep_lookback_stateEbbT6_jjT7_P12ihipStream_tbENKUlT_T0_SI_SN_E_clISD_PiSD_S15_EEDaS11_S12_SI_SN_EUlS11_E_NS1_11comp_targetILNS1_3genE5ELNS1_11target_archE942ELNS1_3gpuE9ELNS1_3repE0EEENS1_47radix_sort_onesweep_sort_config_static_selectorELNS0_4arch9wavefront6targetE1EEEvSI_,"axG",@progbits,_ZN7rocprim17ROCPRIM_400000_NS6detail17trampoline_kernelINS0_14default_configENS1_35radix_sort_onesweep_config_selectorIiiEEZZNS1_29radix_sort_onesweep_iterationIS3_Lb1EN6thrust23THRUST_200600_302600_NS6detail15normal_iteratorINS8_10device_ptrIiEEEESD_SD_SD_jNS0_19identity_decomposerENS1_16block_id_wrapperIjLb0EEEEE10hipError_tT1_PNSt15iterator_traitsISI_E10value_typeET2_T3_PNSJ_ISO_E10value_typeET4_T5_PST_SU_PNS1_23onesweep_lookback_stateEbbT6_jjT7_P12ihipStream_tbENKUlT_T0_SI_SN_E_clISD_PiSD_S15_EEDaS11_S12_SI_SN_EUlS11_E_NS1_11comp_targetILNS1_3genE5ELNS1_11target_archE942ELNS1_3gpuE9ELNS1_3repE0EEENS1_47radix_sort_onesweep_sort_config_static_selectorELNS0_4arch9wavefront6targetE1EEEvSI_,comdat
.Lfunc_end1037:
	.size	_ZN7rocprim17ROCPRIM_400000_NS6detail17trampoline_kernelINS0_14default_configENS1_35radix_sort_onesweep_config_selectorIiiEEZZNS1_29radix_sort_onesweep_iterationIS3_Lb1EN6thrust23THRUST_200600_302600_NS6detail15normal_iteratorINS8_10device_ptrIiEEEESD_SD_SD_jNS0_19identity_decomposerENS1_16block_id_wrapperIjLb0EEEEE10hipError_tT1_PNSt15iterator_traitsISI_E10value_typeET2_T3_PNSJ_ISO_E10value_typeET4_T5_PST_SU_PNS1_23onesweep_lookback_stateEbbT6_jjT7_P12ihipStream_tbENKUlT_T0_SI_SN_E_clISD_PiSD_S15_EEDaS11_S12_SI_SN_EUlS11_E_NS1_11comp_targetILNS1_3genE5ELNS1_11target_archE942ELNS1_3gpuE9ELNS1_3repE0EEENS1_47radix_sort_onesweep_sort_config_static_selectorELNS0_4arch9wavefront6targetE1EEEvSI_, .Lfunc_end1037-_ZN7rocprim17ROCPRIM_400000_NS6detail17trampoline_kernelINS0_14default_configENS1_35radix_sort_onesweep_config_selectorIiiEEZZNS1_29radix_sort_onesweep_iterationIS3_Lb1EN6thrust23THRUST_200600_302600_NS6detail15normal_iteratorINS8_10device_ptrIiEEEESD_SD_SD_jNS0_19identity_decomposerENS1_16block_id_wrapperIjLb0EEEEE10hipError_tT1_PNSt15iterator_traitsISI_E10value_typeET2_T3_PNSJ_ISO_E10value_typeET4_T5_PST_SU_PNS1_23onesweep_lookback_stateEbbT6_jjT7_P12ihipStream_tbENKUlT_T0_SI_SN_E_clISD_PiSD_S15_EEDaS11_S12_SI_SN_EUlS11_E_NS1_11comp_targetILNS1_3genE5ELNS1_11target_archE942ELNS1_3gpuE9ELNS1_3repE0EEENS1_47radix_sort_onesweep_sort_config_static_selectorELNS0_4arch9wavefront6targetE1EEEvSI_
                                        ; -- End function
	.set _ZN7rocprim17ROCPRIM_400000_NS6detail17trampoline_kernelINS0_14default_configENS1_35radix_sort_onesweep_config_selectorIiiEEZZNS1_29radix_sort_onesweep_iterationIS3_Lb1EN6thrust23THRUST_200600_302600_NS6detail15normal_iteratorINS8_10device_ptrIiEEEESD_SD_SD_jNS0_19identity_decomposerENS1_16block_id_wrapperIjLb0EEEEE10hipError_tT1_PNSt15iterator_traitsISI_E10value_typeET2_T3_PNSJ_ISO_E10value_typeET4_T5_PST_SU_PNS1_23onesweep_lookback_stateEbbT6_jjT7_P12ihipStream_tbENKUlT_T0_SI_SN_E_clISD_PiSD_S15_EEDaS11_S12_SI_SN_EUlS11_E_NS1_11comp_targetILNS1_3genE5ELNS1_11target_archE942ELNS1_3gpuE9ELNS1_3repE0EEENS1_47radix_sort_onesweep_sort_config_static_selectorELNS0_4arch9wavefront6targetE1EEEvSI_.num_vgpr, 0
	.set _ZN7rocprim17ROCPRIM_400000_NS6detail17trampoline_kernelINS0_14default_configENS1_35radix_sort_onesweep_config_selectorIiiEEZZNS1_29radix_sort_onesweep_iterationIS3_Lb1EN6thrust23THRUST_200600_302600_NS6detail15normal_iteratorINS8_10device_ptrIiEEEESD_SD_SD_jNS0_19identity_decomposerENS1_16block_id_wrapperIjLb0EEEEE10hipError_tT1_PNSt15iterator_traitsISI_E10value_typeET2_T3_PNSJ_ISO_E10value_typeET4_T5_PST_SU_PNS1_23onesweep_lookback_stateEbbT6_jjT7_P12ihipStream_tbENKUlT_T0_SI_SN_E_clISD_PiSD_S15_EEDaS11_S12_SI_SN_EUlS11_E_NS1_11comp_targetILNS1_3genE5ELNS1_11target_archE942ELNS1_3gpuE9ELNS1_3repE0EEENS1_47radix_sort_onesweep_sort_config_static_selectorELNS0_4arch9wavefront6targetE1EEEvSI_.num_agpr, 0
	.set _ZN7rocprim17ROCPRIM_400000_NS6detail17trampoline_kernelINS0_14default_configENS1_35radix_sort_onesweep_config_selectorIiiEEZZNS1_29radix_sort_onesweep_iterationIS3_Lb1EN6thrust23THRUST_200600_302600_NS6detail15normal_iteratorINS8_10device_ptrIiEEEESD_SD_SD_jNS0_19identity_decomposerENS1_16block_id_wrapperIjLb0EEEEE10hipError_tT1_PNSt15iterator_traitsISI_E10value_typeET2_T3_PNSJ_ISO_E10value_typeET4_T5_PST_SU_PNS1_23onesweep_lookback_stateEbbT6_jjT7_P12ihipStream_tbENKUlT_T0_SI_SN_E_clISD_PiSD_S15_EEDaS11_S12_SI_SN_EUlS11_E_NS1_11comp_targetILNS1_3genE5ELNS1_11target_archE942ELNS1_3gpuE9ELNS1_3repE0EEENS1_47radix_sort_onesweep_sort_config_static_selectorELNS0_4arch9wavefront6targetE1EEEvSI_.numbered_sgpr, 0
	.set _ZN7rocprim17ROCPRIM_400000_NS6detail17trampoline_kernelINS0_14default_configENS1_35radix_sort_onesweep_config_selectorIiiEEZZNS1_29radix_sort_onesweep_iterationIS3_Lb1EN6thrust23THRUST_200600_302600_NS6detail15normal_iteratorINS8_10device_ptrIiEEEESD_SD_SD_jNS0_19identity_decomposerENS1_16block_id_wrapperIjLb0EEEEE10hipError_tT1_PNSt15iterator_traitsISI_E10value_typeET2_T3_PNSJ_ISO_E10value_typeET4_T5_PST_SU_PNS1_23onesweep_lookback_stateEbbT6_jjT7_P12ihipStream_tbENKUlT_T0_SI_SN_E_clISD_PiSD_S15_EEDaS11_S12_SI_SN_EUlS11_E_NS1_11comp_targetILNS1_3genE5ELNS1_11target_archE942ELNS1_3gpuE9ELNS1_3repE0EEENS1_47radix_sort_onesweep_sort_config_static_selectorELNS0_4arch9wavefront6targetE1EEEvSI_.num_named_barrier, 0
	.set _ZN7rocprim17ROCPRIM_400000_NS6detail17trampoline_kernelINS0_14default_configENS1_35radix_sort_onesweep_config_selectorIiiEEZZNS1_29radix_sort_onesweep_iterationIS3_Lb1EN6thrust23THRUST_200600_302600_NS6detail15normal_iteratorINS8_10device_ptrIiEEEESD_SD_SD_jNS0_19identity_decomposerENS1_16block_id_wrapperIjLb0EEEEE10hipError_tT1_PNSt15iterator_traitsISI_E10value_typeET2_T3_PNSJ_ISO_E10value_typeET4_T5_PST_SU_PNS1_23onesweep_lookback_stateEbbT6_jjT7_P12ihipStream_tbENKUlT_T0_SI_SN_E_clISD_PiSD_S15_EEDaS11_S12_SI_SN_EUlS11_E_NS1_11comp_targetILNS1_3genE5ELNS1_11target_archE942ELNS1_3gpuE9ELNS1_3repE0EEENS1_47radix_sort_onesweep_sort_config_static_selectorELNS0_4arch9wavefront6targetE1EEEvSI_.private_seg_size, 0
	.set _ZN7rocprim17ROCPRIM_400000_NS6detail17trampoline_kernelINS0_14default_configENS1_35radix_sort_onesweep_config_selectorIiiEEZZNS1_29radix_sort_onesweep_iterationIS3_Lb1EN6thrust23THRUST_200600_302600_NS6detail15normal_iteratorINS8_10device_ptrIiEEEESD_SD_SD_jNS0_19identity_decomposerENS1_16block_id_wrapperIjLb0EEEEE10hipError_tT1_PNSt15iterator_traitsISI_E10value_typeET2_T3_PNSJ_ISO_E10value_typeET4_T5_PST_SU_PNS1_23onesweep_lookback_stateEbbT6_jjT7_P12ihipStream_tbENKUlT_T0_SI_SN_E_clISD_PiSD_S15_EEDaS11_S12_SI_SN_EUlS11_E_NS1_11comp_targetILNS1_3genE5ELNS1_11target_archE942ELNS1_3gpuE9ELNS1_3repE0EEENS1_47radix_sort_onesweep_sort_config_static_selectorELNS0_4arch9wavefront6targetE1EEEvSI_.uses_vcc, 0
	.set _ZN7rocprim17ROCPRIM_400000_NS6detail17trampoline_kernelINS0_14default_configENS1_35radix_sort_onesweep_config_selectorIiiEEZZNS1_29radix_sort_onesweep_iterationIS3_Lb1EN6thrust23THRUST_200600_302600_NS6detail15normal_iteratorINS8_10device_ptrIiEEEESD_SD_SD_jNS0_19identity_decomposerENS1_16block_id_wrapperIjLb0EEEEE10hipError_tT1_PNSt15iterator_traitsISI_E10value_typeET2_T3_PNSJ_ISO_E10value_typeET4_T5_PST_SU_PNS1_23onesweep_lookback_stateEbbT6_jjT7_P12ihipStream_tbENKUlT_T0_SI_SN_E_clISD_PiSD_S15_EEDaS11_S12_SI_SN_EUlS11_E_NS1_11comp_targetILNS1_3genE5ELNS1_11target_archE942ELNS1_3gpuE9ELNS1_3repE0EEENS1_47radix_sort_onesweep_sort_config_static_selectorELNS0_4arch9wavefront6targetE1EEEvSI_.uses_flat_scratch, 0
	.set _ZN7rocprim17ROCPRIM_400000_NS6detail17trampoline_kernelINS0_14default_configENS1_35radix_sort_onesweep_config_selectorIiiEEZZNS1_29radix_sort_onesweep_iterationIS3_Lb1EN6thrust23THRUST_200600_302600_NS6detail15normal_iteratorINS8_10device_ptrIiEEEESD_SD_SD_jNS0_19identity_decomposerENS1_16block_id_wrapperIjLb0EEEEE10hipError_tT1_PNSt15iterator_traitsISI_E10value_typeET2_T3_PNSJ_ISO_E10value_typeET4_T5_PST_SU_PNS1_23onesweep_lookback_stateEbbT6_jjT7_P12ihipStream_tbENKUlT_T0_SI_SN_E_clISD_PiSD_S15_EEDaS11_S12_SI_SN_EUlS11_E_NS1_11comp_targetILNS1_3genE5ELNS1_11target_archE942ELNS1_3gpuE9ELNS1_3repE0EEENS1_47radix_sort_onesweep_sort_config_static_selectorELNS0_4arch9wavefront6targetE1EEEvSI_.has_dyn_sized_stack, 0
	.set _ZN7rocprim17ROCPRIM_400000_NS6detail17trampoline_kernelINS0_14default_configENS1_35radix_sort_onesweep_config_selectorIiiEEZZNS1_29radix_sort_onesweep_iterationIS3_Lb1EN6thrust23THRUST_200600_302600_NS6detail15normal_iteratorINS8_10device_ptrIiEEEESD_SD_SD_jNS0_19identity_decomposerENS1_16block_id_wrapperIjLb0EEEEE10hipError_tT1_PNSt15iterator_traitsISI_E10value_typeET2_T3_PNSJ_ISO_E10value_typeET4_T5_PST_SU_PNS1_23onesweep_lookback_stateEbbT6_jjT7_P12ihipStream_tbENKUlT_T0_SI_SN_E_clISD_PiSD_S15_EEDaS11_S12_SI_SN_EUlS11_E_NS1_11comp_targetILNS1_3genE5ELNS1_11target_archE942ELNS1_3gpuE9ELNS1_3repE0EEENS1_47radix_sort_onesweep_sort_config_static_selectorELNS0_4arch9wavefront6targetE1EEEvSI_.has_recursion, 0
	.set _ZN7rocprim17ROCPRIM_400000_NS6detail17trampoline_kernelINS0_14default_configENS1_35radix_sort_onesweep_config_selectorIiiEEZZNS1_29radix_sort_onesweep_iterationIS3_Lb1EN6thrust23THRUST_200600_302600_NS6detail15normal_iteratorINS8_10device_ptrIiEEEESD_SD_SD_jNS0_19identity_decomposerENS1_16block_id_wrapperIjLb0EEEEE10hipError_tT1_PNSt15iterator_traitsISI_E10value_typeET2_T3_PNSJ_ISO_E10value_typeET4_T5_PST_SU_PNS1_23onesweep_lookback_stateEbbT6_jjT7_P12ihipStream_tbENKUlT_T0_SI_SN_E_clISD_PiSD_S15_EEDaS11_S12_SI_SN_EUlS11_E_NS1_11comp_targetILNS1_3genE5ELNS1_11target_archE942ELNS1_3gpuE9ELNS1_3repE0EEENS1_47radix_sort_onesweep_sort_config_static_selectorELNS0_4arch9wavefront6targetE1EEEvSI_.has_indirect_call, 0
	.section	.AMDGPU.csdata,"",@progbits
; Kernel info:
; codeLenInByte = 0
; TotalNumSgprs: 6
; NumVgprs: 0
; NumAgprs: 0
; TotalNumVgprs: 0
; ScratchSize: 0
; MemoryBound: 0
; FloatMode: 240
; IeeeMode: 1
; LDSByteSize: 0 bytes/workgroup (compile time only)
; SGPRBlocks: 0
; VGPRBlocks: 0
; NumSGPRsForWavesPerEU: 6
; NumVGPRsForWavesPerEU: 1
; AccumOffset: 4
; Occupancy: 8
; WaveLimiterHint : 0
; COMPUTE_PGM_RSRC2:SCRATCH_EN: 0
; COMPUTE_PGM_RSRC2:USER_SGPR: 2
; COMPUTE_PGM_RSRC2:TRAP_HANDLER: 0
; COMPUTE_PGM_RSRC2:TGID_X_EN: 1
; COMPUTE_PGM_RSRC2:TGID_Y_EN: 0
; COMPUTE_PGM_RSRC2:TGID_Z_EN: 0
; COMPUTE_PGM_RSRC2:TIDIG_COMP_CNT: 0
; COMPUTE_PGM_RSRC3_GFX90A:ACCUM_OFFSET: 0
; COMPUTE_PGM_RSRC3_GFX90A:TG_SPLIT: 0
	.section	.text._ZN7rocprim17ROCPRIM_400000_NS6detail17trampoline_kernelINS0_14default_configENS1_35radix_sort_onesweep_config_selectorIiiEEZZNS1_29radix_sort_onesweep_iterationIS3_Lb1EN6thrust23THRUST_200600_302600_NS6detail15normal_iteratorINS8_10device_ptrIiEEEESD_SD_SD_jNS0_19identity_decomposerENS1_16block_id_wrapperIjLb0EEEEE10hipError_tT1_PNSt15iterator_traitsISI_E10value_typeET2_T3_PNSJ_ISO_E10value_typeET4_T5_PST_SU_PNS1_23onesweep_lookback_stateEbbT6_jjT7_P12ihipStream_tbENKUlT_T0_SI_SN_E_clISD_PiSD_S15_EEDaS11_S12_SI_SN_EUlS11_E_NS1_11comp_targetILNS1_3genE2ELNS1_11target_archE906ELNS1_3gpuE6ELNS1_3repE0EEENS1_47radix_sort_onesweep_sort_config_static_selectorELNS0_4arch9wavefront6targetE1EEEvSI_,"axG",@progbits,_ZN7rocprim17ROCPRIM_400000_NS6detail17trampoline_kernelINS0_14default_configENS1_35radix_sort_onesweep_config_selectorIiiEEZZNS1_29radix_sort_onesweep_iterationIS3_Lb1EN6thrust23THRUST_200600_302600_NS6detail15normal_iteratorINS8_10device_ptrIiEEEESD_SD_SD_jNS0_19identity_decomposerENS1_16block_id_wrapperIjLb0EEEEE10hipError_tT1_PNSt15iterator_traitsISI_E10value_typeET2_T3_PNSJ_ISO_E10value_typeET4_T5_PST_SU_PNS1_23onesweep_lookback_stateEbbT6_jjT7_P12ihipStream_tbENKUlT_T0_SI_SN_E_clISD_PiSD_S15_EEDaS11_S12_SI_SN_EUlS11_E_NS1_11comp_targetILNS1_3genE2ELNS1_11target_archE906ELNS1_3gpuE6ELNS1_3repE0EEENS1_47radix_sort_onesweep_sort_config_static_selectorELNS0_4arch9wavefront6targetE1EEEvSI_,comdat
	.protected	_ZN7rocprim17ROCPRIM_400000_NS6detail17trampoline_kernelINS0_14default_configENS1_35radix_sort_onesweep_config_selectorIiiEEZZNS1_29radix_sort_onesweep_iterationIS3_Lb1EN6thrust23THRUST_200600_302600_NS6detail15normal_iteratorINS8_10device_ptrIiEEEESD_SD_SD_jNS0_19identity_decomposerENS1_16block_id_wrapperIjLb0EEEEE10hipError_tT1_PNSt15iterator_traitsISI_E10value_typeET2_T3_PNSJ_ISO_E10value_typeET4_T5_PST_SU_PNS1_23onesweep_lookback_stateEbbT6_jjT7_P12ihipStream_tbENKUlT_T0_SI_SN_E_clISD_PiSD_S15_EEDaS11_S12_SI_SN_EUlS11_E_NS1_11comp_targetILNS1_3genE2ELNS1_11target_archE906ELNS1_3gpuE6ELNS1_3repE0EEENS1_47radix_sort_onesweep_sort_config_static_selectorELNS0_4arch9wavefront6targetE1EEEvSI_ ; -- Begin function _ZN7rocprim17ROCPRIM_400000_NS6detail17trampoline_kernelINS0_14default_configENS1_35radix_sort_onesweep_config_selectorIiiEEZZNS1_29radix_sort_onesweep_iterationIS3_Lb1EN6thrust23THRUST_200600_302600_NS6detail15normal_iteratorINS8_10device_ptrIiEEEESD_SD_SD_jNS0_19identity_decomposerENS1_16block_id_wrapperIjLb0EEEEE10hipError_tT1_PNSt15iterator_traitsISI_E10value_typeET2_T3_PNSJ_ISO_E10value_typeET4_T5_PST_SU_PNS1_23onesweep_lookback_stateEbbT6_jjT7_P12ihipStream_tbENKUlT_T0_SI_SN_E_clISD_PiSD_S15_EEDaS11_S12_SI_SN_EUlS11_E_NS1_11comp_targetILNS1_3genE2ELNS1_11target_archE906ELNS1_3gpuE6ELNS1_3repE0EEENS1_47radix_sort_onesweep_sort_config_static_selectorELNS0_4arch9wavefront6targetE1EEEvSI_
	.globl	_ZN7rocprim17ROCPRIM_400000_NS6detail17trampoline_kernelINS0_14default_configENS1_35radix_sort_onesweep_config_selectorIiiEEZZNS1_29radix_sort_onesweep_iterationIS3_Lb1EN6thrust23THRUST_200600_302600_NS6detail15normal_iteratorINS8_10device_ptrIiEEEESD_SD_SD_jNS0_19identity_decomposerENS1_16block_id_wrapperIjLb0EEEEE10hipError_tT1_PNSt15iterator_traitsISI_E10value_typeET2_T3_PNSJ_ISO_E10value_typeET4_T5_PST_SU_PNS1_23onesweep_lookback_stateEbbT6_jjT7_P12ihipStream_tbENKUlT_T0_SI_SN_E_clISD_PiSD_S15_EEDaS11_S12_SI_SN_EUlS11_E_NS1_11comp_targetILNS1_3genE2ELNS1_11target_archE906ELNS1_3gpuE6ELNS1_3repE0EEENS1_47radix_sort_onesweep_sort_config_static_selectorELNS0_4arch9wavefront6targetE1EEEvSI_
	.p2align	8
	.type	_ZN7rocprim17ROCPRIM_400000_NS6detail17trampoline_kernelINS0_14default_configENS1_35radix_sort_onesweep_config_selectorIiiEEZZNS1_29radix_sort_onesweep_iterationIS3_Lb1EN6thrust23THRUST_200600_302600_NS6detail15normal_iteratorINS8_10device_ptrIiEEEESD_SD_SD_jNS0_19identity_decomposerENS1_16block_id_wrapperIjLb0EEEEE10hipError_tT1_PNSt15iterator_traitsISI_E10value_typeET2_T3_PNSJ_ISO_E10value_typeET4_T5_PST_SU_PNS1_23onesweep_lookback_stateEbbT6_jjT7_P12ihipStream_tbENKUlT_T0_SI_SN_E_clISD_PiSD_S15_EEDaS11_S12_SI_SN_EUlS11_E_NS1_11comp_targetILNS1_3genE2ELNS1_11target_archE906ELNS1_3gpuE6ELNS1_3repE0EEENS1_47radix_sort_onesweep_sort_config_static_selectorELNS0_4arch9wavefront6targetE1EEEvSI_,@function
_ZN7rocprim17ROCPRIM_400000_NS6detail17trampoline_kernelINS0_14default_configENS1_35radix_sort_onesweep_config_selectorIiiEEZZNS1_29radix_sort_onesweep_iterationIS3_Lb1EN6thrust23THRUST_200600_302600_NS6detail15normal_iteratorINS8_10device_ptrIiEEEESD_SD_SD_jNS0_19identity_decomposerENS1_16block_id_wrapperIjLb0EEEEE10hipError_tT1_PNSt15iterator_traitsISI_E10value_typeET2_T3_PNSJ_ISO_E10value_typeET4_T5_PST_SU_PNS1_23onesweep_lookback_stateEbbT6_jjT7_P12ihipStream_tbENKUlT_T0_SI_SN_E_clISD_PiSD_S15_EEDaS11_S12_SI_SN_EUlS11_E_NS1_11comp_targetILNS1_3genE2ELNS1_11target_archE906ELNS1_3gpuE6ELNS1_3repE0EEENS1_47radix_sort_onesweep_sort_config_static_selectorELNS0_4arch9wavefront6targetE1EEEvSI_: ; @_ZN7rocprim17ROCPRIM_400000_NS6detail17trampoline_kernelINS0_14default_configENS1_35radix_sort_onesweep_config_selectorIiiEEZZNS1_29radix_sort_onesweep_iterationIS3_Lb1EN6thrust23THRUST_200600_302600_NS6detail15normal_iteratorINS8_10device_ptrIiEEEESD_SD_SD_jNS0_19identity_decomposerENS1_16block_id_wrapperIjLb0EEEEE10hipError_tT1_PNSt15iterator_traitsISI_E10value_typeET2_T3_PNSJ_ISO_E10value_typeET4_T5_PST_SU_PNS1_23onesweep_lookback_stateEbbT6_jjT7_P12ihipStream_tbENKUlT_T0_SI_SN_E_clISD_PiSD_S15_EEDaS11_S12_SI_SN_EUlS11_E_NS1_11comp_targetILNS1_3genE2ELNS1_11target_archE906ELNS1_3gpuE6ELNS1_3repE0EEENS1_47radix_sort_onesweep_sort_config_static_selectorELNS0_4arch9wavefront6targetE1EEEvSI_
; %bb.0:
	.section	.rodata,"a",@progbits
	.p2align	6, 0x0
	.amdhsa_kernel _ZN7rocprim17ROCPRIM_400000_NS6detail17trampoline_kernelINS0_14default_configENS1_35radix_sort_onesweep_config_selectorIiiEEZZNS1_29radix_sort_onesweep_iterationIS3_Lb1EN6thrust23THRUST_200600_302600_NS6detail15normal_iteratorINS8_10device_ptrIiEEEESD_SD_SD_jNS0_19identity_decomposerENS1_16block_id_wrapperIjLb0EEEEE10hipError_tT1_PNSt15iterator_traitsISI_E10value_typeET2_T3_PNSJ_ISO_E10value_typeET4_T5_PST_SU_PNS1_23onesweep_lookback_stateEbbT6_jjT7_P12ihipStream_tbENKUlT_T0_SI_SN_E_clISD_PiSD_S15_EEDaS11_S12_SI_SN_EUlS11_E_NS1_11comp_targetILNS1_3genE2ELNS1_11target_archE906ELNS1_3gpuE6ELNS1_3repE0EEENS1_47radix_sort_onesweep_sort_config_static_selectorELNS0_4arch9wavefront6targetE1EEEvSI_
		.amdhsa_group_segment_fixed_size 0
		.amdhsa_private_segment_fixed_size 0
		.amdhsa_kernarg_size 88
		.amdhsa_user_sgpr_count 2
		.amdhsa_user_sgpr_dispatch_ptr 0
		.amdhsa_user_sgpr_queue_ptr 0
		.amdhsa_user_sgpr_kernarg_segment_ptr 1
		.amdhsa_user_sgpr_dispatch_id 0
		.amdhsa_user_sgpr_kernarg_preload_length 0
		.amdhsa_user_sgpr_kernarg_preload_offset 0
		.amdhsa_user_sgpr_private_segment_size 0
		.amdhsa_uses_dynamic_stack 0
		.amdhsa_enable_private_segment 0
		.amdhsa_system_sgpr_workgroup_id_x 1
		.amdhsa_system_sgpr_workgroup_id_y 0
		.amdhsa_system_sgpr_workgroup_id_z 0
		.amdhsa_system_sgpr_workgroup_info 0
		.amdhsa_system_vgpr_workitem_id 0
		.amdhsa_next_free_vgpr 1
		.amdhsa_next_free_sgpr 0
		.amdhsa_accum_offset 4
		.amdhsa_reserve_vcc 0
		.amdhsa_float_round_mode_32 0
		.amdhsa_float_round_mode_16_64 0
		.amdhsa_float_denorm_mode_32 3
		.amdhsa_float_denorm_mode_16_64 3
		.amdhsa_dx10_clamp 1
		.amdhsa_ieee_mode 1
		.amdhsa_fp16_overflow 0
		.amdhsa_tg_split 0
		.amdhsa_exception_fp_ieee_invalid_op 0
		.amdhsa_exception_fp_denorm_src 0
		.amdhsa_exception_fp_ieee_div_zero 0
		.amdhsa_exception_fp_ieee_overflow 0
		.amdhsa_exception_fp_ieee_underflow 0
		.amdhsa_exception_fp_ieee_inexact 0
		.amdhsa_exception_int_div_zero 0
	.end_amdhsa_kernel
	.section	.text._ZN7rocprim17ROCPRIM_400000_NS6detail17trampoline_kernelINS0_14default_configENS1_35radix_sort_onesweep_config_selectorIiiEEZZNS1_29radix_sort_onesweep_iterationIS3_Lb1EN6thrust23THRUST_200600_302600_NS6detail15normal_iteratorINS8_10device_ptrIiEEEESD_SD_SD_jNS0_19identity_decomposerENS1_16block_id_wrapperIjLb0EEEEE10hipError_tT1_PNSt15iterator_traitsISI_E10value_typeET2_T3_PNSJ_ISO_E10value_typeET4_T5_PST_SU_PNS1_23onesweep_lookback_stateEbbT6_jjT7_P12ihipStream_tbENKUlT_T0_SI_SN_E_clISD_PiSD_S15_EEDaS11_S12_SI_SN_EUlS11_E_NS1_11comp_targetILNS1_3genE2ELNS1_11target_archE906ELNS1_3gpuE6ELNS1_3repE0EEENS1_47radix_sort_onesweep_sort_config_static_selectorELNS0_4arch9wavefront6targetE1EEEvSI_,"axG",@progbits,_ZN7rocprim17ROCPRIM_400000_NS6detail17trampoline_kernelINS0_14default_configENS1_35radix_sort_onesweep_config_selectorIiiEEZZNS1_29radix_sort_onesweep_iterationIS3_Lb1EN6thrust23THRUST_200600_302600_NS6detail15normal_iteratorINS8_10device_ptrIiEEEESD_SD_SD_jNS0_19identity_decomposerENS1_16block_id_wrapperIjLb0EEEEE10hipError_tT1_PNSt15iterator_traitsISI_E10value_typeET2_T3_PNSJ_ISO_E10value_typeET4_T5_PST_SU_PNS1_23onesweep_lookback_stateEbbT6_jjT7_P12ihipStream_tbENKUlT_T0_SI_SN_E_clISD_PiSD_S15_EEDaS11_S12_SI_SN_EUlS11_E_NS1_11comp_targetILNS1_3genE2ELNS1_11target_archE906ELNS1_3gpuE6ELNS1_3repE0EEENS1_47radix_sort_onesweep_sort_config_static_selectorELNS0_4arch9wavefront6targetE1EEEvSI_,comdat
.Lfunc_end1038:
	.size	_ZN7rocprim17ROCPRIM_400000_NS6detail17trampoline_kernelINS0_14default_configENS1_35radix_sort_onesweep_config_selectorIiiEEZZNS1_29radix_sort_onesweep_iterationIS3_Lb1EN6thrust23THRUST_200600_302600_NS6detail15normal_iteratorINS8_10device_ptrIiEEEESD_SD_SD_jNS0_19identity_decomposerENS1_16block_id_wrapperIjLb0EEEEE10hipError_tT1_PNSt15iterator_traitsISI_E10value_typeET2_T3_PNSJ_ISO_E10value_typeET4_T5_PST_SU_PNS1_23onesweep_lookback_stateEbbT6_jjT7_P12ihipStream_tbENKUlT_T0_SI_SN_E_clISD_PiSD_S15_EEDaS11_S12_SI_SN_EUlS11_E_NS1_11comp_targetILNS1_3genE2ELNS1_11target_archE906ELNS1_3gpuE6ELNS1_3repE0EEENS1_47radix_sort_onesweep_sort_config_static_selectorELNS0_4arch9wavefront6targetE1EEEvSI_, .Lfunc_end1038-_ZN7rocprim17ROCPRIM_400000_NS6detail17trampoline_kernelINS0_14default_configENS1_35radix_sort_onesweep_config_selectorIiiEEZZNS1_29radix_sort_onesweep_iterationIS3_Lb1EN6thrust23THRUST_200600_302600_NS6detail15normal_iteratorINS8_10device_ptrIiEEEESD_SD_SD_jNS0_19identity_decomposerENS1_16block_id_wrapperIjLb0EEEEE10hipError_tT1_PNSt15iterator_traitsISI_E10value_typeET2_T3_PNSJ_ISO_E10value_typeET4_T5_PST_SU_PNS1_23onesweep_lookback_stateEbbT6_jjT7_P12ihipStream_tbENKUlT_T0_SI_SN_E_clISD_PiSD_S15_EEDaS11_S12_SI_SN_EUlS11_E_NS1_11comp_targetILNS1_3genE2ELNS1_11target_archE906ELNS1_3gpuE6ELNS1_3repE0EEENS1_47radix_sort_onesweep_sort_config_static_selectorELNS0_4arch9wavefront6targetE1EEEvSI_
                                        ; -- End function
	.set _ZN7rocprim17ROCPRIM_400000_NS6detail17trampoline_kernelINS0_14default_configENS1_35radix_sort_onesweep_config_selectorIiiEEZZNS1_29radix_sort_onesweep_iterationIS3_Lb1EN6thrust23THRUST_200600_302600_NS6detail15normal_iteratorINS8_10device_ptrIiEEEESD_SD_SD_jNS0_19identity_decomposerENS1_16block_id_wrapperIjLb0EEEEE10hipError_tT1_PNSt15iterator_traitsISI_E10value_typeET2_T3_PNSJ_ISO_E10value_typeET4_T5_PST_SU_PNS1_23onesweep_lookback_stateEbbT6_jjT7_P12ihipStream_tbENKUlT_T0_SI_SN_E_clISD_PiSD_S15_EEDaS11_S12_SI_SN_EUlS11_E_NS1_11comp_targetILNS1_3genE2ELNS1_11target_archE906ELNS1_3gpuE6ELNS1_3repE0EEENS1_47radix_sort_onesweep_sort_config_static_selectorELNS0_4arch9wavefront6targetE1EEEvSI_.num_vgpr, 0
	.set _ZN7rocprim17ROCPRIM_400000_NS6detail17trampoline_kernelINS0_14default_configENS1_35radix_sort_onesweep_config_selectorIiiEEZZNS1_29radix_sort_onesweep_iterationIS3_Lb1EN6thrust23THRUST_200600_302600_NS6detail15normal_iteratorINS8_10device_ptrIiEEEESD_SD_SD_jNS0_19identity_decomposerENS1_16block_id_wrapperIjLb0EEEEE10hipError_tT1_PNSt15iterator_traitsISI_E10value_typeET2_T3_PNSJ_ISO_E10value_typeET4_T5_PST_SU_PNS1_23onesweep_lookback_stateEbbT6_jjT7_P12ihipStream_tbENKUlT_T0_SI_SN_E_clISD_PiSD_S15_EEDaS11_S12_SI_SN_EUlS11_E_NS1_11comp_targetILNS1_3genE2ELNS1_11target_archE906ELNS1_3gpuE6ELNS1_3repE0EEENS1_47radix_sort_onesweep_sort_config_static_selectorELNS0_4arch9wavefront6targetE1EEEvSI_.num_agpr, 0
	.set _ZN7rocprim17ROCPRIM_400000_NS6detail17trampoline_kernelINS0_14default_configENS1_35radix_sort_onesweep_config_selectorIiiEEZZNS1_29radix_sort_onesweep_iterationIS3_Lb1EN6thrust23THRUST_200600_302600_NS6detail15normal_iteratorINS8_10device_ptrIiEEEESD_SD_SD_jNS0_19identity_decomposerENS1_16block_id_wrapperIjLb0EEEEE10hipError_tT1_PNSt15iterator_traitsISI_E10value_typeET2_T3_PNSJ_ISO_E10value_typeET4_T5_PST_SU_PNS1_23onesweep_lookback_stateEbbT6_jjT7_P12ihipStream_tbENKUlT_T0_SI_SN_E_clISD_PiSD_S15_EEDaS11_S12_SI_SN_EUlS11_E_NS1_11comp_targetILNS1_3genE2ELNS1_11target_archE906ELNS1_3gpuE6ELNS1_3repE0EEENS1_47radix_sort_onesweep_sort_config_static_selectorELNS0_4arch9wavefront6targetE1EEEvSI_.numbered_sgpr, 0
	.set _ZN7rocprim17ROCPRIM_400000_NS6detail17trampoline_kernelINS0_14default_configENS1_35radix_sort_onesweep_config_selectorIiiEEZZNS1_29radix_sort_onesweep_iterationIS3_Lb1EN6thrust23THRUST_200600_302600_NS6detail15normal_iteratorINS8_10device_ptrIiEEEESD_SD_SD_jNS0_19identity_decomposerENS1_16block_id_wrapperIjLb0EEEEE10hipError_tT1_PNSt15iterator_traitsISI_E10value_typeET2_T3_PNSJ_ISO_E10value_typeET4_T5_PST_SU_PNS1_23onesweep_lookback_stateEbbT6_jjT7_P12ihipStream_tbENKUlT_T0_SI_SN_E_clISD_PiSD_S15_EEDaS11_S12_SI_SN_EUlS11_E_NS1_11comp_targetILNS1_3genE2ELNS1_11target_archE906ELNS1_3gpuE6ELNS1_3repE0EEENS1_47radix_sort_onesweep_sort_config_static_selectorELNS0_4arch9wavefront6targetE1EEEvSI_.num_named_barrier, 0
	.set _ZN7rocprim17ROCPRIM_400000_NS6detail17trampoline_kernelINS0_14default_configENS1_35radix_sort_onesweep_config_selectorIiiEEZZNS1_29radix_sort_onesweep_iterationIS3_Lb1EN6thrust23THRUST_200600_302600_NS6detail15normal_iteratorINS8_10device_ptrIiEEEESD_SD_SD_jNS0_19identity_decomposerENS1_16block_id_wrapperIjLb0EEEEE10hipError_tT1_PNSt15iterator_traitsISI_E10value_typeET2_T3_PNSJ_ISO_E10value_typeET4_T5_PST_SU_PNS1_23onesweep_lookback_stateEbbT6_jjT7_P12ihipStream_tbENKUlT_T0_SI_SN_E_clISD_PiSD_S15_EEDaS11_S12_SI_SN_EUlS11_E_NS1_11comp_targetILNS1_3genE2ELNS1_11target_archE906ELNS1_3gpuE6ELNS1_3repE0EEENS1_47radix_sort_onesweep_sort_config_static_selectorELNS0_4arch9wavefront6targetE1EEEvSI_.private_seg_size, 0
	.set _ZN7rocprim17ROCPRIM_400000_NS6detail17trampoline_kernelINS0_14default_configENS1_35radix_sort_onesweep_config_selectorIiiEEZZNS1_29radix_sort_onesweep_iterationIS3_Lb1EN6thrust23THRUST_200600_302600_NS6detail15normal_iteratorINS8_10device_ptrIiEEEESD_SD_SD_jNS0_19identity_decomposerENS1_16block_id_wrapperIjLb0EEEEE10hipError_tT1_PNSt15iterator_traitsISI_E10value_typeET2_T3_PNSJ_ISO_E10value_typeET4_T5_PST_SU_PNS1_23onesweep_lookback_stateEbbT6_jjT7_P12ihipStream_tbENKUlT_T0_SI_SN_E_clISD_PiSD_S15_EEDaS11_S12_SI_SN_EUlS11_E_NS1_11comp_targetILNS1_3genE2ELNS1_11target_archE906ELNS1_3gpuE6ELNS1_3repE0EEENS1_47radix_sort_onesweep_sort_config_static_selectorELNS0_4arch9wavefront6targetE1EEEvSI_.uses_vcc, 0
	.set _ZN7rocprim17ROCPRIM_400000_NS6detail17trampoline_kernelINS0_14default_configENS1_35radix_sort_onesweep_config_selectorIiiEEZZNS1_29radix_sort_onesweep_iterationIS3_Lb1EN6thrust23THRUST_200600_302600_NS6detail15normal_iteratorINS8_10device_ptrIiEEEESD_SD_SD_jNS0_19identity_decomposerENS1_16block_id_wrapperIjLb0EEEEE10hipError_tT1_PNSt15iterator_traitsISI_E10value_typeET2_T3_PNSJ_ISO_E10value_typeET4_T5_PST_SU_PNS1_23onesweep_lookback_stateEbbT6_jjT7_P12ihipStream_tbENKUlT_T0_SI_SN_E_clISD_PiSD_S15_EEDaS11_S12_SI_SN_EUlS11_E_NS1_11comp_targetILNS1_3genE2ELNS1_11target_archE906ELNS1_3gpuE6ELNS1_3repE0EEENS1_47radix_sort_onesweep_sort_config_static_selectorELNS0_4arch9wavefront6targetE1EEEvSI_.uses_flat_scratch, 0
	.set _ZN7rocprim17ROCPRIM_400000_NS6detail17trampoline_kernelINS0_14default_configENS1_35radix_sort_onesweep_config_selectorIiiEEZZNS1_29radix_sort_onesweep_iterationIS3_Lb1EN6thrust23THRUST_200600_302600_NS6detail15normal_iteratorINS8_10device_ptrIiEEEESD_SD_SD_jNS0_19identity_decomposerENS1_16block_id_wrapperIjLb0EEEEE10hipError_tT1_PNSt15iterator_traitsISI_E10value_typeET2_T3_PNSJ_ISO_E10value_typeET4_T5_PST_SU_PNS1_23onesweep_lookback_stateEbbT6_jjT7_P12ihipStream_tbENKUlT_T0_SI_SN_E_clISD_PiSD_S15_EEDaS11_S12_SI_SN_EUlS11_E_NS1_11comp_targetILNS1_3genE2ELNS1_11target_archE906ELNS1_3gpuE6ELNS1_3repE0EEENS1_47radix_sort_onesweep_sort_config_static_selectorELNS0_4arch9wavefront6targetE1EEEvSI_.has_dyn_sized_stack, 0
	.set _ZN7rocprim17ROCPRIM_400000_NS6detail17trampoline_kernelINS0_14default_configENS1_35radix_sort_onesweep_config_selectorIiiEEZZNS1_29radix_sort_onesweep_iterationIS3_Lb1EN6thrust23THRUST_200600_302600_NS6detail15normal_iteratorINS8_10device_ptrIiEEEESD_SD_SD_jNS0_19identity_decomposerENS1_16block_id_wrapperIjLb0EEEEE10hipError_tT1_PNSt15iterator_traitsISI_E10value_typeET2_T3_PNSJ_ISO_E10value_typeET4_T5_PST_SU_PNS1_23onesweep_lookback_stateEbbT6_jjT7_P12ihipStream_tbENKUlT_T0_SI_SN_E_clISD_PiSD_S15_EEDaS11_S12_SI_SN_EUlS11_E_NS1_11comp_targetILNS1_3genE2ELNS1_11target_archE906ELNS1_3gpuE6ELNS1_3repE0EEENS1_47radix_sort_onesweep_sort_config_static_selectorELNS0_4arch9wavefront6targetE1EEEvSI_.has_recursion, 0
	.set _ZN7rocprim17ROCPRIM_400000_NS6detail17trampoline_kernelINS0_14default_configENS1_35radix_sort_onesweep_config_selectorIiiEEZZNS1_29radix_sort_onesweep_iterationIS3_Lb1EN6thrust23THRUST_200600_302600_NS6detail15normal_iteratorINS8_10device_ptrIiEEEESD_SD_SD_jNS0_19identity_decomposerENS1_16block_id_wrapperIjLb0EEEEE10hipError_tT1_PNSt15iterator_traitsISI_E10value_typeET2_T3_PNSJ_ISO_E10value_typeET4_T5_PST_SU_PNS1_23onesweep_lookback_stateEbbT6_jjT7_P12ihipStream_tbENKUlT_T0_SI_SN_E_clISD_PiSD_S15_EEDaS11_S12_SI_SN_EUlS11_E_NS1_11comp_targetILNS1_3genE2ELNS1_11target_archE906ELNS1_3gpuE6ELNS1_3repE0EEENS1_47radix_sort_onesweep_sort_config_static_selectorELNS0_4arch9wavefront6targetE1EEEvSI_.has_indirect_call, 0
	.section	.AMDGPU.csdata,"",@progbits
; Kernel info:
; codeLenInByte = 0
; TotalNumSgprs: 6
; NumVgprs: 0
; NumAgprs: 0
; TotalNumVgprs: 0
; ScratchSize: 0
; MemoryBound: 0
; FloatMode: 240
; IeeeMode: 1
; LDSByteSize: 0 bytes/workgroup (compile time only)
; SGPRBlocks: 0
; VGPRBlocks: 0
; NumSGPRsForWavesPerEU: 6
; NumVGPRsForWavesPerEU: 1
; AccumOffset: 4
; Occupancy: 8
; WaveLimiterHint : 0
; COMPUTE_PGM_RSRC2:SCRATCH_EN: 0
; COMPUTE_PGM_RSRC2:USER_SGPR: 2
; COMPUTE_PGM_RSRC2:TRAP_HANDLER: 0
; COMPUTE_PGM_RSRC2:TGID_X_EN: 1
; COMPUTE_PGM_RSRC2:TGID_Y_EN: 0
; COMPUTE_PGM_RSRC2:TGID_Z_EN: 0
; COMPUTE_PGM_RSRC2:TIDIG_COMP_CNT: 0
; COMPUTE_PGM_RSRC3_GFX90A:ACCUM_OFFSET: 0
; COMPUTE_PGM_RSRC3_GFX90A:TG_SPLIT: 0
	.section	.text._ZN7rocprim17ROCPRIM_400000_NS6detail17trampoline_kernelINS0_14default_configENS1_35radix_sort_onesweep_config_selectorIiiEEZZNS1_29radix_sort_onesweep_iterationIS3_Lb1EN6thrust23THRUST_200600_302600_NS6detail15normal_iteratorINS8_10device_ptrIiEEEESD_SD_SD_jNS0_19identity_decomposerENS1_16block_id_wrapperIjLb0EEEEE10hipError_tT1_PNSt15iterator_traitsISI_E10value_typeET2_T3_PNSJ_ISO_E10value_typeET4_T5_PST_SU_PNS1_23onesweep_lookback_stateEbbT6_jjT7_P12ihipStream_tbENKUlT_T0_SI_SN_E_clISD_PiSD_S15_EEDaS11_S12_SI_SN_EUlS11_E_NS1_11comp_targetILNS1_3genE4ELNS1_11target_archE910ELNS1_3gpuE8ELNS1_3repE0EEENS1_47radix_sort_onesweep_sort_config_static_selectorELNS0_4arch9wavefront6targetE1EEEvSI_,"axG",@progbits,_ZN7rocprim17ROCPRIM_400000_NS6detail17trampoline_kernelINS0_14default_configENS1_35radix_sort_onesweep_config_selectorIiiEEZZNS1_29radix_sort_onesweep_iterationIS3_Lb1EN6thrust23THRUST_200600_302600_NS6detail15normal_iteratorINS8_10device_ptrIiEEEESD_SD_SD_jNS0_19identity_decomposerENS1_16block_id_wrapperIjLb0EEEEE10hipError_tT1_PNSt15iterator_traitsISI_E10value_typeET2_T3_PNSJ_ISO_E10value_typeET4_T5_PST_SU_PNS1_23onesweep_lookback_stateEbbT6_jjT7_P12ihipStream_tbENKUlT_T0_SI_SN_E_clISD_PiSD_S15_EEDaS11_S12_SI_SN_EUlS11_E_NS1_11comp_targetILNS1_3genE4ELNS1_11target_archE910ELNS1_3gpuE8ELNS1_3repE0EEENS1_47radix_sort_onesweep_sort_config_static_selectorELNS0_4arch9wavefront6targetE1EEEvSI_,comdat
	.protected	_ZN7rocprim17ROCPRIM_400000_NS6detail17trampoline_kernelINS0_14default_configENS1_35radix_sort_onesweep_config_selectorIiiEEZZNS1_29radix_sort_onesweep_iterationIS3_Lb1EN6thrust23THRUST_200600_302600_NS6detail15normal_iteratorINS8_10device_ptrIiEEEESD_SD_SD_jNS0_19identity_decomposerENS1_16block_id_wrapperIjLb0EEEEE10hipError_tT1_PNSt15iterator_traitsISI_E10value_typeET2_T3_PNSJ_ISO_E10value_typeET4_T5_PST_SU_PNS1_23onesweep_lookback_stateEbbT6_jjT7_P12ihipStream_tbENKUlT_T0_SI_SN_E_clISD_PiSD_S15_EEDaS11_S12_SI_SN_EUlS11_E_NS1_11comp_targetILNS1_3genE4ELNS1_11target_archE910ELNS1_3gpuE8ELNS1_3repE0EEENS1_47radix_sort_onesweep_sort_config_static_selectorELNS0_4arch9wavefront6targetE1EEEvSI_ ; -- Begin function _ZN7rocprim17ROCPRIM_400000_NS6detail17trampoline_kernelINS0_14default_configENS1_35radix_sort_onesweep_config_selectorIiiEEZZNS1_29radix_sort_onesweep_iterationIS3_Lb1EN6thrust23THRUST_200600_302600_NS6detail15normal_iteratorINS8_10device_ptrIiEEEESD_SD_SD_jNS0_19identity_decomposerENS1_16block_id_wrapperIjLb0EEEEE10hipError_tT1_PNSt15iterator_traitsISI_E10value_typeET2_T3_PNSJ_ISO_E10value_typeET4_T5_PST_SU_PNS1_23onesweep_lookback_stateEbbT6_jjT7_P12ihipStream_tbENKUlT_T0_SI_SN_E_clISD_PiSD_S15_EEDaS11_S12_SI_SN_EUlS11_E_NS1_11comp_targetILNS1_3genE4ELNS1_11target_archE910ELNS1_3gpuE8ELNS1_3repE0EEENS1_47radix_sort_onesweep_sort_config_static_selectorELNS0_4arch9wavefront6targetE1EEEvSI_
	.globl	_ZN7rocprim17ROCPRIM_400000_NS6detail17trampoline_kernelINS0_14default_configENS1_35radix_sort_onesweep_config_selectorIiiEEZZNS1_29radix_sort_onesweep_iterationIS3_Lb1EN6thrust23THRUST_200600_302600_NS6detail15normal_iteratorINS8_10device_ptrIiEEEESD_SD_SD_jNS0_19identity_decomposerENS1_16block_id_wrapperIjLb0EEEEE10hipError_tT1_PNSt15iterator_traitsISI_E10value_typeET2_T3_PNSJ_ISO_E10value_typeET4_T5_PST_SU_PNS1_23onesweep_lookback_stateEbbT6_jjT7_P12ihipStream_tbENKUlT_T0_SI_SN_E_clISD_PiSD_S15_EEDaS11_S12_SI_SN_EUlS11_E_NS1_11comp_targetILNS1_3genE4ELNS1_11target_archE910ELNS1_3gpuE8ELNS1_3repE0EEENS1_47radix_sort_onesweep_sort_config_static_selectorELNS0_4arch9wavefront6targetE1EEEvSI_
	.p2align	8
	.type	_ZN7rocprim17ROCPRIM_400000_NS6detail17trampoline_kernelINS0_14default_configENS1_35radix_sort_onesweep_config_selectorIiiEEZZNS1_29radix_sort_onesweep_iterationIS3_Lb1EN6thrust23THRUST_200600_302600_NS6detail15normal_iteratorINS8_10device_ptrIiEEEESD_SD_SD_jNS0_19identity_decomposerENS1_16block_id_wrapperIjLb0EEEEE10hipError_tT1_PNSt15iterator_traitsISI_E10value_typeET2_T3_PNSJ_ISO_E10value_typeET4_T5_PST_SU_PNS1_23onesweep_lookback_stateEbbT6_jjT7_P12ihipStream_tbENKUlT_T0_SI_SN_E_clISD_PiSD_S15_EEDaS11_S12_SI_SN_EUlS11_E_NS1_11comp_targetILNS1_3genE4ELNS1_11target_archE910ELNS1_3gpuE8ELNS1_3repE0EEENS1_47radix_sort_onesweep_sort_config_static_selectorELNS0_4arch9wavefront6targetE1EEEvSI_,@function
_ZN7rocprim17ROCPRIM_400000_NS6detail17trampoline_kernelINS0_14default_configENS1_35radix_sort_onesweep_config_selectorIiiEEZZNS1_29radix_sort_onesweep_iterationIS3_Lb1EN6thrust23THRUST_200600_302600_NS6detail15normal_iteratorINS8_10device_ptrIiEEEESD_SD_SD_jNS0_19identity_decomposerENS1_16block_id_wrapperIjLb0EEEEE10hipError_tT1_PNSt15iterator_traitsISI_E10value_typeET2_T3_PNSJ_ISO_E10value_typeET4_T5_PST_SU_PNS1_23onesweep_lookback_stateEbbT6_jjT7_P12ihipStream_tbENKUlT_T0_SI_SN_E_clISD_PiSD_S15_EEDaS11_S12_SI_SN_EUlS11_E_NS1_11comp_targetILNS1_3genE4ELNS1_11target_archE910ELNS1_3gpuE8ELNS1_3repE0EEENS1_47radix_sort_onesweep_sort_config_static_selectorELNS0_4arch9wavefront6targetE1EEEvSI_: ; @_ZN7rocprim17ROCPRIM_400000_NS6detail17trampoline_kernelINS0_14default_configENS1_35radix_sort_onesweep_config_selectorIiiEEZZNS1_29radix_sort_onesweep_iterationIS3_Lb1EN6thrust23THRUST_200600_302600_NS6detail15normal_iteratorINS8_10device_ptrIiEEEESD_SD_SD_jNS0_19identity_decomposerENS1_16block_id_wrapperIjLb0EEEEE10hipError_tT1_PNSt15iterator_traitsISI_E10value_typeET2_T3_PNSJ_ISO_E10value_typeET4_T5_PST_SU_PNS1_23onesweep_lookback_stateEbbT6_jjT7_P12ihipStream_tbENKUlT_T0_SI_SN_E_clISD_PiSD_S15_EEDaS11_S12_SI_SN_EUlS11_E_NS1_11comp_targetILNS1_3genE4ELNS1_11target_archE910ELNS1_3gpuE8ELNS1_3repE0EEENS1_47radix_sort_onesweep_sort_config_static_selectorELNS0_4arch9wavefront6targetE1EEEvSI_
; %bb.0:
	.section	.rodata,"a",@progbits
	.p2align	6, 0x0
	.amdhsa_kernel _ZN7rocprim17ROCPRIM_400000_NS6detail17trampoline_kernelINS0_14default_configENS1_35radix_sort_onesweep_config_selectorIiiEEZZNS1_29radix_sort_onesweep_iterationIS3_Lb1EN6thrust23THRUST_200600_302600_NS6detail15normal_iteratorINS8_10device_ptrIiEEEESD_SD_SD_jNS0_19identity_decomposerENS1_16block_id_wrapperIjLb0EEEEE10hipError_tT1_PNSt15iterator_traitsISI_E10value_typeET2_T3_PNSJ_ISO_E10value_typeET4_T5_PST_SU_PNS1_23onesweep_lookback_stateEbbT6_jjT7_P12ihipStream_tbENKUlT_T0_SI_SN_E_clISD_PiSD_S15_EEDaS11_S12_SI_SN_EUlS11_E_NS1_11comp_targetILNS1_3genE4ELNS1_11target_archE910ELNS1_3gpuE8ELNS1_3repE0EEENS1_47radix_sort_onesweep_sort_config_static_selectorELNS0_4arch9wavefront6targetE1EEEvSI_
		.amdhsa_group_segment_fixed_size 0
		.amdhsa_private_segment_fixed_size 0
		.amdhsa_kernarg_size 88
		.amdhsa_user_sgpr_count 2
		.amdhsa_user_sgpr_dispatch_ptr 0
		.amdhsa_user_sgpr_queue_ptr 0
		.amdhsa_user_sgpr_kernarg_segment_ptr 1
		.amdhsa_user_sgpr_dispatch_id 0
		.amdhsa_user_sgpr_kernarg_preload_length 0
		.amdhsa_user_sgpr_kernarg_preload_offset 0
		.amdhsa_user_sgpr_private_segment_size 0
		.amdhsa_uses_dynamic_stack 0
		.amdhsa_enable_private_segment 0
		.amdhsa_system_sgpr_workgroup_id_x 1
		.amdhsa_system_sgpr_workgroup_id_y 0
		.amdhsa_system_sgpr_workgroup_id_z 0
		.amdhsa_system_sgpr_workgroup_info 0
		.amdhsa_system_vgpr_workitem_id 0
		.amdhsa_next_free_vgpr 1
		.amdhsa_next_free_sgpr 0
		.amdhsa_accum_offset 4
		.amdhsa_reserve_vcc 0
		.amdhsa_float_round_mode_32 0
		.amdhsa_float_round_mode_16_64 0
		.amdhsa_float_denorm_mode_32 3
		.amdhsa_float_denorm_mode_16_64 3
		.amdhsa_dx10_clamp 1
		.amdhsa_ieee_mode 1
		.amdhsa_fp16_overflow 0
		.amdhsa_tg_split 0
		.amdhsa_exception_fp_ieee_invalid_op 0
		.amdhsa_exception_fp_denorm_src 0
		.amdhsa_exception_fp_ieee_div_zero 0
		.amdhsa_exception_fp_ieee_overflow 0
		.amdhsa_exception_fp_ieee_underflow 0
		.amdhsa_exception_fp_ieee_inexact 0
		.amdhsa_exception_int_div_zero 0
	.end_amdhsa_kernel
	.section	.text._ZN7rocprim17ROCPRIM_400000_NS6detail17trampoline_kernelINS0_14default_configENS1_35radix_sort_onesweep_config_selectorIiiEEZZNS1_29radix_sort_onesweep_iterationIS3_Lb1EN6thrust23THRUST_200600_302600_NS6detail15normal_iteratorINS8_10device_ptrIiEEEESD_SD_SD_jNS0_19identity_decomposerENS1_16block_id_wrapperIjLb0EEEEE10hipError_tT1_PNSt15iterator_traitsISI_E10value_typeET2_T3_PNSJ_ISO_E10value_typeET4_T5_PST_SU_PNS1_23onesweep_lookback_stateEbbT6_jjT7_P12ihipStream_tbENKUlT_T0_SI_SN_E_clISD_PiSD_S15_EEDaS11_S12_SI_SN_EUlS11_E_NS1_11comp_targetILNS1_3genE4ELNS1_11target_archE910ELNS1_3gpuE8ELNS1_3repE0EEENS1_47radix_sort_onesweep_sort_config_static_selectorELNS0_4arch9wavefront6targetE1EEEvSI_,"axG",@progbits,_ZN7rocprim17ROCPRIM_400000_NS6detail17trampoline_kernelINS0_14default_configENS1_35radix_sort_onesweep_config_selectorIiiEEZZNS1_29radix_sort_onesweep_iterationIS3_Lb1EN6thrust23THRUST_200600_302600_NS6detail15normal_iteratorINS8_10device_ptrIiEEEESD_SD_SD_jNS0_19identity_decomposerENS1_16block_id_wrapperIjLb0EEEEE10hipError_tT1_PNSt15iterator_traitsISI_E10value_typeET2_T3_PNSJ_ISO_E10value_typeET4_T5_PST_SU_PNS1_23onesweep_lookback_stateEbbT6_jjT7_P12ihipStream_tbENKUlT_T0_SI_SN_E_clISD_PiSD_S15_EEDaS11_S12_SI_SN_EUlS11_E_NS1_11comp_targetILNS1_3genE4ELNS1_11target_archE910ELNS1_3gpuE8ELNS1_3repE0EEENS1_47radix_sort_onesweep_sort_config_static_selectorELNS0_4arch9wavefront6targetE1EEEvSI_,comdat
.Lfunc_end1039:
	.size	_ZN7rocprim17ROCPRIM_400000_NS6detail17trampoline_kernelINS0_14default_configENS1_35radix_sort_onesweep_config_selectorIiiEEZZNS1_29radix_sort_onesweep_iterationIS3_Lb1EN6thrust23THRUST_200600_302600_NS6detail15normal_iteratorINS8_10device_ptrIiEEEESD_SD_SD_jNS0_19identity_decomposerENS1_16block_id_wrapperIjLb0EEEEE10hipError_tT1_PNSt15iterator_traitsISI_E10value_typeET2_T3_PNSJ_ISO_E10value_typeET4_T5_PST_SU_PNS1_23onesweep_lookback_stateEbbT6_jjT7_P12ihipStream_tbENKUlT_T0_SI_SN_E_clISD_PiSD_S15_EEDaS11_S12_SI_SN_EUlS11_E_NS1_11comp_targetILNS1_3genE4ELNS1_11target_archE910ELNS1_3gpuE8ELNS1_3repE0EEENS1_47radix_sort_onesweep_sort_config_static_selectorELNS0_4arch9wavefront6targetE1EEEvSI_, .Lfunc_end1039-_ZN7rocprim17ROCPRIM_400000_NS6detail17trampoline_kernelINS0_14default_configENS1_35radix_sort_onesweep_config_selectorIiiEEZZNS1_29radix_sort_onesweep_iterationIS3_Lb1EN6thrust23THRUST_200600_302600_NS6detail15normal_iteratorINS8_10device_ptrIiEEEESD_SD_SD_jNS0_19identity_decomposerENS1_16block_id_wrapperIjLb0EEEEE10hipError_tT1_PNSt15iterator_traitsISI_E10value_typeET2_T3_PNSJ_ISO_E10value_typeET4_T5_PST_SU_PNS1_23onesweep_lookback_stateEbbT6_jjT7_P12ihipStream_tbENKUlT_T0_SI_SN_E_clISD_PiSD_S15_EEDaS11_S12_SI_SN_EUlS11_E_NS1_11comp_targetILNS1_3genE4ELNS1_11target_archE910ELNS1_3gpuE8ELNS1_3repE0EEENS1_47radix_sort_onesweep_sort_config_static_selectorELNS0_4arch9wavefront6targetE1EEEvSI_
                                        ; -- End function
	.set _ZN7rocprim17ROCPRIM_400000_NS6detail17trampoline_kernelINS0_14default_configENS1_35radix_sort_onesweep_config_selectorIiiEEZZNS1_29radix_sort_onesweep_iterationIS3_Lb1EN6thrust23THRUST_200600_302600_NS6detail15normal_iteratorINS8_10device_ptrIiEEEESD_SD_SD_jNS0_19identity_decomposerENS1_16block_id_wrapperIjLb0EEEEE10hipError_tT1_PNSt15iterator_traitsISI_E10value_typeET2_T3_PNSJ_ISO_E10value_typeET4_T5_PST_SU_PNS1_23onesweep_lookback_stateEbbT6_jjT7_P12ihipStream_tbENKUlT_T0_SI_SN_E_clISD_PiSD_S15_EEDaS11_S12_SI_SN_EUlS11_E_NS1_11comp_targetILNS1_3genE4ELNS1_11target_archE910ELNS1_3gpuE8ELNS1_3repE0EEENS1_47radix_sort_onesweep_sort_config_static_selectorELNS0_4arch9wavefront6targetE1EEEvSI_.num_vgpr, 0
	.set _ZN7rocprim17ROCPRIM_400000_NS6detail17trampoline_kernelINS0_14default_configENS1_35radix_sort_onesweep_config_selectorIiiEEZZNS1_29radix_sort_onesweep_iterationIS3_Lb1EN6thrust23THRUST_200600_302600_NS6detail15normal_iteratorINS8_10device_ptrIiEEEESD_SD_SD_jNS0_19identity_decomposerENS1_16block_id_wrapperIjLb0EEEEE10hipError_tT1_PNSt15iterator_traitsISI_E10value_typeET2_T3_PNSJ_ISO_E10value_typeET4_T5_PST_SU_PNS1_23onesweep_lookback_stateEbbT6_jjT7_P12ihipStream_tbENKUlT_T0_SI_SN_E_clISD_PiSD_S15_EEDaS11_S12_SI_SN_EUlS11_E_NS1_11comp_targetILNS1_3genE4ELNS1_11target_archE910ELNS1_3gpuE8ELNS1_3repE0EEENS1_47radix_sort_onesweep_sort_config_static_selectorELNS0_4arch9wavefront6targetE1EEEvSI_.num_agpr, 0
	.set _ZN7rocprim17ROCPRIM_400000_NS6detail17trampoline_kernelINS0_14default_configENS1_35radix_sort_onesweep_config_selectorIiiEEZZNS1_29radix_sort_onesweep_iterationIS3_Lb1EN6thrust23THRUST_200600_302600_NS6detail15normal_iteratorINS8_10device_ptrIiEEEESD_SD_SD_jNS0_19identity_decomposerENS1_16block_id_wrapperIjLb0EEEEE10hipError_tT1_PNSt15iterator_traitsISI_E10value_typeET2_T3_PNSJ_ISO_E10value_typeET4_T5_PST_SU_PNS1_23onesweep_lookback_stateEbbT6_jjT7_P12ihipStream_tbENKUlT_T0_SI_SN_E_clISD_PiSD_S15_EEDaS11_S12_SI_SN_EUlS11_E_NS1_11comp_targetILNS1_3genE4ELNS1_11target_archE910ELNS1_3gpuE8ELNS1_3repE0EEENS1_47radix_sort_onesweep_sort_config_static_selectorELNS0_4arch9wavefront6targetE1EEEvSI_.numbered_sgpr, 0
	.set _ZN7rocprim17ROCPRIM_400000_NS6detail17trampoline_kernelINS0_14default_configENS1_35radix_sort_onesweep_config_selectorIiiEEZZNS1_29radix_sort_onesweep_iterationIS3_Lb1EN6thrust23THRUST_200600_302600_NS6detail15normal_iteratorINS8_10device_ptrIiEEEESD_SD_SD_jNS0_19identity_decomposerENS1_16block_id_wrapperIjLb0EEEEE10hipError_tT1_PNSt15iterator_traitsISI_E10value_typeET2_T3_PNSJ_ISO_E10value_typeET4_T5_PST_SU_PNS1_23onesweep_lookback_stateEbbT6_jjT7_P12ihipStream_tbENKUlT_T0_SI_SN_E_clISD_PiSD_S15_EEDaS11_S12_SI_SN_EUlS11_E_NS1_11comp_targetILNS1_3genE4ELNS1_11target_archE910ELNS1_3gpuE8ELNS1_3repE0EEENS1_47radix_sort_onesweep_sort_config_static_selectorELNS0_4arch9wavefront6targetE1EEEvSI_.num_named_barrier, 0
	.set _ZN7rocprim17ROCPRIM_400000_NS6detail17trampoline_kernelINS0_14default_configENS1_35radix_sort_onesweep_config_selectorIiiEEZZNS1_29radix_sort_onesweep_iterationIS3_Lb1EN6thrust23THRUST_200600_302600_NS6detail15normal_iteratorINS8_10device_ptrIiEEEESD_SD_SD_jNS0_19identity_decomposerENS1_16block_id_wrapperIjLb0EEEEE10hipError_tT1_PNSt15iterator_traitsISI_E10value_typeET2_T3_PNSJ_ISO_E10value_typeET4_T5_PST_SU_PNS1_23onesweep_lookback_stateEbbT6_jjT7_P12ihipStream_tbENKUlT_T0_SI_SN_E_clISD_PiSD_S15_EEDaS11_S12_SI_SN_EUlS11_E_NS1_11comp_targetILNS1_3genE4ELNS1_11target_archE910ELNS1_3gpuE8ELNS1_3repE0EEENS1_47radix_sort_onesweep_sort_config_static_selectorELNS0_4arch9wavefront6targetE1EEEvSI_.private_seg_size, 0
	.set _ZN7rocprim17ROCPRIM_400000_NS6detail17trampoline_kernelINS0_14default_configENS1_35radix_sort_onesweep_config_selectorIiiEEZZNS1_29radix_sort_onesweep_iterationIS3_Lb1EN6thrust23THRUST_200600_302600_NS6detail15normal_iteratorINS8_10device_ptrIiEEEESD_SD_SD_jNS0_19identity_decomposerENS1_16block_id_wrapperIjLb0EEEEE10hipError_tT1_PNSt15iterator_traitsISI_E10value_typeET2_T3_PNSJ_ISO_E10value_typeET4_T5_PST_SU_PNS1_23onesweep_lookback_stateEbbT6_jjT7_P12ihipStream_tbENKUlT_T0_SI_SN_E_clISD_PiSD_S15_EEDaS11_S12_SI_SN_EUlS11_E_NS1_11comp_targetILNS1_3genE4ELNS1_11target_archE910ELNS1_3gpuE8ELNS1_3repE0EEENS1_47radix_sort_onesweep_sort_config_static_selectorELNS0_4arch9wavefront6targetE1EEEvSI_.uses_vcc, 0
	.set _ZN7rocprim17ROCPRIM_400000_NS6detail17trampoline_kernelINS0_14default_configENS1_35radix_sort_onesweep_config_selectorIiiEEZZNS1_29radix_sort_onesweep_iterationIS3_Lb1EN6thrust23THRUST_200600_302600_NS6detail15normal_iteratorINS8_10device_ptrIiEEEESD_SD_SD_jNS0_19identity_decomposerENS1_16block_id_wrapperIjLb0EEEEE10hipError_tT1_PNSt15iterator_traitsISI_E10value_typeET2_T3_PNSJ_ISO_E10value_typeET4_T5_PST_SU_PNS1_23onesweep_lookback_stateEbbT6_jjT7_P12ihipStream_tbENKUlT_T0_SI_SN_E_clISD_PiSD_S15_EEDaS11_S12_SI_SN_EUlS11_E_NS1_11comp_targetILNS1_3genE4ELNS1_11target_archE910ELNS1_3gpuE8ELNS1_3repE0EEENS1_47radix_sort_onesweep_sort_config_static_selectorELNS0_4arch9wavefront6targetE1EEEvSI_.uses_flat_scratch, 0
	.set _ZN7rocprim17ROCPRIM_400000_NS6detail17trampoline_kernelINS0_14default_configENS1_35radix_sort_onesweep_config_selectorIiiEEZZNS1_29radix_sort_onesweep_iterationIS3_Lb1EN6thrust23THRUST_200600_302600_NS6detail15normal_iteratorINS8_10device_ptrIiEEEESD_SD_SD_jNS0_19identity_decomposerENS1_16block_id_wrapperIjLb0EEEEE10hipError_tT1_PNSt15iterator_traitsISI_E10value_typeET2_T3_PNSJ_ISO_E10value_typeET4_T5_PST_SU_PNS1_23onesweep_lookback_stateEbbT6_jjT7_P12ihipStream_tbENKUlT_T0_SI_SN_E_clISD_PiSD_S15_EEDaS11_S12_SI_SN_EUlS11_E_NS1_11comp_targetILNS1_3genE4ELNS1_11target_archE910ELNS1_3gpuE8ELNS1_3repE0EEENS1_47radix_sort_onesweep_sort_config_static_selectorELNS0_4arch9wavefront6targetE1EEEvSI_.has_dyn_sized_stack, 0
	.set _ZN7rocprim17ROCPRIM_400000_NS6detail17trampoline_kernelINS0_14default_configENS1_35radix_sort_onesweep_config_selectorIiiEEZZNS1_29radix_sort_onesweep_iterationIS3_Lb1EN6thrust23THRUST_200600_302600_NS6detail15normal_iteratorINS8_10device_ptrIiEEEESD_SD_SD_jNS0_19identity_decomposerENS1_16block_id_wrapperIjLb0EEEEE10hipError_tT1_PNSt15iterator_traitsISI_E10value_typeET2_T3_PNSJ_ISO_E10value_typeET4_T5_PST_SU_PNS1_23onesweep_lookback_stateEbbT6_jjT7_P12ihipStream_tbENKUlT_T0_SI_SN_E_clISD_PiSD_S15_EEDaS11_S12_SI_SN_EUlS11_E_NS1_11comp_targetILNS1_3genE4ELNS1_11target_archE910ELNS1_3gpuE8ELNS1_3repE0EEENS1_47radix_sort_onesweep_sort_config_static_selectorELNS0_4arch9wavefront6targetE1EEEvSI_.has_recursion, 0
	.set _ZN7rocprim17ROCPRIM_400000_NS6detail17trampoline_kernelINS0_14default_configENS1_35radix_sort_onesweep_config_selectorIiiEEZZNS1_29radix_sort_onesweep_iterationIS3_Lb1EN6thrust23THRUST_200600_302600_NS6detail15normal_iteratorINS8_10device_ptrIiEEEESD_SD_SD_jNS0_19identity_decomposerENS1_16block_id_wrapperIjLb0EEEEE10hipError_tT1_PNSt15iterator_traitsISI_E10value_typeET2_T3_PNSJ_ISO_E10value_typeET4_T5_PST_SU_PNS1_23onesweep_lookback_stateEbbT6_jjT7_P12ihipStream_tbENKUlT_T0_SI_SN_E_clISD_PiSD_S15_EEDaS11_S12_SI_SN_EUlS11_E_NS1_11comp_targetILNS1_3genE4ELNS1_11target_archE910ELNS1_3gpuE8ELNS1_3repE0EEENS1_47radix_sort_onesweep_sort_config_static_selectorELNS0_4arch9wavefront6targetE1EEEvSI_.has_indirect_call, 0
	.section	.AMDGPU.csdata,"",@progbits
; Kernel info:
; codeLenInByte = 0
; TotalNumSgprs: 6
; NumVgprs: 0
; NumAgprs: 0
; TotalNumVgprs: 0
; ScratchSize: 0
; MemoryBound: 0
; FloatMode: 240
; IeeeMode: 1
; LDSByteSize: 0 bytes/workgroup (compile time only)
; SGPRBlocks: 0
; VGPRBlocks: 0
; NumSGPRsForWavesPerEU: 6
; NumVGPRsForWavesPerEU: 1
; AccumOffset: 4
; Occupancy: 8
; WaveLimiterHint : 0
; COMPUTE_PGM_RSRC2:SCRATCH_EN: 0
; COMPUTE_PGM_RSRC2:USER_SGPR: 2
; COMPUTE_PGM_RSRC2:TRAP_HANDLER: 0
; COMPUTE_PGM_RSRC2:TGID_X_EN: 1
; COMPUTE_PGM_RSRC2:TGID_Y_EN: 0
; COMPUTE_PGM_RSRC2:TGID_Z_EN: 0
; COMPUTE_PGM_RSRC2:TIDIG_COMP_CNT: 0
; COMPUTE_PGM_RSRC3_GFX90A:ACCUM_OFFSET: 0
; COMPUTE_PGM_RSRC3_GFX90A:TG_SPLIT: 0
	.section	.text._ZN7rocprim17ROCPRIM_400000_NS6detail17trampoline_kernelINS0_14default_configENS1_35radix_sort_onesweep_config_selectorIiiEEZZNS1_29radix_sort_onesweep_iterationIS3_Lb1EN6thrust23THRUST_200600_302600_NS6detail15normal_iteratorINS8_10device_ptrIiEEEESD_SD_SD_jNS0_19identity_decomposerENS1_16block_id_wrapperIjLb0EEEEE10hipError_tT1_PNSt15iterator_traitsISI_E10value_typeET2_T3_PNSJ_ISO_E10value_typeET4_T5_PST_SU_PNS1_23onesweep_lookback_stateEbbT6_jjT7_P12ihipStream_tbENKUlT_T0_SI_SN_E_clISD_PiSD_S15_EEDaS11_S12_SI_SN_EUlS11_E_NS1_11comp_targetILNS1_3genE3ELNS1_11target_archE908ELNS1_3gpuE7ELNS1_3repE0EEENS1_47radix_sort_onesweep_sort_config_static_selectorELNS0_4arch9wavefront6targetE1EEEvSI_,"axG",@progbits,_ZN7rocprim17ROCPRIM_400000_NS6detail17trampoline_kernelINS0_14default_configENS1_35radix_sort_onesweep_config_selectorIiiEEZZNS1_29radix_sort_onesweep_iterationIS3_Lb1EN6thrust23THRUST_200600_302600_NS6detail15normal_iteratorINS8_10device_ptrIiEEEESD_SD_SD_jNS0_19identity_decomposerENS1_16block_id_wrapperIjLb0EEEEE10hipError_tT1_PNSt15iterator_traitsISI_E10value_typeET2_T3_PNSJ_ISO_E10value_typeET4_T5_PST_SU_PNS1_23onesweep_lookback_stateEbbT6_jjT7_P12ihipStream_tbENKUlT_T0_SI_SN_E_clISD_PiSD_S15_EEDaS11_S12_SI_SN_EUlS11_E_NS1_11comp_targetILNS1_3genE3ELNS1_11target_archE908ELNS1_3gpuE7ELNS1_3repE0EEENS1_47radix_sort_onesweep_sort_config_static_selectorELNS0_4arch9wavefront6targetE1EEEvSI_,comdat
	.protected	_ZN7rocprim17ROCPRIM_400000_NS6detail17trampoline_kernelINS0_14default_configENS1_35radix_sort_onesweep_config_selectorIiiEEZZNS1_29radix_sort_onesweep_iterationIS3_Lb1EN6thrust23THRUST_200600_302600_NS6detail15normal_iteratorINS8_10device_ptrIiEEEESD_SD_SD_jNS0_19identity_decomposerENS1_16block_id_wrapperIjLb0EEEEE10hipError_tT1_PNSt15iterator_traitsISI_E10value_typeET2_T3_PNSJ_ISO_E10value_typeET4_T5_PST_SU_PNS1_23onesweep_lookback_stateEbbT6_jjT7_P12ihipStream_tbENKUlT_T0_SI_SN_E_clISD_PiSD_S15_EEDaS11_S12_SI_SN_EUlS11_E_NS1_11comp_targetILNS1_3genE3ELNS1_11target_archE908ELNS1_3gpuE7ELNS1_3repE0EEENS1_47radix_sort_onesweep_sort_config_static_selectorELNS0_4arch9wavefront6targetE1EEEvSI_ ; -- Begin function _ZN7rocprim17ROCPRIM_400000_NS6detail17trampoline_kernelINS0_14default_configENS1_35radix_sort_onesweep_config_selectorIiiEEZZNS1_29radix_sort_onesweep_iterationIS3_Lb1EN6thrust23THRUST_200600_302600_NS6detail15normal_iteratorINS8_10device_ptrIiEEEESD_SD_SD_jNS0_19identity_decomposerENS1_16block_id_wrapperIjLb0EEEEE10hipError_tT1_PNSt15iterator_traitsISI_E10value_typeET2_T3_PNSJ_ISO_E10value_typeET4_T5_PST_SU_PNS1_23onesweep_lookback_stateEbbT6_jjT7_P12ihipStream_tbENKUlT_T0_SI_SN_E_clISD_PiSD_S15_EEDaS11_S12_SI_SN_EUlS11_E_NS1_11comp_targetILNS1_3genE3ELNS1_11target_archE908ELNS1_3gpuE7ELNS1_3repE0EEENS1_47radix_sort_onesweep_sort_config_static_selectorELNS0_4arch9wavefront6targetE1EEEvSI_
	.globl	_ZN7rocprim17ROCPRIM_400000_NS6detail17trampoline_kernelINS0_14default_configENS1_35radix_sort_onesweep_config_selectorIiiEEZZNS1_29radix_sort_onesweep_iterationIS3_Lb1EN6thrust23THRUST_200600_302600_NS6detail15normal_iteratorINS8_10device_ptrIiEEEESD_SD_SD_jNS0_19identity_decomposerENS1_16block_id_wrapperIjLb0EEEEE10hipError_tT1_PNSt15iterator_traitsISI_E10value_typeET2_T3_PNSJ_ISO_E10value_typeET4_T5_PST_SU_PNS1_23onesweep_lookback_stateEbbT6_jjT7_P12ihipStream_tbENKUlT_T0_SI_SN_E_clISD_PiSD_S15_EEDaS11_S12_SI_SN_EUlS11_E_NS1_11comp_targetILNS1_3genE3ELNS1_11target_archE908ELNS1_3gpuE7ELNS1_3repE0EEENS1_47radix_sort_onesweep_sort_config_static_selectorELNS0_4arch9wavefront6targetE1EEEvSI_
	.p2align	8
	.type	_ZN7rocprim17ROCPRIM_400000_NS6detail17trampoline_kernelINS0_14default_configENS1_35radix_sort_onesweep_config_selectorIiiEEZZNS1_29radix_sort_onesweep_iterationIS3_Lb1EN6thrust23THRUST_200600_302600_NS6detail15normal_iteratorINS8_10device_ptrIiEEEESD_SD_SD_jNS0_19identity_decomposerENS1_16block_id_wrapperIjLb0EEEEE10hipError_tT1_PNSt15iterator_traitsISI_E10value_typeET2_T3_PNSJ_ISO_E10value_typeET4_T5_PST_SU_PNS1_23onesweep_lookback_stateEbbT6_jjT7_P12ihipStream_tbENKUlT_T0_SI_SN_E_clISD_PiSD_S15_EEDaS11_S12_SI_SN_EUlS11_E_NS1_11comp_targetILNS1_3genE3ELNS1_11target_archE908ELNS1_3gpuE7ELNS1_3repE0EEENS1_47radix_sort_onesweep_sort_config_static_selectorELNS0_4arch9wavefront6targetE1EEEvSI_,@function
_ZN7rocprim17ROCPRIM_400000_NS6detail17trampoline_kernelINS0_14default_configENS1_35radix_sort_onesweep_config_selectorIiiEEZZNS1_29radix_sort_onesweep_iterationIS3_Lb1EN6thrust23THRUST_200600_302600_NS6detail15normal_iteratorINS8_10device_ptrIiEEEESD_SD_SD_jNS0_19identity_decomposerENS1_16block_id_wrapperIjLb0EEEEE10hipError_tT1_PNSt15iterator_traitsISI_E10value_typeET2_T3_PNSJ_ISO_E10value_typeET4_T5_PST_SU_PNS1_23onesweep_lookback_stateEbbT6_jjT7_P12ihipStream_tbENKUlT_T0_SI_SN_E_clISD_PiSD_S15_EEDaS11_S12_SI_SN_EUlS11_E_NS1_11comp_targetILNS1_3genE3ELNS1_11target_archE908ELNS1_3gpuE7ELNS1_3repE0EEENS1_47radix_sort_onesweep_sort_config_static_selectorELNS0_4arch9wavefront6targetE1EEEvSI_: ; @_ZN7rocprim17ROCPRIM_400000_NS6detail17trampoline_kernelINS0_14default_configENS1_35radix_sort_onesweep_config_selectorIiiEEZZNS1_29radix_sort_onesweep_iterationIS3_Lb1EN6thrust23THRUST_200600_302600_NS6detail15normal_iteratorINS8_10device_ptrIiEEEESD_SD_SD_jNS0_19identity_decomposerENS1_16block_id_wrapperIjLb0EEEEE10hipError_tT1_PNSt15iterator_traitsISI_E10value_typeET2_T3_PNSJ_ISO_E10value_typeET4_T5_PST_SU_PNS1_23onesweep_lookback_stateEbbT6_jjT7_P12ihipStream_tbENKUlT_T0_SI_SN_E_clISD_PiSD_S15_EEDaS11_S12_SI_SN_EUlS11_E_NS1_11comp_targetILNS1_3genE3ELNS1_11target_archE908ELNS1_3gpuE7ELNS1_3repE0EEENS1_47radix_sort_onesweep_sort_config_static_selectorELNS0_4arch9wavefront6targetE1EEEvSI_
; %bb.0:
	.section	.rodata,"a",@progbits
	.p2align	6, 0x0
	.amdhsa_kernel _ZN7rocprim17ROCPRIM_400000_NS6detail17trampoline_kernelINS0_14default_configENS1_35radix_sort_onesweep_config_selectorIiiEEZZNS1_29radix_sort_onesweep_iterationIS3_Lb1EN6thrust23THRUST_200600_302600_NS6detail15normal_iteratorINS8_10device_ptrIiEEEESD_SD_SD_jNS0_19identity_decomposerENS1_16block_id_wrapperIjLb0EEEEE10hipError_tT1_PNSt15iterator_traitsISI_E10value_typeET2_T3_PNSJ_ISO_E10value_typeET4_T5_PST_SU_PNS1_23onesweep_lookback_stateEbbT6_jjT7_P12ihipStream_tbENKUlT_T0_SI_SN_E_clISD_PiSD_S15_EEDaS11_S12_SI_SN_EUlS11_E_NS1_11comp_targetILNS1_3genE3ELNS1_11target_archE908ELNS1_3gpuE7ELNS1_3repE0EEENS1_47radix_sort_onesweep_sort_config_static_selectorELNS0_4arch9wavefront6targetE1EEEvSI_
		.amdhsa_group_segment_fixed_size 0
		.amdhsa_private_segment_fixed_size 0
		.amdhsa_kernarg_size 88
		.amdhsa_user_sgpr_count 2
		.amdhsa_user_sgpr_dispatch_ptr 0
		.amdhsa_user_sgpr_queue_ptr 0
		.amdhsa_user_sgpr_kernarg_segment_ptr 1
		.amdhsa_user_sgpr_dispatch_id 0
		.amdhsa_user_sgpr_kernarg_preload_length 0
		.amdhsa_user_sgpr_kernarg_preload_offset 0
		.amdhsa_user_sgpr_private_segment_size 0
		.amdhsa_uses_dynamic_stack 0
		.amdhsa_enable_private_segment 0
		.amdhsa_system_sgpr_workgroup_id_x 1
		.amdhsa_system_sgpr_workgroup_id_y 0
		.amdhsa_system_sgpr_workgroup_id_z 0
		.amdhsa_system_sgpr_workgroup_info 0
		.amdhsa_system_vgpr_workitem_id 0
		.amdhsa_next_free_vgpr 1
		.amdhsa_next_free_sgpr 0
		.amdhsa_accum_offset 4
		.amdhsa_reserve_vcc 0
		.amdhsa_float_round_mode_32 0
		.amdhsa_float_round_mode_16_64 0
		.amdhsa_float_denorm_mode_32 3
		.amdhsa_float_denorm_mode_16_64 3
		.amdhsa_dx10_clamp 1
		.amdhsa_ieee_mode 1
		.amdhsa_fp16_overflow 0
		.amdhsa_tg_split 0
		.amdhsa_exception_fp_ieee_invalid_op 0
		.amdhsa_exception_fp_denorm_src 0
		.amdhsa_exception_fp_ieee_div_zero 0
		.amdhsa_exception_fp_ieee_overflow 0
		.amdhsa_exception_fp_ieee_underflow 0
		.amdhsa_exception_fp_ieee_inexact 0
		.amdhsa_exception_int_div_zero 0
	.end_amdhsa_kernel
	.section	.text._ZN7rocprim17ROCPRIM_400000_NS6detail17trampoline_kernelINS0_14default_configENS1_35radix_sort_onesweep_config_selectorIiiEEZZNS1_29radix_sort_onesweep_iterationIS3_Lb1EN6thrust23THRUST_200600_302600_NS6detail15normal_iteratorINS8_10device_ptrIiEEEESD_SD_SD_jNS0_19identity_decomposerENS1_16block_id_wrapperIjLb0EEEEE10hipError_tT1_PNSt15iterator_traitsISI_E10value_typeET2_T3_PNSJ_ISO_E10value_typeET4_T5_PST_SU_PNS1_23onesweep_lookback_stateEbbT6_jjT7_P12ihipStream_tbENKUlT_T0_SI_SN_E_clISD_PiSD_S15_EEDaS11_S12_SI_SN_EUlS11_E_NS1_11comp_targetILNS1_3genE3ELNS1_11target_archE908ELNS1_3gpuE7ELNS1_3repE0EEENS1_47radix_sort_onesweep_sort_config_static_selectorELNS0_4arch9wavefront6targetE1EEEvSI_,"axG",@progbits,_ZN7rocprim17ROCPRIM_400000_NS6detail17trampoline_kernelINS0_14default_configENS1_35radix_sort_onesweep_config_selectorIiiEEZZNS1_29radix_sort_onesweep_iterationIS3_Lb1EN6thrust23THRUST_200600_302600_NS6detail15normal_iteratorINS8_10device_ptrIiEEEESD_SD_SD_jNS0_19identity_decomposerENS1_16block_id_wrapperIjLb0EEEEE10hipError_tT1_PNSt15iterator_traitsISI_E10value_typeET2_T3_PNSJ_ISO_E10value_typeET4_T5_PST_SU_PNS1_23onesweep_lookback_stateEbbT6_jjT7_P12ihipStream_tbENKUlT_T0_SI_SN_E_clISD_PiSD_S15_EEDaS11_S12_SI_SN_EUlS11_E_NS1_11comp_targetILNS1_3genE3ELNS1_11target_archE908ELNS1_3gpuE7ELNS1_3repE0EEENS1_47radix_sort_onesweep_sort_config_static_selectorELNS0_4arch9wavefront6targetE1EEEvSI_,comdat
.Lfunc_end1040:
	.size	_ZN7rocprim17ROCPRIM_400000_NS6detail17trampoline_kernelINS0_14default_configENS1_35radix_sort_onesweep_config_selectorIiiEEZZNS1_29radix_sort_onesweep_iterationIS3_Lb1EN6thrust23THRUST_200600_302600_NS6detail15normal_iteratorINS8_10device_ptrIiEEEESD_SD_SD_jNS0_19identity_decomposerENS1_16block_id_wrapperIjLb0EEEEE10hipError_tT1_PNSt15iterator_traitsISI_E10value_typeET2_T3_PNSJ_ISO_E10value_typeET4_T5_PST_SU_PNS1_23onesweep_lookback_stateEbbT6_jjT7_P12ihipStream_tbENKUlT_T0_SI_SN_E_clISD_PiSD_S15_EEDaS11_S12_SI_SN_EUlS11_E_NS1_11comp_targetILNS1_3genE3ELNS1_11target_archE908ELNS1_3gpuE7ELNS1_3repE0EEENS1_47radix_sort_onesweep_sort_config_static_selectorELNS0_4arch9wavefront6targetE1EEEvSI_, .Lfunc_end1040-_ZN7rocprim17ROCPRIM_400000_NS6detail17trampoline_kernelINS0_14default_configENS1_35radix_sort_onesweep_config_selectorIiiEEZZNS1_29radix_sort_onesweep_iterationIS3_Lb1EN6thrust23THRUST_200600_302600_NS6detail15normal_iteratorINS8_10device_ptrIiEEEESD_SD_SD_jNS0_19identity_decomposerENS1_16block_id_wrapperIjLb0EEEEE10hipError_tT1_PNSt15iterator_traitsISI_E10value_typeET2_T3_PNSJ_ISO_E10value_typeET4_T5_PST_SU_PNS1_23onesweep_lookback_stateEbbT6_jjT7_P12ihipStream_tbENKUlT_T0_SI_SN_E_clISD_PiSD_S15_EEDaS11_S12_SI_SN_EUlS11_E_NS1_11comp_targetILNS1_3genE3ELNS1_11target_archE908ELNS1_3gpuE7ELNS1_3repE0EEENS1_47radix_sort_onesweep_sort_config_static_selectorELNS0_4arch9wavefront6targetE1EEEvSI_
                                        ; -- End function
	.set _ZN7rocprim17ROCPRIM_400000_NS6detail17trampoline_kernelINS0_14default_configENS1_35radix_sort_onesweep_config_selectorIiiEEZZNS1_29radix_sort_onesweep_iterationIS3_Lb1EN6thrust23THRUST_200600_302600_NS6detail15normal_iteratorINS8_10device_ptrIiEEEESD_SD_SD_jNS0_19identity_decomposerENS1_16block_id_wrapperIjLb0EEEEE10hipError_tT1_PNSt15iterator_traitsISI_E10value_typeET2_T3_PNSJ_ISO_E10value_typeET4_T5_PST_SU_PNS1_23onesweep_lookback_stateEbbT6_jjT7_P12ihipStream_tbENKUlT_T0_SI_SN_E_clISD_PiSD_S15_EEDaS11_S12_SI_SN_EUlS11_E_NS1_11comp_targetILNS1_3genE3ELNS1_11target_archE908ELNS1_3gpuE7ELNS1_3repE0EEENS1_47radix_sort_onesweep_sort_config_static_selectorELNS0_4arch9wavefront6targetE1EEEvSI_.num_vgpr, 0
	.set _ZN7rocprim17ROCPRIM_400000_NS6detail17trampoline_kernelINS0_14default_configENS1_35radix_sort_onesweep_config_selectorIiiEEZZNS1_29radix_sort_onesweep_iterationIS3_Lb1EN6thrust23THRUST_200600_302600_NS6detail15normal_iteratorINS8_10device_ptrIiEEEESD_SD_SD_jNS0_19identity_decomposerENS1_16block_id_wrapperIjLb0EEEEE10hipError_tT1_PNSt15iterator_traitsISI_E10value_typeET2_T3_PNSJ_ISO_E10value_typeET4_T5_PST_SU_PNS1_23onesweep_lookback_stateEbbT6_jjT7_P12ihipStream_tbENKUlT_T0_SI_SN_E_clISD_PiSD_S15_EEDaS11_S12_SI_SN_EUlS11_E_NS1_11comp_targetILNS1_3genE3ELNS1_11target_archE908ELNS1_3gpuE7ELNS1_3repE0EEENS1_47radix_sort_onesweep_sort_config_static_selectorELNS0_4arch9wavefront6targetE1EEEvSI_.num_agpr, 0
	.set _ZN7rocprim17ROCPRIM_400000_NS6detail17trampoline_kernelINS0_14default_configENS1_35radix_sort_onesweep_config_selectorIiiEEZZNS1_29radix_sort_onesweep_iterationIS3_Lb1EN6thrust23THRUST_200600_302600_NS6detail15normal_iteratorINS8_10device_ptrIiEEEESD_SD_SD_jNS0_19identity_decomposerENS1_16block_id_wrapperIjLb0EEEEE10hipError_tT1_PNSt15iterator_traitsISI_E10value_typeET2_T3_PNSJ_ISO_E10value_typeET4_T5_PST_SU_PNS1_23onesweep_lookback_stateEbbT6_jjT7_P12ihipStream_tbENKUlT_T0_SI_SN_E_clISD_PiSD_S15_EEDaS11_S12_SI_SN_EUlS11_E_NS1_11comp_targetILNS1_3genE3ELNS1_11target_archE908ELNS1_3gpuE7ELNS1_3repE0EEENS1_47radix_sort_onesweep_sort_config_static_selectorELNS0_4arch9wavefront6targetE1EEEvSI_.numbered_sgpr, 0
	.set _ZN7rocprim17ROCPRIM_400000_NS6detail17trampoline_kernelINS0_14default_configENS1_35radix_sort_onesweep_config_selectorIiiEEZZNS1_29radix_sort_onesweep_iterationIS3_Lb1EN6thrust23THRUST_200600_302600_NS6detail15normal_iteratorINS8_10device_ptrIiEEEESD_SD_SD_jNS0_19identity_decomposerENS1_16block_id_wrapperIjLb0EEEEE10hipError_tT1_PNSt15iterator_traitsISI_E10value_typeET2_T3_PNSJ_ISO_E10value_typeET4_T5_PST_SU_PNS1_23onesweep_lookback_stateEbbT6_jjT7_P12ihipStream_tbENKUlT_T0_SI_SN_E_clISD_PiSD_S15_EEDaS11_S12_SI_SN_EUlS11_E_NS1_11comp_targetILNS1_3genE3ELNS1_11target_archE908ELNS1_3gpuE7ELNS1_3repE0EEENS1_47radix_sort_onesweep_sort_config_static_selectorELNS0_4arch9wavefront6targetE1EEEvSI_.num_named_barrier, 0
	.set _ZN7rocprim17ROCPRIM_400000_NS6detail17trampoline_kernelINS0_14default_configENS1_35radix_sort_onesweep_config_selectorIiiEEZZNS1_29radix_sort_onesweep_iterationIS3_Lb1EN6thrust23THRUST_200600_302600_NS6detail15normal_iteratorINS8_10device_ptrIiEEEESD_SD_SD_jNS0_19identity_decomposerENS1_16block_id_wrapperIjLb0EEEEE10hipError_tT1_PNSt15iterator_traitsISI_E10value_typeET2_T3_PNSJ_ISO_E10value_typeET4_T5_PST_SU_PNS1_23onesweep_lookback_stateEbbT6_jjT7_P12ihipStream_tbENKUlT_T0_SI_SN_E_clISD_PiSD_S15_EEDaS11_S12_SI_SN_EUlS11_E_NS1_11comp_targetILNS1_3genE3ELNS1_11target_archE908ELNS1_3gpuE7ELNS1_3repE0EEENS1_47radix_sort_onesweep_sort_config_static_selectorELNS0_4arch9wavefront6targetE1EEEvSI_.private_seg_size, 0
	.set _ZN7rocprim17ROCPRIM_400000_NS6detail17trampoline_kernelINS0_14default_configENS1_35radix_sort_onesweep_config_selectorIiiEEZZNS1_29radix_sort_onesweep_iterationIS3_Lb1EN6thrust23THRUST_200600_302600_NS6detail15normal_iteratorINS8_10device_ptrIiEEEESD_SD_SD_jNS0_19identity_decomposerENS1_16block_id_wrapperIjLb0EEEEE10hipError_tT1_PNSt15iterator_traitsISI_E10value_typeET2_T3_PNSJ_ISO_E10value_typeET4_T5_PST_SU_PNS1_23onesweep_lookback_stateEbbT6_jjT7_P12ihipStream_tbENKUlT_T0_SI_SN_E_clISD_PiSD_S15_EEDaS11_S12_SI_SN_EUlS11_E_NS1_11comp_targetILNS1_3genE3ELNS1_11target_archE908ELNS1_3gpuE7ELNS1_3repE0EEENS1_47radix_sort_onesweep_sort_config_static_selectorELNS0_4arch9wavefront6targetE1EEEvSI_.uses_vcc, 0
	.set _ZN7rocprim17ROCPRIM_400000_NS6detail17trampoline_kernelINS0_14default_configENS1_35radix_sort_onesweep_config_selectorIiiEEZZNS1_29radix_sort_onesweep_iterationIS3_Lb1EN6thrust23THRUST_200600_302600_NS6detail15normal_iteratorINS8_10device_ptrIiEEEESD_SD_SD_jNS0_19identity_decomposerENS1_16block_id_wrapperIjLb0EEEEE10hipError_tT1_PNSt15iterator_traitsISI_E10value_typeET2_T3_PNSJ_ISO_E10value_typeET4_T5_PST_SU_PNS1_23onesweep_lookback_stateEbbT6_jjT7_P12ihipStream_tbENKUlT_T0_SI_SN_E_clISD_PiSD_S15_EEDaS11_S12_SI_SN_EUlS11_E_NS1_11comp_targetILNS1_3genE3ELNS1_11target_archE908ELNS1_3gpuE7ELNS1_3repE0EEENS1_47radix_sort_onesweep_sort_config_static_selectorELNS0_4arch9wavefront6targetE1EEEvSI_.uses_flat_scratch, 0
	.set _ZN7rocprim17ROCPRIM_400000_NS6detail17trampoline_kernelINS0_14default_configENS1_35radix_sort_onesweep_config_selectorIiiEEZZNS1_29radix_sort_onesweep_iterationIS3_Lb1EN6thrust23THRUST_200600_302600_NS6detail15normal_iteratorINS8_10device_ptrIiEEEESD_SD_SD_jNS0_19identity_decomposerENS1_16block_id_wrapperIjLb0EEEEE10hipError_tT1_PNSt15iterator_traitsISI_E10value_typeET2_T3_PNSJ_ISO_E10value_typeET4_T5_PST_SU_PNS1_23onesweep_lookback_stateEbbT6_jjT7_P12ihipStream_tbENKUlT_T0_SI_SN_E_clISD_PiSD_S15_EEDaS11_S12_SI_SN_EUlS11_E_NS1_11comp_targetILNS1_3genE3ELNS1_11target_archE908ELNS1_3gpuE7ELNS1_3repE0EEENS1_47radix_sort_onesweep_sort_config_static_selectorELNS0_4arch9wavefront6targetE1EEEvSI_.has_dyn_sized_stack, 0
	.set _ZN7rocprim17ROCPRIM_400000_NS6detail17trampoline_kernelINS0_14default_configENS1_35radix_sort_onesweep_config_selectorIiiEEZZNS1_29radix_sort_onesweep_iterationIS3_Lb1EN6thrust23THRUST_200600_302600_NS6detail15normal_iteratorINS8_10device_ptrIiEEEESD_SD_SD_jNS0_19identity_decomposerENS1_16block_id_wrapperIjLb0EEEEE10hipError_tT1_PNSt15iterator_traitsISI_E10value_typeET2_T3_PNSJ_ISO_E10value_typeET4_T5_PST_SU_PNS1_23onesweep_lookback_stateEbbT6_jjT7_P12ihipStream_tbENKUlT_T0_SI_SN_E_clISD_PiSD_S15_EEDaS11_S12_SI_SN_EUlS11_E_NS1_11comp_targetILNS1_3genE3ELNS1_11target_archE908ELNS1_3gpuE7ELNS1_3repE0EEENS1_47radix_sort_onesweep_sort_config_static_selectorELNS0_4arch9wavefront6targetE1EEEvSI_.has_recursion, 0
	.set _ZN7rocprim17ROCPRIM_400000_NS6detail17trampoline_kernelINS0_14default_configENS1_35radix_sort_onesweep_config_selectorIiiEEZZNS1_29radix_sort_onesweep_iterationIS3_Lb1EN6thrust23THRUST_200600_302600_NS6detail15normal_iteratorINS8_10device_ptrIiEEEESD_SD_SD_jNS0_19identity_decomposerENS1_16block_id_wrapperIjLb0EEEEE10hipError_tT1_PNSt15iterator_traitsISI_E10value_typeET2_T3_PNSJ_ISO_E10value_typeET4_T5_PST_SU_PNS1_23onesweep_lookback_stateEbbT6_jjT7_P12ihipStream_tbENKUlT_T0_SI_SN_E_clISD_PiSD_S15_EEDaS11_S12_SI_SN_EUlS11_E_NS1_11comp_targetILNS1_3genE3ELNS1_11target_archE908ELNS1_3gpuE7ELNS1_3repE0EEENS1_47radix_sort_onesweep_sort_config_static_selectorELNS0_4arch9wavefront6targetE1EEEvSI_.has_indirect_call, 0
	.section	.AMDGPU.csdata,"",@progbits
; Kernel info:
; codeLenInByte = 0
; TotalNumSgprs: 6
; NumVgprs: 0
; NumAgprs: 0
; TotalNumVgprs: 0
; ScratchSize: 0
; MemoryBound: 0
; FloatMode: 240
; IeeeMode: 1
; LDSByteSize: 0 bytes/workgroup (compile time only)
; SGPRBlocks: 0
; VGPRBlocks: 0
; NumSGPRsForWavesPerEU: 6
; NumVGPRsForWavesPerEU: 1
; AccumOffset: 4
; Occupancy: 8
; WaveLimiterHint : 0
; COMPUTE_PGM_RSRC2:SCRATCH_EN: 0
; COMPUTE_PGM_RSRC2:USER_SGPR: 2
; COMPUTE_PGM_RSRC2:TRAP_HANDLER: 0
; COMPUTE_PGM_RSRC2:TGID_X_EN: 1
; COMPUTE_PGM_RSRC2:TGID_Y_EN: 0
; COMPUTE_PGM_RSRC2:TGID_Z_EN: 0
; COMPUTE_PGM_RSRC2:TIDIG_COMP_CNT: 0
; COMPUTE_PGM_RSRC3_GFX90A:ACCUM_OFFSET: 0
; COMPUTE_PGM_RSRC3_GFX90A:TG_SPLIT: 0
	.section	.text._ZN7rocprim17ROCPRIM_400000_NS6detail17trampoline_kernelINS0_14default_configENS1_35radix_sort_onesweep_config_selectorIiiEEZZNS1_29radix_sort_onesweep_iterationIS3_Lb1EN6thrust23THRUST_200600_302600_NS6detail15normal_iteratorINS8_10device_ptrIiEEEESD_SD_SD_jNS0_19identity_decomposerENS1_16block_id_wrapperIjLb0EEEEE10hipError_tT1_PNSt15iterator_traitsISI_E10value_typeET2_T3_PNSJ_ISO_E10value_typeET4_T5_PST_SU_PNS1_23onesweep_lookback_stateEbbT6_jjT7_P12ihipStream_tbENKUlT_T0_SI_SN_E_clISD_PiSD_S15_EEDaS11_S12_SI_SN_EUlS11_E_NS1_11comp_targetILNS1_3genE10ELNS1_11target_archE1201ELNS1_3gpuE5ELNS1_3repE0EEENS1_47radix_sort_onesweep_sort_config_static_selectorELNS0_4arch9wavefront6targetE1EEEvSI_,"axG",@progbits,_ZN7rocprim17ROCPRIM_400000_NS6detail17trampoline_kernelINS0_14default_configENS1_35radix_sort_onesweep_config_selectorIiiEEZZNS1_29radix_sort_onesweep_iterationIS3_Lb1EN6thrust23THRUST_200600_302600_NS6detail15normal_iteratorINS8_10device_ptrIiEEEESD_SD_SD_jNS0_19identity_decomposerENS1_16block_id_wrapperIjLb0EEEEE10hipError_tT1_PNSt15iterator_traitsISI_E10value_typeET2_T3_PNSJ_ISO_E10value_typeET4_T5_PST_SU_PNS1_23onesweep_lookback_stateEbbT6_jjT7_P12ihipStream_tbENKUlT_T0_SI_SN_E_clISD_PiSD_S15_EEDaS11_S12_SI_SN_EUlS11_E_NS1_11comp_targetILNS1_3genE10ELNS1_11target_archE1201ELNS1_3gpuE5ELNS1_3repE0EEENS1_47radix_sort_onesweep_sort_config_static_selectorELNS0_4arch9wavefront6targetE1EEEvSI_,comdat
	.protected	_ZN7rocprim17ROCPRIM_400000_NS6detail17trampoline_kernelINS0_14default_configENS1_35radix_sort_onesweep_config_selectorIiiEEZZNS1_29radix_sort_onesweep_iterationIS3_Lb1EN6thrust23THRUST_200600_302600_NS6detail15normal_iteratorINS8_10device_ptrIiEEEESD_SD_SD_jNS0_19identity_decomposerENS1_16block_id_wrapperIjLb0EEEEE10hipError_tT1_PNSt15iterator_traitsISI_E10value_typeET2_T3_PNSJ_ISO_E10value_typeET4_T5_PST_SU_PNS1_23onesweep_lookback_stateEbbT6_jjT7_P12ihipStream_tbENKUlT_T0_SI_SN_E_clISD_PiSD_S15_EEDaS11_S12_SI_SN_EUlS11_E_NS1_11comp_targetILNS1_3genE10ELNS1_11target_archE1201ELNS1_3gpuE5ELNS1_3repE0EEENS1_47radix_sort_onesweep_sort_config_static_selectorELNS0_4arch9wavefront6targetE1EEEvSI_ ; -- Begin function _ZN7rocprim17ROCPRIM_400000_NS6detail17trampoline_kernelINS0_14default_configENS1_35radix_sort_onesweep_config_selectorIiiEEZZNS1_29radix_sort_onesweep_iterationIS3_Lb1EN6thrust23THRUST_200600_302600_NS6detail15normal_iteratorINS8_10device_ptrIiEEEESD_SD_SD_jNS0_19identity_decomposerENS1_16block_id_wrapperIjLb0EEEEE10hipError_tT1_PNSt15iterator_traitsISI_E10value_typeET2_T3_PNSJ_ISO_E10value_typeET4_T5_PST_SU_PNS1_23onesweep_lookback_stateEbbT6_jjT7_P12ihipStream_tbENKUlT_T0_SI_SN_E_clISD_PiSD_S15_EEDaS11_S12_SI_SN_EUlS11_E_NS1_11comp_targetILNS1_3genE10ELNS1_11target_archE1201ELNS1_3gpuE5ELNS1_3repE0EEENS1_47radix_sort_onesweep_sort_config_static_selectorELNS0_4arch9wavefront6targetE1EEEvSI_
	.globl	_ZN7rocprim17ROCPRIM_400000_NS6detail17trampoline_kernelINS0_14default_configENS1_35radix_sort_onesweep_config_selectorIiiEEZZNS1_29radix_sort_onesweep_iterationIS3_Lb1EN6thrust23THRUST_200600_302600_NS6detail15normal_iteratorINS8_10device_ptrIiEEEESD_SD_SD_jNS0_19identity_decomposerENS1_16block_id_wrapperIjLb0EEEEE10hipError_tT1_PNSt15iterator_traitsISI_E10value_typeET2_T3_PNSJ_ISO_E10value_typeET4_T5_PST_SU_PNS1_23onesweep_lookback_stateEbbT6_jjT7_P12ihipStream_tbENKUlT_T0_SI_SN_E_clISD_PiSD_S15_EEDaS11_S12_SI_SN_EUlS11_E_NS1_11comp_targetILNS1_3genE10ELNS1_11target_archE1201ELNS1_3gpuE5ELNS1_3repE0EEENS1_47radix_sort_onesweep_sort_config_static_selectorELNS0_4arch9wavefront6targetE1EEEvSI_
	.p2align	8
	.type	_ZN7rocprim17ROCPRIM_400000_NS6detail17trampoline_kernelINS0_14default_configENS1_35radix_sort_onesweep_config_selectorIiiEEZZNS1_29radix_sort_onesweep_iterationIS3_Lb1EN6thrust23THRUST_200600_302600_NS6detail15normal_iteratorINS8_10device_ptrIiEEEESD_SD_SD_jNS0_19identity_decomposerENS1_16block_id_wrapperIjLb0EEEEE10hipError_tT1_PNSt15iterator_traitsISI_E10value_typeET2_T3_PNSJ_ISO_E10value_typeET4_T5_PST_SU_PNS1_23onesweep_lookback_stateEbbT6_jjT7_P12ihipStream_tbENKUlT_T0_SI_SN_E_clISD_PiSD_S15_EEDaS11_S12_SI_SN_EUlS11_E_NS1_11comp_targetILNS1_3genE10ELNS1_11target_archE1201ELNS1_3gpuE5ELNS1_3repE0EEENS1_47radix_sort_onesweep_sort_config_static_selectorELNS0_4arch9wavefront6targetE1EEEvSI_,@function
_ZN7rocprim17ROCPRIM_400000_NS6detail17trampoline_kernelINS0_14default_configENS1_35radix_sort_onesweep_config_selectorIiiEEZZNS1_29radix_sort_onesweep_iterationIS3_Lb1EN6thrust23THRUST_200600_302600_NS6detail15normal_iteratorINS8_10device_ptrIiEEEESD_SD_SD_jNS0_19identity_decomposerENS1_16block_id_wrapperIjLb0EEEEE10hipError_tT1_PNSt15iterator_traitsISI_E10value_typeET2_T3_PNSJ_ISO_E10value_typeET4_T5_PST_SU_PNS1_23onesweep_lookback_stateEbbT6_jjT7_P12ihipStream_tbENKUlT_T0_SI_SN_E_clISD_PiSD_S15_EEDaS11_S12_SI_SN_EUlS11_E_NS1_11comp_targetILNS1_3genE10ELNS1_11target_archE1201ELNS1_3gpuE5ELNS1_3repE0EEENS1_47radix_sort_onesweep_sort_config_static_selectorELNS0_4arch9wavefront6targetE1EEEvSI_: ; @_ZN7rocprim17ROCPRIM_400000_NS6detail17trampoline_kernelINS0_14default_configENS1_35radix_sort_onesweep_config_selectorIiiEEZZNS1_29radix_sort_onesweep_iterationIS3_Lb1EN6thrust23THRUST_200600_302600_NS6detail15normal_iteratorINS8_10device_ptrIiEEEESD_SD_SD_jNS0_19identity_decomposerENS1_16block_id_wrapperIjLb0EEEEE10hipError_tT1_PNSt15iterator_traitsISI_E10value_typeET2_T3_PNSJ_ISO_E10value_typeET4_T5_PST_SU_PNS1_23onesweep_lookback_stateEbbT6_jjT7_P12ihipStream_tbENKUlT_T0_SI_SN_E_clISD_PiSD_S15_EEDaS11_S12_SI_SN_EUlS11_E_NS1_11comp_targetILNS1_3genE10ELNS1_11target_archE1201ELNS1_3gpuE5ELNS1_3repE0EEENS1_47radix_sort_onesweep_sort_config_static_selectorELNS0_4arch9wavefront6targetE1EEEvSI_
; %bb.0:
	.section	.rodata,"a",@progbits
	.p2align	6, 0x0
	.amdhsa_kernel _ZN7rocprim17ROCPRIM_400000_NS6detail17trampoline_kernelINS0_14default_configENS1_35radix_sort_onesweep_config_selectorIiiEEZZNS1_29radix_sort_onesweep_iterationIS3_Lb1EN6thrust23THRUST_200600_302600_NS6detail15normal_iteratorINS8_10device_ptrIiEEEESD_SD_SD_jNS0_19identity_decomposerENS1_16block_id_wrapperIjLb0EEEEE10hipError_tT1_PNSt15iterator_traitsISI_E10value_typeET2_T3_PNSJ_ISO_E10value_typeET4_T5_PST_SU_PNS1_23onesweep_lookback_stateEbbT6_jjT7_P12ihipStream_tbENKUlT_T0_SI_SN_E_clISD_PiSD_S15_EEDaS11_S12_SI_SN_EUlS11_E_NS1_11comp_targetILNS1_3genE10ELNS1_11target_archE1201ELNS1_3gpuE5ELNS1_3repE0EEENS1_47radix_sort_onesweep_sort_config_static_selectorELNS0_4arch9wavefront6targetE1EEEvSI_
		.amdhsa_group_segment_fixed_size 0
		.amdhsa_private_segment_fixed_size 0
		.amdhsa_kernarg_size 88
		.amdhsa_user_sgpr_count 2
		.amdhsa_user_sgpr_dispatch_ptr 0
		.amdhsa_user_sgpr_queue_ptr 0
		.amdhsa_user_sgpr_kernarg_segment_ptr 1
		.amdhsa_user_sgpr_dispatch_id 0
		.amdhsa_user_sgpr_kernarg_preload_length 0
		.amdhsa_user_sgpr_kernarg_preload_offset 0
		.amdhsa_user_sgpr_private_segment_size 0
		.amdhsa_uses_dynamic_stack 0
		.amdhsa_enable_private_segment 0
		.amdhsa_system_sgpr_workgroup_id_x 1
		.amdhsa_system_sgpr_workgroup_id_y 0
		.amdhsa_system_sgpr_workgroup_id_z 0
		.amdhsa_system_sgpr_workgroup_info 0
		.amdhsa_system_vgpr_workitem_id 0
		.amdhsa_next_free_vgpr 1
		.amdhsa_next_free_sgpr 0
		.amdhsa_accum_offset 4
		.amdhsa_reserve_vcc 0
		.amdhsa_float_round_mode_32 0
		.amdhsa_float_round_mode_16_64 0
		.amdhsa_float_denorm_mode_32 3
		.amdhsa_float_denorm_mode_16_64 3
		.amdhsa_dx10_clamp 1
		.amdhsa_ieee_mode 1
		.amdhsa_fp16_overflow 0
		.amdhsa_tg_split 0
		.amdhsa_exception_fp_ieee_invalid_op 0
		.amdhsa_exception_fp_denorm_src 0
		.amdhsa_exception_fp_ieee_div_zero 0
		.amdhsa_exception_fp_ieee_overflow 0
		.amdhsa_exception_fp_ieee_underflow 0
		.amdhsa_exception_fp_ieee_inexact 0
		.amdhsa_exception_int_div_zero 0
	.end_amdhsa_kernel
	.section	.text._ZN7rocprim17ROCPRIM_400000_NS6detail17trampoline_kernelINS0_14default_configENS1_35radix_sort_onesweep_config_selectorIiiEEZZNS1_29radix_sort_onesweep_iterationIS3_Lb1EN6thrust23THRUST_200600_302600_NS6detail15normal_iteratorINS8_10device_ptrIiEEEESD_SD_SD_jNS0_19identity_decomposerENS1_16block_id_wrapperIjLb0EEEEE10hipError_tT1_PNSt15iterator_traitsISI_E10value_typeET2_T3_PNSJ_ISO_E10value_typeET4_T5_PST_SU_PNS1_23onesweep_lookback_stateEbbT6_jjT7_P12ihipStream_tbENKUlT_T0_SI_SN_E_clISD_PiSD_S15_EEDaS11_S12_SI_SN_EUlS11_E_NS1_11comp_targetILNS1_3genE10ELNS1_11target_archE1201ELNS1_3gpuE5ELNS1_3repE0EEENS1_47radix_sort_onesweep_sort_config_static_selectorELNS0_4arch9wavefront6targetE1EEEvSI_,"axG",@progbits,_ZN7rocprim17ROCPRIM_400000_NS6detail17trampoline_kernelINS0_14default_configENS1_35radix_sort_onesweep_config_selectorIiiEEZZNS1_29radix_sort_onesweep_iterationIS3_Lb1EN6thrust23THRUST_200600_302600_NS6detail15normal_iteratorINS8_10device_ptrIiEEEESD_SD_SD_jNS0_19identity_decomposerENS1_16block_id_wrapperIjLb0EEEEE10hipError_tT1_PNSt15iterator_traitsISI_E10value_typeET2_T3_PNSJ_ISO_E10value_typeET4_T5_PST_SU_PNS1_23onesweep_lookback_stateEbbT6_jjT7_P12ihipStream_tbENKUlT_T0_SI_SN_E_clISD_PiSD_S15_EEDaS11_S12_SI_SN_EUlS11_E_NS1_11comp_targetILNS1_3genE10ELNS1_11target_archE1201ELNS1_3gpuE5ELNS1_3repE0EEENS1_47radix_sort_onesweep_sort_config_static_selectorELNS0_4arch9wavefront6targetE1EEEvSI_,comdat
.Lfunc_end1041:
	.size	_ZN7rocprim17ROCPRIM_400000_NS6detail17trampoline_kernelINS0_14default_configENS1_35radix_sort_onesweep_config_selectorIiiEEZZNS1_29radix_sort_onesweep_iterationIS3_Lb1EN6thrust23THRUST_200600_302600_NS6detail15normal_iteratorINS8_10device_ptrIiEEEESD_SD_SD_jNS0_19identity_decomposerENS1_16block_id_wrapperIjLb0EEEEE10hipError_tT1_PNSt15iterator_traitsISI_E10value_typeET2_T3_PNSJ_ISO_E10value_typeET4_T5_PST_SU_PNS1_23onesweep_lookback_stateEbbT6_jjT7_P12ihipStream_tbENKUlT_T0_SI_SN_E_clISD_PiSD_S15_EEDaS11_S12_SI_SN_EUlS11_E_NS1_11comp_targetILNS1_3genE10ELNS1_11target_archE1201ELNS1_3gpuE5ELNS1_3repE0EEENS1_47radix_sort_onesweep_sort_config_static_selectorELNS0_4arch9wavefront6targetE1EEEvSI_, .Lfunc_end1041-_ZN7rocprim17ROCPRIM_400000_NS6detail17trampoline_kernelINS0_14default_configENS1_35radix_sort_onesweep_config_selectorIiiEEZZNS1_29radix_sort_onesweep_iterationIS3_Lb1EN6thrust23THRUST_200600_302600_NS6detail15normal_iteratorINS8_10device_ptrIiEEEESD_SD_SD_jNS0_19identity_decomposerENS1_16block_id_wrapperIjLb0EEEEE10hipError_tT1_PNSt15iterator_traitsISI_E10value_typeET2_T3_PNSJ_ISO_E10value_typeET4_T5_PST_SU_PNS1_23onesweep_lookback_stateEbbT6_jjT7_P12ihipStream_tbENKUlT_T0_SI_SN_E_clISD_PiSD_S15_EEDaS11_S12_SI_SN_EUlS11_E_NS1_11comp_targetILNS1_3genE10ELNS1_11target_archE1201ELNS1_3gpuE5ELNS1_3repE0EEENS1_47radix_sort_onesweep_sort_config_static_selectorELNS0_4arch9wavefront6targetE1EEEvSI_
                                        ; -- End function
	.set _ZN7rocprim17ROCPRIM_400000_NS6detail17trampoline_kernelINS0_14default_configENS1_35radix_sort_onesweep_config_selectorIiiEEZZNS1_29radix_sort_onesweep_iterationIS3_Lb1EN6thrust23THRUST_200600_302600_NS6detail15normal_iteratorINS8_10device_ptrIiEEEESD_SD_SD_jNS0_19identity_decomposerENS1_16block_id_wrapperIjLb0EEEEE10hipError_tT1_PNSt15iterator_traitsISI_E10value_typeET2_T3_PNSJ_ISO_E10value_typeET4_T5_PST_SU_PNS1_23onesweep_lookback_stateEbbT6_jjT7_P12ihipStream_tbENKUlT_T0_SI_SN_E_clISD_PiSD_S15_EEDaS11_S12_SI_SN_EUlS11_E_NS1_11comp_targetILNS1_3genE10ELNS1_11target_archE1201ELNS1_3gpuE5ELNS1_3repE0EEENS1_47radix_sort_onesweep_sort_config_static_selectorELNS0_4arch9wavefront6targetE1EEEvSI_.num_vgpr, 0
	.set _ZN7rocprim17ROCPRIM_400000_NS6detail17trampoline_kernelINS0_14default_configENS1_35radix_sort_onesweep_config_selectorIiiEEZZNS1_29radix_sort_onesweep_iterationIS3_Lb1EN6thrust23THRUST_200600_302600_NS6detail15normal_iteratorINS8_10device_ptrIiEEEESD_SD_SD_jNS0_19identity_decomposerENS1_16block_id_wrapperIjLb0EEEEE10hipError_tT1_PNSt15iterator_traitsISI_E10value_typeET2_T3_PNSJ_ISO_E10value_typeET4_T5_PST_SU_PNS1_23onesweep_lookback_stateEbbT6_jjT7_P12ihipStream_tbENKUlT_T0_SI_SN_E_clISD_PiSD_S15_EEDaS11_S12_SI_SN_EUlS11_E_NS1_11comp_targetILNS1_3genE10ELNS1_11target_archE1201ELNS1_3gpuE5ELNS1_3repE0EEENS1_47radix_sort_onesweep_sort_config_static_selectorELNS0_4arch9wavefront6targetE1EEEvSI_.num_agpr, 0
	.set _ZN7rocprim17ROCPRIM_400000_NS6detail17trampoline_kernelINS0_14default_configENS1_35radix_sort_onesweep_config_selectorIiiEEZZNS1_29radix_sort_onesweep_iterationIS3_Lb1EN6thrust23THRUST_200600_302600_NS6detail15normal_iteratorINS8_10device_ptrIiEEEESD_SD_SD_jNS0_19identity_decomposerENS1_16block_id_wrapperIjLb0EEEEE10hipError_tT1_PNSt15iterator_traitsISI_E10value_typeET2_T3_PNSJ_ISO_E10value_typeET4_T5_PST_SU_PNS1_23onesweep_lookback_stateEbbT6_jjT7_P12ihipStream_tbENKUlT_T0_SI_SN_E_clISD_PiSD_S15_EEDaS11_S12_SI_SN_EUlS11_E_NS1_11comp_targetILNS1_3genE10ELNS1_11target_archE1201ELNS1_3gpuE5ELNS1_3repE0EEENS1_47radix_sort_onesweep_sort_config_static_selectorELNS0_4arch9wavefront6targetE1EEEvSI_.numbered_sgpr, 0
	.set _ZN7rocprim17ROCPRIM_400000_NS6detail17trampoline_kernelINS0_14default_configENS1_35radix_sort_onesweep_config_selectorIiiEEZZNS1_29radix_sort_onesweep_iterationIS3_Lb1EN6thrust23THRUST_200600_302600_NS6detail15normal_iteratorINS8_10device_ptrIiEEEESD_SD_SD_jNS0_19identity_decomposerENS1_16block_id_wrapperIjLb0EEEEE10hipError_tT1_PNSt15iterator_traitsISI_E10value_typeET2_T3_PNSJ_ISO_E10value_typeET4_T5_PST_SU_PNS1_23onesweep_lookback_stateEbbT6_jjT7_P12ihipStream_tbENKUlT_T0_SI_SN_E_clISD_PiSD_S15_EEDaS11_S12_SI_SN_EUlS11_E_NS1_11comp_targetILNS1_3genE10ELNS1_11target_archE1201ELNS1_3gpuE5ELNS1_3repE0EEENS1_47radix_sort_onesweep_sort_config_static_selectorELNS0_4arch9wavefront6targetE1EEEvSI_.num_named_barrier, 0
	.set _ZN7rocprim17ROCPRIM_400000_NS6detail17trampoline_kernelINS0_14default_configENS1_35radix_sort_onesweep_config_selectorIiiEEZZNS1_29radix_sort_onesweep_iterationIS3_Lb1EN6thrust23THRUST_200600_302600_NS6detail15normal_iteratorINS8_10device_ptrIiEEEESD_SD_SD_jNS0_19identity_decomposerENS1_16block_id_wrapperIjLb0EEEEE10hipError_tT1_PNSt15iterator_traitsISI_E10value_typeET2_T3_PNSJ_ISO_E10value_typeET4_T5_PST_SU_PNS1_23onesweep_lookback_stateEbbT6_jjT7_P12ihipStream_tbENKUlT_T0_SI_SN_E_clISD_PiSD_S15_EEDaS11_S12_SI_SN_EUlS11_E_NS1_11comp_targetILNS1_3genE10ELNS1_11target_archE1201ELNS1_3gpuE5ELNS1_3repE0EEENS1_47radix_sort_onesweep_sort_config_static_selectorELNS0_4arch9wavefront6targetE1EEEvSI_.private_seg_size, 0
	.set _ZN7rocprim17ROCPRIM_400000_NS6detail17trampoline_kernelINS0_14default_configENS1_35radix_sort_onesweep_config_selectorIiiEEZZNS1_29radix_sort_onesweep_iterationIS3_Lb1EN6thrust23THRUST_200600_302600_NS6detail15normal_iteratorINS8_10device_ptrIiEEEESD_SD_SD_jNS0_19identity_decomposerENS1_16block_id_wrapperIjLb0EEEEE10hipError_tT1_PNSt15iterator_traitsISI_E10value_typeET2_T3_PNSJ_ISO_E10value_typeET4_T5_PST_SU_PNS1_23onesweep_lookback_stateEbbT6_jjT7_P12ihipStream_tbENKUlT_T0_SI_SN_E_clISD_PiSD_S15_EEDaS11_S12_SI_SN_EUlS11_E_NS1_11comp_targetILNS1_3genE10ELNS1_11target_archE1201ELNS1_3gpuE5ELNS1_3repE0EEENS1_47radix_sort_onesweep_sort_config_static_selectorELNS0_4arch9wavefront6targetE1EEEvSI_.uses_vcc, 0
	.set _ZN7rocprim17ROCPRIM_400000_NS6detail17trampoline_kernelINS0_14default_configENS1_35radix_sort_onesweep_config_selectorIiiEEZZNS1_29radix_sort_onesweep_iterationIS3_Lb1EN6thrust23THRUST_200600_302600_NS6detail15normal_iteratorINS8_10device_ptrIiEEEESD_SD_SD_jNS0_19identity_decomposerENS1_16block_id_wrapperIjLb0EEEEE10hipError_tT1_PNSt15iterator_traitsISI_E10value_typeET2_T3_PNSJ_ISO_E10value_typeET4_T5_PST_SU_PNS1_23onesweep_lookback_stateEbbT6_jjT7_P12ihipStream_tbENKUlT_T0_SI_SN_E_clISD_PiSD_S15_EEDaS11_S12_SI_SN_EUlS11_E_NS1_11comp_targetILNS1_3genE10ELNS1_11target_archE1201ELNS1_3gpuE5ELNS1_3repE0EEENS1_47radix_sort_onesweep_sort_config_static_selectorELNS0_4arch9wavefront6targetE1EEEvSI_.uses_flat_scratch, 0
	.set _ZN7rocprim17ROCPRIM_400000_NS6detail17trampoline_kernelINS0_14default_configENS1_35radix_sort_onesweep_config_selectorIiiEEZZNS1_29radix_sort_onesweep_iterationIS3_Lb1EN6thrust23THRUST_200600_302600_NS6detail15normal_iteratorINS8_10device_ptrIiEEEESD_SD_SD_jNS0_19identity_decomposerENS1_16block_id_wrapperIjLb0EEEEE10hipError_tT1_PNSt15iterator_traitsISI_E10value_typeET2_T3_PNSJ_ISO_E10value_typeET4_T5_PST_SU_PNS1_23onesweep_lookback_stateEbbT6_jjT7_P12ihipStream_tbENKUlT_T0_SI_SN_E_clISD_PiSD_S15_EEDaS11_S12_SI_SN_EUlS11_E_NS1_11comp_targetILNS1_3genE10ELNS1_11target_archE1201ELNS1_3gpuE5ELNS1_3repE0EEENS1_47radix_sort_onesweep_sort_config_static_selectorELNS0_4arch9wavefront6targetE1EEEvSI_.has_dyn_sized_stack, 0
	.set _ZN7rocprim17ROCPRIM_400000_NS6detail17trampoline_kernelINS0_14default_configENS1_35radix_sort_onesweep_config_selectorIiiEEZZNS1_29radix_sort_onesweep_iterationIS3_Lb1EN6thrust23THRUST_200600_302600_NS6detail15normal_iteratorINS8_10device_ptrIiEEEESD_SD_SD_jNS0_19identity_decomposerENS1_16block_id_wrapperIjLb0EEEEE10hipError_tT1_PNSt15iterator_traitsISI_E10value_typeET2_T3_PNSJ_ISO_E10value_typeET4_T5_PST_SU_PNS1_23onesweep_lookback_stateEbbT6_jjT7_P12ihipStream_tbENKUlT_T0_SI_SN_E_clISD_PiSD_S15_EEDaS11_S12_SI_SN_EUlS11_E_NS1_11comp_targetILNS1_3genE10ELNS1_11target_archE1201ELNS1_3gpuE5ELNS1_3repE0EEENS1_47radix_sort_onesweep_sort_config_static_selectorELNS0_4arch9wavefront6targetE1EEEvSI_.has_recursion, 0
	.set _ZN7rocprim17ROCPRIM_400000_NS6detail17trampoline_kernelINS0_14default_configENS1_35radix_sort_onesweep_config_selectorIiiEEZZNS1_29radix_sort_onesweep_iterationIS3_Lb1EN6thrust23THRUST_200600_302600_NS6detail15normal_iteratorINS8_10device_ptrIiEEEESD_SD_SD_jNS0_19identity_decomposerENS1_16block_id_wrapperIjLb0EEEEE10hipError_tT1_PNSt15iterator_traitsISI_E10value_typeET2_T3_PNSJ_ISO_E10value_typeET4_T5_PST_SU_PNS1_23onesweep_lookback_stateEbbT6_jjT7_P12ihipStream_tbENKUlT_T0_SI_SN_E_clISD_PiSD_S15_EEDaS11_S12_SI_SN_EUlS11_E_NS1_11comp_targetILNS1_3genE10ELNS1_11target_archE1201ELNS1_3gpuE5ELNS1_3repE0EEENS1_47radix_sort_onesweep_sort_config_static_selectorELNS0_4arch9wavefront6targetE1EEEvSI_.has_indirect_call, 0
	.section	.AMDGPU.csdata,"",@progbits
; Kernel info:
; codeLenInByte = 0
; TotalNumSgprs: 6
; NumVgprs: 0
; NumAgprs: 0
; TotalNumVgprs: 0
; ScratchSize: 0
; MemoryBound: 0
; FloatMode: 240
; IeeeMode: 1
; LDSByteSize: 0 bytes/workgroup (compile time only)
; SGPRBlocks: 0
; VGPRBlocks: 0
; NumSGPRsForWavesPerEU: 6
; NumVGPRsForWavesPerEU: 1
; AccumOffset: 4
; Occupancy: 8
; WaveLimiterHint : 0
; COMPUTE_PGM_RSRC2:SCRATCH_EN: 0
; COMPUTE_PGM_RSRC2:USER_SGPR: 2
; COMPUTE_PGM_RSRC2:TRAP_HANDLER: 0
; COMPUTE_PGM_RSRC2:TGID_X_EN: 1
; COMPUTE_PGM_RSRC2:TGID_Y_EN: 0
; COMPUTE_PGM_RSRC2:TGID_Z_EN: 0
; COMPUTE_PGM_RSRC2:TIDIG_COMP_CNT: 0
; COMPUTE_PGM_RSRC3_GFX90A:ACCUM_OFFSET: 0
; COMPUTE_PGM_RSRC3_GFX90A:TG_SPLIT: 0
	.section	.text._ZN7rocprim17ROCPRIM_400000_NS6detail17trampoline_kernelINS0_14default_configENS1_35radix_sort_onesweep_config_selectorIiiEEZZNS1_29radix_sort_onesweep_iterationIS3_Lb1EN6thrust23THRUST_200600_302600_NS6detail15normal_iteratorINS8_10device_ptrIiEEEESD_SD_SD_jNS0_19identity_decomposerENS1_16block_id_wrapperIjLb0EEEEE10hipError_tT1_PNSt15iterator_traitsISI_E10value_typeET2_T3_PNSJ_ISO_E10value_typeET4_T5_PST_SU_PNS1_23onesweep_lookback_stateEbbT6_jjT7_P12ihipStream_tbENKUlT_T0_SI_SN_E_clISD_PiSD_S15_EEDaS11_S12_SI_SN_EUlS11_E_NS1_11comp_targetILNS1_3genE9ELNS1_11target_archE1100ELNS1_3gpuE3ELNS1_3repE0EEENS1_47radix_sort_onesweep_sort_config_static_selectorELNS0_4arch9wavefront6targetE1EEEvSI_,"axG",@progbits,_ZN7rocprim17ROCPRIM_400000_NS6detail17trampoline_kernelINS0_14default_configENS1_35radix_sort_onesweep_config_selectorIiiEEZZNS1_29radix_sort_onesweep_iterationIS3_Lb1EN6thrust23THRUST_200600_302600_NS6detail15normal_iteratorINS8_10device_ptrIiEEEESD_SD_SD_jNS0_19identity_decomposerENS1_16block_id_wrapperIjLb0EEEEE10hipError_tT1_PNSt15iterator_traitsISI_E10value_typeET2_T3_PNSJ_ISO_E10value_typeET4_T5_PST_SU_PNS1_23onesweep_lookback_stateEbbT6_jjT7_P12ihipStream_tbENKUlT_T0_SI_SN_E_clISD_PiSD_S15_EEDaS11_S12_SI_SN_EUlS11_E_NS1_11comp_targetILNS1_3genE9ELNS1_11target_archE1100ELNS1_3gpuE3ELNS1_3repE0EEENS1_47radix_sort_onesweep_sort_config_static_selectorELNS0_4arch9wavefront6targetE1EEEvSI_,comdat
	.protected	_ZN7rocprim17ROCPRIM_400000_NS6detail17trampoline_kernelINS0_14default_configENS1_35radix_sort_onesweep_config_selectorIiiEEZZNS1_29radix_sort_onesweep_iterationIS3_Lb1EN6thrust23THRUST_200600_302600_NS6detail15normal_iteratorINS8_10device_ptrIiEEEESD_SD_SD_jNS0_19identity_decomposerENS1_16block_id_wrapperIjLb0EEEEE10hipError_tT1_PNSt15iterator_traitsISI_E10value_typeET2_T3_PNSJ_ISO_E10value_typeET4_T5_PST_SU_PNS1_23onesweep_lookback_stateEbbT6_jjT7_P12ihipStream_tbENKUlT_T0_SI_SN_E_clISD_PiSD_S15_EEDaS11_S12_SI_SN_EUlS11_E_NS1_11comp_targetILNS1_3genE9ELNS1_11target_archE1100ELNS1_3gpuE3ELNS1_3repE0EEENS1_47radix_sort_onesweep_sort_config_static_selectorELNS0_4arch9wavefront6targetE1EEEvSI_ ; -- Begin function _ZN7rocprim17ROCPRIM_400000_NS6detail17trampoline_kernelINS0_14default_configENS1_35radix_sort_onesweep_config_selectorIiiEEZZNS1_29radix_sort_onesweep_iterationIS3_Lb1EN6thrust23THRUST_200600_302600_NS6detail15normal_iteratorINS8_10device_ptrIiEEEESD_SD_SD_jNS0_19identity_decomposerENS1_16block_id_wrapperIjLb0EEEEE10hipError_tT1_PNSt15iterator_traitsISI_E10value_typeET2_T3_PNSJ_ISO_E10value_typeET4_T5_PST_SU_PNS1_23onesweep_lookback_stateEbbT6_jjT7_P12ihipStream_tbENKUlT_T0_SI_SN_E_clISD_PiSD_S15_EEDaS11_S12_SI_SN_EUlS11_E_NS1_11comp_targetILNS1_3genE9ELNS1_11target_archE1100ELNS1_3gpuE3ELNS1_3repE0EEENS1_47radix_sort_onesweep_sort_config_static_selectorELNS0_4arch9wavefront6targetE1EEEvSI_
	.globl	_ZN7rocprim17ROCPRIM_400000_NS6detail17trampoline_kernelINS0_14default_configENS1_35radix_sort_onesweep_config_selectorIiiEEZZNS1_29radix_sort_onesweep_iterationIS3_Lb1EN6thrust23THRUST_200600_302600_NS6detail15normal_iteratorINS8_10device_ptrIiEEEESD_SD_SD_jNS0_19identity_decomposerENS1_16block_id_wrapperIjLb0EEEEE10hipError_tT1_PNSt15iterator_traitsISI_E10value_typeET2_T3_PNSJ_ISO_E10value_typeET4_T5_PST_SU_PNS1_23onesweep_lookback_stateEbbT6_jjT7_P12ihipStream_tbENKUlT_T0_SI_SN_E_clISD_PiSD_S15_EEDaS11_S12_SI_SN_EUlS11_E_NS1_11comp_targetILNS1_3genE9ELNS1_11target_archE1100ELNS1_3gpuE3ELNS1_3repE0EEENS1_47radix_sort_onesweep_sort_config_static_selectorELNS0_4arch9wavefront6targetE1EEEvSI_
	.p2align	8
	.type	_ZN7rocprim17ROCPRIM_400000_NS6detail17trampoline_kernelINS0_14default_configENS1_35radix_sort_onesweep_config_selectorIiiEEZZNS1_29radix_sort_onesweep_iterationIS3_Lb1EN6thrust23THRUST_200600_302600_NS6detail15normal_iteratorINS8_10device_ptrIiEEEESD_SD_SD_jNS0_19identity_decomposerENS1_16block_id_wrapperIjLb0EEEEE10hipError_tT1_PNSt15iterator_traitsISI_E10value_typeET2_T3_PNSJ_ISO_E10value_typeET4_T5_PST_SU_PNS1_23onesweep_lookback_stateEbbT6_jjT7_P12ihipStream_tbENKUlT_T0_SI_SN_E_clISD_PiSD_S15_EEDaS11_S12_SI_SN_EUlS11_E_NS1_11comp_targetILNS1_3genE9ELNS1_11target_archE1100ELNS1_3gpuE3ELNS1_3repE0EEENS1_47radix_sort_onesweep_sort_config_static_selectorELNS0_4arch9wavefront6targetE1EEEvSI_,@function
_ZN7rocprim17ROCPRIM_400000_NS6detail17trampoline_kernelINS0_14default_configENS1_35radix_sort_onesweep_config_selectorIiiEEZZNS1_29radix_sort_onesweep_iterationIS3_Lb1EN6thrust23THRUST_200600_302600_NS6detail15normal_iteratorINS8_10device_ptrIiEEEESD_SD_SD_jNS0_19identity_decomposerENS1_16block_id_wrapperIjLb0EEEEE10hipError_tT1_PNSt15iterator_traitsISI_E10value_typeET2_T3_PNSJ_ISO_E10value_typeET4_T5_PST_SU_PNS1_23onesweep_lookback_stateEbbT6_jjT7_P12ihipStream_tbENKUlT_T0_SI_SN_E_clISD_PiSD_S15_EEDaS11_S12_SI_SN_EUlS11_E_NS1_11comp_targetILNS1_3genE9ELNS1_11target_archE1100ELNS1_3gpuE3ELNS1_3repE0EEENS1_47radix_sort_onesweep_sort_config_static_selectorELNS0_4arch9wavefront6targetE1EEEvSI_: ; @_ZN7rocprim17ROCPRIM_400000_NS6detail17trampoline_kernelINS0_14default_configENS1_35radix_sort_onesweep_config_selectorIiiEEZZNS1_29radix_sort_onesweep_iterationIS3_Lb1EN6thrust23THRUST_200600_302600_NS6detail15normal_iteratorINS8_10device_ptrIiEEEESD_SD_SD_jNS0_19identity_decomposerENS1_16block_id_wrapperIjLb0EEEEE10hipError_tT1_PNSt15iterator_traitsISI_E10value_typeET2_T3_PNSJ_ISO_E10value_typeET4_T5_PST_SU_PNS1_23onesweep_lookback_stateEbbT6_jjT7_P12ihipStream_tbENKUlT_T0_SI_SN_E_clISD_PiSD_S15_EEDaS11_S12_SI_SN_EUlS11_E_NS1_11comp_targetILNS1_3genE9ELNS1_11target_archE1100ELNS1_3gpuE3ELNS1_3repE0EEENS1_47radix_sort_onesweep_sort_config_static_selectorELNS0_4arch9wavefront6targetE1EEEvSI_
; %bb.0:
	.section	.rodata,"a",@progbits
	.p2align	6, 0x0
	.amdhsa_kernel _ZN7rocprim17ROCPRIM_400000_NS6detail17trampoline_kernelINS0_14default_configENS1_35radix_sort_onesweep_config_selectorIiiEEZZNS1_29radix_sort_onesweep_iterationIS3_Lb1EN6thrust23THRUST_200600_302600_NS6detail15normal_iteratorINS8_10device_ptrIiEEEESD_SD_SD_jNS0_19identity_decomposerENS1_16block_id_wrapperIjLb0EEEEE10hipError_tT1_PNSt15iterator_traitsISI_E10value_typeET2_T3_PNSJ_ISO_E10value_typeET4_T5_PST_SU_PNS1_23onesweep_lookback_stateEbbT6_jjT7_P12ihipStream_tbENKUlT_T0_SI_SN_E_clISD_PiSD_S15_EEDaS11_S12_SI_SN_EUlS11_E_NS1_11comp_targetILNS1_3genE9ELNS1_11target_archE1100ELNS1_3gpuE3ELNS1_3repE0EEENS1_47radix_sort_onesweep_sort_config_static_selectorELNS0_4arch9wavefront6targetE1EEEvSI_
		.amdhsa_group_segment_fixed_size 0
		.amdhsa_private_segment_fixed_size 0
		.amdhsa_kernarg_size 88
		.amdhsa_user_sgpr_count 2
		.amdhsa_user_sgpr_dispatch_ptr 0
		.amdhsa_user_sgpr_queue_ptr 0
		.amdhsa_user_sgpr_kernarg_segment_ptr 1
		.amdhsa_user_sgpr_dispatch_id 0
		.amdhsa_user_sgpr_kernarg_preload_length 0
		.amdhsa_user_sgpr_kernarg_preload_offset 0
		.amdhsa_user_sgpr_private_segment_size 0
		.amdhsa_uses_dynamic_stack 0
		.amdhsa_enable_private_segment 0
		.amdhsa_system_sgpr_workgroup_id_x 1
		.amdhsa_system_sgpr_workgroup_id_y 0
		.amdhsa_system_sgpr_workgroup_id_z 0
		.amdhsa_system_sgpr_workgroup_info 0
		.amdhsa_system_vgpr_workitem_id 0
		.amdhsa_next_free_vgpr 1
		.amdhsa_next_free_sgpr 0
		.amdhsa_accum_offset 4
		.amdhsa_reserve_vcc 0
		.amdhsa_float_round_mode_32 0
		.amdhsa_float_round_mode_16_64 0
		.amdhsa_float_denorm_mode_32 3
		.amdhsa_float_denorm_mode_16_64 3
		.amdhsa_dx10_clamp 1
		.amdhsa_ieee_mode 1
		.amdhsa_fp16_overflow 0
		.amdhsa_tg_split 0
		.amdhsa_exception_fp_ieee_invalid_op 0
		.amdhsa_exception_fp_denorm_src 0
		.amdhsa_exception_fp_ieee_div_zero 0
		.amdhsa_exception_fp_ieee_overflow 0
		.amdhsa_exception_fp_ieee_underflow 0
		.amdhsa_exception_fp_ieee_inexact 0
		.amdhsa_exception_int_div_zero 0
	.end_amdhsa_kernel
	.section	.text._ZN7rocprim17ROCPRIM_400000_NS6detail17trampoline_kernelINS0_14default_configENS1_35radix_sort_onesweep_config_selectorIiiEEZZNS1_29radix_sort_onesweep_iterationIS3_Lb1EN6thrust23THRUST_200600_302600_NS6detail15normal_iteratorINS8_10device_ptrIiEEEESD_SD_SD_jNS0_19identity_decomposerENS1_16block_id_wrapperIjLb0EEEEE10hipError_tT1_PNSt15iterator_traitsISI_E10value_typeET2_T3_PNSJ_ISO_E10value_typeET4_T5_PST_SU_PNS1_23onesweep_lookback_stateEbbT6_jjT7_P12ihipStream_tbENKUlT_T0_SI_SN_E_clISD_PiSD_S15_EEDaS11_S12_SI_SN_EUlS11_E_NS1_11comp_targetILNS1_3genE9ELNS1_11target_archE1100ELNS1_3gpuE3ELNS1_3repE0EEENS1_47radix_sort_onesweep_sort_config_static_selectorELNS0_4arch9wavefront6targetE1EEEvSI_,"axG",@progbits,_ZN7rocprim17ROCPRIM_400000_NS6detail17trampoline_kernelINS0_14default_configENS1_35radix_sort_onesweep_config_selectorIiiEEZZNS1_29radix_sort_onesweep_iterationIS3_Lb1EN6thrust23THRUST_200600_302600_NS6detail15normal_iteratorINS8_10device_ptrIiEEEESD_SD_SD_jNS0_19identity_decomposerENS1_16block_id_wrapperIjLb0EEEEE10hipError_tT1_PNSt15iterator_traitsISI_E10value_typeET2_T3_PNSJ_ISO_E10value_typeET4_T5_PST_SU_PNS1_23onesweep_lookback_stateEbbT6_jjT7_P12ihipStream_tbENKUlT_T0_SI_SN_E_clISD_PiSD_S15_EEDaS11_S12_SI_SN_EUlS11_E_NS1_11comp_targetILNS1_3genE9ELNS1_11target_archE1100ELNS1_3gpuE3ELNS1_3repE0EEENS1_47radix_sort_onesweep_sort_config_static_selectorELNS0_4arch9wavefront6targetE1EEEvSI_,comdat
.Lfunc_end1042:
	.size	_ZN7rocprim17ROCPRIM_400000_NS6detail17trampoline_kernelINS0_14default_configENS1_35radix_sort_onesweep_config_selectorIiiEEZZNS1_29radix_sort_onesweep_iterationIS3_Lb1EN6thrust23THRUST_200600_302600_NS6detail15normal_iteratorINS8_10device_ptrIiEEEESD_SD_SD_jNS0_19identity_decomposerENS1_16block_id_wrapperIjLb0EEEEE10hipError_tT1_PNSt15iterator_traitsISI_E10value_typeET2_T3_PNSJ_ISO_E10value_typeET4_T5_PST_SU_PNS1_23onesweep_lookback_stateEbbT6_jjT7_P12ihipStream_tbENKUlT_T0_SI_SN_E_clISD_PiSD_S15_EEDaS11_S12_SI_SN_EUlS11_E_NS1_11comp_targetILNS1_3genE9ELNS1_11target_archE1100ELNS1_3gpuE3ELNS1_3repE0EEENS1_47radix_sort_onesweep_sort_config_static_selectorELNS0_4arch9wavefront6targetE1EEEvSI_, .Lfunc_end1042-_ZN7rocprim17ROCPRIM_400000_NS6detail17trampoline_kernelINS0_14default_configENS1_35radix_sort_onesweep_config_selectorIiiEEZZNS1_29radix_sort_onesweep_iterationIS3_Lb1EN6thrust23THRUST_200600_302600_NS6detail15normal_iteratorINS8_10device_ptrIiEEEESD_SD_SD_jNS0_19identity_decomposerENS1_16block_id_wrapperIjLb0EEEEE10hipError_tT1_PNSt15iterator_traitsISI_E10value_typeET2_T3_PNSJ_ISO_E10value_typeET4_T5_PST_SU_PNS1_23onesweep_lookback_stateEbbT6_jjT7_P12ihipStream_tbENKUlT_T0_SI_SN_E_clISD_PiSD_S15_EEDaS11_S12_SI_SN_EUlS11_E_NS1_11comp_targetILNS1_3genE9ELNS1_11target_archE1100ELNS1_3gpuE3ELNS1_3repE0EEENS1_47radix_sort_onesweep_sort_config_static_selectorELNS0_4arch9wavefront6targetE1EEEvSI_
                                        ; -- End function
	.set _ZN7rocprim17ROCPRIM_400000_NS6detail17trampoline_kernelINS0_14default_configENS1_35radix_sort_onesweep_config_selectorIiiEEZZNS1_29radix_sort_onesweep_iterationIS3_Lb1EN6thrust23THRUST_200600_302600_NS6detail15normal_iteratorINS8_10device_ptrIiEEEESD_SD_SD_jNS0_19identity_decomposerENS1_16block_id_wrapperIjLb0EEEEE10hipError_tT1_PNSt15iterator_traitsISI_E10value_typeET2_T3_PNSJ_ISO_E10value_typeET4_T5_PST_SU_PNS1_23onesweep_lookback_stateEbbT6_jjT7_P12ihipStream_tbENKUlT_T0_SI_SN_E_clISD_PiSD_S15_EEDaS11_S12_SI_SN_EUlS11_E_NS1_11comp_targetILNS1_3genE9ELNS1_11target_archE1100ELNS1_3gpuE3ELNS1_3repE0EEENS1_47radix_sort_onesweep_sort_config_static_selectorELNS0_4arch9wavefront6targetE1EEEvSI_.num_vgpr, 0
	.set _ZN7rocprim17ROCPRIM_400000_NS6detail17trampoline_kernelINS0_14default_configENS1_35radix_sort_onesweep_config_selectorIiiEEZZNS1_29radix_sort_onesweep_iterationIS3_Lb1EN6thrust23THRUST_200600_302600_NS6detail15normal_iteratorINS8_10device_ptrIiEEEESD_SD_SD_jNS0_19identity_decomposerENS1_16block_id_wrapperIjLb0EEEEE10hipError_tT1_PNSt15iterator_traitsISI_E10value_typeET2_T3_PNSJ_ISO_E10value_typeET4_T5_PST_SU_PNS1_23onesweep_lookback_stateEbbT6_jjT7_P12ihipStream_tbENKUlT_T0_SI_SN_E_clISD_PiSD_S15_EEDaS11_S12_SI_SN_EUlS11_E_NS1_11comp_targetILNS1_3genE9ELNS1_11target_archE1100ELNS1_3gpuE3ELNS1_3repE0EEENS1_47radix_sort_onesweep_sort_config_static_selectorELNS0_4arch9wavefront6targetE1EEEvSI_.num_agpr, 0
	.set _ZN7rocprim17ROCPRIM_400000_NS6detail17trampoline_kernelINS0_14default_configENS1_35radix_sort_onesweep_config_selectorIiiEEZZNS1_29radix_sort_onesweep_iterationIS3_Lb1EN6thrust23THRUST_200600_302600_NS6detail15normal_iteratorINS8_10device_ptrIiEEEESD_SD_SD_jNS0_19identity_decomposerENS1_16block_id_wrapperIjLb0EEEEE10hipError_tT1_PNSt15iterator_traitsISI_E10value_typeET2_T3_PNSJ_ISO_E10value_typeET4_T5_PST_SU_PNS1_23onesweep_lookback_stateEbbT6_jjT7_P12ihipStream_tbENKUlT_T0_SI_SN_E_clISD_PiSD_S15_EEDaS11_S12_SI_SN_EUlS11_E_NS1_11comp_targetILNS1_3genE9ELNS1_11target_archE1100ELNS1_3gpuE3ELNS1_3repE0EEENS1_47radix_sort_onesweep_sort_config_static_selectorELNS0_4arch9wavefront6targetE1EEEvSI_.numbered_sgpr, 0
	.set _ZN7rocprim17ROCPRIM_400000_NS6detail17trampoline_kernelINS0_14default_configENS1_35radix_sort_onesweep_config_selectorIiiEEZZNS1_29radix_sort_onesweep_iterationIS3_Lb1EN6thrust23THRUST_200600_302600_NS6detail15normal_iteratorINS8_10device_ptrIiEEEESD_SD_SD_jNS0_19identity_decomposerENS1_16block_id_wrapperIjLb0EEEEE10hipError_tT1_PNSt15iterator_traitsISI_E10value_typeET2_T3_PNSJ_ISO_E10value_typeET4_T5_PST_SU_PNS1_23onesweep_lookback_stateEbbT6_jjT7_P12ihipStream_tbENKUlT_T0_SI_SN_E_clISD_PiSD_S15_EEDaS11_S12_SI_SN_EUlS11_E_NS1_11comp_targetILNS1_3genE9ELNS1_11target_archE1100ELNS1_3gpuE3ELNS1_3repE0EEENS1_47radix_sort_onesweep_sort_config_static_selectorELNS0_4arch9wavefront6targetE1EEEvSI_.num_named_barrier, 0
	.set _ZN7rocprim17ROCPRIM_400000_NS6detail17trampoline_kernelINS0_14default_configENS1_35radix_sort_onesweep_config_selectorIiiEEZZNS1_29radix_sort_onesweep_iterationIS3_Lb1EN6thrust23THRUST_200600_302600_NS6detail15normal_iteratorINS8_10device_ptrIiEEEESD_SD_SD_jNS0_19identity_decomposerENS1_16block_id_wrapperIjLb0EEEEE10hipError_tT1_PNSt15iterator_traitsISI_E10value_typeET2_T3_PNSJ_ISO_E10value_typeET4_T5_PST_SU_PNS1_23onesweep_lookback_stateEbbT6_jjT7_P12ihipStream_tbENKUlT_T0_SI_SN_E_clISD_PiSD_S15_EEDaS11_S12_SI_SN_EUlS11_E_NS1_11comp_targetILNS1_3genE9ELNS1_11target_archE1100ELNS1_3gpuE3ELNS1_3repE0EEENS1_47radix_sort_onesweep_sort_config_static_selectorELNS0_4arch9wavefront6targetE1EEEvSI_.private_seg_size, 0
	.set _ZN7rocprim17ROCPRIM_400000_NS6detail17trampoline_kernelINS0_14default_configENS1_35radix_sort_onesweep_config_selectorIiiEEZZNS1_29radix_sort_onesweep_iterationIS3_Lb1EN6thrust23THRUST_200600_302600_NS6detail15normal_iteratorINS8_10device_ptrIiEEEESD_SD_SD_jNS0_19identity_decomposerENS1_16block_id_wrapperIjLb0EEEEE10hipError_tT1_PNSt15iterator_traitsISI_E10value_typeET2_T3_PNSJ_ISO_E10value_typeET4_T5_PST_SU_PNS1_23onesweep_lookback_stateEbbT6_jjT7_P12ihipStream_tbENKUlT_T0_SI_SN_E_clISD_PiSD_S15_EEDaS11_S12_SI_SN_EUlS11_E_NS1_11comp_targetILNS1_3genE9ELNS1_11target_archE1100ELNS1_3gpuE3ELNS1_3repE0EEENS1_47radix_sort_onesweep_sort_config_static_selectorELNS0_4arch9wavefront6targetE1EEEvSI_.uses_vcc, 0
	.set _ZN7rocprim17ROCPRIM_400000_NS6detail17trampoline_kernelINS0_14default_configENS1_35radix_sort_onesweep_config_selectorIiiEEZZNS1_29radix_sort_onesweep_iterationIS3_Lb1EN6thrust23THRUST_200600_302600_NS6detail15normal_iteratorINS8_10device_ptrIiEEEESD_SD_SD_jNS0_19identity_decomposerENS1_16block_id_wrapperIjLb0EEEEE10hipError_tT1_PNSt15iterator_traitsISI_E10value_typeET2_T3_PNSJ_ISO_E10value_typeET4_T5_PST_SU_PNS1_23onesweep_lookback_stateEbbT6_jjT7_P12ihipStream_tbENKUlT_T0_SI_SN_E_clISD_PiSD_S15_EEDaS11_S12_SI_SN_EUlS11_E_NS1_11comp_targetILNS1_3genE9ELNS1_11target_archE1100ELNS1_3gpuE3ELNS1_3repE0EEENS1_47radix_sort_onesweep_sort_config_static_selectorELNS0_4arch9wavefront6targetE1EEEvSI_.uses_flat_scratch, 0
	.set _ZN7rocprim17ROCPRIM_400000_NS6detail17trampoline_kernelINS0_14default_configENS1_35radix_sort_onesweep_config_selectorIiiEEZZNS1_29radix_sort_onesweep_iterationIS3_Lb1EN6thrust23THRUST_200600_302600_NS6detail15normal_iteratorINS8_10device_ptrIiEEEESD_SD_SD_jNS0_19identity_decomposerENS1_16block_id_wrapperIjLb0EEEEE10hipError_tT1_PNSt15iterator_traitsISI_E10value_typeET2_T3_PNSJ_ISO_E10value_typeET4_T5_PST_SU_PNS1_23onesweep_lookback_stateEbbT6_jjT7_P12ihipStream_tbENKUlT_T0_SI_SN_E_clISD_PiSD_S15_EEDaS11_S12_SI_SN_EUlS11_E_NS1_11comp_targetILNS1_3genE9ELNS1_11target_archE1100ELNS1_3gpuE3ELNS1_3repE0EEENS1_47radix_sort_onesweep_sort_config_static_selectorELNS0_4arch9wavefront6targetE1EEEvSI_.has_dyn_sized_stack, 0
	.set _ZN7rocprim17ROCPRIM_400000_NS6detail17trampoline_kernelINS0_14default_configENS1_35radix_sort_onesweep_config_selectorIiiEEZZNS1_29radix_sort_onesweep_iterationIS3_Lb1EN6thrust23THRUST_200600_302600_NS6detail15normal_iteratorINS8_10device_ptrIiEEEESD_SD_SD_jNS0_19identity_decomposerENS1_16block_id_wrapperIjLb0EEEEE10hipError_tT1_PNSt15iterator_traitsISI_E10value_typeET2_T3_PNSJ_ISO_E10value_typeET4_T5_PST_SU_PNS1_23onesweep_lookback_stateEbbT6_jjT7_P12ihipStream_tbENKUlT_T0_SI_SN_E_clISD_PiSD_S15_EEDaS11_S12_SI_SN_EUlS11_E_NS1_11comp_targetILNS1_3genE9ELNS1_11target_archE1100ELNS1_3gpuE3ELNS1_3repE0EEENS1_47radix_sort_onesweep_sort_config_static_selectorELNS0_4arch9wavefront6targetE1EEEvSI_.has_recursion, 0
	.set _ZN7rocprim17ROCPRIM_400000_NS6detail17trampoline_kernelINS0_14default_configENS1_35radix_sort_onesweep_config_selectorIiiEEZZNS1_29radix_sort_onesweep_iterationIS3_Lb1EN6thrust23THRUST_200600_302600_NS6detail15normal_iteratorINS8_10device_ptrIiEEEESD_SD_SD_jNS0_19identity_decomposerENS1_16block_id_wrapperIjLb0EEEEE10hipError_tT1_PNSt15iterator_traitsISI_E10value_typeET2_T3_PNSJ_ISO_E10value_typeET4_T5_PST_SU_PNS1_23onesweep_lookback_stateEbbT6_jjT7_P12ihipStream_tbENKUlT_T0_SI_SN_E_clISD_PiSD_S15_EEDaS11_S12_SI_SN_EUlS11_E_NS1_11comp_targetILNS1_3genE9ELNS1_11target_archE1100ELNS1_3gpuE3ELNS1_3repE0EEENS1_47radix_sort_onesweep_sort_config_static_selectorELNS0_4arch9wavefront6targetE1EEEvSI_.has_indirect_call, 0
	.section	.AMDGPU.csdata,"",@progbits
; Kernel info:
; codeLenInByte = 0
; TotalNumSgprs: 6
; NumVgprs: 0
; NumAgprs: 0
; TotalNumVgprs: 0
; ScratchSize: 0
; MemoryBound: 0
; FloatMode: 240
; IeeeMode: 1
; LDSByteSize: 0 bytes/workgroup (compile time only)
; SGPRBlocks: 0
; VGPRBlocks: 0
; NumSGPRsForWavesPerEU: 6
; NumVGPRsForWavesPerEU: 1
; AccumOffset: 4
; Occupancy: 8
; WaveLimiterHint : 0
; COMPUTE_PGM_RSRC2:SCRATCH_EN: 0
; COMPUTE_PGM_RSRC2:USER_SGPR: 2
; COMPUTE_PGM_RSRC2:TRAP_HANDLER: 0
; COMPUTE_PGM_RSRC2:TGID_X_EN: 1
; COMPUTE_PGM_RSRC2:TGID_Y_EN: 0
; COMPUTE_PGM_RSRC2:TGID_Z_EN: 0
; COMPUTE_PGM_RSRC2:TIDIG_COMP_CNT: 0
; COMPUTE_PGM_RSRC3_GFX90A:ACCUM_OFFSET: 0
; COMPUTE_PGM_RSRC3_GFX90A:TG_SPLIT: 0
	.section	.text._ZN7rocprim17ROCPRIM_400000_NS6detail17trampoline_kernelINS0_14default_configENS1_35radix_sort_onesweep_config_selectorIiiEEZZNS1_29radix_sort_onesweep_iterationIS3_Lb1EN6thrust23THRUST_200600_302600_NS6detail15normal_iteratorINS8_10device_ptrIiEEEESD_SD_SD_jNS0_19identity_decomposerENS1_16block_id_wrapperIjLb0EEEEE10hipError_tT1_PNSt15iterator_traitsISI_E10value_typeET2_T3_PNSJ_ISO_E10value_typeET4_T5_PST_SU_PNS1_23onesweep_lookback_stateEbbT6_jjT7_P12ihipStream_tbENKUlT_T0_SI_SN_E_clISD_PiSD_S15_EEDaS11_S12_SI_SN_EUlS11_E_NS1_11comp_targetILNS1_3genE8ELNS1_11target_archE1030ELNS1_3gpuE2ELNS1_3repE0EEENS1_47radix_sort_onesweep_sort_config_static_selectorELNS0_4arch9wavefront6targetE1EEEvSI_,"axG",@progbits,_ZN7rocprim17ROCPRIM_400000_NS6detail17trampoline_kernelINS0_14default_configENS1_35radix_sort_onesweep_config_selectorIiiEEZZNS1_29radix_sort_onesweep_iterationIS3_Lb1EN6thrust23THRUST_200600_302600_NS6detail15normal_iteratorINS8_10device_ptrIiEEEESD_SD_SD_jNS0_19identity_decomposerENS1_16block_id_wrapperIjLb0EEEEE10hipError_tT1_PNSt15iterator_traitsISI_E10value_typeET2_T3_PNSJ_ISO_E10value_typeET4_T5_PST_SU_PNS1_23onesweep_lookback_stateEbbT6_jjT7_P12ihipStream_tbENKUlT_T0_SI_SN_E_clISD_PiSD_S15_EEDaS11_S12_SI_SN_EUlS11_E_NS1_11comp_targetILNS1_3genE8ELNS1_11target_archE1030ELNS1_3gpuE2ELNS1_3repE0EEENS1_47radix_sort_onesweep_sort_config_static_selectorELNS0_4arch9wavefront6targetE1EEEvSI_,comdat
	.protected	_ZN7rocprim17ROCPRIM_400000_NS6detail17trampoline_kernelINS0_14default_configENS1_35radix_sort_onesweep_config_selectorIiiEEZZNS1_29radix_sort_onesweep_iterationIS3_Lb1EN6thrust23THRUST_200600_302600_NS6detail15normal_iteratorINS8_10device_ptrIiEEEESD_SD_SD_jNS0_19identity_decomposerENS1_16block_id_wrapperIjLb0EEEEE10hipError_tT1_PNSt15iterator_traitsISI_E10value_typeET2_T3_PNSJ_ISO_E10value_typeET4_T5_PST_SU_PNS1_23onesweep_lookback_stateEbbT6_jjT7_P12ihipStream_tbENKUlT_T0_SI_SN_E_clISD_PiSD_S15_EEDaS11_S12_SI_SN_EUlS11_E_NS1_11comp_targetILNS1_3genE8ELNS1_11target_archE1030ELNS1_3gpuE2ELNS1_3repE0EEENS1_47radix_sort_onesweep_sort_config_static_selectorELNS0_4arch9wavefront6targetE1EEEvSI_ ; -- Begin function _ZN7rocprim17ROCPRIM_400000_NS6detail17trampoline_kernelINS0_14default_configENS1_35radix_sort_onesweep_config_selectorIiiEEZZNS1_29radix_sort_onesweep_iterationIS3_Lb1EN6thrust23THRUST_200600_302600_NS6detail15normal_iteratorINS8_10device_ptrIiEEEESD_SD_SD_jNS0_19identity_decomposerENS1_16block_id_wrapperIjLb0EEEEE10hipError_tT1_PNSt15iterator_traitsISI_E10value_typeET2_T3_PNSJ_ISO_E10value_typeET4_T5_PST_SU_PNS1_23onesweep_lookback_stateEbbT6_jjT7_P12ihipStream_tbENKUlT_T0_SI_SN_E_clISD_PiSD_S15_EEDaS11_S12_SI_SN_EUlS11_E_NS1_11comp_targetILNS1_3genE8ELNS1_11target_archE1030ELNS1_3gpuE2ELNS1_3repE0EEENS1_47radix_sort_onesweep_sort_config_static_selectorELNS0_4arch9wavefront6targetE1EEEvSI_
	.globl	_ZN7rocprim17ROCPRIM_400000_NS6detail17trampoline_kernelINS0_14default_configENS1_35radix_sort_onesweep_config_selectorIiiEEZZNS1_29radix_sort_onesweep_iterationIS3_Lb1EN6thrust23THRUST_200600_302600_NS6detail15normal_iteratorINS8_10device_ptrIiEEEESD_SD_SD_jNS0_19identity_decomposerENS1_16block_id_wrapperIjLb0EEEEE10hipError_tT1_PNSt15iterator_traitsISI_E10value_typeET2_T3_PNSJ_ISO_E10value_typeET4_T5_PST_SU_PNS1_23onesweep_lookback_stateEbbT6_jjT7_P12ihipStream_tbENKUlT_T0_SI_SN_E_clISD_PiSD_S15_EEDaS11_S12_SI_SN_EUlS11_E_NS1_11comp_targetILNS1_3genE8ELNS1_11target_archE1030ELNS1_3gpuE2ELNS1_3repE0EEENS1_47radix_sort_onesweep_sort_config_static_selectorELNS0_4arch9wavefront6targetE1EEEvSI_
	.p2align	8
	.type	_ZN7rocprim17ROCPRIM_400000_NS6detail17trampoline_kernelINS0_14default_configENS1_35radix_sort_onesweep_config_selectorIiiEEZZNS1_29radix_sort_onesweep_iterationIS3_Lb1EN6thrust23THRUST_200600_302600_NS6detail15normal_iteratorINS8_10device_ptrIiEEEESD_SD_SD_jNS0_19identity_decomposerENS1_16block_id_wrapperIjLb0EEEEE10hipError_tT1_PNSt15iterator_traitsISI_E10value_typeET2_T3_PNSJ_ISO_E10value_typeET4_T5_PST_SU_PNS1_23onesweep_lookback_stateEbbT6_jjT7_P12ihipStream_tbENKUlT_T0_SI_SN_E_clISD_PiSD_S15_EEDaS11_S12_SI_SN_EUlS11_E_NS1_11comp_targetILNS1_3genE8ELNS1_11target_archE1030ELNS1_3gpuE2ELNS1_3repE0EEENS1_47radix_sort_onesweep_sort_config_static_selectorELNS0_4arch9wavefront6targetE1EEEvSI_,@function
_ZN7rocprim17ROCPRIM_400000_NS6detail17trampoline_kernelINS0_14default_configENS1_35radix_sort_onesweep_config_selectorIiiEEZZNS1_29radix_sort_onesweep_iterationIS3_Lb1EN6thrust23THRUST_200600_302600_NS6detail15normal_iteratorINS8_10device_ptrIiEEEESD_SD_SD_jNS0_19identity_decomposerENS1_16block_id_wrapperIjLb0EEEEE10hipError_tT1_PNSt15iterator_traitsISI_E10value_typeET2_T3_PNSJ_ISO_E10value_typeET4_T5_PST_SU_PNS1_23onesweep_lookback_stateEbbT6_jjT7_P12ihipStream_tbENKUlT_T0_SI_SN_E_clISD_PiSD_S15_EEDaS11_S12_SI_SN_EUlS11_E_NS1_11comp_targetILNS1_3genE8ELNS1_11target_archE1030ELNS1_3gpuE2ELNS1_3repE0EEENS1_47radix_sort_onesweep_sort_config_static_selectorELNS0_4arch9wavefront6targetE1EEEvSI_: ; @_ZN7rocprim17ROCPRIM_400000_NS6detail17trampoline_kernelINS0_14default_configENS1_35radix_sort_onesweep_config_selectorIiiEEZZNS1_29radix_sort_onesweep_iterationIS3_Lb1EN6thrust23THRUST_200600_302600_NS6detail15normal_iteratorINS8_10device_ptrIiEEEESD_SD_SD_jNS0_19identity_decomposerENS1_16block_id_wrapperIjLb0EEEEE10hipError_tT1_PNSt15iterator_traitsISI_E10value_typeET2_T3_PNSJ_ISO_E10value_typeET4_T5_PST_SU_PNS1_23onesweep_lookback_stateEbbT6_jjT7_P12ihipStream_tbENKUlT_T0_SI_SN_E_clISD_PiSD_S15_EEDaS11_S12_SI_SN_EUlS11_E_NS1_11comp_targetILNS1_3genE8ELNS1_11target_archE1030ELNS1_3gpuE2ELNS1_3repE0EEENS1_47radix_sort_onesweep_sort_config_static_selectorELNS0_4arch9wavefront6targetE1EEEvSI_
; %bb.0:
	.section	.rodata,"a",@progbits
	.p2align	6, 0x0
	.amdhsa_kernel _ZN7rocprim17ROCPRIM_400000_NS6detail17trampoline_kernelINS0_14default_configENS1_35radix_sort_onesweep_config_selectorIiiEEZZNS1_29radix_sort_onesweep_iterationIS3_Lb1EN6thrust23THRUST_200600_302600_NS6detail15normal_iteratorINS8_10device_ptrIiEEEESD_SD_SD_jNS0_19identity_decomposerENS1_16block_id_wrapperIjLb0EEEEE10hipError_tT1_PNSt15iterator_traitsISI_E10value_typeET2_T3_PNSJ_ISO_E10value_typeET4_T5_PST_SU_PNS1_23onesweep_lookback_stateEbbT6_jjT7_P12ihipStream_tbENKUlT_T0_SI_SN_E_clISD_PiSD_S15_EEDaS11_S12_SI_SN_EUlS11_E_NS1_11comp_targetILNS1_3genE8ELNS1_11target_archE1030ELNS1_3gpuE2ELNS1_3repE0EEENS1_47radix_sort_onesweep_sort_config_static_selectorELNS0_4arch9wavefront6targetE1EEEvSI_
		.amdhsa_group_segment_fixed_size 0
		.amdhsa_private_segment_fixed_size 0
		.amdhsa_kernarg_size 88
		.amdhsa_user_sgpr_count 2
		.amdhsa_user_sgpr_dispatch_ptr 0
		.amdhsa_user_sgpr_queue_ptr 0
		.amdhsa_user_sgpr_kernarg_segment_ptr 1
		.amdhsa_user_sgpr_dispatch_id 0
		.amdhsa_user_sgpr_kernarg_preload_length 0
		.amdhsa_user_sgpr_kernarg_preload_offset 0
		.amdhsa_user_sgpr_private_segment_size 0
		.amdhsa_uses_dynamic_stack 0
		.amdhsa_enable_private_segment 0
		.amdhsa_system_sgpr_workgroup_id_x 1
		.amdhsa_system_sgpr_workgroup_id_y 0
		.amdhsa_system_sgpr_workgroup_id_z 0
		.amdhsa_system_sgpr_workgroup_info 0
		.amdhsa_system_vgpr_workitem_id 0
		.amdhsa_next_free_vgpr 1
		.amdhsa_next_free_sgpr 0
		.amdhsa_accum_offset 4
		.amdhsa_reserve_vcc 0
		.amdhsa_float_round_mode_32 0
		.amdhsa_float_round_mode_16_64 0
		.amdhsa_float_denorm_mode_32 3
		.amdhsa_float_denorm_mode_16_64 3
		.amdhsa_dx10_clamp 1
		.amdhsa_ieee_mode 1
		.amdhsa_fp16_overflow 0
		.amdhsa_tg_split 0
		.amdhsa_exception_fp_ieee_invalid_op 0
		.amdhsa_exception_fp_denorm_src 0
		.amdhsa_exception_fp_ieee_div_zero 0
		.amdhsa_exception_fp_ieee_overflow 0
		.amdhsa_exception_fp_ieee_underflow 0
		.amdhsa_exception_fp_ieee_inexact 0
		.amdhsa_exception_int_div_zero 0
	.end_amdhsa_kernel
	.section	.text._ZN7rocprim17ROCPRIM_400000_NS6detail17trampoline_kernelINS0_14default_configENS1_35radix_sort_onesweep_config_selectorIiiEEZZNS1_29radix_sort_onesweep_iterationIS3_Lb1EN6thrust23THRUST_200600_302600_NS6detail15normal_iteratorINS8_10device_ptrIiEEEESD_SD_SD_jNS0_19identity_decomposerENS1_16block_id_wrapperIjLb0EEEEE10hipError_tT1_PNSt15iterator_traitsISI_E10value_typeET2_T3_PNSJ_ISO_E10value_typeET4_T5_PST_SU_PNS1_23onesweep_lookback_stateEbbT6_jjT7_P12ihipStream_tbENKUlT_T0_SI_SN_E_clISD_PiSD_S15_EEDaS11_S12_SI_SN_EUlS11_E_NS1_11comp_targetILNS1_3genE8ELNS1_11target_archE1030ELNS1_3gpuE2ELNS1_3repE0EEENS1_47radix_sort_onesweep_sort_config_static_selectorELNS0_4arch9wavefront6targetE1EEEvSI_,"axG",@progbits,_ZN7rocprim17ROCPRIM_400000_NS6detail17trampoline_kernelINS0_14default_configENS1_35radix_sort_onesweep_config_selectorIiiEEZZNS1_29radix_sort_onesweep_iterationIS3_Lb1EN6thrust23THRUST_200600_302600_NS6detail15normal_iteratorINS8_10device_ptrIiEEEESD_SD_SD_jNS0_19identity_decomposerENS1_16block_id_wrapperIjLb0EEEEE10hipError_tT1_PNSt15iterator_traitsISI_E10value_typeET2_T3_PNSJ_ISO_E10value_typeET4_T5_PST_SU_PNS1_23onesweep_lookback_stateEbbT6_jjT7_P12ihipStream_tbENKUlT_T0_SI_SN_E_clISD_PiSD_S15_EEDaS11_S12_SI_SN_EUlS11_E_NS1_11comp_targetILNS1_3genE8ELNS1_11target_archE1030ELNS1_3gpuE2ELNS1_3repE0EEENS1_47radix_sort_onesweep_sort_config_static_selectorELNS0_4arch9wavefront6targetE1EEEvSI_,comdat
.Lfunc_end1043:
	.size	_ZN7rocprim17ROCPRIM_400000_NS6detail17trampoline_kernelINS0_14default_configENS1_35radix_sort_onesweep_config_selectorIiiEEZZNS1_29radix_sort_onesweep_iterationIS3_Lb1EN6thrust23THRUST_200600_302600_NS6detail15normal_iteratorINS8_10device_ptrIiEEEESD_SD_SD_jNS0_19identity_decomposerENS1_16block_id_wrapperIjLb0EEEEE10hipError_tT1_PNSt15iterator_traitsISI_E10value_typeET2_T3_PNSJ_ISO_E10value_typeET4_T5_PST_SU_PNS1_23onesweep_lookback_stateEbbT6_jjT7_P12ihipStream_tbENKUlT_T0_SI_SN_E_clISD_PiSD_S15_EEDaS11_S12_SI_SN_EUlS11_E_NS1_11comp_targetILNS1_3genE8ELNS1_11target_archE1030ELNS1_3gpuE2ELNS1_3repE0EEENS1_47radix_sort_onesweep_sort_config_static_selectorELNS0_4arch9wavefront6targetE1EEEvSI_, .Lfunc_end1043-_ZN7rocprim17ROCPRIM_400000_NS6detail17trampoline_kernelINS0_14default_configENS1_35radix_sort_onesweep_config_selectorIiiEEZZNS1_29radix_sort_onesweep_iterationIS3_Lb1EN6thrust23THRUST_200600_302600_NS6detail15normal_iteratorINS8_10device_ptrIiEEEESD_SD_SD_jNS0_19identity_decomposerENS1_16block_id_wrapperIjLb0EEEEE10hipError_tT1_PNSt15iterator_traitsISI_E10value_typeET2_T3_PNSJ_ISO_E10value_typeET4_T5_PST_SU_PNS1_23onesweep_lookback_stateEbbT6_jjT7_P12ihipStream_tbENKUlT_T0_SI_SN_E_clISD_PiSD_S15_EEDaS11_S12_SI_SN_EUlS11_E_NS1_11comp_targetILNS1_3genE8ELNS1_11target_archE1030ELNS1_3gpuE2ELNS1_3repE0EEENS1_47radix_sort_onesweep_sort_config_static_selectorELNS0_4arch9wavefront6targetE1EEEvSI_
                                        ; -- End function
	.set _ZN7rocprim17ROCPRIM_400000_NS6detail17trampoline_kernelINS0_14default_configENS1_35radix_sort_onesweep_config_selectorIiiEEZZNS1_29radix_sort_onesweep_iterationIS3_Lb1EN6thrust23THRUST_200600_302600_NS6detail15normal_iteratorINS8_10device_ptrIiEEEESD_SD_SD_jNS0_19identity_decomposerENS1_16block_id_wrapperIjLb0EEEEE10hipError_tT1_PNSt15iterator_traitsISI_E10value_typeET2_T3_PNSJ_ISO_E10value_typeET4_T5_PST_SU_PNS1_23onesweep_lookback_stateEbbT6_jjT7_P12ihipStream_tbENKUlT_T0_SI_SN_E_clISD_PiSD_S15_EEDaS11_S12_SI_SN_EUlS11_E_NS1_11comp_targetILNS1_3genE8ELNS1_11target_archE1030ELNS1_3gpuE2ELNS1_3repE0EEENS1_47radix_sort_onesweep_sort_config_static_selectorELNS0_4arch9wavefront6targetE1EEEvSI_.num_vgpr, 0
	.set _ZN7rocprim17ROCPRIM_400000_NS6detail17trampoline_kernelINS0_14default_configENS1_35radix_sort_onesweep_config_selectorIiiEEZZNS1_29radix_sort_onesweep_iterationIS3_Lb1EN6thrust23THRUST_200600_302600_NS6detail15normal_iteratorINS8_10device_ptrIiEEEESD_SD_SD_jNS0_19identity_decomposerENS1_16block_id_wrapperIjLb0EEEEE10hipError_tT1_PNSt15iterator_traitsISI_E10value_typeET2_T3_PNSJ_ISO_E10value_typeET4_T5_PST_SU_PNS1_23onesweep_lookback_stateEbbT6_jjT7_P12ihipStream_tbENKUlT_T0_SI_SN_E_clISD_PiSD_S15_EEDaS11_S12_SI_SN_EUlS11_E_NS1_11comp_targetILNS1_3genE8ELNS1_11target_archE1030ELNS1_3gpuE2ELNS1_3repE0EEENS1_47radix_sort_onesweep_sort_config_static_selectorELNS0_4arch9wavefront6targetE1EEEvSI_.num_agpr, 0
	.set _ZN7rocprim17ROCPRIM_400000_NS6detail17trampoline_kernelINS0_14default_configENS1_35radix_sort_onesweep_config_selectorIiiEEZZNS1_29radix_sort_onesweep_iterationIS3_Lb1EN6thrust23THRUST_200600_302600_NS6detail15normal_iteratorINS8_10device_ptrIiEEEESD_SD_SD_jNS0_19identity_decomposerENS1_16block_id_wrapperIjLb0EEEEE10hipError_tT1_PNSt15iterator_traitsISI_E10value_typeET2_T3_PNSJ_ISO_E10value_typeET4_T5_PST_SU_PNS1_23onesweep_lookback_stateEbbT6_jjT7_P12ihipStream_tbENKUlT_T0_SI_SN_E_clISD_PiSD_S15_EEDaS11_S12_SI_SN_EUlS11_E_NS1_11comp_targetILNS1_3genE8ELNS1_11target_archE1030ELNS1_3gpuE2ELNS1_3repE0EEENS1_47radix_sort_onesweep_sort_config_static_selectorELNS0_4arch9wavefront6targetE1EEEvSI_.numbered_sgpr, 0
	.set _ZN7rocprim17ROCPRIM_400000_NS6detail17trampoline_kernelINS0_14default_configENS1_35radix_sort_onesweep_config_selectorIiiEEZZNS1_29radix_sort_onesweep_iterationIS3_Lb1EN6thrust23THRUST_200600_302600_NS6detail15normal_iteratorINS8_10device_ptrIiEEEESD_SD_SD_jNS0_19identity_decomposerENS1_16block_id_wrapperIjLb0EEEEE10hipError_tT1_PNSt15iterator_traitsISI_E10value_typeET2_T3_PNSJ_ISO_E10value_typeET4_T5_PST_SU_PNS1_23onesweep_lookback_stateEbbT6_jjT7_P12ihipStream_tbENKUlT_T0_SI_SN_E_clISD_PiSD_S15_EEDaS11_S12_SI_SN_EUlS11_E_NS1_11comp_targetILNS1_3genE8ELNS1_11target_archE1030ELNS1_3gpuE2ELNS1_3repE0EEENS1_47radix_sort_onesweep_sort_config_static_selectorELNS0_4arch9wavefront6targetE1EEEvSI_.num_named_barrier, 0
	.set _ZN7rocprim17ROCPRIM_400000_NS6detail17trampoline_kernelINS0_14default_configENS1_35radix_sort_onesweep_config_selectorIiiEEZZNS1_29radix_sort_onesweep_iterationIS3_Lb1EN6thrust23THRUST_200600_302600_NS6detail15normal_iteratorINS8_10device_ptrIiEEEESD_SD_SD_jNS0_19identity_decomposerENS1_16block_id_wrapperIjLb0EEEEE10hipError_tT1_PNSt15iterator_traitsISI_E10value_typeET2_T3_PNSJ_ISO_E10value_typeET4_T5_PST_SU_PNS1_23onesweep_lookback_stateEbbT6_jjT7_P12ihipStream_tbENKUlT_T0_SI_SN_E_clISD_PiSD_S15_EEDaS11_S12_SI_SN_EUlS11_E_NS1_11comp_targetILNS1_3genE8ELNS1_11target_archE1030ELNS1_3gpuE2ELNS1_3repE0EEENS1_47radix_sort_onesweep_sort_config_static_selectorELNS0_4arch9wavefront6targetE1EEEvSI_.private_seg_size, 0
	.set _ZN7rocprim17ROCPRIM_400000_NS6detail17trampoline_kernelINS0_14default_configENS1_35radix_sort_onesweep_config_selectorIiiEEZZNS1_29radix_sort_onesweep_iterationIS3_Lb1EN6thrust23THRUST_200600_302600_NS6detail15normal_iteratorINS8_10device_ptrIiEEEESD_SD_SD_jNS0_19identity_decomposerENS1_16block_id_wrapperIjLb0EEEEE10hipError_tT1_PNSt15iterator_traitsISI_E10value_typeET2_T3_PNSJ_ISO_E10value_typeET4_T5_PST_SU_PNS1_23onesweep_lookback_stateEbbT6_jjT7_P12ihipStream_tbENKUlT_T0_SI_SN_E_clISD_PiSD_S15_EEDaS11_S12_SI_SN_EUlS11_E_NS1_11comp_targetILNS1_3genE8ELNS1_11target_archE1030ELNS1_3gpuE2ELNS1_3repE0EEENS1_47radix_sort_onesweep_sort_config_static_selectorELNS0_4arch9wavefront6targetE1EEEvSI_.uses_vcc, 0
	.set _ZN7rocprim17ROCPRIM_400000_NS6detail17trampoline_kernelINS0_14default_configENS1_35radix_sort_onesweep_config_selectorIiiEEZZNS1_29radix_sort_onesweep_iterationIS3_Lb1EN6thrust23THRUST_200600_302600_NS6detail15normal_iteratorINS8_10device_ptrIiEEEESD_SD_SD_jNS0_19identity_decomposerENS1_16block_id_wrapperIjLb0EEEEE10hipError_tT1_PNSt15iterator_traitsISI_E10value_typeET2_T3_PNSJ_ISO_E10value_typeET4_T5_PST_SU_PNS1_23onesweep_lookback_stateEbbT6_jjT7_P12ihipStream_tbENKUlT_T0_SI_SN_E_clISD_PiSD_S15_EEDaS11_S12_SI_SN_EUlS11_E_NS1_11comp_targetILNS1_3genE8ELNS1_11target_archE1030ELNS1_3gpuE2ELNS1_3repE0EEENS1_47radix_sort_onesweep_sort_config_static_selectorELNS0_4arch9wavefront6targetE1EEEvSI_.uses_flat_scratch, 0
	.set _ZN7rocprim17ROCPRIM_400000_NS6detail17trampoline_kernelINS0_14default_configENS1_35radix_sort_onesweep_config_selectorIiiEEZZNS1_29radix_sort_onesweep_iterationIS3_Lb1EN6thrust23THRUST_200600_302600_NS6detail15normal_iteratorINS8_10device_ptrIiEEEESD_SD_SD_jNS0_19identity_decomposerENS1_16block_id_wrapperIjLb0EEEEE10hipError_tT1_PNSt15iterator_traitsISI_E10value_typeET2_T3_PNSJ_ISO_E10value_typeET4_T5_PST_SU_PNS1_23onesweep_lookback_stateEbbT6_jjT7_P12ihipStream_tbENKUlT_T0_SI_SN_E_clISD_PiSD_S15_EEDaS11_S12_SI_SN_EUlS11_E_NS1_11comp_targetILNS1_3genE8ELNS1_11target_archE1030ELNS1_3gpuE2ELNS1_3repE0EEENS1_47radix_sort_onesweep_sort_config_static_selectorELNS0_4arch9wavefront6targetE1EEEvSI_.has_dyn_sized_stack, 0
	.set _ZN7rocprim17ROCPRIM_400000_NS6detail17trampoline_kernelINS0_14default_configENS1_35radix_sort_onesweep_config_selectorIiiEEZZNS1_29radix_sort_onesweep_iterationIS3_Lb1EN6thrust23THRUST_200600_302600_NS6detail15normal_iteratorINS8_10device_ptrIiEEEESD_SD_SD_jNS0_19identity_decomposerENS1_16block_id_wrapperIjLb0EEEEE10hipError_tT1_PNSt15iterator_traitsISI_E10value_typeET2_T3_PNSJ_ISO_E10value_typeET4_T5_PST_SU_PNS1_23onesweep_lookback_stateEbbT6_jjT7_P12ihipStream_tbENKUlT_T0_SI_SN_E_clISD_PiSD_S15_EEDaS11_S12_SI_SN_EUlS11_E_NS1_11comp_targetILNS1_3genE8ELNS1_11target_archE1030ELNS1_3gpuE2ELNS1_3repE0EEENS1_47radix_sort_onesweep_sort_config_static_selectorELNS0_4arch9wavefront6targetE1EEEvSI_.has_recursion, 0
	.set _ZN7rocprim17ROCPRIM_400000_NS6detail17trampoline_kernelINS0_14default_configENS1_35radix_sort_onesweep_config_selectorIiiEEZZNS1_29radix_sort_onesweep_iterationIS3_Lb1EN6thrust23THRUST_200600_302600_NS6detail15normal_iteratorINS8_10device_ptrIiEEEESD_SD_SD_jNS0_19identity_decomposerENS1_16block_id_wrapperIjLb0EEEEE10hipError_tT1_PNSt15iterator_traitsISI_E10value_typeET2_T3_PNSJ_ISO_E10value_typeET4_T5_PST_SU_PNS1_23onesweep_lookback_stateEbbT6_jjT7_P12ihipStream_tbENKUlT_T0_SI_SN_E_clISD_PiSD_S15_EEDaS11_S12_SI_SN_EUlS11_E_NS1_11comp_targetILNS1_3genE8ELNS1_11target_archE1030ELNS1_3gpuE2ELNS1_3repE0EEENS1_47radix_sort_onesweep_sort_config_static_selectorELNS0_4arch9wavefront6targetE1EEEvSI_.has_indirect_call, 0
	.section	.AMDGPU.csdata,"",@progbits
; Kernel info:
; codeLenInByte = 0
; TotalNumSgprs: 6
; NumVgprs: 0
; NumAgprs: 0
; TotalNumVgprs: 0
; ScratchSize: 0
; MemoryBound: 0
; FloatMode: 240
; IeeeMode: 1
; LDSByteSize: 0 bytes/workgroup (compile time only)
; SGPRBlocks: 0
; VGPRBlocks: 0
; NumSGPRsForWavesPerEU: 6
; NumVGPRsForWavesPerEU: 1
; AccumOffset: 4
; Occupancy: 8
; WaveLimiterHint : 0
; COMPUTE_PGM_RSRC2:SCRATCH_EN: 0
; COMPUTE_PGM_RSRC2:USER_SGPR: 2
; COMPUTE_PGM_RSRC2:TRAP_HANDLER: 0
; COMPUTE_PGM_RSRC2:TGID_X_EN: 1
; COMPUTE_PGM_RSRC2:TGID_Y_EN: 0
; COMPUTE_PGM_RSRC2:TGID_Z_EN: 0
; COMPUTE_PGM_RSRC2:TIDIG_COMP_CNT: 0
; COMPUTE_PGM_RSRC3_GFX90A:ACCUM_OFFSET: 0
; COMPUTE_PGM_RSRC3_GFX90A:TG_SPLIT: 0
	.section	.text._ZN7rocprim17ROCPRIM_400000_NS6detail17trampoline_kernelINS0_14default_configENS1_35radix_sort_onesweep_config_selectorIiiEEZZNS1_29radix_sort_onesweep_iterationIS3_Lb1EN6thrust23THRUST_200600_302600_NS6detail15normal_iteratorINS8_10device_ptrIiEEEESD_SD_SD_jNS0_19identity_decomposerENS1_16block_id_wrapperIjLb0EEEEE10hipError_tT1_PNSt15iterator_traitsISI_E10value_typeET2_T3_PNSJ_ISO_E10value_typeET4_T5_PST_SU_PNS1_23onesweep_lookback_stateEbbT6_jjT7_P12ihipStream_tbENKUlT_T0_SI_SN_E_clIPiSD_S15_SD_EEDaS11_S12_SI_SN_EUlS11_E_NS1_11comp_targetILNS1_3genE0ELNS1_11target_archE4294967295ELNS1_3gpuE0ELNS1_3repE0EEENS1_47radix_sort_onesweep_sort_config_static_selectorELNS0_4arch9wavefront6targetE1EEEvSI_,"axG",@progbits,_ZN7rocprim17ROCPRIM_400000_NS6detail17trampoline_kernelINS0_14default_configENS1_35radix_sort_onesweep_config_selectorIiiEEZZNS1_29radix_sort_onesweep_iterationIS3_Lb1EN6thrust23THRUST_200600_302600_NS6detail15normal_iteratorINS8_10device_ptrIiEEEESD_SD_SD_jNS0_19identity_decomposerENS1_16block_id_wrapperIjLb0EEEEE10hipError_tT1_PNSt15iterator_traitsISI_E10value_typeET2_T3_PNSJ_ISO_E10value_typeET4_T5_PST_SU_PNS1_23onesweep_lookback_stateEbbT6_jjT7_P12ihipStream_tbENKUlT_T0_SI_SN_E_clIPiSD_S15_SD_EEDaS11_S12_SI_SN_EUlS11_E_NS1_11comp_targetILNS1_3genE0ELNS1_11target_archE4294967295ELNS1_3gpuE0ELNS1_3repE0EEENS1_47radix_sort_onesweep_sort_config_static_selectorELNS0_4arch9wavefront6targetE1EEEvSI_,comdat
	.protected	_ZN7rocprim17ROCPRIM_400000_NS6detail17trampoline_kernelINS0_14default_configENS1_35radix_sort_onesweep_config_selectorIiiEEZZNS1_29radix_sort_onesweep_iterationIS3_Lb1EN6thrust23THRUST_200600_302600_NS6detail15normal_iteratorINS8_10device_ptrIiEEEESD_SD_SD_jNS0_19identity_decomposerENS1_16block_id_wrapperIjLb0EEEEE10hipError_tT1_PNSt15iterator_traitsISI_E10value_typeET2_T3_PNSJ_ISO_E10value_typeET4_T5_PST_SU_PNS1_23onesweep_lookback_stateEbbT6_jjT7_P12ihipStream_tbENKUlT_T0_SI_SN_E_clIPiSD_S15_SD_EEDaS11_S12_SI_SN_EUlS11_E_NS1_11comp_targetILNS1_3genE0ELNS1_11target_archE4294967295ELNS1_3gpuE0ELNS1_3repE0EEENS1_47radix_sort_onesweep_sort_config_static_selectorELNS0_4arch9wavefront6targetE1EEEvSI_ ; -- Begin function _ZN7rocprim17ROCPRIM_400000_NS6detail17trampoline_kernelINS0_14default_configENS1_35radix_sort_onesweep_config_selectorIiiEEZZNS1_29radix_sort_onesweep_iterationIS3_Lb1EN6thrust23THRUST_200600_302600_NS6detail15normal_iteratorINS8_10device_ptrIiEEEESD_SD_SD_jNS0_19identity_decomposerENS1_16block_id_wrapperIjLb0EEEEE10hipError_tT1_PNSt15iterator_traitsISI_E10value_typeET2_T3_PNSJ_ISO_E10value_typeET4_T5_PST_SU_PNS1_23onesweep_lookback_stateEbbT6_jjT7_P12ihipStream_tbENKUlT_T0_SI_SN_E_clIPiSD_S15_SD_EEDaS11_S12_SI_SN_EUlS11_E_NS1_11comp_targetILNS1_3genE0ELNS1_11target_archE4294967295ELNS1_3gpuE0ELNS1_3repE0EEENS1_47radix_sort_onesweep_sort_config_static_selectorELNS0_4arch9wavefront6targetE1EEEvSI_
	.globl	_ZN7rocprim17ROCPRIM_400000_NS6detail17trampoline_kernelINS0_14default_configENS1_35radix_sort_onesweep_config_selectorIiiEEZZNS1_29radix_sort_onesweep_iterationIS3_Lb1EN6thrust23THRUST_200600_302600_NS6detail15normal_iteratorINS8_10device_ptrIiEEEESD_SD_SD_jNS0_19identity_decomposerENS1_16block_id_wrapperIjLb0EEEEE10hipError_tT1_PNSt15iterator_traitsISI_E10value_typeET2_T3_PNSJ_ISO_E10value_typeET4_T5_PST_SU_PNS1_23onesweep_lookback_stateEbbT6_jjT7_P12ihipStream_tbENKUlT_T0_SI_SN_E_clIPiSD_S15_SD_EEDaS11_S12_SI_SN_EUlS11_E_NS1_11comp_targetILNS1_3genE0ELNS1_11target_archE4294967295ELNS1_3gpuE0ELNS1_3repE0EEENS1_47radix_sort_onesweep_sort_config_static_selectorELNS0_4arch9wavefront6targetE1EEEvSI_
	.p2align	8
	.type	_ZN7rocprim17ROCPRIM_400000_NS6detail17trampoline_kernelINS0_14default_configENS1_35radix_sort_onesweep_config_selectorIiiEEZZNS1_29radix_sort_onesweep_iterationIS3_Lb1EN6thrust23THRUST_200600_302600_NS6detail15normal_iteratorINS8_10device_ptrIiEEEESD_SD_SD_jNS0_19identity_decomposerENS1_16block_id_wrapperIjLb0EEEEE10hipError_tT1_PNSt15iterator_traitsISI_E10value_typeET2_T3_PNSJ_ISO_E10value_typeET4_T5_PST_SU_PNS1_23onesweep_lookback_stateEbbT6_jjT7_P12ihipStream_tbENKUlT_T0_SI_SN_E_clIPiSD_S15_SD_EEDaS11_S12_SI_SN_EUlS11_E_NS1_11comp_targetILNS1_3genE0ELNS1_11target_archE4294967295ELNS1_3gpuE0ELNS1_3repE0EEENS1_47radix_sort_onesweep_sort_config_static_selectorELNS0_4arch9wavefront6targetE1EEEvSI_,@function
_ZN7rocprim17ROCPRIM_400000_NS6detail17trampoline_kernelINS0_14default_configENS1_35radix_sort_onesweep_config_selectorIiiEEZZNS1_29radix_sort_onesweep_iterationIS3_Lb1EN6thrust23THRUST_200600_302600_NS6detail15normal_iteratorINS8_10device_ptrIiEEEESD_SD_SD_jNS0_19identity_decomposerENS1_16block_id_wrapperIjLb0EEEEE10hipError_tT1_PNSt15iterator_traitsISI_E10value_typeET2_T3_PNSJ_ISO_E10value_typeET4_T5_PST_SU_PNS1_23onesweep_lookback_stateEbbT6_jjT7_P12ihipStream_tbENKUlT_T0_SI_SN_E_clIPiSD_S15_SD_EEDaS11_S12_SI_SN_EUlS11_E_NS1_11comp_targetILNS1_3genE0ELNS1_11target_archE4294967295ELNS1_3gpuE0ELNS1_3repE0EEENS1_47radix_sort_onesweep_sort_config_static_selectorELNS0_4arch9wavefront6targetE1EEEvSI_: ; @_ZN7rocprim17ROCPRIM_400000_NS6detail17trampoline_kernelINS0_14default_configENS1_35radix_sort_onesweep_config_selectorIiiEEZZNS1_29radix_sort_onesweep_iterationIS3_Lb1EN6thrust23THRUST_200600_302600_NS6detail15normal_iteratorINS8_10device_ptrIiEEEESD_SD_SD_jNS0_19identity_decomposerENS1_16block_id_wrapperIjLb0EEEEE10hipError_tT1_PNSt15iterator_traitsISI_E10value_typeET2_T3_PNSJ_ISO_E10value_typeET4_T5_PST_SU_PNS1_23onesweep_lookback_stateEbbT6_jjT7_P12ihipStream_tbENKUlT_T0_SI_SN_E_clIPiSD_S15_SD_EEDaS11_S12_SI_SN_EUlS11_E_NS1_11comp_targetILNS1_3genE0ELNS1_11target_archE4294967295ELNS1_3gpuE0ELNS1_3repE0EEENS1_47radix_sort_onesweep_sort_config_static_selectorELNS0_4arch9wavefront6targetE1EEEvSI_
; %bb.0:
	.section	.rodata,"a",@progbits
	.p2align	6, 0x0
	.amdhsa_kernel _ZN7rocprim17ROCPRIM_400000_NS6detail17trampoline_kernelINS0_14default_configENS1_35radix_sort_onesweep_config_selectorIiiEEZZNS1_29radix_sort_onesweep_iterationIS3_Lb1EN6thrust23THRUST_200600_302600_NS6detail15normal_iteratorINS8_10device_ptrIiEEEESD_SD_SD_jNS0_19identity_decomposerENS1_16block_id_wrapperIjLb0EEEEE10hipError_tT1_PNSt15iterator_traitsISI_E10value_typeET2_T3_PNSJ_ISO_E10value_typeET4_T5_PST_SU_PNS1_23onesweep_lookback_stateEbbT6_jjT7_P12ihipStream_tbENKUlT_T0_SI_SN_E_clIPiSD_S15_SD_EEDaS11_S12_SI_SN_EUlS11_E_NS1_11comp_targetILNS1_3genE0ELNS1_11target_archE4294967295ELNS1_3gpuE0ELNS1_3repE0EEENS1_47radix_sort_onesweep_sort_config_static_selectorELNS0_4arch9wavefront6targetE1EEEvSI_
		.amdhsa_group_segment_fixed_size 0
		.amdhsa_private_segment_fixed_size 0
		.amdhsa_kernarg_size 88
		.amdhsa_user_sgpr_count 2
		.amdhsa_user_sgpr_dispatch_ptr 0
		.amdhsa_user_sgpr_queue_ptr 0
		.amdhsa_user_sgpr_kernarg_segment_ptr 1
		.amdhsa_user_sgpr_dispatch_id 0
		.amdhsa_user_sgpr_kernarg_preload_length 0
		.amdhsa_user_sgpr_kernarg_preload_offset 0
		.amdhsa_user_sgpr_private_segment_size 0
		.amdhsa_uses_dynamic_stack 0
		.amdhsa_enable_private_segment 0
		.amdhsa_system_sgpr_workgroup_id_x 1
		.amdhsa_system_sgpr_workgroup_id_y 0
		.amdhsa_system_sgpr_workgroup_id_z 0
		.amdhsa_system_sgpr_workgroup_info 0
		.amdhsa_system_vgpr_workitem_id 0
		.amdhsa_next_free_vgpr 1
		.amdhsa_next_free_sgpr 0
		.amdhsa_accum_offset 4
		.amdhsa_reserve_vcc 0
		.amdhsa_float_round_mode_32 0
		.amdhsa_float_round_mode_16_64 0
		.amdhsa_float_denorm_mode_32 3
		.amdhsa_float_denorm_mode_16_64 3
		.amdhsa_dx10_clamp 1
		.amdhsa_ieee_mode 1
		.amdhsa_fp16_overflow 0
		.amdhsa_tg_split 0
		.amdhsa_exception_fp_ieee_invalid_op 0
		.amdhsa_exception_fp_denorm_src 0
		.amdhsa_exception_fp_ieee_div_zero 0
		.amdhsa_exception_fp_ieee_overflow 0
		.amdhsa_exception_fp_ieee_underflow 0
		.amdhsa_exception_fp_ieee_inexact 0
		.amdhsa_exception_int_div_zero 0
	.end_amdhsa_kernel
	.section	.text._ZN7rocprim17ROCPRIM_400000_NS6detail17trampoline_kernelINS0_14default_configENS1_35radix_sort_onesweep_config_selectorIiiEEZZNS1_29radix_sort_onesweep_iterationIS3_Lb1EN6thrust23THRUST_200600_302600_NS6detail15normal_iteratorINS8_10device_ptrIiEEEESD_SD_SD_jNS0_19identity_decomposerENS1_16block_id_wrapperIjLb0EEEEE10hipError_tT1_PNSt15iterator_traitsISI_E10value_typeET2_T3_PNSJ_ISO_E10value_typeET4_T5_PST_SU_PNS1_23onesweep_lookback_stateEbbT6_jjT7_P12ihipStream_tbENKUlT_T0_SI_SN_E_clIPiSD_S15_SD_EEDaS11_S12_SI_SN_EUlS11_E_NS1_11comp_targetILNS1_3genE0ELNS1_11target_archE4294967295ELNS1_3gpuE0ELNS1_3repE0EEENS1_47radix_sort_onesweep_sort_config_static_selectorELNS0_4arch9wavefront6targetE1EEEvSI_,"axG",@progbits,_ZN7rocprim17ROCPRIM_400000_NS6detail17trampoline_kernelINS0_14default_configENS1_35radix_sort_onesweep_config_selectorIiiEEZZNS1_29radix_sort_onesweep_iterationIS3_Lb1EN6thrust23THRUST_200600_302600_NS6detail15normal_iteratorINS8_10device_ptrIiEEEESD_SD_SD_jNS0_19identity_decomposerENS1_16block_id_wrapperIjLb0EEEEE10hipError_tT1_PNSt15iterator_traitsISI_E10value_typeET2_T3_PNSJ_ISO_E10value_typeET4_T5_PST_SU_PNS1_23onesweep_lookback_stateEbbT6_jjT7_P12ihipStream_tbENKUlT_T0_SI_SN_E_clIPiSD_S15_SD_EEDaS11_S12_SI_SN_EUlS11_E_NS1_11comp_targetILNS1_3genE0ELNS1_11target_archE4294967295ELNS1_3gpuE0ELNS1_3repE0EEENS1_47radix_sort_onesweep_sort_config_static_selectorELNS0_4arch9wavefront6targetE1EEEvSI_,comdat
.Lfunc_end1044:
	.size	_ZN7rocprim17ROCPRIM_400000_NS6detail17trampoline_kernelINS0_14default_configENS1_35radix_sort_onesweep_config_selectorIiiEEZZNS1_29radix_sort_onesweep_iterationIS3_Lb1EN6thrust23THRUST_200600_302600_NS6detail15normal_iteratorINS8_10device_ptrIiEEEESD_SD_SD_jNS0_19identity_decomposerENS1_16block_id_wrapperIjLb0EEEEE10hipError_tT1_PNSt15iterator_traitsISI_E10value_typeET2_T3_PNSJ_ISO_E10value_typeET4_T5_PST_SU_PNS1_23onesweep_lookback_stateEbbT6_jjT7_P12ihipStream_tbENKUlT_T0_SI_SN_E_clIPiSD_S15_SD_EEDaS11_S12_SI_SN_EUlS11_E_NS1_11comp_targetILNS1_3genE0ELNS1_11target_archE4294967295ELNS1_3gpuE0ELNS1_3repE0EEENS1_47radix_sort_onesweep_sort_config_static_selectorELNS0_4arch9wavefront6targetE1EEEvSI_, .Lfunc_end1044-_ZN7rocprim17ROCPRIM_400000_NS6detail17trampoline_kernelINS0_14default_configENS1_35radix_sort_onesweep_config_selectorIiiEEZZNS1_29radix_sort_onesweep_iterationIS3_Lb1EN6thrust23THRUST_200600_302600_NS6detail15normal_iteratorINS8_10device_ptrIiEEEESD_SD_SD_jNS0_19identity_decomposerENS1_16block_id_wrapperIjLb0EEEEE10hipError_tT1_PNSt15iterator_traitsISI_E10value_typeET2_T3_PNSJ_ISO_E10value_typeET4_T5_PST_SU_PNS1_23onesweep_lookback_stateEbbT6_jjT7_P12ihipStream_tbENKUlT_T0_SI_SN_E_clIPiSD_S15_SD_EEDaS11_S12_SI_SN_EUlS11_E_NS1_11comp_targetILNS1_3genE0ELNS1_11target_archE4294967295ELNS1_3gpuE0ELNS1_3repE0EEENS1_47radix_sort_onesweep_sort_config_static_selectorELNS0_4arch9wavefront6targetE1EEEvSI_
                                        ; -- End function
	.set _ZN7rocprim17ROCPRIM_400000_NS6detail17trampoline_kernelINS0_14default_configENS1_35radix_sort_onesweep_config_selectorIiiEEZZNS1_29radix_sort_onesweep_iterationIS3_Lb1EN6thrust23THRUST_200600_302600_NS6detail15normal_iteratorINS8_10device_ptrIiEEEESD_SD_SD_jNS0_19identity_decomposerENS1_16block_id_wrapperIjLb0EEEEE10hipError_tT1_PNSt15iterator_traitsISI_E10value_typeET2_T3_PNSJ_ISO_E10value_typeET4_T5_PST_SU_PNS1_23onesweep_lookback_stateEbbT6_jjT7_P12ihipStream_tbENKUlT_T0_SI_SN_E_clIPiSD_S15_SD_EEDaS11_S12_SI_SN_EUlS11_E_NS1_11comp_targetILNS1_3genE0ELNS1_11target_archE4294967295ELNS1_3gpuE0ELNS1_3repE0EEENS1_47radix_sort_onesweep_sort_config_static_selectorELNS0_4arch9wavefront6targetE1EEEvSI_.num_vgpr, 0
	.set _ZN7rocprim17ROCPRIM_400000_NS6detail17trampoline_kernelINS0_14default_configENS1_35radix_sort_onesweep_config_selectorIiiEEZZNS1_29radix_sort_onesweep_iterationIS3_Lb1EN6thrust23THRUST_200600_302600_NS6detail15normal_iteratorINS8_10device_ptrIiEEEESD_SD_SD_jNS0_19identity_decomposerENS1_16block_id_wrapperIjLb0EEEEE10hipError_tT1_PNSt15iterator_traitsISI_E10value_typeET2_T3_PNSJ_ISO_E10value_typeET4_T5_PST_SU_PNS1_23onesweep_lookback_stateEbbT6_jjT7_P12ihipStream_tbENKUlT_T0_SI_SN_E_clIPiSD_S15_SD_EEDaS11_S12_SI_SN_EUlS11_E_NS1_11comp_targetILNS1_3genE0ELNS1_11target_archE4294967295ELNS1_3gpuE0ELNS1_3repE0EEENS1_47radix_sort_onesweep_sort_config_static_selectorELNS0_4arch9wavefront6targetE1EEEvSI_.num_agpr, 0
	.set _ZN7rocprim17ROCPRIM_400000_NS6detail17trampoline_kernelINS0_14default_configENS1_35radix_sort_onesweep_config_selectorIiiEEZZNS1_29radix_sort_onesweep_iterationIS3_Lb1EN6thrust23THRUST_200600_302600_NS6detail15normal_iteratorINS8_10device_ptrIiEEEESD_SD_SD_jNS0_19identity_decomposerENS1_16block_id_wrapperIjLb0EEEEE10hipError_tT1_PNSt15iterator_traitsISI_E10value_typeET2_T3_PNSJ_ISO_E10value_typeET4_T5_PST_SU_PNS1_23onesweep_lookback_stateEbbT6_jjT7_P12ihipStream_tbENKUlT_T0_SI_SN_E_clIPiSD_S15_SD_EEDaS11_S12_SI_SN_EUlS11_E_NS1_11comp_targetILNS1_3genE0ELNS1_11target_archE4294967295ELNS1_3gpuE0ELNS1_3repE0EEENS1_47radix_sort_onesweep_sort_config_static_selectorELNS0_4arch9wavefront6targetE1EEEvSI_.numbered_sgpr, 0
	.set _ZN7rocprim17ROCPRIM_400000_NS6detail17trampoline_kernelINS0_14default_configENS1_35radix_sort_onesweep_config_selectorIiiEEZZNS1_29radix_sort_onesweep_iterationIS3_Lb1EN6thrust23THRUST_200600_302600_NS6detail15normal_iteratorINS8_10device_ptrIiEEEESD_SD_SD_jNS0_19identity_decomposerENS1_16block_id_wrapperIjLb0EEEEE10hipError_tT1_PNSt15iterator_traitsISI_E10value_typeET2_T3_PNSJ_ISO_E10value_typeET4_T5_PST_SU_PNS1_23onesweep_lookback_stateEbbT6_jjT7_P12ihipStream_tbENKUlT_T0_SI_SN_E_clIPiSD_S15_SD_EEDaS11_S12_SI_SN_EUlS11_E_NS1_11comp_targetILNS1_3genE0ELNS1_11target_archE4294967295ELNS1_3gpuE0ELNS1_3repE0EEENS1_47radix_sort_onesweep_sort_config_static_selectorELNS0_4arch9wavefront6targetE1EEEvSI_.num_named_barrier, 0
	.set _ZN7rocprim17ROCPRIM_400000_NS6detail17trampoline_kernelINS0_14default_configENS1_35radix_sort_onesweep_config_selectorIiiEEZZNS1_29radix_sort_onesweep_iterationIS3_Lb1EN6thrust23THRUST_200600_302600_NS6detail15normal_iteratorINS8_10device_ptrIiEEEESD_SD_SD_jNS0_19identity_decomposerENS1_16block_id_wrapperIjLb0EEEEE10hipError_tT1_PNSt15iterator_traitsISI_E10value_typeET2_T3_PNSJ_ISO_E10value_typeET4_T5_PST_SU_PNS1_23onesweep_lookback_stateEbbT6_jjT7_P12ihipStream_tbENKUlT_T0_SI_SN_E_clIPiSD_S15_SD_EEDaS11_S12_SI_SN_EUlS11_E_NS1_11comp_targetILNS1_3genE0ELNS1_11target_archE4294967295ELNS1_3gpuE0ELNS1_3repE0EEENS1_47radix_sort_onesweep_sort_config_static_selectorELNS0_4arch9wavefront6targetE1EEEvSI_.private_seg_size, 0
	.set _ZN7rocprim17ROCPRIM_400000_NS6detail17trampoline_kernelINS0_14default_configENS1_35radix_sort_onesweep_config_selectorIiiEEZZNS1_29radix_sort_onesweep_iterationIS3_Lb1EN6thrust23THRUST_200600_302600_NS6detail15normal_iteratorINS8_10device_ptrIiEEEESD_SD_SD_jNS0_19identity_decomposerENS1_16block_id_wrapperIjLb0EEEEE10hipError_tT1_PNSt15iterator_traitsISI_E10value_typeET2_T3_PNSJ_ISO_E10value_typeET4_T5_PST_SU_PNS1_23onesweep_lookback_stateEbbT6_jjT7_P12ihipStream_tbENKUlT_T0_SI_SN_E_clIPiSD_S15_SD_EEDaS11_S12_SI_SN_EUlS11_E_NS1_11comp_targetILNS1_3genE0ELNS1_11target_archE4294967295ELNS1_3gpuE0ELNS1_3repE0EEENS1_47radix_sort_onesweep_sort_config_static_selectorELNS0_4arch9wavefront6targetE1EEEvSI_.uses_vcc, 0
	.set _ZN7rocprim17ROCPRIM_400000_NS6detail17trampoline_kernelINS0_14default_configENS1_35radix_sort_onesweep_config_selectorIiiEEZZNS1_29radix_sort_onesweep_iterationIS3_Lb1EN6thrust23THRUST_200600_302600_NS6detail15normal_iteratorINS8_10device_ptrIiEEEESD_SD_SD_jNS0_19identity_decomposerENS1_16block_id_wrapperIjLb0EEEEE10hipError_tT1_PNSt15iterator_traitsISI_E10value_typeET2_T3_PNSJ_ISO_E10value_typeET4_T5_PST_SU_PNS1_23onesweep_lookback_stateEbbT6_jjT7_P12ihipStream_tbENKUlT_T0_SI_SN_E_clIPiSD_S15_SD_EEDaS11_S12_SI_SN_EUlS11_E_NS1_11comp_targetILNS1_3genE0ELNS1_11target_archE4294967295ELNS1_3gpuE0ELNS1_3repE0EEENS1_47radix_sort_onesweep_sort_config_static_selectorELNS0_4arch9wavefront6targetE1EEEvSI_.uses_flat_scratch, 0
	.set _ZN7rocprim17ROCPRIM_400000_NS6detail17trampoline_kernelINS0_14default_configENS1_35radix_sort_onesweep_config_selectorIiiEEZZNS1_29radix_sort_onesweep_iterationIS3_Lb1EN6thrust23THRUST_200600_302600_NS6detail15normal_iteratorINS8_10device_ptrIiEEEESD_SD_SD_jNS0_19identity_decomposerENS1_16block_id_wrapperIjLb0EEEEE10hipError_tT1_PNSt15iterator_traitsISI_E10value_typeET2_T3_PNSJ_ISO_E10value_typeET4_T5_PST_SU_PNS1_23onesweep_lookback_stateEbbT6_jjT7_P12ihipStream_tbENKUlT_T0_SI_SN_E_clIPiSD_S15_SD_EEDaS11_S12_SI_SN_EUlS11_E_NS1_11comp_targetILNS1_3genE0ELNS1_11target_archE4294967295ELNS1_3gpuE0ELNS1_3repE0EEENS1_47radix_sort_onesweep_sort_config_static_selectorELNS0_4arch9wavefront6targetE1EEEvSI_.has_dyn_sized_stack, 0
	.set _ZN7rocprim17ROCPRIM_400000_NS6detail17trampoline_kernelINS0_14default_configENS1_35radix_sort_onesweep_config_selectorIiiEEZZNS1_29radix_sort_onesweep_iterationIS3_Lb1EN6thrust23THRUST_200600_302600_NS6detail15normal_iteratorINS8_10device_ptrIiEEEESD_SD_SD_jNS0_19identity_decomposerENS1_16block_id_wrapperIjLb0EEEEE10hipError_tT1_PNSt15iterator_traitsISI_E10value_typeET2_T3_PNSJ_ISO_E10value_typeET4_T5_PST_SU_PNS1_23onesweep_lookback_stateEbbT6_jjT7_P12ihipStream_tbENKUlT_T0_SI_SN_E_clIPiSD_S15_SD_EEDaS11_S12_SI_SN_EUlS11_E_NS1_11comp_targetILNS1_3genE0ELNS1_11target_archE4294967295ELNS1_3gpuE0ELNS1_3repE0EEENS1_47radix_sort_onesweep_sort_config_static_selectorELNS0_4arch9wavefront6targetE1EEEvSI_.has_recursion, 0
	.set _ZN7rocprim17ROCPRIM_400000_NS6detail17trampoline_kernelINS0_14default_configENS1_35radix_sort_onesweep_config_selectorIiiEEZZNS1_29radix_sort_onesweep_iterationIS3_Lb1EN6thrust23THRUST_200600_302600_NS6detail15normal_iteratorINS8_10device_ptrIiEEEESD_SD_SD_jNS0_19identity_decomposerENS1_16block_id_wrapperIjLb0EEEEE10hipError_tT1_PNSt15iterator_traitsISI_E10value_typeET2_T3_PNSJ_ISO_E10value_typeET4_T5_PST_SU_PNS1_23onesweep_lookback_stateEbbT6_jjT7_P12ihipStream_tbENKUlT_T0_SI_SN_E_clIPiSD_S15_SD_EEDaS11_S12_SI_SN_EUlS11_E_NS1_11comp_targetILNS1_3genE0ELNS1_11target_archE4294967295ELNS1_3gpuE0ELNS1_3repE0EEENS1_47radix_sort_onesweep_sort_config_static_selectorELNS0_4arch9wavefront6targetE1EEEvSI_.has_indirect_call, 0
	.section	.AMDGPU.csdata,"",@progbits
; Kernel info:
; codeLenInByte = 0
; TotalNumSgprs: 6
; NumVgprs: 0
; NumAgprs: 0
; TotalNumVgprs: 0
; ScratchSize: 0
; MemoryBound: 0
; FloatMode: 240
; IeeeMode: 1
; LDSByteSize: 0 bytes/workgroup (compile time only)
; SGPRBlocks: 0
; VGPRBlocks: 0
; NumSGPRsForWavesPerEU: 6
; NumVGPRsForWavesPerEU: 1
; AccumOffset: 4
; Occupancy: 8
; WaveLimiterHint : 0
; COMPUTE_PGM_RSRC2:SCRATCH_EN: 0
; COMPUTE_PGM_RSRC2:USER_SGPR: 2
; COMPUTE_PGM_RSRC2:TRAP_HANDLER: 0
; COMPUTE_PGM_RSRC2:TGID_X_EN: 1
; COMPUTE_PGM_RSRC2:TGID_Y_EN: 0
; COMPUTE_PGM_RSRC2:TGID_Z_EN: 0
; COMPUTE_PGM_RSRC2:TIDIG_COMP_CNT: 0
; COMPUTE_PGM_RSRC3_GFX90A:ACCUM_OFFSET: 0
; COMPUTE_PGM_RSRC3_GFX90A:TG_SPLIT: 0
	.section	.text._ZN7rocprim17ROCPRIM_400000_NS6detail17trampoline_kernelINS0_14default_configENS1_35radix_sort_onesweep_config_selectorIiiEEZZNS1_29radix_sort_onesweep_iterationIS3_Lb1EN6thrust23THRUST_200600_302600_NS6detail15normal_iteratorINS8_10device_ptrIiEEEESD_SD_SD_jNS0_19identity_decomposerENS1_16block_id_wrapperIjLb0EEEEE10hipError_tT1_PNSt15iterator_traitsISI_E10value_typeET2_T3_PNSJ_ISO_E10value_typeET4_T5_PST_SU_PNS1_23onesweep_lookback_stateEbbT6_jjT7_P12ihipStream_tbENKUlT_T0_SI_SN_E_clIPiSD_S15_SD_EEDaS11_S12_SI_SN_EUlS11_E_NS1_11comp_targetILNS1_3genE6ELNS1_11target_archE950ELNS1_3gpuE13ELNS1_3repE0EEENS1_47radix_sort_onesweep_sort_config_static_selectorELNS0_4arch9wavefront6targetE1EEEvSI_,"axG",@progbits,_ZN7rocprim17ROCPRIM_400000_NS6detail17trampoline_kernelINS0_14default_configENS1_35radix_sort_onesweep_config_selectorIiiEEZZNS1_29radix_sort_onesweep_iterationIS3_Lb1EN6thrust23THRUST_200600_302600_NS6detail15normal_iteratorINS8_10device_ptrIiEEEESD_SD_SD_jNS0_19identity_decomposerENS1_16block_id_wrapperIjLb0EEEEE10hipError_tT1_PNSt15iterator_traitsISI_E10value_typeET2_T3_PNSJ_ISO_E10value_typeET4_T5_PST_SU_PNS1_23onesweep_lookback_stateEbbT6_jjT7_P12ihipStream_tbENKUlT_T0_SI_SN_E_clIPiSD_S15_SD_EEDaS11_S12_SI_SN_EUlS11_E_NS1_11comp_targetILNS1_3genE6ELNS1_11target_archE950ELNS1_3gpuE13ELNS1_3repE0EEENS1_47radix_sort_onesweep_sort_config_static_selectorELNS0_4arch9wavefront6targetE1EEEvSI_,comdat
	.protected	_ZN7rocprim17ROCPRIM_400000_NS6detail17trampoline_kernelINS0_14default_configENS1_35radix_sort_onesweep_config_selectorIiiEEZZNS1_29radix_sort_onesweep_iterationIS3_Lb1EN6thrust23THRUST_200600_302600_NS6detail15normal_iteratorINS8_10device_ptrIiEEEESD_SD_SD_jNS0_19identity_decomposerENS1_16block_id_wrapperIjLb0EEEEE10hipError_tT1_PNSt15iterator_traitsISI_E10value_typeET2_T3_PNSJ_ISO_E10value_typeET4_T5_PST_SU_PNS1_23onesweep_lookback_stateEbbT6_jjT7_P12ihipStream_tbENKUlT_T0_SI_SN_E_clIPiSD_S15_SD_EEDaS11_S12_SI_SN_EUlS11_E_NS1_11comp_targetILNS1_3genE6ELNS1_11target_archE950ELNS1_3gpuE13ELNS1_3repE0EEENS1_47radix_sort_onesweep_sort_config_static_selectorELNS0_4arch9wavefront6targetE1EEEvSI_ ; -- Begin function _ZN7rocprim17ROCPRIM_400000_NS6detail17trampoline_kernelINS0_14default_configENS1_35radix_sort_onesweep_config_selectorIiiEEZZNS1_29radix_sort_onesweep_iterationIS3_Lb1EN6thrust23THRUST_200600_302600_NS6detail15normal_iteratorINS8_10device_ptrIiEEEESD_SD_SD_jNS0_19identity_decomposerENS1_16block_id_wrapperIjLb0EEEEE10hipError_tT1_PNSt15iterator_traitsISI_E10value_typeET2_T3_PNSJ_ISO_E10value_typeET4_T5_PST_SU_PNS1_23onesweep_lookback_stateEbbT6_jjT7_P12ihipStream_tbENKUlT_T0_SI_SN_E_clIPiSD_S15_SD_EEDaS11_S12_SI_SN_EUlS11_E_NS1_11comp_targetILNS1_3genE6ELNS1_11target_archE950ELNS1_3gpuE13ELNS1_3repE0EEENS1_47radix_sort_onesweep_sort_config_static_selectorELNS0_4arch9wavefront6targetE1EEEvSI_
	.globl	_ZN7rocprim17ROCPRIM_400000_NS6detail17trampoline_kernelINS0_14default_configENS1_35radix_sort_onesweep_config_selectorIiiEEZZNS1_29radix_sort_onesweep_iterationIS3_Lb1EN6thrust23THRUST_200600_302600_NS6detail15normal_iteratorINS8_10device_ptrIiEEEESD_SD_SD_jNS0_19identity_decomposerENS1_16block_id_wrapperIjLb0EEEEE10hipError_tT1_PNSt15iterator_traitsISI_E10value_typeET2_T3_PNSJ_ISO_E10value_typeET4_T5_PST_SU_PNS1_23onesweep_lookback_stateEbbT6_jjT7_P12ihipStream_tbENKUlT_T0_SI_SN_E_clIPiSD_S15_SD_EEDaS11_S12_SI_SN_EUlS11_E_NS1_11comp_targetILNS1_3genE6ELNS1_11target_archE950ELNS1_3gpuE13ELNS1_3repE0EEENS1_47radix_sort_onesweep_sort_config_static_selectorELNS0_4arch9wavefront6targetE1EEEvSI_
	.p2align	8
	.type	_ZN7rocprim17ROCPRIM_400000_NS6detail17trampoline_kernelINS0_14default_configENS1_35radix_sort_onesweep_config_selectorIiiEEZZNS1_29radix_sort_onesweep_iterationIS3_Lb1EN6thrust23THRUST_200600_302600_NS6detail15normal_iteratorINS8_10device_ptrIiEEEESD_SD_SD_jNS0_19identity_decomposerENS1_16block_id_wrapperIjLb0EEEEE10hipError_tT1_PNSt15iterator_traitsISI_E10value_typeET2_T3_PNSJ_ISO_E10value_typeET4_T5_PST_SU_PNS1_23onesweep_lookback_stateEbbT6_jjT7_P12ihipStream_tbENKUlT_T0_SI_SN_E_clIPiSD_S15_SD_EEDaS11_S12_SI_SN_EUlS11_E_NS1_11comp_targetILNS1_3genE6ELNS1_11target_archE950ELNS1_3gpuE13ELNS1_3repE0EEENS1_47radix_sort_onesweep_sort_config_static_selectorELNS0_4arch9wavefront6targetE1EEEvSI_,@function
_ZN7rocprim17ROCPRIM_400000_NS6detail17trampoline_kernelINS0_14default_configENS1_35radix_sort_onesweep_config_selectorIiiEEZZNS1_29radix_sort_onesweep_iterationIS3_Lb1EN6thrust23THRUST_200600_302600_NS6detail15normal_iteratorINS8_10device_ptrIiEEEESD_SD_SD_jNS0_19identity_decomposerENS1_16block_id_wrapperIjLb0EEEEE10hipError_tT1_PNSt15iterator_traitsISI_E10value_typeET2_T3_PNSJ_ISO_E10value_typeET4_T5_PST_SU_PNS1_23onesweep_lookback_stateEbbT6_jjT7_P12ihipStream_tbENKUlT_T0_SI_SN_E_clIPiSD_S15_SD_EEDaS11_S12_SI_SN_EUlS11_E_NS1_11comp_targetILNS1_3genE6ELNS1_11target_archE950ELNS1_3gpuE13ELNS1_3repE0EEENS1_47radix_sort_onesweep_sort_config_static_selectorELNS0_4arch9wavefront6targetE1EEEvSI_: ; @_ZN7rocprim17ROCPRIM_400000_NS6detail17trampoline_kernelINS0_14default_configENS1_35radix_sort_onesweep_config_selectorIiiEEZZNS1_29radix_sort_onesweep_iterationIS3_Lb1EN6thrust23THRUST_200600_302600_NS6detail15normal_iteratorINS8_10device_ptrIiEEEESD_SD_SD_jNS0_19identity_decomposerENS1_16block_id_wrapperIjLb0EEEEE10hipError_tT1_PNSt15iterator_traitsISI_E10value_typeET2_T3_PNSJ_ISO_E10value_typeET4_T5_PST_SU_PNS1_23onesweep_lookback_stateEbbT6_jjT7_P12ihipStream_tbENKUlT_T0_SI_SN_E_clIPiSD_S15_SD_EEDaS11_S12_SI_SN_EUlS11_E_NS1_11comp_targetILNS1_3genE6ELNS1_11target_archE950ELNS1_3gpuE13ELNS1_3repE0EEENS1_47radix_sort_onesweep_sort_config_static_selectorELNS0_4arch9wavefront6targetE1EEEvSI_
; %bb.0:
	s_load_dwordx8 s[52:59], s[0:1], 0x0
	s_load_dwordx4 s[64:67], s[0:1], 0x44
	s_load_dwordx4 s[60:63], s[0:1], 0x28
	s_load_dwordx2 s[50:51], s[0:1], 0x38
	s_mov_b64 s[4:5], -1
	v_mbcnt_lo_u32_b32 v1, -1, 0
	s_waitcnt lgkmcnt(0)
	s_cmp_ge_u32 s2, s66
	s_cbranch_scc0 .LBB1045_204
; %bb.1:
	s_load_dword s3, s[0:1], 0x20
	s_lshl_b32 s6, s66, 14
	s_lshl_b32 s4, s2, 14
	s_mov_b32 s5, 0
	v_and_b32_e32 v2, 0x3ff, v0
	s_waitcnt lgkmcnt(0)
	s_sub_i32 s3, s3, s6
	s_lshl_b64 s[66:67], s[4:5], 2
	v_mbcnt_hi_u32_b32 v12, -1, v1
	s_add_u32 s4, s52, s66
	v_and_b32_e32 v10, 63, v12
	v_lshlrev_b32_e32 v4, 4, v2
	s_addc_u32 s5, s53, s67
	v_and_b32_e32 v11, 0x3c00, v4
	v_mov_b32_e32 v5, 0
	v_lshlrev_b32_e32 v4, 2, v10
	v_lshl_add_u64 v[8:9], s[4:5], 0, v[4:5]
	v_lshlrev_b32_e32 v6, 2, v11
	v_mov_b32_e32 v7, v5
	v_or_b32_e32 v10, v10, v11
	v_mov_b32_e32 v3, -1
	v_lshl_add_u64 v[8:9], v[8:9], 0, v[6:7]
	v_cmp_gt_u32_e32 vcc, s3, v10
	v_mov_b32_e32 v5, -1
	s_and_saveexec_b64 s[4:5], vcc
	s_cbranch_execz .LBB1045_3
; %bb.2:
	global_load_dword v5, v[8:9], off
	s_waitcnt vmcnt(0)
	v_xor_b32_e32 v5, 0x7fffffff, v5
.LBB1045_3:
	s_or_b64 exec, exec, s[4:5]
	v_or_b32_e32 v7, 64, v10
	v_cmp_gt_u32_e64 s[42:43], s3, v7
	s_and_saveexec_b64 s[4:5], s[42:43]
	s_cbranch_execz .LBB1045_5
; %bb.4:
	global_load_dword v3, v[8:9], off offset:256
	s_waitcnt vmcnt(0)
	v_xor_b32_e32 v3, 0x7fffffff, v3
.LBB1045_5:
	s_or_b64 exec, exec, s[4:5]
	v_or_b32_e32 v7, 0x80, v10
	v_cmp_gt_u32_e64 s[4:5], s3, v7
	v_mov_b32_e32 v7, -1
	v_mov_b32_e32 v14, -1
	s_and_saveexec_b64 s[6:7], s[4:5]
	s_cbranch_execz .LBB1045_7
; %bb.6:
	global_load_dword v11, v[8:9], off offset:512
	s_waitcnt vmcnt(0)
	v_xor_b32_e32 v14, 0x7fffffff, v11
.LBB1045_7:
	s_or_b64 exec, exec, s[6:7]
	v_or_b32_e32 v11, 0xc0, v10
	v_cmp_gt_u32_e64 s[6:7], s3, v11
	s_and_saveexec_b64 s[8:9], s[6:7]
	s_cbranch_execz .LBB1045_9
; %bb.8:
	global_load_dword v7, v[8:9], off offset:768
	s_waitcnt vmcnt(0)
	v_xor_b32_e32 v7, 0x7fffffff, v7
.LBB1045_9:
	s_or_b64 exec, exec, s[8:9]
	v_or_b32_e32 v11, 0x100, v10
	v_cmp_gt_u32_e64 s[8:9], s3, v11
	v_mov_b32_e32 v15, -1
	v_mov_b32_e32 v16, -1
	s_and_saveexec_b64 s[10:11], s[8:9]
	s_cbranch_execz .LBB1045_11
; %bb.10:
	global_load_dword v11, v[8:9], off offset:1024
	s_waitcnt vmcnt(0)
	v_xor_b32_e32 v16, 0x7fffffff, v11
.LBB1045_11:
	;; [unrolled: 22-line block ×7, first 2 shown]
	s_or_b64 exec, exec, s[30:31]
	v_or_b32_e32 v10, 0x3c0, v10
	v_cmp_gt_u32_e64 s[30:31], s3, v10
	s_and_saveexec_b64 s[34:35], s[30:31]
	s_cbranch_execz .LBB1045_33
; %bb.32:
	global_load_dword v8, v[8:9], off offset:3840
	s_waitcnt vmcnt(0)
	v_xor_b32_e32 v25, 0x7fffffff, v8
.LBB1045_33:
	s_or_b64 exec, exec, s[34:35]
	s_load_dword s34, s[0:1], 0x64
	s_load_dword s33, s[0:1], 0x58
	s_add_u32 s35, s0, 0x58
	s_addc_u32 s36, s1, 0
	v_mov_b32_e32 v9, 0
	s_waitcnt lgkmcnt(0)
	s_lshr_b32 s37, s34, 16
	s_cmp_lt_u32 s2, s33
	s_cselect_b32 s34, 12, 18
	s_add_u32 s34, s35, s34
	s_addc_u32 s35, s36, 0
	global_load_ushort v27, v9, s[34:35]
	v_lshrrev_b32_e32 v29, s64, v5
	s_lshl_b32 s34, -1, s65
	v_bfe_u32 v8, v0, 10, 10
	v_bfe_u32 v11, v0, 20, 10
	v_bitop3_b32 v38, v29, s34, v29 bitop3:0x30
	s_movk_i32 s69, 0x44
	v_mad_u32_u24 v40, v11, s37, v8
	v_and_b32_e32 v8, 1, v38
	v_lshlrev_b32_e32 v11, 30, v38
	v_mov_b32_e32 v10, v9
	v_mov_b32_e32 v30, v9
	s_not_b32 s68, s34
	v_mul_lo_u32 v42, v38, s69
	v_lshlrev_b32_e32 v29, 29, v38
	v_lshlrev_b32_e32 v31, 28, v38
	;; [unrolled: 1-line block ×6, first 2 shown]
	v_lshl_add_u64 v[38:39], v[8:9], 0, -1
	v_cmp_ne_u32_e64 s[34:35], 0, v8
	v_not_b32_e32 v8, v11
	v_mov_b32_e32 v28, v9
	v_mov_b32_e32 v32, v9
	v_cmp_gt_i64_e64 s[36:37], 0, v[10:11]
	v_not_b32_e32 v10, v29
	v_cmp_gt_i64_e64 s[40:41], 0, v[30:31]
	v_not_b32_e32 v11, v31
	v_xor_b32_e32 v31, s35, v39
	v_ashrrev_i32_e32 v8, 31, v8
	v_mov_b32_e32 v34, v9
	v_cmp_gt_i64_e64 s[38:39], 0, v[28:29]
	v_cmp_gt_i64_e64 s[44:45], 0, v[32:33]
	v_not_b32_e32 v28, v33
	v_xor_b32_e32 v32, s34, v38
	v_ashrrev_i32_e32 v10, 31, v10
	v_and_b32_e32 v31, exec_hi, v31
	v_xor_b32_e32 v33, s37, v8
	v_cmp_gt_i64_e64 s[46:47], 0, v[34:35]
	v_ashrrev_i32_e32 v11, 31, v11
	v_and_b32_e32 v32, exec_lo, v32
	v_xor_b32_e32 v8, s36, v8
	v_xor_b32_e32 v34, s39, v10
	v_and_b32_e32 v31, v31, v33
	v_mov_b32_e32 v36, v9
	v_not_b32_e32 v29, v35
	v_ashrrev_i32_e32 v28, 31, v28
	v_xor_b32_e32 v10, s38, v10
	v_xor_b32_e32 v35, s41, v11
	v_and_b32_e32 v8, v32, v8
	v_and_b32_e32 v31, v31, v34
	v_cmp_gt_i64_e64 s[48:49], 0, v[36:37]
	v_not_b32_e32 v30, v37
	v_ashrrev_i32_e32 v29, 31, v29
	v_xor_b32_e32 v36, s45, v28
	v_and_b32_e32 v8, v8, v10
	v_and_b32_e32 v10, v31, v35
	v_ashrrev_i32_e32 v30, 31, v30
	v_xor_b32_e32 v11, s40, v11
	v_xor_b32_e32 v37, s47, v29
	v_and_b32_e32 v10, v10, v36
	v_xor_b32_e32 v28, s44, v28
	v_xor_b32_e32 v38, s49, v30
	v_and_b32_e32 v8, v8, v11
	v_and_b32_e32 v10, v10, v37
	;; [unrolled: 1-line block ×4, first 2 shown]
	v_xor_b32_e32 v29, s46, v29
	v_xor_b32_e32 v30, s48, v30
	v_and_b32_e32 v8, v8, v29
	v_and_b32_e32 v8, v8, v30
	v_mul_u32_u24_e32 v13, 20, v2
	ds_write2_b32 v13, v9, v9 offset0:16 offset1:17
	ds_write2_b32 v13, v9, v9 offset0:18 offset1:19
	ds_write_b32 v13, v9 offset:80
	s_waitcnt lgkmcnt(0)
	s_barrier
	s_waitcnt vmcnt(0)
	; wave barrier
	v_mad_u64_u32 v[10:11], s[34:35], v40, v27, v[2:3]
	v_lshrrev_b32_e32 v38, 6, v10
	v_mov_b32_e32 v40, v9
	v_not_b32_e32 v10, v41
	v_cmp_gt_i64_e64 s[34:35], 0, v[40:41]
	v_ashrrev_i32_e32 v10, 31, v10
	v_lshl_add_u32 v31, v38, 2, v42
	v_xor_b32_e32 v11, s35, v10
	v_xor_b32_e32 v10, s34, v10
	v_and_b32_e32 v10, v8, v10
	v_and_b32_e32 v11, v28, v11
	v_mbcnt_lo_u32_b32 v8, v10, 0
	v_mbcnt_hi_u32_b32 v28, v11, v8
	v_cmp_eq_u32_e64 s[34:35], 0, v28
	v_cmp_ne_u64_e64 s[36:37], 0, v[10:11]
	s_and_b64 s[36:37], s[36:37], s[34:35]
	s_and_saveexec_b64 s[34:35], s[36:37]
; %bb.34:
	v_bcnt_u32_b32 v8, v10, 0
	v_bcnt_u32_b32 v8, v11, v8
	ds_write_b32 v31, v8 offset:64
; %bb.35:
	s_or_b64 exec, exec, s[34:35]
	v_lshrrev_b32_e32 v8, s64, v3
	v_and_b32_e32 v29, s68, v8
	v_mul_lo_u32 v8, v29, s69
	v_lshl_add_u32 v33, v38, 2, v8
	v_and_b32_e32 v8, 1, v29
	v_lshl_add_u64 v[10:11], v[8:9], 0, -1
	v_cmp_ne_u32_e64 s[34:35], 0, v8
	; wave barrier
	s_nop 1
	v_xor_b32_e32 v10, s34, v10
	v_xor_b32_e32 v8, s35, v11
	v_and_b32_e32 v30, exec_lo, v10
	v_lshlrev_b32_e32 v11, 30, v29
	v_mov_b32_e32 v10, v9
	v_cmp_gt_i64_e64 s[34:35], 0, v[10:11]
	v_not_b32_e32 v10, v11
	v_ashrrev_i32_e32 v10, 31, v10
	v_and_b32_e32 v8, exec_hi, v8
	v_xor_b32_e32 v11, s35, v10
	v_xor_b32_e32 v10, s34, v10
	v_and_b32_e32 v8, v8, v11
	v_and_b32_e32 v30, v30, v10
	v_lshlrev_b32_e32 v11, 29, v29
	v_mov_b32_e32 v10, v9
	v_cmp_gt_i64_e64 s[34:35], 0, v[10:11]
	v_not_b32_e32 v10, v11
	v_ashrrev_i32_e32 v10, 31, v10
	v_xor_b32_e32 v11, s35, v10
	v_xor_b32_e32 v10, s34, v10
	v_and_b32_e32 v8, v8, v11
	v_and_b32_e32 v30, v30, v10
	v_lshlrev_b32_e32 v11, 28, v29
	v_mov_b32_e32 v10, v9
	v_cmp_gt_i64_e64 s[34:35], 0, v[10:11]
	v_not_b32_e32 v10, v11
	v_ashrrev_i32_e32 v10, 31, v10
	;; [unrolled: 9-line block ×5, first 2 shown]
	v_xor_b32_e32 v11, s35, v10
	v_xor_b32_e32 v10, s34, v10
	v_and_b32_e32 v8, v8, v11
	v_lshlrev_b32_e32 v11, 24, v29
	v_and_b32_e32 v30, v30, v10
	v_mov_b32_e32 v10, v9
	v_not_b32_e32 v9, v11
	v_cmp_gt_i64_e64 s[34:35], 0, v[10:11]
	v_ashrrev_i32_e32 v9, 31, v9
	ds_read_b32 v27, v33 offset:64
	v_xor_b32_e32 v10, s35, v9
	v_xor_b32_e32 v11, s34, v9
	v_and_b32_e32 v9, v8, v10
	v_and_b32_e32 v8, v30, v11
	v_mbcnt_lo_u32_b32 v10, v8, 0
	v_mbcnt_hi_u32_b32 v29, v9, v10
	v_cmp_eq_u32_e64 s[34:35], 0, v29
	v_cmp_ne_u64_e64 s[36:37], 0, v[8:9]
	s_and_b64 s[36:37], s[36:37], s[34:35]
	; wave barrier
	s_and_saveexec_b64 s[34:35], s[36:37]
	s_cbranch_execz .LBB1045_37
; %bb.36:
	v_bcnt_u32_b32 v8, v8, 0
	v_bcnt_u32_b32 v8, v9, v8
	s_waitcnt lgkmcnt(0)
	v_add_u32_e32 v8, v27, v8
	ds_write_b32 v33, v8 offset:64
.LBB1045_37:
	s_or_b64 exec, exec, s[34:35]
	v_lshrrev_b32_e32 v8, s64, v14
	v_and_b32_e32 v32, s68, v8
	s_movk_i32 s38, 0x44
	v_mul_lo_u32 v8, v32, s38
	v_lshl_add_u32 v36, v38, 2, v8
	v_and_b32_e32 v8, 1, v32
	v_mov_b32_e32 v9, 0
	v_lshl_add_u64 v[10:11], v[8:9], 0, -1
	v_cmp_ne_u32_e64 s[34:35], 0, v8
	; wave barrier
	s_nop 1
	v_xor_b32_e32 v10, s34, v10
	v_xor_b32_e32 v8, s35, v11
	v_and_b32_e32 v34, exec_lo, v10
	v_lshlrev_b32_e32 v11, 30, v32
	v_mov_b32_e32 v10, v9
	v_cmp_gt_i64_e64 s[34:35], 0, v[10:11]
	v_not_b32_e32 v10, v11
	v_ashrrev_i32_e32 v10, 31, v10
	v_and_b32_e32 v8, exec_hi, v8
	v_xor_b32_e32 v11, s35, v10
	v_xor_b32_e32 v10, s34, v10
	v_and_b32_e32 v8, v8, v11
	v_and_b32_e32 v34, v34, v10
	v_lshlrev_b32_e32 v11, 29, v32
	v_mov_b32_e32 v10, v9
	v_cmp_gt_i64_e64 s[34:35], 0, v[10:11]
	v_not_b32_e32 v10, v11
	v_ashrrev_i32_e32 v10, 31, v10
	v_xor_b32_e32 v11, s35, v10
	v_xor_b32_e32 v10, s34, v10
	v_and_b32_e32 v8, v8, v11
	v_and_b32_e32 v34, v34, v10
	v_lshlrev_b32_e32 v11, 28, v32
	v_mov_b32_e32 v10, v9
	v_cmp_gt_i64_e64 s[34:35], 0, v[10:11]
	v_not_b32_e32 v10, v11
	v_ashrrev_i32_e32 v10, 31, v10
	v_xor_b32_e32 v11, s35, v10
	v_xor_b32_e32 v10, s34, v10
	v_and_b32_e32 v8, v8, v11
	v_and_b32_e32 v34, v34, v10
	v_lshlrev_b32_e32 v11, 27, v32
	v_mov_b32_e32 v10, v9
	v_cmp_gt_i64_e64 s[34:35], 0, v[10:11]
	v_not_b32_e32 v10, v11
	v_ashrrev_i32_e32 v10, 31, v10
	v_xor_b32_e32 v11, s35, v10
	v_xor_b32_e32 v10, s34, v10
	v_and_b32_e32 v8, v8, v11
	v_and_b32_e32 v34, v34, v10
	v_lshlrev_b32_e32 v11, 26, v32
	v_mov_b32_e32 v10, v9
	v_cmp_gt_i64_e64 s[34:35], 0, v[10:11]
	v_not_b32_e32 v10, v11
	v_ashrrev_i32_e32 v10, 31, v10
	v_xor_b32_e32 v11, s35, v10
	v_xor_b32_e32 v10, s34, v10
	v_and_b32_e32 v8, v8, v11
	v_and_b32_e32 v34, v34, v10
	v_lshlrev_b32_e32 v11, 25, v32
	v_mov_b32_e32 v10, v9
	v_cmp_gt_i64_e64 s[34:35], 0, v[10:11]
	v_not_b32_e32 v10, v11
	v_ashrrev_i32_e32 v10, 31, v10
	v_xor_b32_e32 v11, s35, v10
	v_xor_b32_e32 v10, s34, v10
	v_and_b32_e32 v8, v8, v11
	v_and_b32_e32 v34, v34, v10
	v_lshlrev_b32_e32 v11, 24, v32
	v_mov_b32_e32 v10, v9
	v_cmp_gt_i64_e64 s[34:35], 0, v[10:11]
	v_not_b32_e32 v10, v11
	v_ashrrev_i32_e32 v10, 31, v10
	v_xor_b32_e32 v11, s35, v10
	v_xor_b32_e32 v10, s34, v10
	ds_read_b32 v30, v36 offset:64
	v_and_b32_e32 v10, v34, v10
	v_and_b32_e32 v11, v8, v11
	v_mbcnt_lo_u32_b32 v8, v10, 0
	v_mbcnt_hi_u32_b32 v32, v11, v8
	v_cmp_eq_u32_e64 s[34:35], 0, v32
	v_cmp_ne_u64_e64 s[36:37], 0, v[10:11]
	s_and_b64 s[36:37], s[36:37], s[34:35]
	; wave barrier
	s_and_saveexec_b64 s[34:35], s[36:37]
	s_cbranch_execz .LBB1045_39
; %bb.38:
	v_bcnt_u32_b32 v8, v10, 0
	v_bcnt_u32_b32 v8, v11, v8
	s_waitcnt lgkmcnt(0)
	v_add_u32_e32 v8, v30, v8
	ds_write_b32 v36, v8 offset:64
.LBB1045_39:
	s_or_b64 exec, exec, s[34:35]
	v_lshrrev_b32_e32 v8, s64, v7
	v_and_b32_e32 v35, s68, v8
	v_mul_lo_u32 v8, v35, s38
	v_lshl_add_u32 v40, v38, 2, v8
	v_and_b32_e32 v8, 1, v35
	v_lshl_add_u64 v[10:11], v[8:9], 0, -1
	v_cmp_ne_u32_e64 s[34:35], 0, v8
	; wave barrier
	s_nop 1
	v_xor_b32_e32 v10, s34, v10
	v_xor_b32_e32 v8, s35, v11
	v_and_b32_e32 v37, exec_lo, v10
	v_lshlrev_b32_e32 v11, 30, v35
	v_mov_b32_e32 v10, v9
	v_cmp_gt_i64_e64 s[34:35], 0, v[10:11]
	v_not_b32_e32 v10, v11
	v_ashrrev_i32_e32 v10, 31, v10
	v_and_b32_e32 v8, exec_hi, v8
	v_xor_b32_e32 v11, s35, v10
	v_xor_b32_e32 v10, s34, v10
	v_and_b32_e32 v8, v8, v11
	v_and_b32_e32 v37, v37, v10
	v_lshlrev_b32_e32 v11, 29, v35
	v_mov_b32_e32 v10, v9
	v_cmp_gt_i64_e64 s[34:35], 0, v[10:11]
	v_not_b32_e32 v10, v11
	v_ashrrev_i32_e32 v10, 31, v10
	v_xor_b32_e32 v11, s35, v10
	v_xor_b32_e32 v10, s34, v10
	v_and_b32_e32 v8, v8, v11
	v_and_b32_e32 v37, v37, v10
	v_lshlrev_b32_e32 v11, 28, v35
	v_mov_b32_e32 v10, v9
	v_cmp_gt_i64_e64 s[34:35], 0, v[10:11]
	v_not_b32_e32 v10, v11
	v_ashrrev_i32_e32 v10, 31, v10
	;; [unrolled: 9-line block ×5, first 2 shown]
	v_xor_b32_e32 v11, s35, v10
	v_xor_b32_e32 v10, s34, v10
	v_and_b32_e32 v8, v8, v11
	v_lshlrev_b32_e32 v11, 24, v35
	v_and_b32_e32 v37, v37, v10
	v_mov_b32_e32 v10, v9
	v_not_b32_e32 v9, v11
	v_cmp_gt_i64_e64 s[34:35], 0, v[10:11]
	v_ashrrev_i32_e32 v9, 31, v9
	ds_read_b32 v34, v40 offset:64
	v_xor_b32_e32 v10, s35, v9
	v_xor_b32_e32 v11, s34, v9
	v_and_b32_e32 v9, v8, v10
	v_and_b32_e32 v8, v37, v11
	v_mbcnt_lo_u32_b32 v10, v8, 0
	v_mbcnt_hi_u32_b32 v35, v9, v10
	v_cmp_eq_u32_e64 s[34:35], 0, v35
	v_cmp_ne_u64_e64 s[36:37], 0, v[8:9]
	s_and_b64 s[36:37], s[36:37], s[34:35]
	; wave barrier
	s_and_saveexec_b64 s[34:35], s[36:37]
	s_cbranch_execz .LBB1045_41
; %bb.40:
	v_bcnt_u32_b32 v8, v8, 0
	v_bcnt_u32_b32 v8, v9, v8
	s_waitcnt lgkmcnt(0)
	v_add_u32_e32 v8, v34, v8
	ds_write_b32 v40, v8 offset:64
.LBB1045_41:
	s_or_b64 exec, exec, s[34:35]
	v_lshrrev_b32_e32 v8, s64, v16
	v_and_b32_e32 v39, s68, v8
	v_mul_lo_u32 v8, v39, s38
	v_lshl_add_u32 v43, v38, 2, v8
	v_and_b32_e32 v8, 1, v39
	v_mov_b32_e32 v9, 0
	v_lshl_add_u64 v[10:11], v[8:9], 0, -1
	v_cmp_ne_u32_e64 s[34:35], 0, v8
	; wave barrier
	s_nop 1
	v_xor_b32_e32 v10, s34, v10
	v_xor_b32_e32 v8, s35, v11
	v_and_b32_e32 v41, exec_lo, v10
	v_lshlrev_b32_e32 v11, 30, v39
	v_mov_b32_e32 v10, v9
	v_cmp_gt_i64_e64 s[34:35], 0, v[10:11]
	v_not_b32_e32 v10, v11
	v_ashrrev_i32_e32 v10, 31, v10
	v_and_b32_e32 v8, exec_hi, v8
	v_xor_b32_e32 v11, s35, v10
	v_xor_b32_e32 v10, s34, v10
	v_and_b32_e32 v8, v8, v11
	v_and_b32_e32 v41, v41, v10
	v_lshlrev_b32_e32 v11, 29, v39
	v_mov_b32_e32 v10, v9
	v_cmp_gt_i64_e64 s[34:35], 0, v[10:11]
	v_not_b32_e32 v10, v11
	v_ashrrev_i32_e32 v10, 31, v10
	v_xor_b32_e32 v11, s35, v10
	v_xor_b32_e32 v10, s34, v10
	v_and_b32_e32 v8, v8, v11
	v_and_b32_e32 v41, v41, v10
	v_lshlrev_b32_e32 v11, 28, v39
	v_mov_b32_e32 v10, v9
	v_cmp_gt_i64_e64 s[34:35], 0, v[10:11]
	v_not_b32_e32 v10, v11
	v_ashrrev_i32_e32 v10, 31, v10
	;; [unrolled: 9-line block ×6, first 2 shown]
	v_xor_b32_e32 v11, s35, v10
	v_xor_b32_e32 v10, s34, v10
	ds_read_b32 v37, v43 offset:64
	v_and_b32_e32 v10, v41, v10
	v_and_b32_e32 v11, v8, v11
	v_mbcnt_lo_u32_b32 v8, v10, 0
	v_mbcnt_hi_u32_b32 v39, v11, v8
	v_cmp_eq_u32_e64 s[34:35], 0, v39
	v_cmp_ne_u64_e64 s[36:37], 0, v[10:11]
	s_and_b64 s[36:37], s[36:37], s[34:35]
	; wave barrier
	s_and_saveexec_b64 s[34:35], s[36:37]
	s_cbranch_execz .LBB1045_43
; %bb.42:
	v_bcnt_u32_b32 v8, v10, 0
	v_bcnt_u32_b32 v8, v11, v8
	s_waitcnt lgkmcnt(0)
	v_add_u32_e32 v8, v37, v8
	ds_write_b32 v43, v8 offset:64
.LBB1045_43:
	s_or_b64 exec, exec, s[34:35]
	v_lshrrev_b32_e32 v8, s64, v15
	v_and_b32_e32 v42, s68, v8
	v_mul_lo_u32 v8, v42, s38
	v_lshl_add_u32 v45, v38, 2, v8
	v_and_b32_e32 v8, 1, v42
	v_lshl_add_u64 v[10:11], v[8:9], 0, -1
	v_cmp_ne_u32_e64 s[34:35], 0, v8
	; wave barrier
	s_nop 1
	v_xor_b32_e32 v10, s34, v10
	v_xor_b32_e32 v8, s35, v11
	v_and_b32_e32 v44, exec_lo, v10
	v_lshlrev_b32_e32 v11, 30, v42
	v_mov_b32_e32 v10, v9
	v_cmp_gt_i64_e64 s[34:35], 0, v[10:11]
	v_not_b32_e32 v10, v11
	v_ashrrev_i32_e32 v10, 31, v10
	v_and_b32_e32 v8, exec_hi, v8
	v_xor_b32_e32 v11, s35, v10
	v_xor_b32_e32 v10, s34, v10
	v_and_b32_e32 v8, v8, v11
	v_and_b32_e32 v44, v44, v10
	v_lshlrev_b32_e32 v11, 29, v42
	v_mov_b32_e32 v10, v9
	v_cmp_gt_i64_e64 s[34:35], 0, v[10:11]
	v_not_b32_e32 v10, v11
	v_ashrrev_i32_e32 v10, 31, v10
	v_xor_b32_e32 v11, s35, v10
	v_xor_b32_e32 v10, s34, v10
	v_and_b32_e32 v8, v8, v11
	v_and_b32_e32 v44, v44, v10
	v_lshlrev_b32_e32 v11, 28, v42
	v_mov_b32_e32 v10, v9
	v_cmp_gt_i64_e64 s[34:35], 0, v[10:11]
	v_not_b32_e32 v10, v11
	v_ashrrev_i32_e32 v10, 31, v10
	;; [unrolled: 9-line block ×5, first 2 shown]
	v_xor_b32_e32 v11, s35, v10
	v_xor_b32_e32 v10, s34, v10
	v_and_b32_e32 v8, v8, v11
	v_lshlrev_b32_e32 v11, 24, v42
	v_and_b32_e32 v44, v44, v10
	v_mov_b32_e32 v10, v9
	v_not_b32_e32 v9, v11
	v_cmp_gt_i64_e64 s[34:35], 0, v[10:11]
	v_ashrrev_i32_e32 v9, 31, v9
	ds_read_b32 v41, v45 offset:64
	v_xor_b32_e32 v10, s35, v9
	v_xor_b32_e32 v11, s34, v9
	v_and_b32_e32 v9, v8, v10
	v_and_b32_e32 v8, v44, v11
	v_mbcnt_lo_u32_b32 v10, v8, 0
	v_mbcnt_hi_u32_b32 v42, v9, v10
	v_cmp_eq_u32_e64 s[34:35], 0, v42
	v_cmp_ne_u64_e64 s[36:37], 0, v[8:9]
	s_and_b64 s[36:37], s[36:37], s[34:35]
	; wave barrier
	s_and_saveexec_b64 s[34:35], s[36:37]
	s_cbranch_execz .LBB1045_45
; %bb.44:
	v_bcnt_u32_b32 v8, v8, 0
	v_bcnt_u32_b32 v8, v9, v8
	s_waitcnt lgkmcnt(0)
	v_add_u32_e32 v8, v41, v8
	ds_write_b32 v45, v8 offset:64
.LBB1045_45:
	s_or_b64 exec, exec, s[34:35]
	v_lshrrev_b32_e32 v8, s64, v18
	v_and_b32_e32 v46, s68, v8
	v_mul_lo_u32 v8, v46, s38
	v_lshl_add_u32 v48, v38, 2, v8
	v_and_b32_e32 v8, 1, v46
	v_mov_b32_e32 v9, 0
	v_lshl_add_u64 v[10:11], v[8:9], 0, -1
	v_cmp_ne_u32_e64 s[34:35], 0, v8
	; wave barrier
	s_nop 1
	v_xor_b32_e32 v10, s34, v10
	v_xor_b32_e32 v8, s35, v11
	v_and_b32_e32 v47, exec_lo, v10
	v_lshlrev_b32_e32 v11, 30, v46
	v_mov_b32_e32 v10, v9
	v_cmp_gt_i64_e64 s[34:35], 0, v[10:11]
	v_not_b32_e32 v10, v11
	v_ashrrev_i32_e32 v10, 31, v10
	v_and_b32_e32 v8, exec_hi, v8
	v_xor_b32_e32 v11, s35, v10
	v_xor_b32_e32 v10, s34, v10
	v_and_b32_e32 v8, v8, v11
	v_and_b32_e32 v47, v47, v10
	v_lshlrev_b32_e32 v11, 29, v46
	v_mov_b32_e32 v10, v9
	v_cmp_gt_i64_e64 s[34:35], 0, v[10:11]
	v_not_b32_e32 v10, v11
	v_ashrrev_i32_e32 v10, 31, v10
	v_xor_b32_e32 v11, s35, v10
	v_xor_b32_e32 v10, s34, v10
	v_and_b32_e32 v8, v8, v11
	v_and_b32_e32 v47, v47, v10
	v_lshlrev_b32_e32 v11, 28, v46
	v_mov_b32_e32 v10, v9
	v_cmp_gt_i64_e64 s[34:35], 0, v[10:11]
	v_not_b32_e32 v10, v11
	v_ashrrev_i32_e32 v10, 31, v10
	;; [unrolled: 9-line block ×6, first 2 shown]
	v_xor_b32_e32 v11, s35, v10
	v_xor_b32_e32 v10, s34, v10
	ds_read_b32 v44, v48 offset:64
	v_and_b32_e32 v10, v47, v10
	v_and_b32_e32 v11, v8, v11
	v_mbcnt_lo_u32_b32 v8, v10, 0
	v_mbcnt_hi_u32_b32 v46, v11, v8
	v_cmp_eq_u32_e64 s[34:35], 0, v46
	v_cmp_ne_u64_e64 s[36:37], 0, v[10:11]
	s_and_b64 s[36:37], s[36:37], s[34:35]
	; wave barrier
	s_and_saveexec_b64 s[34:35], s[36:37]
	s_cbranch_execz .LBB1045_47
; %bb.46:
	v_bcnt_u32_b32 v8, v10, 0
	v_bcnt_u32_b32 v8, v11, v8
	s_waitcnt lgkmcnt(0)
	v_add_u32_e32 v8, v44, v8
	ds_write_b32 v48, v8 offset:64
.LBB1045_47:
	s_or_b64 exec, exec, s[34:35]
	v_lshrrev_b32_e32 v8, s64, v17
	v_and_b32_e32 v49, s68, v8
	v_mul_lo_u32 v8, v49, s38
	v_lshl_add_u32 v51, v38, 2, v8
	v_and_b32_e32 v8, 1, v49
	v_lshl_add_u64 v[10:11], v[8:9], 0, -1
	v_cmp_ne_u32_e64 s[34:35], 0, v8
	; wave barrier
	s_nop 1
	v_xor_b32_e32 v10, s34, v10
	v_xor_b32_e32 v8, s35, v11
	v_and_b32_e32 v50, exec_lo, v10
	v_lshlrev_b32_e32 v11, 30, v49
	v_mov_b32_e32 v10, v9
	v_cmp_gt_i64_e64 s[34:35], 0, v[10:11]
	v_not_b32_e32 v10, v11
	v_ashrrev_i32_e32 v10, 31, v10
	v_and_b32_e32 v8, exec_hi, v8
	v_xor_b32_e32 v11, s35, v10
	v_xor_b32_e32 v10, s34, v10
	v_and_b32_e32 v8, v8, v11
	v_and_b32_e32 v50, v50, v10
	v_lshlrev_b32_e32 v11, 29, v49
	v_mov_b32_e32 v10, v9
	v_cmp_gt_i64_e64 s[34:35], 0, v[10:11]
	v_not_b32_e32 v10, v11
	v_ashrrev_i32_e32 v10, 31, v10
	v_xor_b32_e32 v11, s35, v10
	v_xor_b32_e32 v10, s34, v10
	v_and_b32_e32 v8, v8, v11
	v_and_b32_e32 v50, v50, v10
	v_lshlrev_b32_e32 v11, 28, v49
	v_mov_b32_e32 v10, v9
	v_cmp_gt_i64_e64 s[34:35], 0, v[10:11]
	v_not_b32_e32 v10, v11
	v_ashrrev_i32_e32 v10, 31, v10
	;; [unrolled: 9-line block ×5, first 2 shown]
	v_xor_b32_e32 v11, s35, v10
	v_xor_b32_e32 v10, s34, v10
	v_and_b32_e32 v8, v8, v11
	v_lshlrev_b32_e32 v11, 24, v49
	v_and_b32_e32 v50, v50, v10
	v_mov_b32_e32 v10, v9
	v_not_b32_e32 v9, v11
	v_cmp_gt_i64_e64 s[34:35], 0, v[10:11]
	v_ashrrev_i32_e32 v9, 31, v9
	ds_read_b32 v47, v51 offset:64
	v_xor_b32_e32 v10, s35, v9
	v_xor_b32_e32 v11, s34, v9
	v_and_b32_e32 v9, v8, v10
	v_and_b32_e32 v8, v50, v11
	v_mbcnt_lo_u32_b32 v10, v8, 0
	v_mbcnt_hi_u32_b32 v49, v9, v10
	v_cmp_eq_u32_e64 s[34:35], 0, v49
	v_cmp_ne_u64_e64 s[36:37], 0, v[8:9]
	s_and_b64 s[36:37], s[36:37], s[34:35]
	; wave barrier
	s_and_saveexec_b64 s[34:35], s[36:37]
	s_cbranch_execz .LBB1045_49
; %bb.48:
	v_bcnt_u32_b32 v8, v8, 0
	v_bcnt_u32_b32 v8, v9, v8
	s_waitcnt lgkmcnt(0)
	v_add_u32_e32 v8, v47, v8
	ds_write_b32 v51, v8 offset:64
.LBB1045_49:
	s_or_b64 exec, exec, s[34:35]
	v_lshrrev_b32_e32 v8, s64, v20
	v_and_b32_e32 v52, s68, v8
	v_mul_lo_u32 v8, v52, s38
	v_lshl_add_u32 v54, v38, 2, v8
	v_and_b32_e32 v8, 1, v52
	v_mov_b32_e32 v9, 0
	v_lshl_add_u64 v[10:11], v[8:9], 0, -1
	v_cmp_ne_u32_e64 s[34:35], 0, v8
	; wave barrier
	s_nop 1
	v_xor_b32_e32 v10, s34, v10
	v_xor_b32_e32 v8, s35, v11
	v_and_b32_e32 v53, exec_lo, v10
	v_lshlrev_b32_e32 v11, 30, v52
	v_mov_b32_e32 v10, v9
	v_cmp_gt_i64_e64 s[34:35], 0, v[10:11]
	v_not_b32_e32 v10, v11
	v_ashrrev_i32_e32 v10, 31, v10
	v_and_b32_e32 v8, exec_hi, v8
	v_xor_b32_e32 v11, s35, v10
	v_xor_b32_e32 v10, s34, v10
	v_and_b32_e32 v8, v8, v11
	v_and_b32_e32 v53, v53, v10
	v_lshlrev_b32_e32 v11, 29, v52
	v_mov_b32_e32 v10, v9
	v_cmp_gt_i64_e64 s[34:35], 0, v[10:11]
	v_not_b32_e32 v10, v11
	v_ashrrev_i32_e32 v10, 31, v10
	v_xor_b32_e32 v11, s35, v10
	v_xor_b32_e32 v10, s34, v10
	v_and_b32_e32 v8, v8, v11
	v_and_b32_e32 v53, v53, v10
	v_lshlrev_b32_e32 v11, 28, v52
	v_mov_b32_e32 v10, v9
	v_cmp_gt_i64_e64 s[34:35], 0, v[10:11]
	v_not_b32_e32 v10, v11
	v_ashrrev_i32_e32 v10, 31, v10
	;; [unrolled: 9-line block ×6, first 2 shown]
	v_xor_b32_e32 v11, s35, v10
	v_xor_b32_e32 v10, s34, v10
	ds_read_b32 v50, v54 offset:64
	v_and_b32_e32 v10, v53, v10
	v_and_b32_e32 v11, v8, v11
	v_mbcnt_lo_u32_b32 v8, v10, 0
	v_mbcnt_hi_u32_b32 v52, v11, v8
	v_cmp_eq_u32_e64 s[34:35], 0, v52
	v_cmp_ne_u64_e64 s[36:37], 0, v[10:11]
	s_and_b64 s[36:37], s[36:37], s[34:35]
	; wave barrier
	s_and_saveexec_b64 s[34:35], s[36:37]
	s_cbranch_execz .LBB1045_51
; %bb.50:
	v_bcnt_u32_b32 v8, v10, 0
	v_bcnt_u32_b32 v8, v11, v8
	s_waitcnt lgkmcnt(0)
	v_add_u32_e32 v8, v50, v8
	ds_write_b32 v54, v8 offset:64
.LBB1045_51:
	s_or_b64 exec, exec, s[34:35]
	v_lshrrev_b32_e32 v8, s64, v19
	v_and_b32_e32 v55, s68, v8
	v_mul_lo_u32 v8, v55, s38
	v_lshl_add_u32 v57, v38, 2, v8
	v_and_b32_e32 v8, 1, v55
	v_lshl_add_u64 v[10:11], v[8:9], 0, -1
	v_cmp_ne_u32_e64 s[34:35], 0, v8
	; wave barrier
	s_nop 1
	v_xor_b32_e32 v10, s34, v10
	v_xor_b32_e32 v8, s35, v11
	v_and_b32_e32 v56, exec_lo, v10
	v_lshlrev_b32_e32 v11, 30, v55
	v_mov_b32_e32 v10, v9
	v_cmp_gt_i64_e64 s[34:35], 0, v[10:11]
	v_not_b32_e32 v10, v11
	v_ashrrev_i32_e32 v10, 31, v10
	v_and_b32_e32 v8, exec_hi, v8
	v_xor_b32_e32 v11, s35, v10
	v_xor_b32_e32 v10, s34, v10
	v_and_b32_e32 v8, v8, v11
	v_and_b32_e32 v56, v56, v10
	v_lshlrev_b32_e32 v11, 29, v55
	v_mov_b32_e32 v10, v9
	v_cmp_gt_i64_e64 s[34:35], 0, v[10:11]
	v_not_b32_e32 v10, v11
	v_ashrrev_i32_e32 v10, 31, v10
	v_xor_b32_e32 v11, s35, v10
	v_xor_b32_e32 v10, s34, v10
	v_and_b32_e32 v8, v8, v11
	v_and_b32_e32 v56, v56, v10
	v_lshlrev_b32_e32 v11, 28, v55
	v_mov_b32_e32 v10, v9
	v_cmp_gt_i64_e64 s[34:35], 0, v[10:11]
	v_not_b32_e32 v10, v11
	v_ashrrev_i32_e32 v10, 31, v10
	;; [unrolled: 9-line block ×5, first 2 shown]
	v_xor_b32_e32 v11, s35, v10
	v_xor_b32_e32 v10, s34, v10
	v_and_b32_e32 v8, v8, v11
	v_lshlrev_b32_e32 v11, 24, v55
	v_and_b32_e32 v56, v56, v10
	v_mov_b32_e32 v10, v9
	v_not_b32_e32 v9, v11
	v_cmp_gt_i64_e64 s[34:35], 0, v[10:11]
	v_ashrrev_i32_e32 v9, 31, v9
	ds_read_b32 v53, v57 offset:64
	v_xor_b32_e32 v10, s35, v9
	v_xor_b32_e32 v11, s34, v9
	v_and_b32_e32 v9, v8, v10
	v_and_b32_e32 v8, v56, v11
	v_mbcnt_lo_u32_b32 v10, v8, 0
	v_mbcnt_hi_u32_b32 v55, v9, v10
	v_cmp_eq_u32_e64 s[34:35], 0, v55
	v_cmp_ne_u64_e64 s[36:37], 0, v[8:9]
	s_and_b64 s[36:37], s[36:37], s[34:35]
	; wave barrier
	s_and_saveexec_b64 s[34:35], s[36:37]
	s_cbranch_execz .LBB1045_53
; %bb.52:
	v_bcnt_u32_b32 v8, v8, 0
	v_bcnt_u32_b32 v8, v9, v8
	s_waitcnt lgkmcnt(0)
	v_add_u32_e32 v8, v53, v8
	ds_write_b32 v57, v8 offset:64
.LBB1045_53:
	s_or_b64 exec, exec, s[34:35]
	v_lshrrev_b32_e32 v8, s64, v22
	v_and_b32_e32 v58, s68, v8
	v_mul_lo_u32 v8, v58, s38
	v_lshl_add_u32 v60, v38, 2, v8
	v_and_b32_e32 v8, 1, v58
	v_mov_b32_e32 v9, 0
	v_lshl_add_u64 v[10:11], v[8:9], 0, -1
	v_cmp_ne_u32_e64 s[34:35], 0, v8
	; wave barrier
	s_nop 1
	v_xor_b32_e32 v10, s34, v10
	v_xor_b32_e32 v8, s35, v11
	v_and_b32_e32 v59, exec_lo, v10
	v_lshlrev_b32_e32 v11, 30, v58
	v_mov_b32_e32 v10, v9
	v_cmp_gt_i64_e64 s[34:35], 0, v[10:11]
	v_not_b32_e32 v10, v11
	v_ashrrev_i32_e32 v10, 31, v10
	v_and_b32_e32 v8, exec_hi, v8
	v_xor_b32_e32 v11, s35, v10
	v_xor_b32_e32 v10, s34, v10
	v_and_b32_e32 v8, v8, v11
	v_and_b32_e32 v59, v59, v10
	v_lshlrev_b32_e32 v11, 29, v58
	v_mov_b32_e32 v10, v9
	v_cmp_gt_i64_e64 s[34:35], 0, v[10:11]
	v_not_b32_e32 v10, v11
	v_ashrrev_i32_e32 v10, 31, v10
	v_xor_b32_e32 v11, s35, v10
	v_xor_b32_e32 v10, s34, v10
	v_and_b32_e32 v8, v8, v11
	v_and_b32_e32 v59, v59, v10
	v_lshlrev_b32_e32 v11, 28, v58
	v_mov_b32_e32 v10, v9
	v_cmp_gt_i64_e64 s[34:35], 0, v[10:11]
	v_not_b32_e32 v10, v11
	v_ashrrev_i32_e32 v10, 31, v10
	;; [unrolled: 9-line block ×6, first 2 shown]
	v_xor_b32_e32 v11, s35, v10
	v_xor_b32_e32 v10, s34, v10
	ds_read_b32 v56, v60 offset:64
	v_and_b32_e32 v10, v59, v10
	v_and_b32_e32 v11, v8, v11
	v_mbcnt_lo_u32_b32 v8, v10, 0
	v_mbcnt_hi_u32_b32 v58, v11, v8
	v_cmp_eq_u32_e64 s[34:35], 0, v58
	v_cmp_ne_u64_e64 s[36:37], 0, v[10:11]
	s_and_b64 s[36:37], s[36:37], s[34:35]
	; wave barrier
	s_and_saveexec_b64 s[34:35], s[36:37]
	s_cbranch_execz .LBB1045_55
; %bb.54:
	v_bcnt_u32_b32 v8, v10, 0
	v_bcnt_u32_b32 v8, v11, v8
	s_waitcnt lgkmcnt(0)
	v_add_u32_e32 v8, v56, v8
	ds_write_b32 v60, v8 offset:64
.LBB1045_55:
	s_or_b64 exec, exec, s[34:35]
	v_lshrrev_b32_e32 v8, s64, v21
	v_and_b32_e32 v61, s68, v8
	v_mul_lo_u32 v8, v61, s38
	v_lshl_add_u32 v63, v38, 2, v8
	v_and_b32_e32 v8, 1, v61
	v_lshl_add_u64 v[10:11], v[8:9], 0, -1
	v_cmp_ne_u32_e64 s[34:35], 0, v8
	; wave barrier
	s_nop 1
	v_xor_b32_e32 v10, s34, v10
	v_xor_b32_e32 v8, s35, v11
	v_and_b32_e32 v62, exec_lo, v10
	v_lshlrev_b32_e32 v11, 30, v61
	v_mov_b32_e32 v10, v9
	v_cmp_gt_i64_e64 s[34:35], 0, v[10:11]
	v_not_b32_e32 v10, v11
	v_ashrrev_i32_e32 v10, 31, v10
	v_and_b32_e32 v8, exec_hi, v8
	v_xor_b32_e32 v11, s35, v10
	v_xor_b32_e32 v10, s34, v10
	v_and_b32_e32 v8, v8, v11
	v_and_b32_e32 v62, v62, v10
	v_lshlrev_b32_e32 v11, 29, v61
	v_mov_b32_e32 v10, v9
	v_cmp_gt_i64_e64 s[34:35], 0, v[10:11]
	v_not_b32_e32 v10, v11
	v_ashrrev_i32_e32 v10, 31, v10
	v_xor_b32_e32 v11, s35, v10
	v_xor_b32_e32 v10, s34, v10
	v_and_b32_e32 v8, v8, v11
	v_and_b32_e32 v62, v62, v10
	v_lshlrev_b32_e32 v11, 28, v61
	v_mov_b32_e32 v10, v9
	v_cmp_gt_i64_e64 s[34:35], 0, v[10:11]
	v_not_b32_e32 v10, v11
	v_ashrrev_i32_e32 v10, 31, v10
	;; [unrolled: 9-line block ×5, first 2 shown]
	v_xor_b32_e32 v11, s35, v10
	v_xor_b32_e32 v10, s34, v10
	v_and_b32_e32 v8, v8, v11
	v_lshlrev_b32_e32 v11, 24, v61
	v_and_b32_e32 v62, v62, v10
	v_mov_b32_e32 v10, v9
	v_not_b32_e32 v9, v11
	v_cmp_gt_i64_e64 s[34:35], 0, v[10:11]
	v_ashrrev_i32_e32 v9, 31, v9
	ds_read_b32 v59, v63 offset:64
	v_xor_b32_e32 v10, s35, v9
	v_xor_b32_e32 v11, s34, v9
	v_and_b32_e32 v9, v8, v10
	v_and_b32_e32 v8, v62, v11
	v_mbcnt_lo_u32_b32 v10, v8, 0
	v_mbcnt_hi_u32_b32 v61, v9, v10
	v_cmp_eq_u32_e64 s[34:35], 0, v61
	v_cmp_ne_u64_e64 s[36:37], 0, v[8:9]
	s_and_b64 s[36:37], s[36:37], s[34:35]
	; wave barrier
	s_and_saveexec_b64 s[34:35], s[36:37]
	s_cbranch_execz .LBB1045_57
; %bb.56:
	v_bcnt_u32_b32 v8, v8, 0
	v_bcnt_u32_b32 v8, v9, v8
	s_waitcnt lgkmcnt(0)
	v_add_u32_e32 v8, v59, v8
	ds_write_b32 v63, v8 offset:64
.LBB1045_57:
	s_or_b64 exec, exec, s[34:35]
	v_lshrrev_b32_e32 v8, s64, v24
	v_and_b32_e32 v64, s68, v8
	v_mul_lo_u32 v8, v64, s38
	v_lshl_add_u32 v66, v38, 2, v8
	v_and_b32_e32 v8, 1, v64
	v_mov_b32_e32 v9, 0
	v_lshl_add_u64 v[10:11], v[8:9], 0, -1
	v_cmp_ne_u32_e64 s[34:35], 0, v8
	; wave barrier
	s_nop 1
	v_xor_b32_e32 v10, s34, v10
	v_xor_b32_e32 v8, s35, v11
	v_and_b32_e32 v65, exec_lo, v10
	v_lshlrev_b32_e32 v11, 30, v64
	v_mov_b32_e32 v10, v9
	v_cmp_gt_i64_e64 s[34:35], 0, v[10:11]
	v_not_b32_e32 v10, v11
	v_ashrrev_i32_e32 v10, 31, v10
	v_and_b32_e32 v8, exec_hi, v8
	v_xor_b32_e32 v11, s35, v10
	v_xor_b32_e32 v10, s34, v10
	v_and_b32_e32 v8, v8, v11
	v_and_b32_e32 v65, v65, v10
	v_lshlrev_b32_e32 v11, 29, v64
	v_mov_b32_e32 v10, v9
	v_cmp_gt_i64_e64 s[34:35], 0, v[10:11]
	v_not_b32_e32 v10, v11
	v_ashrrev_i32_e32 v10, 31, v10
	v_xor_b32_e32 v11, s35, v10
	v_xor_b32_e32 v10, s34, v10
	v_and_b32_e32 v8, v8, v11
	v_and_b32_e32 v65, v65, v10
	v_lshlrev_b32_e32 v11, 28, v64
	v_mov_b32_e32 v10, v9
	v_cmp_gt_i64_e64 s[34:35], 0, v[10:11]
	v_not_b32_e32 v10, v11
	v_ashrrev_i32_e32 v10, 31, v10
	;; [unrolled: 9-line block ×6, first 2 shown]
	v_xor_b32_e32 v11, s35, v10
	v_xor_b32_e32 v10, s34, v10
	ds_read_b32 v62, v66 offset:64
	v_and_b32_e32 v10, v65, v10
	v_and_b32_e32 v11, v8, v11
	v_mbcnt_lo_u32_b32 v8, v10, 0
	v_mbcnt_hi_u32_b32 v64, v11, v8
	v_cmp_eq_u32_e64 s[34:35], 0, v64
	v_cmp_ne_u64_e64 s[36:37], 0, v[10:11]
	s_and_b64 s[36:37], s[36:37], s[34:35]
	; wave barrier
	s_and_saveexec_b64 s[34:35], s[36:37]
	s_cbranch_execz .LBB1045_59
; %bb.58:
	v_bcnt_u32_b32 v8, v10, 0
	v_bcnt_u32_b32 v8, v11, v8
	s_waitcnt lgkmcnt(0)
	v_add_u32_e32 v8, v62, v8
	ds_write_b32 v66, v8 offset:64
.LBB1045_59:
	s_or_b64 exec, exec, s[34:35]
	v_lshrrev_b32_e32 v8, s64, v23
	v_and_b32_e32 v67, s68, v8
	v_mul_lo_u32 v8, v67, s38
	v_lshl_add_u32 v69, v38, 2, v8
	v_and_b32_e32 v8, 1, v67
	v_lshl_add_u64 v[10:11], v[8:9], 0, -1
	v_cmp_ne_u32_e64 s[34:35], 0, v8
	; wave barrier
	s_nop 1
	v_xor_b32_e32 v10, s34, v10
	v_xor_b32_e32 v8, s35, v11
	v_and_b32_e32 v68, exec_lo, v10
	v_lshlrev_b32_e32 v11, 30, v67
	v_mov_b32_e32 v10, v9
	v_cmp_gt_i64_e64 s[34:35], 0, v[10:11]
	v_not_b32_e32 v10, v11
	v_ashrrev_i32_e32 v10, 31, v10
	v_and_b32_e32 v8, exec_hi, v8
	v_xor_b32_e32 v11, s35, v10
	v_xor_b32_e32 v10, s34, v10
	v_and_b32_e32 v8, v8, v11
	v_and_b32_e32 v68, v68, v10
	v_lshlrev_b32_e32 v11, 29, v67
	v_mov_b32_e32 v10, v9
	v_cmp_gt_i64_e64 s[34:35], 0, v[10:11]
	v_not_b32_e32 v10, v11
	v_ashrrev_i32_e32 v10, 31, v10
	v_xor_b32_e32 v11, s35, v10
	v_xor_b32_e32 v10, s34, v10
	v_and_b32_e32 v8, v8, v11
	v_and_b32_e32 v68, v68, v10
	v_lshlrev_b32_e32 v11, 28, v67
	v_mov_b32_e32 v10, v9
	v_cmp_gt_i64_e64 s[34:35], 0, v[10:11]
	v_not_b32_e32 v10, v11
	v_ashrrev_i32_e32 v10, 31, v10
	;; [unrolled: 9-line block ×5, first 2 shown]
	v_xor_b32_e32 v11, s35, v10
	v_xor_b32_e32 v10, s34, v10
	v_and_b32_e32 v8, v8, v11
	v_lshlrev_b32_e32 v11, 24, v67
	v_and_b32_e32 v68, v68, v10
	v_mov_b32_e32 v10, v9
	v_not_b32_e32 v9, v11
	v_cmp_gt_i64_e64 s[34:35], 0, v[10:11]
	v_ashrrev_i32_e32 v9, 31, v9
	ds_read_b32 v65, v69 offset:64
	v_xor_b32_e32 v10, s35, v9
	v_xor_b32_e32 v11, s34, v9
	v_and_b32_e32 v9, v8, v10
	v_and_b32_e32 v8, v68, v11
	v_mbcnt_lo_u32_b32 v10, v8, 0
	v_mbcnt_hi_u32_b32 v67, v9, v10
	v_cmp_eq_u32_e64 s[34:35], 0, v67
	v_cmp_ne_u64_e64 s[36:37], 0, v[8:9]
	s_and_b64 s[36:37], s[36:37], s[34:35]
	; wave barrier
	s_and_saveexec_b64 s[34:35], s[36:37]
	s_cbranch_execz .LBB1045_61
; %bb.60:
	v_bcnt_u32_b32 v8, v8, 0
	v_bcnt_u32_b32 v8, v9, v8
	s_waitcnt lgkmcnt(0)
	v_add_u32_e32 v8, v65, v8
	ds_write_b32 v69, v8 offset:64
.LBB1045_61:
	s_or_b64 exec, exec, s[34:35]
	v_lshrrev_b32_e32 v8, s64, v26
	v_and_b32_e32 v70, s68, v8
	v_mul_lo_u32 v8, v70, s38
	v_lshl_add_u32 v72, v38, 2, v8
	v_and_b32_e32 v8, 1, v70
	v_mov_b32_e32 v9, 0
	v_lshl_add_u64 v[10:11], v[8:9], 0, -1
	v_cmp_ne_u32_e64 s[34:35], 0, v8
	; wave barrier
	s_nop 1
	v_xor_b32_e32 v10, s34, v10
	v_xor_b32_e32 v8, s35, v11
	v_and_b32_e32 v71, exec_lo, v10
	v_lshlrev_b32_e32 v11, 30, v70
	v_mov_b32_e32 v10, v9
	v_cmp_gt_i64_e64 s[34:35], 0, v[10:11]
	v_not_b32_e32 v10, v11
	v_ashrrev_i32_e32 v10, 31, v10
	v_and_b32_e32 v8, exec_hi, v8
	v_xor_b32_e32 v11, s35, v10
	v_xor_b32_e32 v10, s34, v10
	v_and_b32_e32 v8, v8, v11
	v_and_b32_e32 v71, v71, v10
	v_lshlrev_b32_e32 v11, 29, v70
	v_mov_b32_e32 v10, v9
	v_cmp_gt_i64_e64 s[34:35], 0, v[10:11]
	v_not_b32_e32 v10, v11
	v_ashrrev_i32_e32 v10, 31, v10
	v_xor_b32_e32 v11, s35, v10
	v_xor_b32_e32 v10, s34, v10
	v_and_b32_e32 v8, v8, v11
	v_and_b32_e32 v71, v71, v10
	v_lshlrev_b32_e32 v11, 28, v70
	v_mov_b32_e32 v10, v9
	v_cmp_gt_i64_e64 s[34:35], 0, v[10:11]
	v_not_b32_e32 v10, v11
	v_ashrrev_i32_e32 v10, 31, v10
	;; [unrolled: 9-line block ×6, first 2 shown]
	v_xor_b32_e32 v11, s35, v10
	v_xor_b32_e32 v10, s34, v10
	ds_read_b32 v68, v72 offset:64
	v_and_b32_e32 v10, v71, v10
	v_and_b32_e32 v11, v8, v11
	v_mbcnt_lo_u32_b32 v8, v10, 0
	v_mbcnt_hi_u32_b32 v70, v11, v8
	v_cmp_eq_u32_e64 s[34:35], 0, v70
	v_cmp_ne_u64_e64 s[36:37], 0, v[10:11]
	s_and_b64 s[36:37], s[36:37], s[34:35]
	; wave barrier
	s_and_saveexec_b64 s[34:35], s[36:37]
	s_cbranch_execz .LBB1045_63
; %bb.62:
	v_bcnt_u32_b32 v8, v10, 0
	v_bcnt_u32_b32 v8, v11, v8
	s_waitcnt lgkmcnt(0)
	v_add_u32_e32 v8, v68, v8
	ds_write_b32 v72, v8 offset:64
.LBB1045_63:
	s_or_b64 exec, exec, s[34:35]
	v_lshrrev_b32_e32 v8, s64, v25
	v_and_b32_e32 v73, s68, v8
	v_mul_lo_u32 v8, v73, s38
	v_lshl_add_u32 v74, v38, 2, v8
	v_and_b32_e32 v8, 1, v73
	v_lshl_add_u64 v[10:11], v[8:9], 0, -1
	v_cmp_ne_u32_e64 s[34:35], 0, v8
	; wave barrier
	s_nop 1
	v_xor_b32_e32 v10, s34, v10
	v_xor_b32_e32 v8, s35, v11
	v_and_b32_e32 v38, exec_lo, v10
	v_lshlrev_b32_e32 v11, 30, v73
	v_mov_b32_e32 v10, v9
	v_cmp_gt_i64_e64 s[34:35], 0, v[10:11]
	v_not_b32_e32 v10, v11
	v_ashrrev_i32_e32 v10, 31, v10
	v_and_b32_e32 v8, exec_hi, v8
	v_xor_b32_e32 v11, s35, v10
	v_xor_b32_e32 v10, s34, v10
	v_and_b32_e32 v8, v8, v11
	v_and_b32_e32 v38, v38, v10
	v_lshlrev_b32_e32 v11, 29, v73
	v_mov_b32_e32 v10, v9
	v_cmp_gt_i64_e64 s[34:35], 0, v[10:11]
	v_not_b32_e32 v10, v11
	v_ashrrev_i32_e32 v10, 31, v10
	v_xor_b32_e32 v11, s35, v10
	v_xor_b32_e32 v10, s34, v10
	v_and_b32_e32 v8, v8, v11
	v_and_b32_e32 v38, v38, v10
	v_lshlrev_b32_e32 v11, 28, v73
	v_mov_b32_e32 v10, v9
	v_cmp_gt_i64_e64 s[34:35], 0, v[10:11]
	v_not_b32_e32 v10, v11
	v_ashrrev_i32_e32 v10, 31, v10
	;; [unrolled: 9-line block ×5, first 2 shown]
	v_xor_b32_e32 v11, s35, v10
	v_xor_b32_e32 v10, s34, v10
	v_and_b32_e32 v8, v8, v11
	v_lshlrev_b32_e32 v11, 24, v73
	v_and_b32_e32 v38, v38, v10
	v_mov_b32_e32 v10, v9
	v_not_b32_e32 v9, v11
	v_cmp_gt_i64_e64 s[34:35], 0, v[10:11]
	v_ashrrev_i32_e32 v9, 31, v9
	ds_read_b32 v71, v74 offset:64
	v_xor_b32_e32 v10, s35, v9
	v_xor_b32_e32 v11, s34, v9
	v_and_b32_e32 v9, v8, v10
	v_and_b32_e32 v8, v38, v11
	v_mbcnt_lo_u32_b32 v10, v8, 0
	v_mbcnt_hi_u32_b32 v73, v9, v10
	v_cmp_eq_u32_e64 s[34:35], 0, v73
	v_cmp_ne_u64_e64 s[36:37], 0, v[8:9]
	s_and_b64 s[36:37], s[36:37], s[34:35]
	; wave barrier
	s_and_saveexec_b64 s[34:35], s[36:37]
	s_cbranch_execz .LBB1045_65
; %bb.64:
	v_bcnt_u32_b32 v8, v8, 0
	v_bcnt_u32_b32 v8, v9, v8
	s_waitcnt lgkmcnt(0)
	v_add_u32_e32 v8, v71, v8
	ds_write_b32 v74, v8 offset:64
.LBB1045_65:
	s_or_b64 exec, exec, s[34:35]
	; wave barrier
	s_waitcnt lgkmcnt(0)
	s_barrier
	ds_read2_b32 v[10:11], v13 offset0:16 offset1:17
	ds_read2_b32 v[8:9], v13 offset0:18 offset1:19
	ds_read_b32 v38, v13 offset:80
	v_cmp_lt_u32_e64 s[44:45], 31, v12
	s_waitcnt lgkmcnt(1)
	v_add3_u32 v75, v11, v10, v8
	s_waitcnt lgkmcnt(0)
	v_add3_u32 v38, v75, v9, v38
	v_and_b32_e32 v75, 15, v12
	v_cmp_eq_u32_e64 s[34:35], 0, v75
	v_mov_b32_dpp v76, v38 row_shr:1 row_mask:0xf bank_mask:0xf
	v_cmp_lt_u32_e64 s[36:37], 1, v75
	v_cndmask_b32_e64 v76, v76, 0, s[34:35]
	v_add_u32_e32 v38, v76, v38
	v_cmp_lt_u32_e64 s[38:39], 3, v75
	v_cmp_lt_u32_e64 s[40:41], 7, v75
	v_mov_b32_dpp v76, v38 row_shr:2 row_mask:0xf bank_mask:0xf
	v_cndmask_b32_e64 v76, 0, v76, s[36:37]
	v_add_u32_e32 v38, v38, v76
	s_nop 1
	v_mov_b32_dpp v76, v38 row_shr:4 row_mask:0xf bank_mask:0xf
	v_cndmask_b32_e64 v76, 0, v76, s[38:39]
	v_add_u32_e32 v38, v38, v76
	s_nop 1
	v_mov_b32_dpp v76, v38 row_shr:8 row_mask:0xf bank_mask:0xf
	v_cndmask_b32_e64 v75, 0, v76, s[40:41]
	v_add_u32_e32 v38, v38, v75
	v_bfe_i32 v76, v12, 4, 1
	s_nop 0
	v_mov_b32_dpp v75, v38 row_bcast:15 row_mask:0xf bank_mask:0xf
	v_and_b32_e32 v75, v76, v75
	v_add_u32_e32 v38, v38, v75
	v_lshrrev_b32_e32 v76, 6, v2
	s_nop 0
	v_mov_b32_dpp v75, v38 row_bcast:31 row_mask:0xf bank_mask:0xf
	v_cndmask_b32_e64 v75, 0, v75, s[44:45]
	v_add_u32_e32 v75, v38, v75
	v_and_b32_e32 v38, 63, v2
	v_cmp_eq_u32_e64 s[44:45], 63, v38
	s_and_saveexec_b64 s[46:47], s[44:45]
; %bb.66:
	v_lshlrev_b32_e32 v38, 2, v76
	ds_write_b32 v38, v75
; %bb.67:
	s_or_b64 exec, exec, s[46:47]
	v_cmp_gt_u32_e64 s[44:45], 16, v2
	v_lshlrev_b32_e32 v38, 2, v2
	s_waitcnt lgkmcnt(0)
	s_barrier
	s_and_saveexec_b64 s[46:47], s[44:45]
	s_cbranch_execz .LBB1045_69
; %bb.68:
	ds_read_b32 v77, v38
	s_waitcnt lgkmcnt(0)
	s_nop 0
	v_mov_b32_dpp v78, v77 row_shr:1 row_mask:0xf bank_mask:0xf
	v_cndmask_b32_e64 v78, v78, 0, s[34:35]
	v_add_u32_e32 v77, v78, v77
	s_nop 1
	v_mov_b32_dpp v78, v77 row_shr:2 row_mask:0xf bank_mask:0xf
	v_cndmask_b32_e64 v78, 0, v78, s[36:37]
	v_add_u32_e32 v77, v77, v78
	;; [unrolled: 4-line block ×4, first 2 shown]
	ds_write_b32 v38, v77
.LBB1045_69:
	s_or_b64 exec, exec, s[46:47]
	v_cmp_lt_u32_e64 s[34:35], 63, v2
	v_mov_b32_e32 v77, 0
	s_waitcnt lgkmcnt(0)
	s_barrier
	s_and_saveexec_b64 s[36:37], s[34:35]
; %bb.70:
	v_lshl_add_u32 v76, v76, 2, -4
	ds_read_b32 v77, v76
; %bb.71:
	s_or_b64 exec, exec, s[36:37]
	v_subrev_co_u32_e64 v76, s[34:35], 1, v12
	v_and_b32_e32 v78, 64, v12
	v_cmp_lt_i32_e64 s[36:37], v76, v78
	s_waitcnt lgkmcnt(0)
	v_add_u32_e32 v75, v77, v75
	s_movk_i32 s38, 0x100
	v_cndmask_b32_e64 v12, v76, v12, s[36:37]
	v_lshlrev_b32_e32 v12, 2, v12
	ds_bpermute_b32 v12, v12, v75
	v_cmp_gt_u32_e64 s[36:37], s38, v2
	s_waitcnt lgkmcnt(0)
	v_cndmask_b32_e64 v12, v12, v77, s[34:35]
	v_cmp_ne_u32_e64 s[34:35], 0, v2
	s_nop 1
	v_cndmask_b32_e64 v12, 0, v12, s[34:35]
	v_add_u32_e32 v10, v12, v10
	v_add_u32_e32 v11, v10, v11
	v_add_u32_e32 v8, v11, v8
	v_add_u32_e32 v9, v8, v9
	ds_write2_b32 v13, v12, v10 offset0:16 offset1:17
	ds_write2_b32 v13, v11, v8 offset0:18 offset1:19
	ds_write_b32 v13, v9 offset:80
	s_waitcnt lgkmcnt(0)
	s_barrier
	ds_read_b32 v84, v31 offset:64
	ds_read_b32 v75, v33 offset:64
	;; [unrolled: 1-line block ×16, first 2 shown]
	s_movk_i32 s34, 0xff
	v_cmp_lt_u32_e64 s[34:35], s34, v2
                                        ; implicit-def: $vgpr31
                                        ; implicit-def: $vgpr33
	s_and_saveexec_b64 s[40:41], s[36:37]
	s_cbranch_execz .LBB1045_75
; %bb.72:
	v_mul_u32_u24_e32 v8, 0x44, v2
	ds_read_b32 v31, v8 offset:64
	v_add_u32_e32 v9, 1, v2
	v_cmp_ne_u32_e64 s[38:39], s38, v9
	v_mov_b32_e32 v8, 0x4000
	s_and_saveexec_b64 s[44:45], s[38:39]
; %bb.73:
	v_mul_u32_u24_e32 v8, 0x44, v9
	ds_read_b32 v8, v8 offset:64
; %bb.74:
	s_or_b64 exec, exec, s[44:45]
	s_waitcnt lgkmcnt(0)
	v_sub_u32_e32 v33, v8, v31
.LBB1045_75:
	s_or_b64 exec, exec, s[40:41]
	v_mov_b32_e32 v9, 0
	s_waitcnt lgkmcnt(0)
	s_barrier
	s_and_saveexec_b64 s[38:39], s[36:37]
	s_cbranch_execz .LBB1045_85
; %bb.76:
	v_lshl_add_u32 v8, s2, 8, v2
	v_lshl_add_u64 v[10:11], v[8:9], 2, s[50:51]
	v_or_b32_e32 v8, 2.0, v33
	s_mov_b64 s[40:41], 0
	s_brev_b32 s48, -4
	s_mov_b32 s49, s2
	v_mov_b32_e32 v48, 0
	global_store_dword v[10:11], v8, off sc1
                                        ; implicit-def: $sgpr36_sgpr37
	s_branch .LBB1045_79
.LBB1045_77:                            ;   in Loop: Header=BB1045_79 Depth=1
	s_or_b64 exec, exec, s[46:47]
.LBB1045_78:                            ;   in Loop: Header=BB1045_79 Depth=1
	s_or_b64 exec, exec, s[44:45]
	v_and_b32_e32 v12, 0x3fffffff, v8
	v_add_u32_e32 v48, v12, v48
	v_cmp_gt_i32_e64 s[36:37], -2.0, v8
	s_and_b64 s[44:45], exec, s[36:37]
	s_or_b64 s[40:41], s[44:45], s[40:41]
	s_andn2_b64 exec, exec, s[40:41]
	s_cbranch_execz .LBB1045_84
.LBB1045_79:                            ; =>This Loop Header: Depth=1
                                        ;     Child Loop BB1045_82 Depth 2
	s_or_b64 s[36:37], s[36:37], exec
	s_cmp_eq_u32 s49, 0
	s_cbranch_scc1 .LBB1045_83
; %bb.80:                               ;   in Loop: Header=BB1045_79 Depth=1
	s_add_i32 s49, s49, -1
	v_lshl_or_b32 v8, s49, 8, v2
	v_lshl_add_u64 v[12:13], v[8:9], 2, s[50:51]
	global_load_dword v8, v[12:13], off sc1
	s_waitcnt vmcnt(0)
	v_cmp_gt_u32_e64 s[36:37], 2.0, v8
	s_and_saveexec_b64 s[44:45], s[36:37]
	s_cbranch_execz .LBB1045_78
; %bb.81:                               ;   in Loop: Header=BB1045_79 Depth=1
	s_mov_b64 s[46:47], 0
.LBB1045_82:                            ;   Parent Loop BB1045_79 Depth=1
                                        ; =>  This Inner Loop Header: Depth=2
	global_load_dword v8, v[12:13], off sc1
	s_waitcnt vmcnt(0)
	v_cmp_lt_u32_e64 s[36:37], s48, v8
	s_or_b64 s[46:47], s[36:37], s[46:47]
	s_andn2_b64 exec, exec, s[46:47]
	s_cbranch_execnz .LBB1045_82
	s_branch .LBB1045_77
.LBB1045_83:                            ;   in Loop: Header=BB1045_79 Depth=1
                                        ; implicit-def: $sgpr49
	s_and_b64 s[44:45], exec, s[36:37]
	s_or_b64 s[40:41], s[44:45], s[40:41]
	s_andn2_b64 exec, exec, s[40:41]
	s_cbranch_execnz .LBB1045_79
.LBB1045_84:
	s_or_b64 exec, exec, s[40:41]
	v_add_u32_e32 v8, v48, v33
	v_or_b32_e32 v8, 0x80000000, v8
	global_store_dword v[10:11], v8, off sc1
	global_load_dword v8, v38, s[60:61]
	v_sub_u32_e32 v9, v48, v31
	s_waitcnt vmcnt(0)
	v_add_u32_e32 v8, v9, v8
	ds_write_b32 v38, v8
.LBB1045_85:
	s_or_b64 exec, exec, s[38:39]
	v_add_u32_e32 v10, v84, v28
	v_add3_u32 v8, v29, v27, v75
	v_add3_u32 v9, v32, v30, v76
	;; [unrolled: 1-line block ×15, first 2 shown]
	v_mov_b32_e32 v87, 0x400
	s_movk_i32 s40, 0x400
	v_lshl_add_u32 v11, v11, 2, v87
	v_add3_u32 v12, v73, v43, v71
	v_lshl_add_u32 v13, v13, 2, v87
	v_add3_u32 v28, v70, v36, v68
	;; [unrolled: 2-line block ×15, first 2 shown]
	v_lshl_add_u32 v29, v10, 2, v87
	s_mov_b32 s41, 0
	s_mov_b32 s44, 0
	s_movk_i32 s45, 0x1000
	v_mov_b32_e32 v9, 0
	s_movk_i32 s46, 0x800
	s_movk_i32 s47, 0xc00
	v_mov_b32_e32 v58, v2
	s_mov_b32 s48, 0
	s_branch .LBB1045_87
.LBB1045_86:                            ;   in Loop: Header=BB1045_87 Depth=1
	s_or_b64 exec, exec, s[38:39]
	s_addk_i32 s48, 0xc000
	s_add_i32 s41, s41, 16
	s_addk_i32 s44, 0xf000
	s_cmp_eq_u32 s48, 0xffff0000
	v_add_u32_e32 v58, 0x1000, v58
	s_barrier
	s_cbranch_scc1 .LBB1045_127
.LBB1045_87:                            ; =>This Inner Loop Header: Depth=1
	v_add_u32_e32 v8, s44, v10
	v_cmp_gt_u32_e64 s[36:37], s45, v8
	s_and_saveexec_b64 s[38:39], s[36:37]
; %bb.88:                               ;   in Loop: Header=BB1045_87 Depth=1
	v_add_u32_e32 v8, s48, v29
	ds_write_b32 v8, v5
; %bb.89:                               ;   in Loop: Header=BB1045_87 Depth=1
	s_or_b64 exec, exec, s[38:39]
	v_add_u32_e32 v8, s44, v27
	v_cmp_gt_u32_e64 s[36:37], s45, v8
	s_and_saveexec_b64 s[38:39], s[36:37]
; %bb.90:                               ;   in Loop: Header=BB1045_87 Depth=1
	v_add_u32_e32 v8, s48, v32
	ds_write_b32 v8, v3
; %bb.91:                               ;   in Loop: Header=BB1045_87 Depth=1
	s_or_b64 exec, exec, s[38:39]
	;; [unrolled: 8-line block ×6, first 2 shown]
	v_add_u32_e32 v8, s44, v44
	v_cmp_gt_u32_e64 s[36:37], s45, v8
	s_and_saveexec_b64 s[38:39], s[36:37]
; %bb.100:                              ;   in Loop: Header=BB1045_87 Depth=1
	v_add_u32_e32 v8, s48, v49
	ds_write_b32 v8, v18
; %bb.101:                              ;   in Loop: Header=BB1045_87 Depth=1
	s_or_b64 exec, exec, s[38:39]
	v_add_u32_e32 v8, s44, v47
	v_cmp_gt_u32_e64 s[36:37], s45, v8
	s_and_saveexec_b64 s[38:39], s[36:37]
; %bb.102:                              ;   in Loop: Header=BB1045_87 Depth=1
	v_add_u32_e32 v8, s48, v52
	ds_write_b32 v8, v17
; %bb.103:                              ;   in Loop: Header=BB1045_87 Depth=1
	s_or_b64 exec, exec, s[38:39]
	;; [unrolled: 8-line block ×10, first 2 shown]
	v_cmp_gt_u32_e64 s[36:37], s3, v58
	s_waitcnt lgkmcnt(0)
	s_barrier
	s_and_saveexec_b64 s[38:39], s[36:37]
	s_cbranch_execz .LBB1045_121
; %bb.120:                              ;   in Loop: Header=BB1045_87 Depth=1
	ds_read_b32 v8, v38 offset:1024
	s_waitcnt lgkmcnt(0)
	v_lshrrev_b32_e32 v59, s64, v8
	v_and_b32_e32 v59, s68, v59
	v_lshlrev_b32_e32 v60, 2, v59
	ds_read_b32 v60, v60
	v_xor_b32_e32 v62, 0x7fffffff, v8
	s_waitcnt lgkmcnt(0)
	v_add_u32_e32 v8, v58, v60
	v_lshl_add_u64 v[60:61], v[8:9], 2, s[54:55]
	global_store_dword v[60:61], v62, off
	scratch_store_dword off, v59, s41
.LBB1045_121:                           ;   in Loop: Header=BB1045_87 Depth=1
	s_or_b64 exec, exec, s[38:39]
	v_add_u32_e32 v8, 0x400, v58
	v_cmp_gt_u32_e64 s[36:37], s3, v8
	s_and_saveexec_b64 s[38:39], s[36:37]
	s_cbranch_execz .LBB1045_123
; %bb.122:                              ;   in Loop: Header=BB1045_87 Depth=1
	ds_read_b32 v8, v38 offset:5120
	s_add_i32 s36, s41, 4
	s_waitcnt lgkmcnt(0)
	v_lshrrev_b32_e32 v59, s64, v8
	v_and_b32_e32 v59, s68, v59
	v_lshlrev_b32_e32 v60, 2, v59
	ds_read_b32 v60, v60
	v_xor_b32_e32 v62, 0x7fffffff, v8
	s_waitcnt lgkmcnt(0)
	v_add3_u32 v8, v58, v60, s40
	v_lshl_add_u64 v[60:61], v[8:9], 2, s[54:55]
	global_store_dword v[60:61], v62, off
	scratch_store_dword off, v59, s36
.LBB1045_123:                           ;   in Loop: Header=BB1045_87 Depth=1
	s_or_b64 exec, exec, s[38:39]
	v_add_u32_e32 v8, 0x800, v58
	v_cmp_gt_u32_e64 s[36:37], s3, v8
	s_and_saveexec_b64 s[38:39], s[36:37]
	s_cbranch_execz .LBB1045_125
; %bb.124:                              ;   in Loop: Header=BB1045_87 Depth=1
	ds_read_b32 v8, v38 offset:9216
	s_add_i32 s36, s41, 8
	s_waitcnt lgkmcnt(0)
	v_lshrrev_b32_e32 v59, s64, v8
	v_and_b32_e32 v59, s68, v59
	v_lshlrev_b32_e32 v60, 2, v59
	ds_read_b32 v60, v60
	v_xor_b32_e32 v62, 0x7fffffff, v8
	s_waitcnt lgkmcnt(0)
	v_add3_u32 v8, v58, v60, s46
	v_lshl_add_u64 v[60:61], v[8:9], 2, s[54:55]
	global_store_dword v[60:61], v62, off
	scratch_store_dword off, v59, s36
.LBB1045_125:                           ;   in Loop: Header=BB1045_87 Depth=1
	s_or_b64 exec, exec, s[38:39]
	v_add_u32_e32 v8, 0xc00, v58
	v_cmp_gt_u32_e64 s[36:37], s3, v8
	s_and_saveexec_b64 s[38:39], s[36:37]
	s_cbranch_execz .LBB1045_86
; %bb.126:                              ;   in Loop: Header=BB1045_87 Depth=1
	ds_read_b32 v8, v38 offset:13312
	s_add_i32 s36, s41, 12
	s_waitcnt lgkmcnt(0)
	v_lshrrev_b32_e32 v59, s64, v8
	v_and_b32_e32 v59, s68, v59
	v_lshlrev_b32_e32 v60, 2, v59
	ds_read_b32 v60, v60
	v_xor_b32_e32 v62, 0x7fffffff, v8
	s_waitcnt lgkmcnt(0)
	v_add3_u32 v8, v58, v60, s47
	v_lshl_add_u64 v[60:61], v[8:9], 2, s[54:55]
	global_store_dword v[60:61], v62, off
	scratch_store_dword off, v59, s36
	s_branch .LBB1045_86
.LBB1045_127:
	s_add_u32 s36, s56, s66
	s_addc_u32 s37, s57, s67
	v_mov_b32_e32 v5, 0
	v_lshl_add_u64 v[8:9], s[36:37], 0, v[4:5]
	v_mov_b32_e32 v7, v5
	v_lshl_add_u64 v[4:5], v[8:9], 0, v[6:7]
                                        ; implicit-def: $vgpr3
	s_and_saveexec_b64 s[36:37], vcc
	s_cbranch_execz .LBB1045_143
; %bb.128:
	global_load_dword v3, v[4:5], off
	s_or_b64 exec, exec, s[36:37]
                                        ; implicit-def: $vgpr6
	s_and_saveexec_b64 s[36:37], s[42:43]
	s_cbranch_execnz .LBB1045_144
.LBB1045_129:
	s_or_b64 exec, exec, s[36:37]
                                        ; implicit-def: $vgpr7
	s_and_saveexec_b64 s[36:37], s[4:5]
	s_cbranch_execz .LBB1045_145
.LBB1045_130:
	global_load_dword v7, v[4:5], off offset:512
	s_or_b64 exec, exec, s[36:37]
                                        ; implicit-def: $vgpr8
	s_and_saveexec_b64 s[4:5], s[6:7]
	s_cbranch_execnz .LBB1045_146
.LBB1045_131:
	s_or_b64 exec, exec, s[4:5]
                                        ; implicit-def: $vgpr9
	s_and_saveexec_b64 s[4:5], s[8:9]
	s_cbranch_execz .LBB1045_147
.LBB1045_132:
	global_load_dword v9, v[4:5], off offset:1024
	s_or_b64 exec, exec, s[4:5]
                                        ; implicit-def: $vgpr14
	s_and_saveexec_b64 s[4:5], s[10:11]
	s_cbranch_execnz .LBB1045_148
.LBB1045_133:
	s_or_b64 exec, exec, s[4:5]
                                        ; implicit-def: $vgpr15
	s_and_saveexec_b64 s[4:5], s[12:13]
	s_cbranch_execz .LBB1045_149
.LBB1045_134:
	global_load_dword v15, v[4:5], off offset:1536
	s_or_b64 exec, exec, s[4:5]
                                        ; implicit-def: $vgpr16
	s_and_saveexec_b64 s[4:5], s[14:15]
	s_cbranch_execnz .LBB1045_150
.LBB1045_135:
	s_or_b64 exec, exec, s[4:5]
                                        ; implicit-def: $vgpr17
	s_and_saveexec_b64 s[4:5], s[16:17]
	s_cbranch_execz .LBB1045_151
.LBB1045_136:
	global_load_dword v17, v[4:5], off offset:2048
	s_or_b64 exec, exec, s[4:5]
                                        ; implicit-def: $vgpr18
	s_and_saveexec_b64 s[4:5], s[18:19]
	s_cbranch_execnz .LBB1045_152
.LBB1045_137:
	s_or_b64 exec, exec, s[4:5]
                                        ; implicit-def: $vgpr19
	s_and_saveexec_b64 s[4:5], s[20:21]
	s_cbranch_execz .LBB1045_153
.LBB1045_138:
	global_load_dword v19, v[4:5], off offset:2560
	s_or_b64 exec, exec, s[4:5]
                                        ; implicit-def: $vgpr20
	s_and_saveexec_b64 s[4:5], s[22:23]
	s_cbranch_execnz .LBB1045_154
.LBB1045_139:
	s_or_b64 exec, exec, s[4:5]
                                        ; implicit-def: $vgpr21
	s_and_saveexec_b64 s[4:5], s[24:25]
	s_cbranch_execz .LBB1045_155
.LBB1045_140:
	global_load_dword v21, v[4:5], off offset:3072
	s_or_b64 exec, exec, s[4:5]
                                        ; implicit-def: $vgpr22
	s_and_saveexec_b64 s[4:5], s[26:27]
	s_cbranch_execnz .LBB1045_156
.LBB1045_141:
	s_or_b64 exec, exec, s[4:5]
                                        ; implicit-def: $vgpr23
	s_and_saveexec_b64 s[4:5], s[28:29]
	s_cbranch_execz .LBB1045_157
.LBB1045_142:
	global_load_dword v23, v[4:5], off offset:3584
	s_or_b64 exec, exec, s[4:5]
                                        ; implicit-def: $vgpr24
	s_and_saveexec_b64 s[4:5], s[30:31]
	s_cbranch_execnz .LBB1045_158
	s_branch .LBB1045_159
.LBB1045_143:
	s_or_b64 exec, exec, s[36:37]
                                        ; implicit-def: $vgpr6
	s_and_saveexec_b64 s[36:37], s[42:43]
	s_cbranch_execz .LBB1045_129
.LBB1045_144:
	global_load_dword v6, v[4:5], off offset:256
	s_or_b64 exec, exec, s[36:37]
                                        ; implicit-def: $vgpr7
	s_and_saveexec_b64 s[36:37], s[4:5]
	s_cbranch_execnz .LBB1045_130
.LBB1045_145:
	s_or_b64 exec, exec, s[36:37]
                                        ; implicit-def: $vgpr8
	s_and_saveexec_b64 s[4:5], s[6:7]
	s_cbranch_execz .LBB1045_131
.LBB1045_146:
	global_load_dword v8, v[4:5], off offset:768
	s_or_b64 exec, exec, s[4:5]
                                        ; implicit-def: $vgpr9
	s_and_saveexec_b64 s[4:5], s[8:9]
	s_cbranch_execnz .LBB1045_132
.LBB1045_147:
	s_or_b64 exec, exec, s[4:5]
                                        ; implicit-def: $vgpr14
	s_and_saveexec_b64 s[4:5], s[10:11]
	s_cbranch_execz .LBB1045_133
.LBB1045_148:
	global_load_dword v14, v[4:5], off offset:1280
	s_or_b64 exec, exec, s[4:5]
                                        ; implicit-def: $vgpr15
	s_and_saveexec_b64 s[4:5], s[12:13]
	s_cbranch_execnz .LBB1045_134
.LBB1045_149:
	s_or_b64 exec, exec, s[4:5]
                                        ; implicit-def: $vgpr16
	s_and_saveexec_b64 s[4:5], s[14:15]
	s_cbranch_execz .LBB1045_135
.LBB1045_150:
	global_load_dword v16, v[4:5], off offset:1792
	s_or_b64 exec, exec, s[4:5]
                                        ; implicit-def: $vgpr17
	s_and_saveexec_b64 s[4:5], s[16:17]
	s_cbranch_execnz .LBB1045_136
.LBB1045_151:
	s_or_b64 exec, exec, s[4:5]
                                        ; implicit-def: $vgpr18
	s_and_saveexec_b64 s[4:5], s[18:19]
	s_cbranch_execz .LBB1045_137
.LBB1045_152:
	global_load_dword v18, v[4:5], off offset:2304
	s_or_b64 exec, exec, s[4:5]
                                        ; implicit-def: $vgpr19
	s_and_saveexec_b64 s[4:5], s[20:21]
	s_cbranch_execnz .LBB1045_138
.LBB1045_153:
	s_or_b64 exec, exec, s[4:5]
                                        ; implicit-def: $vgpr20
	s_and_saveexec_b64 s[4:5], s[22:23]
	s_cbranch_execz .LBB1045_139
.LBB1045_154:
	global_load_dword v20, v[4:5], off offset:2816
	s_or_b64 exec, exec, s[4:5]
                                        ; implicit-def: $vgpr21
	s_and_saveexec_b64 s[4:5], s[24:25]
	s_cbranch_execnz .LBB1045_140
.LBB1045_155:
	s_or_b64 exec, exec, s[4:5]
                                        ; implicit-def: $vgpr22
	s_and_saveexec_b64 s[4:5], s[26:27]
	s_cbranch_execz .LBB1045_141
.LBB1045_156:
	global_load_dword v22, v[4:5], off offset:3328
	s_or_b64 exec, exec, s[4:5]
                                        ; implicit-def: $vgpr23
	s_and_saveexec_b64 s[4:5], s[28:29]
	s_cbranch_execnz .LBB1045_142
.LBB1045_157:
	s_or_b64 exec, exec, s[4:5]
                                        ; implicit-def: $vgpr24
	s_and_saveexec_b64 s[4:5], s[30:31]
	s_cbranch_execz .LBB1045_159
.LBB1045_158:
	global_load_dword v24, v[4:5], off offset:3840
.LBB1045_159:
	s_or_b64 exec, exec, s[4:5]
	s_mov_b32 s6, 0
	s_mov_b32 s7, 0
	s_movk_i32 s8, 0x1000
	v_mov_b32_e32 v5, 0
	s_movk_i32 s9, 0x400
	s_movk_i32 s10, 0x800
	;; [unrolled: 1-line block ×3, first 2 shown]
	s_mov_b32 s12, 0
	s_branch .LBB1045_161
.LBB1045_160:                           ;   in Loop: Header=BB1045_161 Depth=1
	s_or_b64 exec, exec, s[4:5]
	s_addk_i32 s12, 0xc000
	s_addk_i32 s7, 0xf000
	s_add_i32 s6, s6, 16
	s_cmp_eq_u32 s12, 0xffff0000
	v_add_u32_e32 v2, 0x1000, v2
	s_barrier
	s_cbranch_scc1 .LBB1045_201
.LBB1045_161:                           ; =>This Inner Loop Header: Depth=1
	v_add_u32_e32 v4, s7, v10
	v_cmp_gt_u32_e32 vcc, s8, v4
	s_and_saveexec_b64 s[4:5], vcc
	s_cbranch_execz .LBB1045_163
; %bb.162:                              ;   in Loop: Header=BB1045_161 Depth=1
	v_add_u32_e32 v4, s12, v29
	s_waitcnt vmcnt(0)
	ds_write_b32 v4, v3
.LBB1045_163:                           ;   in Loop: Header=BB1045_161 Depth=1
	s_or_b64 exec, exec, s[4:5]
	v_add_u32_e32 v4, s7, v27
	v_cmp_gt_u32_e32 vcc, s8, v4
	s_and_saveexec_b64 s[4:5], vcc
	s_cbranch_execz .LBB1045_165
; %bb.164:                              ;   in Loop: Header=BB1045_161 Depth=1
	v_add_u32_e32 v4, s12, v32
	s_waitcnt vmcnt(0)
	ds_write_b32 v4, v6
.LBB1045_165:                           ;   in Loop: Header=BB1045_161 Depth=1
	s_or_b64 exec, exec, s[4:5]
	;; [unrolled: 10-line block ×16, first 2 shown]
	v_cmp_gt_u32_e32 vcc, s3, v2
	s_waitcnt lgkmcnt(0)
	s_barrier
	s_and_saveexec_b64 s[4:5], vcc
	s_cbranch_execz .LBB1045_195
; %bb.194:                              ;   in Loop: Header=BB1045_161 Depth=1
	scratch_load_dword v4, off, s6
	s_waitcnt vmcnt(0)
	v_lshlrev_b32_e32 v4, 2, v4
	ds_read_b32 v4, v4
	ds_read_b32 v25, v38 offset:1024
	s_waitcnt lgkmcnt(1)
	v_add_u32_e32 v4, v2, v4
	v_lshl_add_u64 v[58:59], v[4:5], 2, s[58:59]
	s_waitcnt lgkmcnt(0)
	global_store_dword v[58:59], v25, off
.LBB1045_195:                           ;   in Loop: Header=BB1045_161 Depth=1
	s_or_b64 exec, exec, s[4:5]
	v_add_u32_e32 v4, 0x400, v2
	v_cmp_gt_u32_e32 vcc, s3, v4
	s_and_saveexec_b64 s[4:5], vcc
	s_cbranch_execz .LBB1045_197
; %bb.196:                              ;   in Loop: Header=BB1045_161 Depth=1
	s_add_i32 s13, s6, 4
	scratch_load_dword v4, off, s13
	s_waitcnt vmcnt(0)
	v_lshlrev_b32_e32 v4, 2, v4
	ds_read_b32 v4, v4
	ds_read_b32 v25, v38 offset:5120
	s_waitcnt lgkmcnt(1)
	v_add3_u32 v4, v2, v4, s9
	v_lshl_add_u64 v[58:59], v[4:5], 2, s[58:59]
	s_waitcnt lgkmcnt(0)
	global_store_dword v[58:59], v25, off
.LBB1045_197:                           ;   in Loop: Header=BB1045_161 Depth=1
	s_or_b64 exec, exec, s[4:5]
	v_add_u32_e32 v4, 0x800, v2
	v_cmp_gt_u32_e32 vcc, s3, v4
	s_and_saveexec_b64 s[4:5], vcc
	s_cbranch_execz .LBB1045_199
; %bb.198:                              ;   in Loop: Header=BB1045_161 Depth=1
	s_add_i32 s13, s6, 8
	scratch_load_dword v4, off, s13
	s_waitcnt vmcnt(0)
	v_lshlrev_b32_e32 v4, 2, v4
	ds_read_b32 v4, v4
	ds_read_b32 v25, v38 offset:9216
	s_waitcnt lgkmcnt(1)
	v_add3_u32 v4, v2, v4, s10
	v_lshl_add_u64 v[58:59], v[4:5], 2, s[58:59]
	s_waitcnt lgkmcnt(0)
	global_store_dword v[58:59], v25, off
.LBB1045_199:                           ;   in Loop: Header=BB1045_161 Depth=1
	s_or_b64 exec, exec, s[4:5]
	v_add_u32_e32 v4, 0xc00, v2
	v_cmp_gt_u32_e32 vcc, s3, v4
	s_and_saveexec_b64 s[4:5], vcc
	s_cbranch_execz .LBB1045_160
; %bb.200:                              ;   in Loop: Header=BB1045_161 Depth=1
	s_add_i32 s13, s6, 12
	scratch_load_dword v4, off, s13
	s_waitcnt vmcnt(0)
	v_lshlrev_b32_e32 v4, 2, v4
	ds_read_b32 v4, v4
	ds_read_b32 v25, v38 offset:13312
	s_waitcnt lgkmcnt(1)
	v_add3_u32 v4, v2, v4, s11
	v_lshl_add_u64 v[58:59], v[4:5], 2, s[58:59]
	s_waitcnt lgkmcnt(0)
	global_store_dword v[58:59], v25, off
	s_branch .LBB1045_160
.LBB1045_201:
	s_add_i32 s33, s33, -1
	s_cmp_eq_u32 s2, s33
	s_cselect_b64 s[4:5], -1, 0
	s_xor_b64 s[6:7], s[34:35], -1
	s_and_b64 s[6:7], s[6:7], s[4:5]
	s_and_saveexec_b64 s[4:5], s[6:7]
	s_cbranch_execz .LBB1045_203
; %bb.202:
	ds_read_b32 v2, v38
	s_waitcnt lgkmcnt(0)
	v_add3_u32 v2, v31, v33, v2
	global_store_dword v38, v2, s[62:63]
.LBB1045_203:
	s_or_b64 exec, exec, s[4:5]
	s_mov_b64 s[4:5], 0
.LBB1045_204:
	s_and_b64 vcc, exec, s[4:5]
	s_cbranch_vccz .LBB1045_327
; %bb.205:
	v_and_b32_e32 v2, 0x3ff, v0
	s_lshl_b32 s4, s2, 14
	s_mov_b32 s5, 0
	s_lshl_b64 s[10:11], s[4:5], 2
	v_mbcnt_hi_u32_b32 v10, -1, v1
	v_lshlrev_b32_e32 v1, 4, v2
	s_add_u32 s4, s52, s10
	s_waitcnt vmcnt(0)
	v_and_b32_e32 v3, 63, v10
	v_and_b32_e32 v6, 0x3c00, v1
	v_mov_b32_e32 v1, 0
	s_addc_u32 s5, s53, s11
	v_lshlrev_b32_e32 v4, 2, v3
	v_mov_b32_e32 v5, v1
	v_lshl_add_u64 v[8:9], s[4:5], 0, v[4:5]
	s_load_dword s3, s[0:1], 0x58
	s_load_dword s4, s[0:1], 0x64
	v_lshlrev_b32_e32 v6, 2, v6
	v_mov_b32_e32 v7, v1
	s_add_u32 s0, s0, 0x58
	v_lshl_add_u64 v[8:9], v[8:9], 0, v[6:7]
	s_addc_u32 s1, s1, 0
	s_waitcnt lgkmcnt(0)
	s_lshr_b32 s4, s4, 16
	global_load_dword v3, v[8:9], off
	s_cmp_lt_u32 s2, s3
	s_cselect_b32 s5, 12, 18
	s_add_u32 s0, s0, s5
	s_addc_u32 s1, s1, 0
	global_load_ushort v13, v1, s[0:1]
	v_mul_u32_u24_e32 v11, 20, v2
	ds_write2_b32 v11, v1, v1 offset0:16 offset1:17
	ds_write2_b32 v11, v1, v1 offset0:18 offset1:19
	ds_write_b32 v11, v1 offset:80
	global_load_dword v5, v[8:9], off offset:256
	global_load_dword v7, v[8:9], off offset:512
	;; [unrolled: 1-line block ×15, first 2 shown]
	v_bfe_u32 v14, v0, 10, 10
	v_bfe_u32 v0, v0, 20, 10
	v_mad_u32_u24 v8, v0, s4, v14
	s_lshl_b32 s0, -1, s65
	v_mov_b32_e32 v16, v1
	s_not_b32 s14, s0
	v_mov_b32_e32 v20, v1
	v_mov_b32_e32 v26, v1
	s_movk_i32 s8, 0x44
	s_waitcnt lgkmcnt(0)
	s_barrier
	s_waitcnt vmcnt(16)
	; wave barrier
	v_xor_b32_e32 v3, 0x7fffffff, v3
	v_lshrrev_b32_e32 v0, s64, v3
	v_bitop3_b32 v14, v0, s0, v0 bitop3:0x30
	v_and_b32_e32 v0, 1, v14
	v_lshlrev_b32_e32 v17, 30, v14
	v_lshlrev_b32_e32 v21, 29, v14
	s_waitcnt vmcnt(15)
	v_mad_u64_u32 v[8:9], s[0:1], v8, v13, v[2:3]
	v_lshl_add_u64 v[32:33], v[0:1], 0, -1
	v_cmp_ne_u32_e32 vcc, 0, v0
	v_not_b32_e32 v0, v17
	v_lshlrev_b32_e32 v27, 28, v14
	v_cmp_gt_i64_e64 s[0:1], 0, v[16:17]
	v_not_b32_e32 v9, v21
	v_lshrrev_b32_e32 v28, 6, v8
	v_xor_b32_e32 v8, vcc_hi, v33
	v_xor_b32_e32 v16, vcc_lo, v32
	v_ashrrev_i32_e32 v0, 31, v0
	v_cmp_gt_i64_e64 s[4:5], 0, v[20:21]
	v_not_b32_e32 v13, v27
	v_ashrrev_i32_e32 v9, 31, v9
	v_and_b32_e32 v8, exec_hi, v8
	v_and_b32_e32 v16, exec_lo, v16
	v_xor_b32_e32 v17, s1, v0
	v_xor_b32_e32 v0, s0, v0
	v_cmp_gt_i64_e64 s[6:7], 0, v[26:27]
	v_ashrrev_i32_e32 v13, 31, v13
	v_xor_b32_e32 v20, s5, v9
	v_xor_b32_e32 v9, s4, v9
	v_and_b32_e32 v8, v8, v17
	v_and_b32_e32 v0, v16, v0
	v_xor_b32_e32 v21, s7, v13
	v_and_b32_e32 v8, v8, v20
	v_and_b32_e32 v0, v0, v9
	;; [unrolled: 3-line block ×3, first 2 shown]
	v_lshlrev_b32_e32 v9, 27, v14
	v_mov_b32_e32 v8, v1
	v_cmp_gt_i64_e32 vcc, 0, v[8:9]
	v_not_b32_e32 v8, v9
	v_ashrrev_i32_e32 v8, 31, v8
	v_xor_b32_e32 v9, vcc_hi, v8
	v_xor_b32_e32 v8, vcc_lo, v8
	v_and_b32_e32 v13, v13, v9
	v_and_b32_e32 v0, v0, v8
	v_lshlrev_b32_e32 v9, 26, v14
	v_mov_b32_e32 v8, v1
	v_cmp_gt_i64_e32 vcc, 0, v[8:9]
	v_not_b32_e32 v8, v9
	v_ashrrev_i32_e32 v8, 31, v8
	v_xor_b32_e32 v9, vcc_hi, v8
	v_xor_b32_e32 v8, vcc_lo, v8
	v_and_b32_e32 v13, v13, v9
	v_and_b32_e32 v0, v0, v8
	;; [unrolled: 9-line block ×4, first 2 shown]
	v_mbcnt_lo_u32_b32 v0, v8, 0
	v_mul_lo_u32 v18, v14, s8
	v_mbcnt_hi_u32_b32 v14, v9, v0
	v_cmp_eq_u32_e32 vcc, 0, v14
	v_cmp_ne_u64_e64 s[0:1], 0, v[8:9]
	v_lshl_add_u32 v18, v28, 2, v18
	s_and_b64 s[4:5], s[0:1], vcc
	s_and_saveexec_b64 s[0:1], s[4:5]
; %bb.206:
	v_bcnt_u32_b32 v0, v8, 0
	v_bcnt_u32_b32 v0, v9, v0
	ds_write_b32 v18, v0 offset:64
; %bb.207:
	s_or_b64 exec, exec, s[0:1]
	s_waitcnt vmcnt(14)
	v_xor_b32_e32 v5, 0x7fffffff, v5
	v_lshrrev_b32_e32 v0, s64, v5
	v_and_b32_e32 v16, s14, v0
	v_mul_lo_u32 v0, v16, s8
	v_lshl_add_u32 v21, v28, 2, v0
	v_and_b32_e32 v0, 1, v16
	v_lshl_add_u64 v[8:9], v[0:1], 0, -1
	v_cmp_ne_u32_e32 vcc, 0, v0
	; wave barrier
	s_nop 1
	v_xor_b32_e32 v8, vcc_lo, v8
	v_xor_b32_e32 v0, vcc_hi, v9
	v_and_b32_e32 v17, exec_lo, v8
	v_lshlrev_b32_e32 v9, 30, v16
	v_mov_b32_e32 v8, v1
	v_cmp_gt_i64_e32 vcc, 0, v[8:9]
	v_not_b32_e32 v8, v9
	v_ashrrev_i32_e32 v8, 31, v8
	v_and_b32_e32 v0, exec_hi, v0
	v_xor_b32_e32 v9, vcc_hi, v8
	v_xor_b32_e32 v8, vcc_lo, v8
	v_and_b32_e32 v0, v0, v9
	v_and_b32_e32 v17, v17, v8
	v_lshlrev_b32_e32 v9, 29, v16
	v_mov_b32_e32 v8, v1
	v_cmp_gt_i64_e32 vcc, 0, v[8:9]
	v_not_b32_e32 v8, v9
	v_ashrrev_i32_e32 v8, 31, v8
	v_xor_b32_e32 v9, vcc_hi, v8
	v_xor_b32_e32 v8, vcc_lo, v8
	v_and_b32_e32 v0, v0, v9
	v_and_b32_e32 v17, v17, v8
	v_lshlrev_b32_e32 v9, 28, v16
	v_mov_b32_e32 v8, v1
	v_cmp_gt_i64_e32 vcc, 0, v[8:9]
	v_not_b32_e32 v8, v9
	v_ashrrev_i32_e32 v8, 31, v8
	;; [unrolled: 9-line block ×5, first 2 shown]
	v_xor_b32_e32 v9, vcc_hi, v8
	v_xor_b32_e32 v8, vcc_lo, v8
	v_and_b32_e32 v0, v0, v9
	v_lshlrev_b32_e32 v9, 24, v16
	v_and_b32_e32 v17, v17, v8
	v_mov_b32_e32 v8, v1
	v_not_b32_e32 v1, v9
	v_cmp_gt_i64_e32 vcc, 0, v[8:9]
	v_ashrrev_i32_e32 v1, 31, v1
	ds_read_b32 v13, v21 offset:64
	v_xor_b32_e32 v8, vcc_hi, v1
	v_xor_b32_e32 v9, vcc_lo, v1
	v_and_b32_e32 v1, v0, v8
	v_and_b32_e32 v0, v17, v9
	v_mbcnt_lo_u32_b32 v8, v0, 0
	v_mbcnt_hi_u32_b32 v16, v1, v8
	v_cmp_eq_u32_e32 vcc, 0, v16
	v_cmp_ne_u64_e64 s[0:1], 0, v[0:1]
	s_and_b64 s[4:5], s[0:1], vcc
	; wave barrier
	s_and_saveexec_b64 s[0:1], s[4:5]
	s_cbranch_execz .LBB1045_209
; %bb.208:
	v_bcnt_u32_b32 v0, v0, 0
	v_bcnt_u32_b32 v0, v1, v0
	s_waitcnt lgkmcnt(0)
	v_add_u32_e32 v0, v13, v0
	ds_write_b32 v21, v0 offset:64
.LBB1045_209:
	s_or_b64 exec, exec, s[0:1]
	s_waitcnt vmcnt(13)
	v_xor_b32_e32 v7, 0x7fffffff, v7
	v_lshrrev_b32_e32 v0, s64, v7
	v_and_b32_e32 v20, s14, v0
	s_movk_i32 s4, 0x44
	v_mul_lo_u32 v0, v20, s4
	v_lshl_add_u32 v26, v28, 2, v0
	v_and_b32_e32 v0, 1, v20
	v_mov_b32_e32 v1, 0
	v_lshl_add_u64 v[8:9], v[0:1], 0, -1
	v_cmp_ne_u32_e32 vcc, 0, v0
	; wave barrier
	s_nop 1
	v_xor_b32_e32 v8, vcc_lo, v8
	v_xor_b32_e32 v0, vcc_hi, v9
	v_and_b32_e32 v22, exec_lo, v8
	v_lshlrev_b32_e32 v9, 30, v20
	v_mov_b32_e32 v8, v1
	v_cmp_gt_i64_e32 vcc, 0, v[8:9]
	v_not_b32_e32 v8, v9
	v_ashrrev_i32_e32 v8, 31, v8
	v_and_b32_e32 v0, exec_hi, v0
	v_xor_b32_e32 v9, vcc_hi, v8
	v_xor_b32_e32 v8, vcc_lo, v8
	v_and_b32_e32 v0, v0, v9
	v_and_b32_e32 v22, v22, v8
	v_lshlrev_b32_e32 v9, 29, v20
	v_mov_b32_e32 v8, v1
	v_cmp_gt_i64_e32 vcc, 0, v[8:9]
	v_not_b32_e32 v8, v9
	v_ashrrev_i32_e32 v8, 31, v8
	v_xor_b32_e32 v9, vcc_hi, v8
	v_xor_b32_e32 v8, vcc_lo, v8
	v_and_b32_e32 v0, v0, v9
	v_and_b32_e32 v22, v22, v8
	v_lshlrev_b32_e32 v9, 28, v20
	v_mov_b32_e32 v8, v1
	v_cmp_gt_i64_e32 vcc, 0, v[8:9]
	v_not_b32_e32 v8, v9
	v_ashrrev_i32_e32 v8, 31, v8
	;; [unrolled: 9-line block ×6, first 2 shown]
	v_xor_b32_e32 v9, vcc_hi, v8
	v_xor_b32_e32 v8, vcc_lo, v8
	ds_read_b32 v17, v26 offset:64
	v_and_b32_e32 v8, v22, v8
	v_and_b32_e32 v9, v0, v9
	v_mbcnt_lo_u32_b32 v0, v8, 0
	v_mbcnt_hi_u32_b32 v20, v9, v0
	v_cmp_eq_u32_e32 vcc, 0, v20
	v_cmp_ne_u64_e64 s[0:1], 0, v[8:9]
	s_and_b64 s[6:7], s[0:1], vcc
	; wave barrier
	s_and_saveexec_b64 s[0:1], s[6:7]
	s_cbranch_execz .LBB1045_211
; %bb.210:
	v_bcnt_u32_b32 v0, v8, 0
	v_bcnt_u32_b32 v0, v9, v0
	s_waitcnt lgkmcnt(0)
	v_add_u32_e32 v0, v17, v0
	ds_write_b32 v26, v0 offset:64
.LBB1045_211:
	s_or_b64 exec, exec, s[0:1]
	s_waitcnt vmcnt(12)
	v_xor_b32_e32 v12, 0x7fffffff, v12
	v_lshrrev_b32_e32 v0, s64, v12
	v_and_b32_e32 v24, s14, v0
	v_mul_lo_u32 v0, v24, s4
	v_lshl_add_u32 v32, v28, 2, v0
	v_and_b32_e32 v0, 1, v24
	v_lshl_add_u64 v[8:9], v[0:1], 0, -1
	v_cmp_ne_u32_e32 vcc, 0, v0
	; wave barrier
	s_nop 1
	v_xor_b32_e32 v8, vcc_lo, v8
	v_xor_b32_e32 v0, vcc_hi, v9
	v_and_b32_e32 v27, exec_lo, v8
	v_lshlrev_b32_e32 v9, 30, v24
	v_mov_b32_e32 v8, v1
	v_cmp_gt_i64_e32 vcc, 0, v[8:9]
	v_not_b32_e32 v8, v9
	v_ashrrev_i32_e32 v8, 31, v8
	v_and_b32_e32 v0, exec_hi, v0
	v_xor_b32_e32 v9, vcc_hi, v8
	v_xor_b32_e32 v8, vcc_lo, v8
	v_and_b32_e32 v0, v0, v9
	v_and_b32_e32 v27, v27, v8
	v_lshlrev_b32_e32 v9, 29, v24
	v_mov_b32_e32 v8, v1
	v_cmp_gt_i64_e32 vcc, 0, v[8:9]
	v_not_b32_e32 v8, v9
	v_ashrrev_i32_e32 v8, 31, v8
	v_xor_b32_e32 v9, vcc_hi, v8
	v_xor_b32_e32 v8, vcc_lo, v8
	v_and_b32_e32 v0, v0, v9
	v_and_b32_e32 v27, v27, v8
	v_lshlrev_b32_e32 v9, 28, v24
	v_mov_b32_e32 v8, v1
	v_cmp_gt_i64_e32 vcc, 0, v[8:9]
	v_not_b32_e32 v8, v9
	v_ashrrev_i32_e32 v8, 31, v8
	;; [unrolled: 9-line block ×5, first 2 shown]
	v_xor_b32_e32 v9, vcc_hi, v8
	v_xor_b32_e32 v8, vcc_lo, v8
	v_and_b32_e32 v0, v0, v9
	v_lshlrev_b32_e32 v9, 24, v24
	v_and_b32_e32 v27, v27, v8
	v_mov_b32_e32 v8, v1
	v_not_b32_e32 v1, v9
	v_cmp_gt_i64_e32 vcc, 0, v[8:9]
	v_ashrrev_i32_e32 v1, 31, v1
	ds_read_b32 v22, v32 offset:64
	v_xor_b32_e32 v8, vcc_hi, v1
	v_xor_b32_e32 v9, vcc_lo, v1
	v_and_b32_e32 v1, v0, v8
	v_and_b32_e32 v0, v27, v9
	v_mbcnt_lo_u32_b32 v8, v0, 0
	v_mbcnt_hi_u32_b32 v24, v1, v8
	v_cmp_eq_u32_e32 vcc, 0, v24
	v_cmp_ne_u64_e64 s[0:1], 0, v[0:1]
	s_and_b64 s[4:5], s[0:1], vcc
	; wave barrier
	s_and_saveexec_b64 s[0:1], s[4:5]
	s_cbranch_execz .LBB1045_213
; %bb.212:
	v_bcnt_u32_b32 v0, v0, 0
	v_bcnt_u32_b32 v0, v1, v0
	s_waitcnt lgkmcnt(0)
	v_add_u32_e32 v0, v22, v0
	ds_write_b32 v32, v0 offset:64
.LBB1045_213:
	s_or_b64 exec, exec, s[0:1]
	s_waitcnt vmcnt(11)
	v_xor_b32_e32 v15, 0x7fffffff, v15
	v_lshrrev_b32_e32 v0, s64, v15
	v_and_b32_e32 v30, s14, v0
	s_movk_i32 s4, 0x44
	v_mul_lo_u32 v0, v30, s4
	v_lshl_add_u32 v37, v28, 2, v0
	v_and_b32_e32 v0, 1, v30
	v_mov_b32_e32 v1, 0
	v_lshl_add_u64 v[8:9], v[0:1], 0, -1
	v_cmp_ne_u32_e32 vcc, 0, v0
	; wave barrier
	s_nop 1
	v_xor_b32_e32 v8, vcc_lo, v8
	v_xor_b32_e32 v0, vcc_hi, v9
	v_and_b32_e32 v33, exec_lo, v8
	v_lshlrev_b32_e32 v9, 30, v30
	v_mov_b32_e32 v8, v1
	v_cmp_gt_i64_e32 vcc, 0, v[8:9]
	v_not_b32_e32 v8, v9
	v_ashrrev_i32_e32 v8, 31, v8
	v_and_b32_e32 v0, exec_hi, v0
	v_xor_b32_e32 v9, vcc_hi, v8
	v_xor_b32_e32 v8, vcc_lo, v8
	v_and_b32_e32 v0, v0, v9
	v_and_b32_e32 v33, v33, v8
	v_lshlrev_b32_e32 v9, 29, v30
	v_mov_b32_e32 v8, v1
	v_cmp_gt_i64_e32 vcc, 0, v[8:9]
	v_not_b32_e32 v8, v9
	v_ashrrev_i32_e32 v8, 31, v8
	v_xor_b32_e32 v9, vcc_hi, v8
	v_xor_b32_e32 v8, vcc_lo, v8
	v_and_b32_e32 v0, v0, v9
	v_and_b32_e32 v33, v33, v8
	v_lshlrev_b32_e32 v9, 28, v30
	v_mov_b32_e32 v8, v1
	v_cmp_gt_i64_e32 vcc, 0, v[8:9]
	v_not_b32_e32 v8, v9
	v_ashrrev_i32_e32 v8, 31, v8
	;; [unrolled: 9-line block ×6, first 2 shown]
	v_xor_b32_e32 v9, vcc_hi, v8
	v_xor_b32_e32 v8, vcc_lo, v8
	ds_read_b32 v27, v37 offset:64
	v_and_b32_e32 v8, v33, v8
	v_and_b32_e32 v9, v0, v9
	v_mbcnt_lo_u32_b32 v0, v8, 0
	v_mbcnt_hi_u32_b32 v30, v9, v0
	v_cmp_eq_u32_e32 vcc, 0, v30
	v_cmp_ne_u64_e64 s[0:1], 0, v[8:9]
	s_and_b64 s[6:7], s[0:1], vcc
	; wave barrier
	s_and_saveexec_b64 s[0:1], s[6:7]
	s_cbranch_execz .LBB1045_215
; %bb.214:
	v_bcnt_u32_b32 v0, v8, 0
	v_bcnt_u32_b32 v0, v9, v0
	s_waitcnt lgkmcnt(0)
	v_add_u32_e32 v0, v27, v0
	ds_write_b32 v37, v0 offset:64
.LBB1045_215:
	s_or_b64 exec, exec, s[0:1]
	s_waitcnt vmcnt(10)
	v_xor_b32_e32 v19, 0x7fffffff, v19
	v_lshrrev_b32_e32 v0, s64, v19
	v_and_b32_e32 v35, s14, v0
	v_mul_lo_u32 v0, v35, s4
	v_lshl_add_u32 v41, v28, 2, v0
	v_and_b32_e32 v0, 1, v35
	v_lshl_add_u64 v[8:9], v[0:1], 0, -1
	v_cmp_ne_u32_e32 vcc, 0, v0
	; wave barrier
	s_nop 1
	v_xor_b32_e32 v8, vcc_lo, v8
	v_xor_b32_e32 v0, vcc_hi, v9
	v_and_b32_e32 v38, exec_lo, v8
	v_lshlrev_b32_e32 v9, 30, v35
	v_mov_b32_e32 v8, v1
	v_cmp_gt_i64_e32 vcc, 0, v[8:9]
	v_not_b32_e32 v8, v9
	v_ashrrev_i32_e32 v8, 31, v8
	v_and_b32_e32 v0, exec_hi, v0
	v_xor_b32_e32 v9, vcc_hi, v8
	v_xor_b32_e32 v8, vcc_lo, v8
	v_and_b32_e32 v0, v0, v9
	v_and_b32_e32 v38, v38, v8
	v_lshlrev_b32_e32 v9, 29, v35
	v_mov_b32_e32 v8, v1
	v_cmp_gt_i64_e32 vcc, 0, v[8:9]
	v_not_b32_e32 v8, v9
	v_ashrrev_i32_e32 v8, 31, v8
	v_xor_b32_e32 v9, vcc_hi, v8
	v_xor_b32_e32 v8, vcc_lo, v8
	v_and_b32_e32 v0, v0, v9
	v_and_b32_e32 v38, v38, v8
	v_lshlrev_b32_e32 v9, 28, v35
	v_mov_b32_e32 v8, v1
	v_cmp_gt_i64_e32 vcc, 0, v[8:9]
	v_not_b32_e32 v8, v9
	v_ashrrev_i32_e32 v8, 31, v8
	;; [unrolled: 9-line block ×5, first 2 shown]
	v_xor_b32_e32 v9, vcc_hi, v8
	v_xor_b32_e32 v8, vcc_lo, v8
	v_and_b32_e32 v0, v0, v9
	v_lshlrev_b32_e32 v9, 24, v35
	v_and_b32_e32 v38, v38, v8
	v_mov_b32_e32 v8, v1
	v_not_b32_e32 v1, v9
	v_cmp_gt_i64_e32 vcc, 0, v[8:9]
	v_ashrrev_i32_e32 v1, 31, v1
	ds_read_b32 v33, v41 offset:64
	v_xor_b32_e32 v8, vcc_hi, v1
	v_xor_b32_e32 v9, vcc_lo, v1
	v_and_b32_e32 v1, v0, v8
	v_and_b32_e32 v0, v38, v9
	v_mbcnt_lo_u32_b32 v8, v0, 0
	v_mbcnt_hi_u32_b32 v35, v1, v8
	v_cmp_eq_u32_e32 vcc, 0, v35
	v_cmp_ne_u64_e64 s[0:1], 0, v[0:1]
	s_and_b64 s[4:5], s[0:1], vcc
	; wave barrier
	s_and_saveexec_b64 s[0:1], s[4:5]
	s_cbranch_execz .LBB1045_217
; %bb.216:
	v_bcnt_u32_b32 v0, v0, 0
	v_bcnt_u32_b32 v0, v1, v0
	s_waitcnt lgkmcnt(0)
	v_add_u32_e32 v0, v33, v0
	ds_write_b32 v41, v0 offset:64
.LBB1045_217:
	s_or_b64 exec, exec, s[0:1]
	s_waitcnt vmcnt(9)
	v_xor_b32_e32 v23, 0x7fffffff, v23
	v_lshrrev_b32_e32 v0, s64, v23
	v_and_b32_e32 v42, s14, v0
	s_movk_i32 s4, 0x44
	v_mul_lo_u32 v0, v42, s4
	v_lshl_add_u32 v46, v28, 2, v0
	v_and_b32_e32 v0, 1, v42
	v_mov_b32_e32 v1, 0
	v_lshl_add_u64 v[8:9], v[0:1], 0, -1
	v_cmp_ne_u32_e32 vcc, 0, v0
	; wave barrier
	s_nop 1
	v_xor_b32_e32 v8, vcc_lo, v8
	v_xor_b32_e32 v0, vcc_hi, v9
	v_and_b32_e32 v43, exec_lo, v8
	v_lshlrev_b32_e32 v9, 30, v42
	v_mov_b32_e32 v8, v1
	v_cmp_gt_i64_e32 vcc, 0, v[8:9]
	v_not_b32_e32 v8, v9
	v_ashrrev_i32_e32 v8, 31, v8
	v_and_b32_e32 v0, exec_hi, v0
	v_xor_b32_e32 v9, vcc_hi, v8
	v_xor_b32_e32 v8, vcc_lo, v8
	v_and_b32_e32 v0, v0, v9
	v_and_b32_e32 v43, v43, v8
	v_lshlrev_b32_e32 v9, 29, v42
	v_mov_b32_e32 v8, v1
	v_cmp_gt_i64_e32 vcc, 0, v[8:9]
	v_not_b32_e32 v8, v9
	v_ashrrev_i32_e32 v8, 31, v8
	v_xor_b32_e32 v9, vcc_hi, v8
	v_xor_b32_e32 v8, vcc_lo, v8
	v_and_b32_e32 v0, v0, v9
	v_and_b32_e32 v43, v43, v8
	v_lshlrev_b32_e32 v9, 28, v42
	v_mov_b32_e32 v8, v1
	v_cmp_gt_i64_e32 vcc, 0, v[8:9]
	v_not_b32_e32 v8, v9
	v_ashrrev_i32_e32 v8, 31, v8
	;; [unrolled: 9-line block ×6, first 2 shown]
	v_xor_b32_e32 v9, vcc_hi, v8
	v_xor_b32_e32 v8, vcc_lo, v8
	ds_read_b32 v38, v46 offset:64
	v_and_b32_e32 v8, v43, v8
	v_and_b32_e32 v9, v0, v9
	v_mbcnt_lo_u32_b32 v0, v8, 0
	v_mbcnt_hi_u32_b32 v42, v9, v0
	v_cmp_eq_u32_e32 vcc, 0, v42
	v_cmp_ne_u64_e64 s[0:1], 0, v[8:9]
	s_and_b64 s[6:7], s[0:1], vcc
	; wave barrier
	s_and_saveexec_b64 s[0:1], s[6:7]
	s_cbranch_execz .LBB1045_219
; %bb.218:
	v_bcnt_u32_b32 v0, v8, 0
	v_bcnt_u32_b32 v0, v9, v0
	s_waitcnt lgkmcnt(0)
	v_add_u32_e32 v0, v38, v0
	ds_write_b32 v46, v0 offset:64
.LBB1045_219:
	s_or_b64 exec, exec, s[0:1]
	s_waitcnt vmcnt(8)
	v_xor_b32_e32 v29, 0x7fffffff, v29
	v_lshrrev_b32_e32 v0, s64, v29
	v_and_b32_e32 v47, s14, v0
	v_mul_lo_u32 v0, v47, s4
	v_lshl_add_u32 v49, v28, 2, v0
	v_and_b32_e32 v0, 1, v47
	v_lshl_add_u64 v[8:9], v[0:1], 0, -1
	v_cmp_ne_u32_e32 vcc, 0, v0
	; wave barrier
	s_nop 1
	v_xor_b32_e32 v8, vcc_lo, v8
	v_xor_b32_e32 v0, vcc_hi, v9
	v_and_b32_e32 v48, exec_lo, v8
	v_lshlrev_b32_e32 v9, 30, v47
	v_mov_b32_e32 v8, v1
	v_cmp_gt_i64_e32 vcc, 0, v[8:9]
	v_not_b32_e32 v8, v9
	v_ashrrev_i32_e32 v8, 31, v8
	v_and_b32_e32 v0, exec_hi, v0
	v_xor_b32_e32 v9, vcc_hi, v8
	v_xor_b32_e32 v8, vcc_lo, v8
	v_and_b32_e32 v0, v0, v9
	v_and_b32_e32 v48, v48, v8
	v_lshlrev_b32_e32 v9, 29, v47
	v_mov_b32_e32 v8, v1
	v_cmp_gt_i64_e32 vcc, 0, v[8:9]
	v_not_b32_e32 v8, v9
	v_ashrrev_i32_e32 v8, 31, v8
	v_xor_b32_e32 v9, vcc_hi, v8
	v_xor_b32_e32 v8, vcc_lo, v8
	v_and_b32_e32 v0, v0, v9
	v_and_b32_e32 v48, v48, v8
	v_lshlrev_b32_e32 v9, 28, v47
	v_mov_b32_e32 v8, v1
	v_cmp_gt_i64_e32 vcc, 0, v[8:9]
	v_not_b32_e32 v8, v9
	v_ashrrev_i32_e32 v8, 31, v8
	;; [unrolled: 9-line block ×5, first 2 shown]
	v_xor_b32_e32 v9, vcc_hi, v8
	v_xor_b32_e32 v8, vcc_lo, v8
	v_and_b32_e32 v0, v0, v9
	v_lshlrev_b32_e32 v9, 24, v47
	v_and_b32_e32 v48, v48, v8
	v_mov_b32_e32 v8, v1
	v_not_b32_e32 v1, v9
	v_cmp_gt_i64_e32 vcc, 0, v[8:9]
	v_ashrrev_i32_e32 v1, 31, v1
	ds_read_b32 v43, v49 offset:64
	v_xor_b32_e32 v8, vcc_hi, v1
	v_xor_b32_e32 v9, vcc_lo, v1
	v_and_b32_e32 v1, v0, v8
	v_and_b32_e32 v0, v48, v9
	v_mbcnt_lo_u32_b32 v8, v0, 0
	v_mbcnt_hi_u32_b32 v47, v1, v8
	v_cmp_eq_u32_e32 vcc, 0, v47
	v_cmp_ne_u64_e64 s[0:1], 0, v[0:1]
	s_and_b64 s[4:5], s[0:1], vcc
	; wave barrier
	s_and_saveexec_b64 s[0:1], s[4:5]
	s_cbranch_execz .LBB1045_221
; %bb.220:
	v_bcnt_u32_b32 v0, v0, 0
	v_bcnt_u32_b32 v0, v1, v0
	s_waitcnt lgkmcnt(0)
	v_add_u32_e32 v0, v43, v0
	ds_write_b32 v49, v0 offset:64
.LBB1045_221:
	s_or_b64 exec, exec, s[0:1]
	s_waitcnt vmcnt(7)
	v_xor_b32_e32 v34, 0x7fffffff, v34
	v_lshrrev_b32_e32 v0, s64, v34
	v_and_b32_e32 v50, s14, v0
	s_movk_i32 s4, 0x44
	v_mul_lo_u32 v0, v50, s4
	v_lshl_add_u32 v52, v28, 2, v0
	v_and_b32_e32 v0, 1, v50
	v_mov_b32_e32 v1, 0
	v_lshl_add_u64 v[8:9], v[0:1], 0, -1
	v_cmp_ne_u32_e32 vcc, 0, v0
	; wave barrier
	s_nop 1
	v_xor_b32_e32 v8, vcc_lo, v8
	v_xor_b32_e32 v0, vcc_hi, v9
	v_and_b32_e32 v51, exec_lo, v8
	v_lshlrev_b32_e32 v9, 30, v50
	v_mov_b32_e32 v8, v1
	v_cmp_gt_i64_e32 vcc, 0, v[8:9]
	v_not_b32_e32 v8, v9
	v_ashrrev_i32_e32 v8, 31, v8
	v_and_b32_e32 v0, exec_hi, v0
	v_xor_b32_e32 v9, vcc_hi, v8
	v_xor_b32_e32 v8, vcc_lo, v8
	v_and_b32_e32 v0, v0, v9
	v_and_b32_e32 v51, v51, v8
	v_lshlrev_b32_e32 v9, 29, v50
	v_mov_b32_e32 v8, v1
	v_cmp_gt_i64_e32 vcc, 0, v[8:9]
	v_not_b32_e32 v8, v9
	v_ashrrev_i32_e32 v8, 31, v8
	v_xor_b32_e32 v9, vcc_hi, v8
	v_xor_b32_e32 v8, vcc_lo, v8
	v_and_b32_e32 v0, v0, v9
	v_and_b32_e32 v51, v51, v8
	v_lshlrev_b32_e32 v9, 28, v50
	v_mov_b32_e32 v8, v1
	v_cmp_gt_i64_e32 vcc, 0, v[8:9]
	v_not_b32_e32 v8, v9
	v_ashrrev_i32_e32 v8, 31, v8
	;; [unrolled: 9-line block ×6, first 2 shown]
	v_xor_b32_e32 v9, vcc_hi, v8
	v_xor_b32_e32 v8, vcc_lo, v8
	ds_read_b32 v48, v52 offset:64
	v_and_b32_e32 v8, v51, v8
	v_and_b32_e32 v9, v0, v9
	v_mbcnt_lo_u32_b32 v0, v8, 0
	v_mbcnt_hi_u32_b32 v50, v9, v0
	v_cmp_eq_u32_e32 vcc, 0, v50
	v_cmp_ne_u64_e64 s[0:1], 0, v[8:9]
	s_and_b64 s[6:7], s[0:1], vcc
	; wave barrier
	s_and_saveexec_b64 s[0:1], s[6:7]
	s_cbranch_execz .LBB1045_223
; %bb.222:
	v_bcnt_u32_b32 v0, v8, 0
	v_bcnt_u32_b32 v0, v9, v0
	s_waitcnt lgkmcnt(0)
	v_add_u32_e32 v0, v48, v0
	ds_write_b32 v52, v0 offset:64
.LBB1045_223:
	s_or_b64 exec, exec, s[0:1]
	s_waitcnt vmcnt(6)
	v_xor_b32_e32 v39, 0x7fffffff, v39
	v_lshrrev_b32_e32 v0, s64, v39
	v_and_b32_e32 v53, s14, v0
	v_mul_lo_u32 v0, v53, s4
	v_lshl_add_u32 v55, v28, 2, v0
	v_and_b32_e32 v0, 1, v53
	v_lshl_add_u64 v[8:9], v[0:1], 0, -1
	v_cmp_ne_u32_e32 vcc, 0, v0
	; wave barrier
	s_nop 1
	v_xor_b32_e32 v8, vcc_lo, v8
	v_xor_b32_e32 v0, vcc_hi, v9
	v_and_b32_e32 v54, exec_lo, v8
	v_lshlrev_b32_e32 v9, 30, v53
	v_mov_b32_e32 v8, v1
	v_cmp_gt_i64_e32 vcc, 0, v[8:9]
	v_not_b32_e32 v8, v9
	v_ashrrev_i32_e32 v8, 31, v8
	v_and_b32_e32 v0, exec_hi, v0
	v_xor_b32_e32 v9, vcc_hi, v8
	v_xor_b32_e32 v8, vcc_lo, v8
	v_and_b32_e32 v0, v0, v9
	v_and_b32_e32 v54, v54, v8
	v_lshlrev_b32_e32 v9, 29, v53
	v_mov_b32_e32 v8, v1
	v_cmp_gt_i64_e32 vcc, 0, v[8:9]
	v_not_b32_e32 v8, v9
	v_ashrrev_i32_e32 v8, 31, v8
	v_xor_b32_e32 v9, vcc_hi, v8
	v_xor_b32_e32 v8, vcc_lo, v8
	v_and_b32_e32 v0, v0, v9
	v_and_b32_e32 v54, v54, v8
	v_lshlrev_b32_e32 v9, 28, v53
	v_mov_b32_e32 v8, v1
	v_cmp_gt_i64_e32 vcc, 0, v[8:9]
	v_not_b32_e32 v8, v9
	v_ashrrev_i32_e32 v8, 31, v8
	v_xor_b32_e32 v9, vcc_hi, v8
	v_xor_b32_e32 v8, vcc_lo, v8
	v_and_b32_e32 v0, v0, v9
	v_and_b32_e32 v54, v54, v8
	v_lshlrev_b32_e32 v9, 27, v53
	v_mov_b32_e32 v8, v1
	v_cmp_gt_i64_e32 vcc, 0, v[8:9]
	v_not_b32_e32 v8, v9
	v_ashrrev_i32_e32 v8, 31, v8
	v_xor_b32_e32 v9, vcc_hi, v8
	v_xor_b32_e32 v8, vcc_lo, v8
	v_and_b32_e32 v0, v0, v9
	v_and_b32_e32 v54, v54, v8
	v_lshlrev_b32_e32 v9, 26, v53
	v_mov_b32_e32 v8, v1
	v_cmp_gt_i64_e32 vcc, 0, v[8:9]
	v_not_b32_e32 v8, v9
	v_ashrrev_i32_e32 v8, 31, v8
	v_xor_b32_e32 v9, vcc_hi, v8
	v_xor_b32_e32 v8, vcc_lo, v8
	v_and_b32_e32 v0, v0, v9
	v_and_b32_e32 v54, v54, v8
	v_lshlrev_b32_e32 v9, 25, v53
	v_mov_b32_e32 v8, v1
	v_cmp_gt_i64_e32 vcc, 0, v[8:9]
	v_not_b32_e32 v8, v9
	v_ashrrev_i32_e32 v8, 31, v8
	v_xor_b32_e32 v9, vcc_hi, v8
	v_xor_b32_e32 v8, vcc_lo, v8
	v_and_b32_e32 v0, v0, v9
	v_lshlrev_b32_e32 v9, 24, v53
	v_and_b32_e32 v54, v54, v8
	v_mov_b32_e32 v8, v1
	v_not_b32_e32 v1, v9
	v_cmp_gt_i64_e32 vcc, 0, v[8:9]
	v_ashrrev_i32_e32 v1, 31, v1
	ds_read_b32 v51, v55 offset:64
	v_xor_b32_e32 v8, vcc_hi, v1
	v_xor_b32_e32 v9, vcc_lo, v1
	v_and_b32_e32 v1, v0, v8
	v_and_b32_e32 v0, v54, v9
	v_mbcnt_lo_u32_b32 v8, v0, 0
	v_mbcnt_hi_u32_b32 v53, v1, v8
	v_cmp_eq_u32_e32 vcc, 0, v53
	v_cmp_ne_u64_e64 s[0:1], 0, v[0:1]
	s_and_b64 s[4:5], s[0:1], vcc
	; wave barrier
	s_and_saveexec_b64 s[0:1], s[4:5]
	s_cbranch_execz .LBB1045_225
; %bb.224:
	v_bcnt_u32_b32 v0, v0, 0
	v_bcnt_u32_b32 v0, v1, v0
	s_waitcnt lgkmcnt(0)
	v_add_u32_e32 v0, v51, v0
	ds_write_b32 v55, v0 offset:64
.LBB1045_225:
	s_or_b64 exec, exec, s[0:1]
	s_waitcnt vmcnt(5)
	v_xor_b32_e32 v44, 0x7fffffff, v44
	v_lshrrev_b32_e32 v0, s64, v44
	v_and_b32_e32 v56, s14, v0
	s_movk_i32 s4, 0x44
	v_mul_lo_u32 v0, v56, s4
	v_lshl_add_u32 v58, v28, 2, v0
	v_and_b32_e32 v0, 1, v56
	v_mov_b32_e32 v1, 0
	v_lshl_add_u64 v[8:9], v[0:1], 0, -1
	v_cmp_ne_u32_e32 vcc, 0, v0
	; wave barrier
	s_nop 1
	v_xor_b32_e32 v8, vcc_lo, v8
	v_xor_b32_e32 v0, vcc_hi, v9
	v_and_b32_e32 v57, exec_lo, v8
	v_lshlrev_b32_e32 v9, 30, v56
	v_mov_b32_e32 v8, v1
	v_cmp_gt_i64_e32 vcc, 0, v[8:9]
	v_not_b32_e32 v8, v9
	v_ashrrev_i32_e32 v8, 31, v8
	v_and_b32_e32 v0, exec_hi, v0
	v_xor_b32_e32 v9, vcc_hi, v8
	v_xor_b32_e32 v8, vcc_lo, v8
	v_and_b32_e32 v0, v0, v9
	v_and_b32_e32 v57, v57, v8
	v_lshlrev_b32_e32 v9, 29, v56
	v_mov_b32_e32 v8, v1
	v_cmp_gt_i64_e32 vcc, 0, v[8:9]
	v_not_b32_e32 v8, v9
	v_ashrrev_i32_e32 v8, 31, v8
	v_xor_b32_e32 v9, vcc_hi, v8
	v_xor_b32_e32 v8, vcc_lo, v8
	v_and_b32_e32 v0, v0, v9
	v_and_b32_e32 v57, v57, v8
	v_lshlrev_b32_e32 v9, 28, v56
	v_mov_b32_e32 v8, v1
	v_cmp_gt_i64_e32 vcc, 0, v[8:9]
	v_not_b32_e32 v8, v9
	v_ashrrev_i32_e32 v8, 31, v8
	;; [unrolled: 9-line block ×6, first 2 shown]
	v_xor_b32_e32 v9, vcc_hi, v8
	v_xor_b32_e32 v8, vcc_lo, v8
	ds_read_b32 v54, v58 offset:64
	v_and_b32_e32 v8, v57, v8
	v_and_b32_e32 v9, v0, v9
	v_mbcnt_lo_u32_b32 v0, v8, 0
	v_mbcnt_hi_u32_b32 v56, v9, v0
	v_cmp_eq_u32_e32 vcc, 0, v56
	v_cmp_ne_u64_e64 s[0:1], 0, v[8:9]
	s_and_b64 s[6:7], s[0:1], vcc
	; wave barrier
	s_and_saveexec_b64 s[0:1], s[6:7]
	s_cbranch_execz .LBB1045_227
; %bb.226:
	v_bcnt_u32_b32 v0, v8, 0
	v_bcnt_u32_b32 v0, v9, v0
	s_waitcnt lgkmcnt(0)
	v_add_u32_e32 v0, v54, v0
	ds_write_b32 v58, v0 offset:64
.LBB1045_227:
	s_or_b64 exec, exec, s[0:1]
	s_waitcnt vmcnt(4)
	v_xor_b32_e32 v45, 0x7fffffff, v45
	v_lshrrev_b32_e32 v0, s64, v45
	v_and_b32_e32 v59, s14, v0
	v_mul_lo_u32 v0, v59, s4
	v_lshl_add_u32 v62, v28, 2, v0
	v_and_b32_e32 v0, 1, v59
	v_lshl_add_u64 v[8:9], v[0:1], 0, -1
	v_cmp_ne_u32_e32 vcc, 0, v0
	; wave barrier
	s_nop 1
	v_xor_b32_e32 v8, vcc_lo, v8
	v_xor_b32_e32 v0, vcc_hi, v9
	v_and_b32_e32 v60, exec_lo, v8
	v_lshlrev_b32_e32 v9, 30, v59
	v_mov_b32_e32 v8, v1
	v_cmp_gt_i64_e32 vcc, 0, v[8:9]
	v_not_b32_e32 v8, v9
	v_ashrrev_i32_e32 v8, 31, v8
	v_and_b32_e32 v0, exec_hi, v0
	v_xor_b32_e32 v9, vcc_hi, v8
	v_xor_b32_e32 v8, vcc_lo, v8
	v_and_b32_e32 v0, v0, v9
	v_and_b32_e32 v60, v60, v8
	v_lshlrev_b32_e32 v9, 29, v59
	v_mov_b32_e32 v8, v1
	v_cmp_gt_i64_e32 vcc, 0, v[8:9]
	v_not_b32_e32 v8, v9
	v_ashrrev_i32_e32 v8, 31, v8
	v_xor_b32_e32 v9, vcc_hi, v8
	v_xor_b32_e32 v8, vcc_lo, v8
	v_and_b32_e32 v0, v0, v9
	v_and_b32_e32 v60, v60, v8
	v_lshlrev_b32_e32 v9, 28, v59
	v_mov_b32_e32 v8, v1
	v_cmp_gt_i64_e32 vcc, 0, v[8:9]
	v_not_b32_e32 v8, v9
	v_ashrrev_i32_e32 v8, 31, v8
	;; [unrolled: 9-line block ×5, first 2 shown]
	v_xor_b32_e32 v9, vcc_hi, v8
	v_xor_b32_e32 v8, vcc_lo, v8
	v_and_b32_e32 v0, v0, v9
	v_lshlrev_b32_e32 v9, 24, v59
	v_and_b32_e32 v60, v60, v8
	v_mov_b32_e32 v8, v1
	v_not_b32_e32 v1, v9
	v_cmp_gt_i64_e32 vcc, 0, v[8:9]
	v_ashrrev_i32_e32 v1, 31, v1
	ds_read_b32 v57, v62 offset:64
	v_xor_b32_e32 v8, vcc_hi, v1
	v_xor_b32_e32 v9, vcc_lo, v1
	v_and_b32_e32 v1, v0, v8
	v_and_b32_e32 v0, v60, v9
	v_mbcnt_lo_u32_b32 v8, v0, 0
	v_mbcnt_hi_u32_b32 v59, v1, v8
	v_cmp_eq_u32_e32 vcc, 0, v59
	v_cmp_ne_u64_e64 s[0:1], 0, v[0:1]
	s_and_b64 s[4:5], s[0:1], vcc
	; wave barrier
	s_and_saveexec_b64 s[0:1], s[4:5]
	s_cbranch_execz .LBB1045_229
; %bb.228:
	v_bcnt_u32_b32 v0, v0, 0
	v_bcnt_u32_b32 v0, v1, v0
	s_waitcnt lgkmcnt(0)
	v_add_u32_e32 v0, v57, v0
	ds_write_b32 v62, v0 offset:64
.LBB1045_229:
	s_or_b64 exec, exec, s[0:1]
	s_waitcnt vmcnt(3)
	v_xor_b32_e32 v40, 0x7fffffff, v40
	v_lshrrev_b32_e32 v0, s64, v40
	v_and_b32_e32 v61, s14, v0
	s_movk_i32 s4, 0x44
	v_mul_lo_u32 v0, v61, s4
	v_lshl_add_u32 v65, v28, 2, v0
	v_and_b32_e32 v0, 1, v61
	v_mov_b32_e32 v1, 0
	v_lshl_add_u64 v[8:9], v[0:1], 0, -1
	v_cmp_ne_u32_e32 vcc, 0, v0
	; wave barrier
	s_nop 1
	v_xor_b32_e32 v8, vcc_lo, v8
	v_xor_b32_e32 v0, vcc_hi, v9
	v_and_b32_e32 v63, exec_lo, v8
	v_lshlrev_b32_e32 v9, 30, v61
	v_mov_b32_e32 v8, v1
	v_cmp_gt_i64_e32 vcc, 0, v[8:9]
	v_not_b32_e32 v8, v9
	v_ashrrev_i32_e32 v8, 31, v8
	v_and_b32_e32 v0, exec_hi, v0
	v_xor_b32_e32 v9, vcc_hi, v8
	v_xor_b32_e32 v8, vcc_lo, v8
	v_and_b32_e32 v0, v0, v9
	v_and_b32_e32 v63, v63, v8
	v_lshlrev_b32_e32 v9, 29, v61
	v_mov_b32_e32 v8, v1
	v_cmp_gt_i64_e32 vcc, 0, v[8:9]
	v_not_b32_e32 v8, v9
	v_ashrrev_i32_e32 v8, 31, v8
	v_xor_b32_e32 v9, vcc_hi, v8
	v_xor_b32_e32 v8, vcc_lo, v8
	v_and_b32_e32 v0, v0, v9
	v_and_b32_e32 v63, v63, v8
	v_lshlrev_b32_e32 v9, 28, v61
	v_mov_b32_e32 v8, v1
	v_cmp_gt_i64_e32 vcc, 0, v[8:9]
	v_not_b32_e32 v8, v9
	v_ashrrev_i32_e32 v8, 31, v8
	;; [unrolled: 9-line block ×6, first 2 shown]
	v_xor_b32_e32 v9, vcc_hi, v8
	v_xor_b32_e32 v8, vcc_lo, v8
	ds_read_b32 v60, v65 offset:64
	v_and_b32_e32 v8, v63, v8
	v_and_b32_e32 v9, v0, v9
	v_mbcnt_lo_u32_b32 v0, v8, 0
	v_mbcnt_hi_u32_b32 v63, v9, v0
	v_cmp_eq_u32_e32 vcc, 0, v63
	v_cmp_ne_u64_e64 s[0:1], 0, v[8:9]
	s_and_b64 s[6:7], s[0:1], vcc
	; wave barrier
	s_and_saveexec_b64 s[0:1], s[6:7]
	s_cbranch_execz .LBB1045_231
; %bb.230:
	v_bcnt_u32_b32 v0, v8, 0
	v_bcnt_u32_b32 v0, v9, v0
	s_waitcnt lgkmcnt(0)
	v_add_u32_e32 v0, v60, v0
	ds_write_b32 v65, v0 offset:64
.LBB1045_231:
	s_or_b64 exec, exec, s[0:1]
	s_waitcnt vmcnt(2)
	v_xor_b32_e32 v36, 0x7fffffff, v36
	v_lshrrev_b32_e32 v0, s64, v36
	v_and_b32_e32 v61, s14, v0
	v_mul_lo_u32 v0, v61, s4
	v_lshl_add_u32 v68, v28, 2, v0
	v_and_b32_e32 v0, 1, v61
	v_lshl_add_u64 v[8:9], v[0:1], 0, -1
	v_cmp_ne_u32_e32 vcc, 0, v0
	; wave barrier
	s_nop 1
	v_xor_b32_e32 v8, vcc_lo, v8
	v_xor_b32_e32 v0, vcc_hi, v9
	v_and_b32_e32 v66, exec_lo, v8
	v_lshlrev_b32_e32 v9, 30, v61
	v_mov_b32_e32 v8, v1
	v_cmp_gt_i64_e32 vcc, 0, v[8:9]
	v_not_b32_e32 v8, v9
	v_ashrrev_i32_e32 v8, 31, v8
	v_and_b32_e32 v0, exec_hi, v0
	v_xor_b32_e32 v9, vcc_hi, v8
	v_xor_b32_e32 v8, vcc_lo, v8
	v_and_b32_e32 v0, v0, v9
	v_and_b32_e32 v66, v66, v8
	v_lshlrev_b32_e32 v9, 29, v61
	v_mov_b32_e32 v8, v1
	v_cmp_gt_i64_e32 vcc, 0, v[8:9]
	v_not_b32_e32 v8, v9
	v_ashrrev_i32_e32 v8, 31, v8
	v_xor_b32_e32 v9, vcc_hi, v8
	v_xor_b32_e32 v8, vcc_lo, v8
	v_and_b32_e32 v0, v0, v9
	v_and_b32_e32 v66, v66, v8
	v_lshlrev_b32_e32 v9, 28, v61
	v_mov_b32_e32 v8, v1
	v_cmp_gt_i64_e32 vcc, 0, v[8:9]
	v_not_b32_e32 v8, v9
	v_ashrrev_i32_e32 v8, 31, v8
	v_xor_b32_e32 v9, vcc_hi, v8
	v_xor_b32_e32 v8, vcc_lo, v8
	v_and_b32_e32 v0, v0, v9
	v_and_b32_e32 v66, v66, v8
	v_lshlrev_b32_e32 v9, 27, v61
	v_mov_b32_e32 v8, v1
	v_cmp_gt_i64_e32 vcc, 0, v[8:9]
	v_not_b32_e32 v8, v9
	v_ashrrev_i32_e32 v8, 31, v8
	v_xor_b32_e32 v9, vcc_hi, v8
	v_xor_b32_e32 v8, vcc_lo, v8
	v_and_b32_e32 v0, v0, v9
	v_and_b32_e32 v66, v66, v8
	v_lshlrev_b32_e32 v9, 26, v61
	v_mov_b32_e32 v8, v1
	v_cmp_gt_i64_e32 vcc, 0, v[8:9]
	v_not_b32_e32 v8, v9
	v_ashrrev_i32_e32 v8, 31, v8
	v_xor_b32_e32 v9, vcc_hi, v8
	v_xor_b32_e32 v8, vcc_lo, v8
	v_and_b32_e32 v0, v0, v9
	v_and_b32_e32 v66, v66, v8
	v_lshlrev_b32_e32 v9, 25, v61
	v_mov_b32_e32 v8, v1
	v_cmp_gt_i64_e32 vcc, 0, v[8:9]
	v_not_b32_e32 v8, v9
	v_ashrrev_i32_e32 v8, 31, v8
	v_xor_b32_e32 v9, vcc_hi, v8
	v_xor_b32_e32 v8, vcc_lo, v8
	v_and_b32_e32 v0, v0, v9
	v_lshlrev_b32_e32 v9, 24, v61
	v_and_b32_e32 v66, v66, v8
	v_mov_b32_e32 v8, v1
	v_not_b32_e32 v1, v9
	v_cmp_gt_i64_e32 vcc, 0, v[8:9]
	v_ashrrev_i32_e32 v1, 31, v1
	ds_read_b32 v64, v68 offset:64
	v_xor_b32_e32 v8, vcc_hi, v1
	v_xor_b32_e32 v9, vcc_lo, v1
	v_and_b32_e32 v1, v0, v8
	v_and_b32_e32 v0, v66, v9
	v_mbcnt_lo_u32_b32 v8, v0, 0
	v_mbcnt_hi_u32_b32 v66, v1, v8
	v_cmp_eq_u32_e32 vcc, 0, v66
	v_cmp_ne_u64_e64 s[0:1], 0, v[0:1]
	s_and_b64 s[4:5], s[0:1], vcc
	; wave barrier
	s_and_saveexec_b64 s[0:1], s[4:5]
	s_cbranch_execz .LBB1045_233
; %bb.232:
	v_bcnt_u32_b32 v0, v0, 0
	v_bcnt_u32_b32 v0, v1, v0
	s_waitcnt lgkmcnt(0)
	v_add_u32_e32 v0, v64, v0
	ds_write_b32 v68, v0 offset:64
.LBB1045_233:
	s_or_b64 exec, exec, s[0:1]
	s_waitcnt vmcnt(1)
	v_xor_b32_e32 v31, 0x7fffffff, v31
	v_lshrrev_b32_e32 v0, s64, v31
	v_and_b32_e32 v61, s14, v0
	s_movk_i32 s4, 0x44
	v_mul_lo_u32 v0, v61, s4
	v_lshl_add_u32 v70, v28, 2, v0
	v_and_b32_e32 v0, 1, v61
	v_mov_b32_e32 v1, 0
	v_lshl_add_u64 v[8:9], v[0:1], 0, -1
	v_cmp_ne_u32_e32 vcc, 0, v0
	; wave barrier
	s_nop 1
	v_xor_b32_e32 v8, vcc_lo, v8
	v_xor_b32_e32 v0, vcc_hi, v9
	v_and_b32_e32 v69, exec_lo, v8
	v_lshlrev_b32_e32 v9, 30, v61
	v_mov_b32_e32 v8, v1
	v_cmp_gt_i64_e32 vcc, 0, v[8:9]
	v_not_b32_e32 v8, v9
	v_ashrrev_i32_e32 v8, 31, v8
	v_and_b32_e32 v0, exec_hi, v0
	v_xor_b32_e32 v9, vcc_hi, v8
	v_xor_b32_e32 v8, vcc_lo, v8
	v_and_b32_e32 v0, v0, v9
	v_and_b32_e32 v69, v69, v8
	v_lshlrev_b32_e32 v9, 29, v61
	v_mov_b32_e32 v8, v1
	v_cmp_gt_i64_e32 vcc, 0, v[8:9]
	v_not_b32_e32 v8, v9
	v_ashrrev_i32_e32 v8, 31, v8
	v_xor_b32_e32 v9, vcc_hi, v8
	v_xor_b32_e32 v8, vcc_lo, v8
	v_and_b32_e32 v0, v0, v9
	v_and_b32_e32 v69, v69, v8
	v_lshlrev_b32_e32 v9, 28, v61
	v_mov_b32_e32 v8, v1
	v_cmp_gt_i64_e32 vcc, 0, v[8:9]
	v_not_b32_e32 v8, v9
	v_ashrrev_i32_e32 v8, 31, v8
	;; [unrolled: 9-line block ×6, first 2 shown]
	v_xor_b32_e32 v9, vcc_hi, v8
	v_xor_b32_e32 v8, vcc_lo, v8
	ds_read_b32 v67, v70 offset:64
	v_and_b32_e32 v8, v69, v8
	v_and_b32_e32 v9, v0, v9
	v_mbcnt_lo_u32_b32 v0, v8, 0
	v_mbcnt_hi_u32_b32 v69, v9, v0
	v_cmp_eq_u32_e32 vcc, 0, v69
	v_cmp_ne_u64_e64 s[0:1], 0, v[8:9]
	s_and_b64 s[6:7], s[0:1], vcc
	; wave barrier
	s_and_saveexec_b64 s[0:1], s[6:7]
	s_cbranch_execz .LBB1045_235
; %bb.234:
	v_bcnt_u32_b32 v0, v8, 0
	v_bcnt_u32_b32 v0, v9, v0
	s_waitcnt lgkmcnt(0)
	v_add_u32_e32 v0, v67, v0
	ds_write_b32 v70, v0 offset:64
.LBB1045_235:
	s_or_b64 exec, exec, s[0:1]
	s_waitcnt vmcnt(0)
	v_xor_b32_e32 v61, 0x7fffffff, v25
	v_lshrrev_b32_e32 v0, s64, v61
	v_and_b32_e32 v25, s14, v0
	v_mul_lo_u32 v0, v25, s4
	v_lshl_add_u32 v72, v28, 2, v0
	v_and_b32_e32 v0, 1, v25
	v_lshl_add_u64 v[8:9], v[0:1], 0, -1
	v_cmp_ne_u32_e32 vcc, 0, v0
	; wave barrier
	s_nop 1
	v_xor_b32_e32 v8, vcc_lo, v8
	v_xor_b32_e32 v0, vcc_hi, v9
	v_and_b32_e32 v71, exec_lo, v8
	v_lshlrev_b32_e32 v9, 30, v25
	v_mov_b32_e32 v8, v1
	v_cmp_gt_i64_e32 vcc, 0, v[8:9]
	v_not_b32_e32 v8, v9
	v_ashrrev_i32_e32 v8, 31, v8
	v_and_b32_e32 v0, exec_hi, v0
	v_xor_b32_e32 v9, vcc_hi, v8
	v_xor_b32_e32 v8, vcc_lo, v8
	v_and_b32_e32 v0, v0, v9
	v_and_b32_e32 v71, v71, v8
	v_lshlrev_b32_e32 v9, 29, v25
	v_mov_b32_e32 v8, v1
	v_cmp_gt_i64_e32 vcc, 0, v[8:9]
	v_not_b32_e32 v8, v9
	v_ashrrev_i32_e32 v8, 31, v8
	v_xor_b32_e32 v9, vcc_hi, v8
	v_xor_b32_e32 v8, vcc_lo, v8
	v_and_b32_e32 v0, v0, v9
	v_and_b32_e32 v71, v71, v8
	v_lshlrev_b32_e32 v9, 28, v25
	v_mov_b32_e32 v8, v1
	v_cmp_gt_i64_e32 vcc, 0, v[8:9]
	v_not_b32_e32 v8, v9
	v_ashrrev_i32_e32 v8, 31, v8
	;; [unrolled: 9-line block ×5, first 2 shown]
	v_xor_b32_e32 v9, vcc_hi, v8
	v_xor_b32_e32 v8, vcc_lo, v8
	v_and_b32_e32 v0, v0, v9
	v_lshlrev_b32_e32 v9, 24, v25
	v_and_b32_e32 v71, v71, v8
	v_mov_b32_e32 v8, v1
	v_not_b32_e32 v1, v9
	v_cmp_gt_i64_e32 vcc, 0, v[8:9]
	v_ashrrev_i32_e32 v1, 31, v1
	ds_read_b32 v28, v72 offset:64
	v_xor_b32_e32 v8, vcc_hi, v1
	v_xor_b32_e32 v9, vcc_lo, v1
	v_and_b32_e32 v1, v0, v8
	v_and_b32_e32 v0, v71, v9
	v_mbcnt_lo_u32_b32 v8, v0, 0
	v_mbcnt_hi_u32_b32 v71, v1, v8
	v_cmp_eq_u32_e32 vcc, 0, v71
	v_cmp_ne_u64_e64 s[0:1], 0, v[0:1]
	s_and_b64 s[4:5], s[0:1], vcc
	; wave barrier
	s_and_saveexec_b64 s[0:1], s[4:5]
	s_cbranch_execz .LBB1045_237
; %bb.236:
	v_bcnt_u32_b32 v0, v0, 0
	v_bcnt_u32_b32 v0, v1, v0
	s_waitcnt lgkmcnt(0)
	v_add_u32_e32 v0, v28, v0
	ds_write_b32 v72, v0 offset:64
.LBB1045_237:
	s_or_b64 exec, exec, s[0:1]
	; wave barrier
	s_waitcnt lgkmcnt(0)
	s_barrier
	ds_read2_b32 v[8:9], v11 offset0:16 offset1:17
	ds_read2_b32 v[0:1], v11 offset0:18 offset1:19
	ds_read_b32 v25, v11 offset:80
	v_cmp_lt_u32_e64 s[8:9], 31, v10
	s_waitcnt lgkmcnt(1)
	v_add3_u32 v73, v9, v8, v0
	s_waitcnt lgkmcnt(0)
	v_add3_u32 v25, v73, v1, v25
	v_and_b32_e32 v73, 15, v10
	v_cmp_eq_u32_e32 vcc, 0, v73
	v_mov_b32_dpp v74, v25 row_shr:1 row_mask:0xf bank_mask:0xf
	v_cmp_lt_u32_e64 s[0:1], 1, v73
	v_cndmask_b32_e64 v74, v74, 0, vcc
	v_add_u32_e32 v25, v74, v25
	v_cmp_lt_u32_e64 s[6:7], 3, v73
	v_cmp_lt_u32_e64 s[4:5], 7, v73
	v_mov_b32_dpp v74, v25 row_shr:2 row_mask:0xf bank_mask:0xf
	v_cndmask_b32_e64 v74, 0, v74, s[0:1]
	v_add_u32_e32 v25, v25, v74
	s_nop 1
	v_mov_b32_dpp v74, v25 row_shr:4 row_mask:0xf bank_mask:0xf
	v_cndmask_b32_e64 v74, 0, v74, s[6:7]
	v_add_u32_e32 v25, v25, v74
	s_nop 1
	v_mov_b32_dpp v74, v25 row_shr:8 row_mask:0xf bank_mask:0xf
	v_cndmask_b32_e64 v73, 0, v74, s[4:5]
	v_add_u32_e32 v25, v25, v73
	v_bfe_i32 v74, v10, 4, 1
	s_nop 0
	v_mov_b32_dpp v73, v25 row_bcast:15 row_mask:0xf bank_mask:0xf
	v_and_b32_e32 v73, v74, v73
	v_add_u32_e32 v25, v25, v73
	v_lshrrev_b32_e32 v74, 6, v2
	s_nop 0
	v_mov_b32_dpp v73, v25 row_bcast:31 row_mask:0xf bank_mask:0xf
	v_cndmask_b32_e64 v73, 0, v73, s[8:9]
	v_add_u32_e32 v73, v25, v73
	v_and_b32_e32 v25, 63, v2
	v_cmp_eq_u32_e64 s[8:9], 63, v25
	s_and_saveexec_b64 s[12:13], s[8:9]
; %bb.238:
	v_lshlrev_b32_e32 v25, 2, v74
	ds_write_b32 v25, v73
; %bb.239:
	s_or_b64 exec, exec, s[12:13]
	v_cmp_gt_u32_e64 s[8:9], 16, v2
	v_lshlrev_b32_e32 v25, 2, v2
	s_waitcnt lgkmcnt(0)
	s_barrier
	s_and_saveexec_b64 s[12:13], s[8:9]
	s_cbranch_execz .LBB1045_241
; %bb.240:
	ds_read_b32 v75, v25
	s_waitcnt lgkmcnt(0)
	s_nop 0
	v_mov_b32_dpp v76, v75 row_shr:1 row_mask:0xf bank_mask:0xf
	v_cndmask_b32_e64 v76, v76, 0, vcc
	v_add_u32_e32 v75, v76, v75
	s_nop 1
	v_mov_b32_dpp v76, v75 row_shr:2 row_mask:0xf bank_mask:0xf
	v_cndmask_b32_e64 v76, 0, v76, s[0:1]
	v_add_u32_e32 v75, v75, v76
	s_nop 1
	v_mov_b32_dpp v76, v75 row_shr:4 row_mask:0xf bank_mask:0xf
	v_cndmask_b32_e64 v76, 0, v76, s[6:7]
	;; [unrolled: 4-line block ×3, first 2 shown]
	v_add_u32_e32 v75, v75, v76
	ds_write_b32 v25, v75
.LBB1045_241:
	s_or_b64 exec, exec, s[12:13]
	v_cmp_lt_u32_e32 vcc, 63, v2
	v_mov_b32_e32 v75, 0
	s_waitcnt lgkmcnt(0)
	s_barrier
	s_and_saveexec_b64 s[0:1], vcc
; %bb.242:
	v_lshl_add_u32 v74, v74, 2, -4
	ds_read_b32 v75, v74
; %bb.243:
	s_or_b64 exec, exec, s[0:1]
	v_subrev_co_u32_e32 v74, vcc, 1, v10
	v_and_b32_e32 v76, 64, v10
	v_cmp_lt_i32_e64 s[0:1], v74, v76
	s_waitcnt lgkmcnt(0)
	v_add_u32_e32 v73, v75, v73
	s_movk_i32 s4, 0x100
	v_cndmask_b32_e64 v10, v74, v10, s[0:1]
	v_lshlrev_b32_e32 v10, 2, v10
	ds_bpermute_b32 v10, v10, v73
	s_movk_i32 s0, 0xff
	s_waitcnt lgkmcnt(0)
	v_cndmask_b32_e32 v10, v10, v75, vcc
	v_cmp_ne_u32_e32 vcc, 0, v2
	s_nop 1
	v_cndmask_b32_e32 v10, 0, v10, vcc
	v_add_u32_e32 v8, v10, v8
	v_add_u32_e32 v9, v8, v9
	;; [unrolled: 1-line block ×4, first 2 shown]
	ds_write2_b32 v11, v10, v8 offset0:16 offset1:17
	ds_write2_b32 v11, v9, v0 offset0:18 offset1:19
	ds_write_b32 v11, v1 offset:80
	s_waitcnt lgkmcnt(0)
	s_barrier
	ds_read_b32 v81, v18 offset:64
	ds_read_b32 v73, v21 offset:64
	;; [unrolled: 1-line block ×16, first 2 shown]
	v_cmp_lt_u32_e32 vcc, s0, v2
	v_cmp_gt_u32_e64 s[0:1], s4, v2
                                        ; implicit-def: $vgpr18
                                        ; implicit-def: $vgpr21
	s_and_saveexec_b64 s[6:7], s[0:1]
	s_cbranch_execz .LBB1045_247
; %bb.244:
	v_mul_u32_u24_e32 v0, 0x44, v2
	ds_read_b32 v18, v0 offset:64
	v_add_u32_e32 v1, 1, v2
	v_cmp_ne_u32_e64 s[4:5], s4, v1
	v_mov_b32_e32 v0, 0x4000
	s_and_saveexec_b64 s[8:9], s[4:5]
; %bb.245:
	v_mul_u32_u24_e32 v0, 0x44, v1
	ds_read_b32 v0, v0 offset:64
; %bb.246:
	s_or_b64 exec, exec, s[8:9]
	s_waitcnt lgkmcnt(0)
	v_sub_u32_e32 v21, v0, v18
.LBB1045_247:
	s_or_b64 exec, exec, s[6:7]
	v_mov_b32_e32 v1, 0
	s_waitcnt lgkmcnt(0)
	s_barrier
	s_and_saveexec_b64 s[4:5], s[0:1]
	s_cbranch_execz .LBB1045_257
; %bb.248:
	v_lshl_add_u32 v0, s2, 8, v2
	v_lshl_add_u64 v[8:9], v[0:1], 2, s[50:51]
	v_or_b32_e32 v0, 2.0, v21
	s_mov_b64 s[6:7], 0
	s_brev_b32 s15, -4
	s_mov_b32 s16, s2
	v_mov_b32_e32 v49, 0
	global_store_dword v[8:9], v0, off sc1
                                        ; implicit-def: $sgpr0_sgpr1
	s_branch .LBB1045_251
.LBB1045_249:                           ;   in Loop: Header=BB1045_251 Depth=1
	s_or_b64 exec, exec, s[12:13]
.LBB1045_250:                           ;   in Loop: Header=BB1045_251 Depth=1
	s_or_b64 exec, exec, s[8:9]
	v_and_b32_e32 v10, 0x3fffffff, v0
	v_add_u32_e32 v49, v10, v49
	v_cmp_gt_i32_e64 s[0:1], -2.0, v0
	s_and_b64 s[8:9], exec, s[0:1]
	s_or_b64 s[6:7], s[8:9], s[6:7]
	s_andn2_b64 exec, exec, s[6:7]
	s_cbranch_execz .LBB1045_256
.LBB1045_251:                           ; =>This Loop Header: Depth=1
                                        ;     Child Loop BB1045_254 Depth 2
	s_or_b64 s[0:1], s[0:1], exec
	s_cmp_eq_u32 s16, 0
	s_cbranch_scc1 .LBB1045_255
; %bb.252:                              ;   in Loop: Header=BB1045_251 Depth=1
	s_add_i32 s16, s16, -1
	v_lshl_or_b32 v0, s16, 8, v2
	v_lshl_add_u64 v[10:11], v[0:1], 2, s[50:51]
	global_load_dword v0, v[10:11], off sc1
	s_waitcnt vmcnt(0)
	v_cmp_gt_u32_e64 s[0:1], 2.0, v0
	s_and_saveexec_b64 s[8:9], s[0:1]
	s_cbranch_execz .LBB1045_250
; %bb.253:                              ;   in Loop: Header=BB1045_251 Depth=1
	s_mov_b64 s[12:13], 0
.LBB1045_254:                           ;   Parent Loop BB1045_251 Depth=1
                                        ; =>  This Inner Loop Header: Depth=2
	global_load_dword v0, v[10:11], off sc1
	s_waitcnt vmcnt(0)
	v_cmp_lt_u32_e64 s[0:1], s15, v0
	s_or_b64 s[12:13], s[0:1], s[12:13]
	s_andn2_b64 exec, exec, s[12:13]
	s_cbranch_execnz .LBB1045_254
	s_branch .LBB1045_249
.LBB1045_255:                           ;   in Loop: Header=BB1045_251 Depth=1
                                        ; implicit-def: $sgpr16
	s_and_b64 s[8:9], exec, s[0:1]
	s_or_b64 s[6:7], s[8:9], s[6:7]
	s_andn2_b64 exec, exec, s[6:7]
	s_cbranch_execnz .LBB1045_251
.LBB1045_256:
	s_or_b64 exec, exec, s[6:7]
	v_add_u32_e32 v0, v49, v21
	v_or_b32_e32 v0, 0x80000000, v0
	global_store_dword v[8:9], v0, off sc1
	global_load_dword v0, v25, s[60:61]
	v_sub_u32_e32 v1, v49, v18
	s_waitcnt vmcnt(0)
	v_add_u32_e32 v0, v1, v0
	ds_write_b32 v25, v0
.LBB1045_257:
	s_or_b64 exec, exec, s[4:5]
	v_add_u32_e32 v8, v81, v14
	v_add3_u32 v0, v16, v13, v73
	v_add3_u32 v1, v20, v17, v74
	v_add3_u32 v58, v24, v22, v75
	v_add3_u32 v62, v30, v27, v76
	v_add3_u32 v65, v35, v33, v77
	v_add3_u32 v68, v42, v38, v78
	v_add3_u32 v70, v47, v43, v79
	v_add3_u32 v72, v50, v48, v80
	v_add3_u32 v81, v53, v51, v55
	v_add3_u32 v49, v56, v54, v52
	v_add3_u32 v82, v59, v57, v46
	v_add3_u32 v83, v63, v60, v37
	v_add3_u32 v84, v66, v64, v32
	v_add3_u32 v11, v69, v67, v26
	v_add3_u32 v9, v71, v28, v41
	v_mov_b32_e32 v85, 0x400
	s_mov_b32 s6, s64
	s_mov_b32 s7, s14
	s_movk_i32 s8, 0x400
	v_lshl_add_u32 v9, v9, 2, v85
	v_add3_u32 v10, v71, v41, v28
	v_lshl_add_u32 v11, v11, 2, v85
	v_add3_u32 v14, v69, v26, v67
	;; [unrolled: 2-line block ×15, first 2 shown]
	v_lshl_add_u32 v16, v8, 2, v85
	s_mov_b32 s9, 0
	s_mov_b32 s12, 0
	s_movk_i32 s13, 0x1000
	v_mov_b32_e32 v1, 0
	s_movk_i32 s15, 0x800
	s_movk_i32 s16, 0xc00
	v_mov_b32_e32 v55, v2
	s_mov_b32 s17, 0
	s_branch .LBB1045_259
.LBB1045_258:                           ;   in Loop: Header=BB1045_259 Depth=1
	s_or_b64 exec, exec, s[4:5]
	s_waitcnt lgkmcnt(0)
	s_barrier
	ds_read2st64_b32 v[56:57], v25 offset0:4 offset1:20
	ds_read2st64_b32 v[62:63], v25 offset0:36 offset1:52
	s_addk_i32 s17, 0xc000
	s_addk_i32 s12, 0xf000
	s_waitcnt lgkmcnt(1)
	v_xor_b32_e32 v60, 0x7fffffff, v56
	v_lshrrev_b32_e32 v56, s64, v56
	v_lshrrev_b32_e32 v0, s6, v57
	v_and_b32_e32 v56, s14, v56
	v_xor_b32_e32 v66, 0x7fffffff, v57
	v_and_b32_e32 v57, s7, v0
	v_lshlrev_b32_e32 v0, 2, v56
	ds_read_b32 v0, v0
	s_waitcnt lgkmcnt(1)
	v_lshrrev_b32_e32 v58, s6, v63
	v_lshrrev_b32_e32 v65, s64, v62
	v_and_b32_e32 v59, s7, v58
	v_lshlrev_b32_e32 v64, 2, v57
	v_and_b32_e32 v58, s14, v65
	v_lshlrev_b32_e32 v67, 2, v59
	v_lshlrev_b32_e32 v65, 2, v58
	ds_read_b32 v68, v64
	ds_read_b32 v69, v65
	;; [unrolled: 1-line block ×3, first 2 shown]
	s_waitcnt lgkmcnt(3)
	v_add_u32_e32 v0, v55, v0
	v_lshl_add_u64 v[64:65], v[0:1], 2, s[54:55]
	s_waitcnt lgkmcnt(2)
	v_add3_u32 v0, v55, v68, s8
	global_store_dword v[64:65], v60, off
	v_lshl_add_u64 v[64:65], v[0:1], 2, s[54:55]
	s_waitcnt lgkmcnt(1)
	v_add3_u32 v0, v55, v69, s15
	global_store_dword v[64:65], v66, off
	v_xor_b32_e32 v60, 0x7fffffff, v62
	v_xor_b32_e32 v64, 0x7fffffff, v63
	v_lshl_add_u64 v[62:63], v[0:1], 2, s[54:55]
	s_waitcnt lgkmcnt(0)
	v_add3_u32 v0, v55, v67, s16
	global_store_dword v[62:63], v60, off
	v_lshl_add_u64 v[62:63], v[0:1], 2, s[54:55]
	global_store_dword v[62:63], v64, off
	scratch_store_dwordx4 off, v[56:59], s9
	s_add_i32 s9, s9, 16
	s_cmp_eq_u32 s17, 0xffff0000
	v_add_u32_e32 v55, 0x1000, v55
	s_barrier
	s_cbranch_scc1 .LBB1045_291
.LBB1045_259:                           ; =>This Inner Loop Header: Depth=1
	v_add_u32_e32 v0, s12, v8
	v_cmp_gt_u32_e64 s[0:1], s13, v0
	s_and_saveexec_b64 s[4:5], s[0:1]
; %bb.260:                              ;   in Loop: Header=BB1045_259 Depth=1
	v_add_u32_e32 v0, s17, v16
	ds_write_b32 v0, v3
; %bb.261:                              ;   in Loop: Header=BB1045_259 Depth=1
	s_or_b64 exec, exec, s[4:5]
	v_add_u32_e32 v0, s12, v13
	v_cmp_gt_u32_e64 s[0:1], s13, v0
	s_and_saveexec_b64 s[4:5], s[0:1]
; %bb.262:                              ;   in Loop: Header=BB1045_259 Depth=1
	v_add_u32_e32 v0, s17, v20
	ds_write_b32 v0, v5
; %bb.263:                              ;   in Loop: Header=BB1045_259 Depth=1
	s_or_b64 exec, exec, s[4:5]
	;; [unrolled: 8-line block ×15, first 2 shown]
	v_add_u32_e32 v0, s12, v10
	v_cmp_gt_u32_e64 s[0:1], s13, v0
	s_and_saveexec_b64 s[4:5], s[0:1]
	s_cbranch_execz .LBB1045_258
; %bb.290:                              ;   in Loop: Header=BB1045_259 Depth=1
	v_add_u32_e32 v0, s17, v9
	ds_write_b32 v0, v61
	s_branch .LBB1045_258
.LBB1045_291:
	s_add_u32 s0, s56, s10
	s_addc_u32 s1, s57, s11
	v_mov_b32_e32 v5, 0
	v_lshl_add_u64 v[0:1], s[0:1], 0, v[4:5]
	v_mov_b32_e32 v7, v5
	v_lshl_add_u64 v[44:45], v[0:1], 0, v[6:7]
	global_load_dword v0, v[44:45], off
	global_load_dword v1, v[44:45], off offset:256
	global_load_dword v3, v[44:45], off offset:512
	;; [unrolled: 1-line block ×14, first 2 shown]
	s_nop 0
	global_load_dword v44, v[44:45], off offset:3840
	s_mov_b32 s6, 0
	s_mov_b32 s7, 0
	s_movk_i32 s8, 0x1000
	s_movk_i32 s9, 0x400
	;; [unrolled: 1-line block ×4, first 2 shown]
	s_mov_b32 s12, 0
	s_branch .LBB1045_293
.LBB1045_292:                           ;   in Loop: Header=BB1045_293 Depth=1
	s_or_b64 exec, exec, s[4:5]
	s_waitcnt lgkmcnt(0)
	s_barrier
	scratch_load_dwordx4 v[56:59], off, s6
	ds_read2st64_b32 v[60:61], v25 offset0:4 offset1:20
	ds_read2st64_b32 v[62:63], v25 offset0:36 offset1:52
	s_addk_i32 s12, 0xc000
	s_addk_i32 s7, 0xf000
	s_add_i32 s6, s6, 16
	s_cmp_eq_u32 s12, 0xffff0000
	s_waitcnt vmcnt(0)
	v_lshlrev_b32_e32 v4, 2, v56
	ds_read_b32 v4, v4
	v_lshlrev_b32_e32 v45, 2, v57
	v_lshlrev_b32_e32 v55, 2, v58
	;; [unrolled: 1-line block ×3, first 2 shown]
	ds_read_b32 v45, v45
	ds_read_b32 v55, v55
	;; [unrolled: 1-line block ×3, first 2 shown]
	s_waitcnt lgkmcnt(3)
	v_add_u32_e32 v4, v2, v4
	v_lshl_add_u64 v[56:57], v[4:5], 2, s[58:59]
	s_waitcnt lgkmcnt(2)
	v_add3_u32 v4, v2, v45, s9
	global_store_dword v[56:57], v60, off
	v_lshl_add_u64 v[56:57], v[4:5], 2, s[58:59]
	s_waitcnt lgkmcnt(1)
	v_add3_u32 v4, v2, v55, s10
	global_store_dword v[56:57], v61, off
	v_lshl_add_u64 v[56:57], v[4:5], 2, s[58:59]
	s_waitcnt lgkmcnt(0)
	v_add3_u32 v4, v2, v58, s11
	global_store_dword v[56:57], v62, off
	v_lshl_add_u64 v[56:57], v[4:5], 2, s[58:59]
	v_add_u32_e32 v2, 0x1000, v2
	global_store_dword v[56:57], v63, off
	s_barrier
	s_cbranch_scc1 .LBB1045_325
.LBB1045_293:                           ; =>This Inner Loop Header: Depth=1
	v_add_u32_e32 v4, s7, v8
	v_cmp_gt_u32_e64 s[0:1], s8, v4
	s_and_saveexec_b64 s[4:5], s[0:1]
	s_cbranch_execz .LBB1045_295
; %bb.294:                              ;   in Loop: Header=BB1045_293 Depth=1
	v_add_u32_e32 v4, s12, v16
	s_waitcnt vmcnt(15)
	ds_write_b32 v4, v0
.LBB1045_295:                           ;   in Loop: Header=BB1045_293 Depth=1
	s_or_b64 exec, exec, s[4:5]
	v_add_u32_e32 v4, s7, v13
	v_cmp_gt_u32_e64 s[0:1], s8, v4
	s_and_saveexec_b64 s[4:5], s[0:1]
	s_cbranch_execz .LBB1045_297
; %bb.296:                              ;   in Loop: Header=BB1045_293 Depth=1
	v_add_u32_e32 v4, s12, v20
	s_waitcnt vmcnt(14)
	ds_write_b32 v4, v1
.LBB1045_297:                           ;   in Loop: Header=BB1045_293 Depth=1
	s_or_b64 exec, exec, s[4:5]
	v_add_u32_e32 v4, s7, v17
	v_cmp_gt_u32_e64 s[0:1], s8, v4
	s_and_saveexec_b64 s[4:5], s[0:1]
	s_cbranch_execz .LBB1045_299
; %bb.298:                              ;   in Loop: Header=BB1045_293 Depth=1
	v_add_u32_e32 v4, s12, v24
	s_waitcnt vmcnt(13)
	ds_write_b32 v4, v3
.LBB1045_299:                           ;   in Loop: Header=BB1045_293 Depth=1
	s_or_b64 exec, exec, s[4:5]
	v_add_u32_e32 v4, s7, v22
	v_cmp_gt_u32_e64 s[0:1], s8, v4
	s_and_saveexec_b64 s[4:5], s[0:1]
	s_cbranch_execz .LBB1045_301
; %bb.300:                              ;   in Loop: Header=BB1045_293 Depth=1
	v_add_u32_e32 v4, s12, v30
	s_waitcnt vmcnt(12)
	ds_write_b32 v4, v6
.LBB1045_301:                           ;   in Loop: Header=BB1045_293 Depth=1
	s_or_b64 exec, exec, s[4:5]
	v_add_u32_e32 v4, s7, v27
	v_cmp_gt_u32_e64 s[0:1], s8, v4
	s_and_saveexec_b64 s[4:5], s[0:1]
	s_cbranch_execz .LBB1045_303
; %bb.302:                              ;   in Loop: Header=BB1045_293 Depth=1
	v_add_u32_e32 v4, s12, v35
	s_waitcnt vmcnt(11)
	ds_write_b32 v4, v7
.LBB1045_303:                           ;   in Loop: Header=BB1045_293 Depth=1
	s_or_b64 exec, exec, s[4:5]
	v_add_u32_e32 v4, s7, v33
	v_cmp_gt_u32_e64 s[0:1], s8, v4
	s_and_saveexec_b64 s[4:5], s[0:1]
	s_cbranch_execz .LBB1045_305
; %bb.304:                              ;   in Loop: Header=BB1045_293 Depth=1
	v_add_u32_e32 v4, s12, v42
	s_waitcnt vmcnt(10)
	ds_write_b32 v4, v12
.LBB1045_305:                           ;   in Loop: Header=BB1045_293 Depth=1
	s_or_b64 exec, exec, s[4:5]
	v_add_u32_e32 v4, s7, v38
	v_cmp_gt_u32_e64 s[0:1], s8, v4
	s_and_saveexec_b64 s[4:5], s[0:1]
	s_cbranch_execz .LBB1045_307
; %bb.306:                              ;   in Loop: Header=BB1045_293 Depth=1
	v_add_u32_e32 v4, s12, v47
	s_waitcnt vmcnt(9)
	ds_write_b32 v4, v15
.LBB1045_307:                           ;   in Loop: Header=BB1045_293 Depth=1
	s_or_b64 exec, exec, s[4:5]
	v_add_u32_e32 v4, s7, v43
	v_cmp_gt_u32_e64 s[0:1], s8, v4
	s_and_saveexec_b64 s[4:5], s[0:1]
	s_cbranch_execz .LBB1045_309
; %bb.308:                              ;   in Loop: Header=BB1045_293 Depth=1
	v_add_u32_e32 v4, s12, v50
	s_waitcnt vmcnt(8)
	ds_write_b32 v4, v19
.LBB1045_309:                           ;   in Loop: Header=BB1045_293 Depth=1
	s_or_b64 exec, exec, s[4:5]
	v_add_u32_e32 v4, s7, v48
	v_cmp_gt_u32_e64 s[0:1], s8, v4
	s_and_saveexec_b64 s[4:5], s[0:1]
	s_cbranch_execz .LBB1045_311
; %bb.310:                              ;   in Loop: Header=BB1045_293 Depth=1
	v_add_u32_e32 v4, s12, v53
	s_waitcnt vmcnt(7)
	ds_write_b32 v4, v23
.LBB1045_311:                           ;   in Loop: Header=BB1045_293 Depth=1
	s_or_b64 exec, exec, s[4:5]
	v_add_u32_e32 v4, s7, v51
	v_cmp_gt_u32_e64 s[0:1], s8, v4
	s_and_saveexec_b64 s[4:5], s[0:1]
	s_cbranch_execz .LBB1045_313
; %bb.312:                              ;   in Loop: Header=BB1045_293 Depth=1
	v_add_u32_e32 v4, s12, v54
	s_waitcnt vmcnt(6)
	ds_write_b32 v4, v29
.LBB1045_313:                           ;   in Loop: Header=BB1045_293 Depth=1
	s_or_b64 exec, exec, s[4:5]
	v_add_u32_e32 v4, s7, v52
	v_cmp_gt_u32_e64 s[0:1], s8, v4
	s_and_saveexec_b64 s[4:5], s[0:1]
	s_cbranch_execz .LBB1045_315
; %bb.314:                              ;   in Loop: Header=BB1045_293 Depth=1
	v_add_u32_e32 v4, s12, v49
	s_waitcnt vmcnt(5)
	ds_write_b32 v4, v31
.LBB1045_315:                           ;   in Loop: Header=BB1045_293 Depth=1
	s_or_b64 exec, exec, s[4:5]
	v_add_u32_e32 v4, s7, v46
	v_cmp_gt_u32_e64 s[0:1], s8, v4
	s_and_saveexec_b64 s[4:5], s[0:1]
	s_cbranch_execz .LBB1045_317
; %bb.316:                              ;   in Loop: Header=BB1045_293 Depth=1
	v_add_u32_e32 v4, s12, v41
	s_waitcnt vmcnt(4)
	ds_write_b32 v4, v34
.LBB1045_317:                           ;   in Loop: Header=BB1045_293 Depth=1
	s_or_b64 exec, exec, s[4:5]
	v_add_u32_e32 v4, s7, v37
	v_cmp_gt_u32_e64 s[0:1], s8, v4
	s_and_saveexec_b64 s[4:5], s[0:1]
	s_cbranch_execz .LBB1045_319
; %bb.318:                              ;   in Loop: Header=BB1045_293 Depth=1
	v_add_u32_e32 v4, s12, v32
	s_waitcnt vmcnt(3)
	ds_write_b32 v4, v36
.LBB1045_319:                           ;   in Loop: Header=BB1045_293 Depth=1
	s_or_b64 exec, exec, s[4:5]
	v_add_u32_e32 v4, s7, v28
	v_cmp_gt_u32_e64 s[0:1], s8, v4
	s_and_saveexec_b64 s[4:5], s[0:1]
	s_cbranch_execz .LBB1045_321
; %bb.320:                              ;   in Loop: Header=BB1045_293 Depth=1
	v_add_u32_e32 v4, s12, v26
	s_waitcnt vmcnt(2)
	ds_write_b32 v4, v39
.LBB1045_321:                           ;   in Loop: Header=BB1045_293 Depth=1
	s_or_b64 exec, exec, s[4:5]
	v_add_u32_e32 v4, s7, v14
	v_cmp_gt_u32_e64 s[0:1], s8, v4
	s_and_saveexec_b64 s[4:5], s[0:1]
	s_cbranch_execz .LBB1045_323
; %bb.322:                              ;   in Loop: Header=BB1045_293 Depth=1
	v_add_u32_e32 v4, s12, v11
	s_waitcnt vmcnt(1)
	ds_write_b32 v4, v40
.LBB1045_323:                           ;   in Loop: Header=BB1045_293 Depth=1
	s_or_b64 exec, exec, s[4:5]
	v_add_u32_e32 v4, s7, v10
	v_cmp_gt_u32_e64 s[0:1], s8, v4
	s_and_saveexec_b64 s[4:5], s[0:1]
	s_cbranch_execz .LBB1045_292
; %bb.324:                              ;   in Loop: Header=BB1045_293 Depth=1
	v_add_u32_e32 v4, s12, v9
	s_waitcnt vmcnt(0)
	ds_write_b32 v4, v44
	s_branch .LBB1045_292
.LBB1045_325:
	s_add_i32 s3, s3, -1
	s_cmp_eq_u32 s2, s3
	s_cselect_b64 s[0:1], -1, 0
	s_xor_b64 s[2:3], vcc, -1
	s_and_b64 s[0:1], s[2:3], s[0:1]
	s_and_saveexec_b64 s[2:3], s[0:1]
	s_cbranch_execz .LBB1045_327
; %bb.326:
	ds_read_b32 v0, v25
	s_waitcnt lgkmcnt(0)
	v_add3_u32 v0, v18, v21, v0
	global_store_dword v25, v0, s[62:63]
.LBB1045_327:
	s_endpgm
	.section	.rodata,"a",@progbits
	.p2align	6, 0x0
	.amdhsa_kernel _ZN7rocprim17ROCPRIM_400000_NS6detail17trampoline_kernelINS0_14default_configENS1_35radix_sort_onesweep_config_selectorIiiEEZZNS1_29radix_sort_onesweep_iterationIS3_Lb1EN6thrust23THRUST_200600_302600_NS6detail15normal_iteratorINS8_10device_ptrIiEEEESD_SD_SD_jNS0_19identity_decomposerENS1_16block_id_wrapperIjLb0EEEEE10hipError_tT1_PNSt15iterator_traitsISI_E10value_typeET2_T3_PNSJ_ISO_E10value_typeET4_T5_PST_SU_PNS1_23onesweep_lookback_stateEbbT6_jjT7_P12ihipStream_tbENKUlT_T0_SI_SN_E_clIPiSD_S15_SD_EEDaS11_S12_SI_SN_EUlS11_E_NS1_11comp_targetILNS1_3genE6ELNS1_11target_archE950ELNS1_3gpuE13ELNS1_3repE0EEENS1_47radix_sort_onesweep_sort_config_static_selectorELNS0_4arch9wavefront6targetE1EEEvSI_
		.amdhsa_group_segment_fixed_size 20552
		.amdhsa_private_segment_fixed_size 80
		.amdhsa_kernarg_size 344
		.amdhsa_user_sgpr_count 2
		.amdhsa_user_sgpr_dispatch_ptr 0
		.amdhsa_user_sgpr_queue_ptr 0
		.amdhsa_user_sgpr_kernarg_segment_ptr 1
		.amdhsa_user_sgpr_dispatch_id 0
		.amdhsa_user_sgpr_kernarg_preload_length 0
		.amdhsa_user_sgpr_kernarg_preload_offset 0
		.amdhsa_user_sgpr_private_segment_size 0
		.amdhsa_uses_dynamic_stack 0
		.amdhsa_enable_private_segment 1
		.amdhsa_system_sgpr_workgroup_id_x 1
		.amdhsa_system_sgpr_workgroup_id_y 0
		.amdhsa_system_sgpr_workgroup_id_z 0
		.amdhsa_system_sgpr_workgroup_info 0
		.amdhsa_system_vgpr_workitem_id 2
		.amdhsa_next_free_vgpr 88
		.amdhsa_next_free_sgpr 70
		.amdhsa_accum_offset 88
		.amdhsa_reserve_vcc 1
		.amdhsa_float_round_mode_32 0
		.amdhsa_float_round_mode_16_64 0
		.amdhsa_float_denorm_mode_32 3
		.amdhsa_float_denorm_mode_16_64 3
		.amdhsa_dx10_clamp 1
		.amdhsa_ieee_mode 1
		.amdhsa_fp16_overflow 0
		.amdhsa_tg_split 0
		.amdhsa_exception_fp_ieee_invalid_op 0
		.amdhsa_exception_fp_denorm_src 0
		.amdhsa_exception_fp_ieee_div_zero 0
		.amdhsa_exception_fp_ieee_overflow 0
		.amdhsa_exception_fp_ieee_underflow 0
		.amdhsa_exception_fp_ieee_inexact 0
		.amdhsa_exception_int_div_zero 0
	.end_amdhsa_kernel
	.section	.text._ZN7rocprim17ROCPRIM_400000_NS6detail17trampoline_kernelINS0_14default_configENS1_35radix_sort_onesweep_config_selectorIiiEEZZNS1_29radix_sort_onesweep_iterationIS3_Lb1EN6thrust23THRUST_200600_302600_NS6detail15normal_iteratorINS8_10device_ptrIiEEEESD_SD_SD_jNS0_19identity_decomposerENS1_16block_id_wrapperIjLb0EEEEE10hipError_tT1_PNSt15iterator_traitsISI_E10value_typeET2_T3_PNSJ_ISO_E10value_typeET4_T5_PST_SU_PNS1_23onesweep_lookback_stateEbbT6_jjT7_P12ihipStream_tbENKUlT_T0_SI_SN_E_clIPiSD_S15_SD_EEDaS11_S12_SI_SN_EUlS11_E_NS1_11comp_targetILNS1_3genE6ELNS1_11target_archE950ELNS1_3gpuE13ELNS1_3repE0EEENS1_47radix_sort_onesweep_sort_config_static_selectorELNS0_4arch9wavefront6targetE1EEEvSI_,"axG",@progbits,_ZN7rocprim17ROCPRIM_400000_NS6detail17trampoline_kernelINS0_14default_configENS1_35radix_sort_onesweep_config_selectorIiiEEZZNS1_29radix_sort_onesweep_iterationIS3_Lb1EN6thrust23THRUST_200600_302600_NS6detail15normal_iteratorINS8_10device_ptrIiEEEESD_SD_SD_jNS0_19identity_decomposerENS1_16block_id_wrapperIjLb0EEEEE10hipError_tT1_PNSt15iterator_traitsISI_E10value_typeET2_T3_PNSJ_ISO_E10value_typeET4_T5_PST_SU_PNS1_23onesweep_lookback_stateEbbT6_jjT7_P12ihipStream_tbENKUlT_T0_SI_SN_E_clIPiSD_S15_SD_EEDaS11_S12_SI_SN_EUlS11_E_NS1_11comp_targetILNS1_3genE6ELNS1_11target_archE950ELNS1_3gpuE13ELNS1_3repE0EEENS1_47radix_sort_onesweep_sort_config_static_selectorELNS0_4arch9wavefront6targetE1EEEvSI_,comdat
.Lfunc_end1045:
	.size	_ZN7rocprim17ROCPRIM_400000_NS6detail17trampoline_kernelINS0_14default_configENS1_35radix_sort_onesweep_config_selectorIiiEEZZNS1_29radix_sort_onesweep_iterationIS3_Lb1EN6thrust23THRUST_200600_302600_NS6detail15normal_iteratorINS8_10device_ptrIiEEEESD_SD_SD_jNS0_19identity_decomposerENS1_16block_id_wrapperIjLb0EEEEE10hipError_tT1_PNSt15iterator_traitsISI_E10value_typeET2_T3_PNSJ_ISO_E10value_typeET4_T5_PST_SU_PNS1_23onesweep_lookback_stateEbbT6_jjT7_P12ihipStream_tbENKUlT_T0_SI_SN_E_clIPiSD_S15_SD_EEDaS11_S12_SI_SN_EUlS11_E_NS1_11comp_targetILNS1_3genE6ELNS1_11target_archE950ELNS1_3gpuE13ELNS1_3repE0EEENS1_47radix_sort_onesweep_sort_config_static_selectorELNS0_4arch9wavefront6targetE1EEEvSI_, .Lfunc_end1045-_ZN7rocprim17ROCPRIM_400000_NS6detail17trampoline_kernelINS0_14default_configENS1_35radix_sort_onesweep_config_selectorIiiEEZZNS1_29radix_sort_onesweep_iterationIS3_Lb1EN6thrust23THRUST_200600_302600_NS6detail15normal_iteratorINS8_10device_ptrIiEEEESD_SD_SD_jNS0_19identity_decomposerENS1_16block_id_wrapperIjLb0EEEEE10hipError_tT1_PNSt15iterator_traitsISI_E10value_typeET2_T3_PNSJ_ISO_E10value_typeET4_T5_PST_SU_PNS1_23onesweep_lookback_stateEbbT6_jjT7_P12ihipStream_tbENKUlT_T0_SI_SN_E_clIPiSD_S15_SD_EEDaS11_S12_SI_SN_EUlS11_E_NS1_11comp_targetILNS1_3genE6ELNS1_11target_archE950ELNS1_3gpuE13ELNS1_3repE0EEENS1_47radix_sort_onesweep_sort_config_static_selectorELNS0_4arch9wavefront6targetE1EEEvSI_
                                        ; -- End function
	.set _ZN7rocprim17ROCPRIM_400000_NS6detail17trampoline_kernelINS0_14default_configENS1_35radix_sort_onesweep_config_selectorIiiEEZZNS1_29radix_sort_onesweep_iterationIS3_Lb1EN6thrust23THRUST_200600_302600_NS6detail15normal_iteratorINS8_10device_ptrIiEEEESD_SD_SD_jNS0_19identity_decomposerENS1_16block_id_wrapperIjLb0EEEEE10hipError_tT1_PNSt15iterator_traitsISI_E10value_typeET2_T3_PNSJ_ISO_E10value_typeET4_T5_PST_SU_PNS1_23onesweep_lookback_stateEbbT6_jjT7_P12ihipStream_tbENKUlT_T0_SI_SN_E_clIPiSD_S15_SD_EEDaS11_S12_SI_SN_EUlS11_E_NS1_11comp_targetILNS1_3genE6ELNS1_11target_archE950ELNS1_3gpuE13ELNS1_3repE0EEENS1_47radix_sort_onesweep_sort_config_static_selectorELNS0_4arch9wavefront6targetE1EEEvSI_.num_vgpr, 88
	.set _ZN7rocprim17ROCPRIM_400000_NS6detail17trampoline_kernelINS0_14default_configENS1_35radix_sort_onesweep_config_selectorIiiEEZZNS1_29radix_sort_onesweep_iterationIS3_Lb1EN6thrust23THRUST_200600_302600_NS6detail15normal_iteratorINS8_10device_ptrIiEEEESD_SD_SD_jNS0_19identity_decomposerENS1_16block_id_wrapperIjLb0EEEEE10hipError_tT1_PNSt15iterator_traitsISI_E10value_typeET2_T3_PNSJ_ISO_E10value_typeET4_T5_PST_SU_PNS1_23onesweep_lookback_stateEbbT6_jjT7_P12ihipStream_tbENKUlT_T0_SI_SN_E_clIPiSD_S15_SD_EEDaS11_S12_SI_SN_EUlS11_E_NS1_11comp_targetILNS1_3genE6ELNS1_11target_archE950ELNS1_3gpuE13ELNS1_3repE0EEENS1_47radix_sort_onesweep_sort_config_static_selectorELNS0_4arch9wavefront6targetE1EEEvSI_.num_agpr, 0
	.set _ZN7rocprim17ROCPRIM_400000_NS6detail17trampoline_kernelINS0_14default_configENS1_35radix_sort_onesweep_config_selectorIiiEEZZNS1_29radix_sort_onesweep_iterationIS3_Lb1EN6thrust23THRUST_200600_302600_NS6detail15normal_iteratorINS8_10device_ptrIiEEEESD_SD_SD_jNS0_19identity_decomposerENS1_16block_id_wrapperIjLb0EEEEE10hipError_tT1_PNSt15iterator_traitsISI_E10value_typeET2_T3_PNSJ_ISO_E10value_typeET4_T5_PST_SU_PNS1_23onesweep_lookback_stateEbbT6_jjT7_P12ihipStream_tbENKUlT_T0_SI_SN_E_clIPiSD_S15_SD_EEDaS11_S12_SI_SN_EUlS11_E_NS1_11comp_targetILNS1_3genE6ELNS1_11target_archE950ELNS1_3gpuE13ELNS1_3repE0EEENS1_47radix_sort_onesweep_sort_config_static_selectorELNS0_4arch9wavefront6targetE1EEEvSI_.numbered_sgpr, 70
	.set _ZN7rocprim17ROCPRIM_400000_NS6detail17trampoline_kernelINS0_14default_configENS1_35radix_sort_onesweep_config_selectorIiiEEZZNS1_29radix_sort_onesweep_iterationIS3_Lb1EN6thrust23THRUST_200600_302600_NS6detail15normal_iteratorINS8_10device_ptrIiEEEESD_SD_SD_jNS0_19identity_decomposerENS1_16block_id_wrapperIjLb0EEEEE10hipError_tT1_PNSt15iterator_traitsISI_E10value_typeET2_T3_PNSJ_ISO_E10value_typeET4_T5_PST_SU_PNS1_23onesweep_lookback_stateEbbT6_jjT7_P12ihipStream_tbENKUlT_T0_SI_SN_E_clIPiSD_S15_SD_EEDaS11_S12_SI_SN_EUlS11_E_NS1_11comp_targetILNS1_3genE6ELNS1_11target_archE950ELNS1_3gpuE13ELNS1_3repE0EEENS1_47radix_sort_onesweep_sort_config_static_selectorELNS0_4arch9wavefront6targetE1EEEvSI_.num_named_barrier, 0
	.set _ZN7rocprim17ROCPRIM_400000_NS6detail17trampoline_kernelINS0_14default_configENS1_35radix_sort_onesweep_config_selectorIiiEEZZNS1_29radix_sort_onesweep_iterationIS3_Lb1EN6thrust23THRUST_200600_302600_NS6detail15normal_iteratorINS8_10device_ptrIiEEEESD_SD_SD_jNS0_19identity_decomposerENS1_16block_id_wrapperIjLb0EEEEE10hipError_tT1_PNSt15iterator_traitsISI_E10value_typeET2_T3_PNSJ_ISO_E10value_typeET4_T5_PST_SU_PNS1_23onesweep_lookback_stateEbbT6_jjT7_P12ihipStream_tbENKUlT_T0_SI_SN_E_clIPiSD_S15_SD_EEDaS11_S12_SI_SN_EUlS11_E_NS1_11comp_targetILNS1_3genE6ELNS1_11target_archE950ELNS1_3gpuE13ELNS1_3repE0EEENS1_47radix_sort_onesweep_sort_config_static_selectorELNS0_4arch9wavefront6targetE1EEEvSI_.private_seg_size, 80
	.set _ZN7rocprim17ROCPRIM_400000_NS6detail17trampoline_kernelINS0_14default_configENS1_35radix_sort_onesweep_config_selectorIiiEEZZNS1_29radix_sort_onesweep_iterationIS3_Lb1EN6thrust23THRUST_200600_302600_NS6detail15normal_iteratorINS8_10device_ptrIiEEEESD_SD_SD_jNS0_19identity_decomposerENS1_16block_id_wrapperIjLb0EEEEE10hipError_tT1_PNSt15iterator_traitsISI_E10value_typeET2_T3_PNSJ_ISO_E10value_typeET4_T5_PST_SU_PNS1_23onesweep_lookback_stateEbbT6_jjT7_P12ihipStream_tbENKUlT_T0_SI_SN_E_clIPiSD_S15_SD_EEDaS11_S12_SI_SN_EUlS11_E_NS1_11comp_targetILNS1_3genE6ELNS1_11target_archE950ELNS1_3gpuE13ELNS1_3repE0EEENS1_47radix_sort_onesweep_sort_config_static_selectorELNS0_4arch9wavefront6targetE1EEEvSI_.uses_vcc, 1
	.set _ZN7rocprim17ROCPRIM_400000_NS6detail17trampoline_kernelINS0_14default_configENS1_35radix_sort_onesweep_config_selectorIiiEEZZNS1_29radix_sort_onesweep_iterationIS3_Lb1EN6thrust23THRUST_200600_302600_NS6detail15normal_iteratorINS8_10device_ptrIiEEEESD_SD_SD_jNS0_19identity_decomposerENS1_16block_id_wrapperIjLb0EEEEE10hipError_tT1_PNSt15iterator_traitsISI_E10value_typeET2_T3_PNSJ_ISO_E10value_typeET4_T5_PST_SU_PNS1_23onesweep_lookback_stateEbbT6_jjT7_P12ihipStream_tbENKUlT_T0_SI_SN_E_clIPiSD_S15_SD_EEDaS11_S12_SI_SN_EUlS11_E_NS1_11comp_targetILNS1_3genE6ELNS1_11target_archE950ELNS1_3gpuE13ELNS1_3repE0EEENS1_47radix_sort_onesweep_sort_config_static_selectorELNS0_4arch9wavefront6targetE1EEEvSI_.uses_flat_scratch, 0
	.set _ZN7rocprim17ROCPRIM_400000_NS6detail17trampoline_kernelINS0_14default_configENS1_35radix_sort_onesweep_config_selectorIiiEEZZNS1_29radix_sort_onesweep_iterationIS3_Lb1EN6thrust23THRUST_200600_302600_NS6detail15normal_iteratorINS8_10device_ptrIiEEEESD_SD_SD_jNS0_19identity_decomposerENS1_16block_id_wrapperIjLb0EEEEE10hipError_tT1_PNSt15iterator_traitsISI_E10value_typeET2_T3_PNSJ_ISO_E10value_typeET4_T5_PST_SU_PNS1_23onesweep_lookback_stateEbbT6_jjT7_P12ihipStream_tbENKUlT_T0_SI_SN_E_clIPiSD_S15_SD_EEDaS11_S12_SI_SN_EUlS11_E_NS1_11comp_targetILNS1_3genE6ELNS1_11target_archE950ELNS1_3gpuE13ELNS1_3repE0EEENS1_47radix_sort_onesweep_sort_config_static_selectorELNS0_4arch9wavefront6targetE1EEEvSI_.has_dyn_sized_stack, 0
	.set _ZN7rocprim17ROCPRIM_400000_NS6detail17trampoline_kernelINS0_14default_configENS1_35radix_sort_onesweep_config_selectorIiiEEZZNS1_29radix_sort_onesweep_iterationIS3_Lb1EN6thrust23THRUST_200600_302600_NS6detail15normal_iteratorINS8_10device_ptrIiEEEESD_SD_SD_jNS0_19identity_decomposerENS1_16block_id_wrapperIjLb0EEEEE10hipError_tT1_PNSt15iterator_traitsISI_E10value_typeET2_T3_PNSJ_ISO_E10value_typeET4_T5_PST_SU_PNS1_23onesweep_lookback_stateEbbT6_jjT7_P12ihipStream_tbENKUlT_T0_SI_SN_E_clIPiSD_S15_SD_EEDaS11_S12_SI_SN_EUlS11_E_NS1_11comp_targetILNS1_3genE6ELNS1_11target_archE950ELNS1_3gpuE13ELNS1_3repE0EEENS1_47radix_sort_onesweep_sort_config_static_selectorELNS0_4arch9wavefront6targetE1EEEvSI_.has_recursion, 0
	.set _ZN7rocprim17ROCPRIM_400000_NS6detail17trampoline_kernelINS0_14default_configENS1_35radix_sort_onesweep_config_selectorIiiEEZZNS1_29radix_sort_onesweep_iterationIS3_Lb1EN6thrust23THRUST_200600_302600_NS6detail15normal_iteratorINS8_10device_ptrIiEEEESD_SD_SD_jNS0_19identity_decomposerENS1_16block_id_wrapperIjLb0EEEEE10hipError_tT1_PNSt15iterator_traitsISI_E10value_typeET2_T3_PNSJ_ISO_E10value_typeET4_T5_PST_SU_PNS1_23onesweep_lookback_stateEbbT6_jjT7_P12ihipStream_tbENKUlT_T0_SI_SN_E_clIPiSD_S15_SD_EEDaS11_S12_SI_SN_EUlS11_E_NS1_11comp_targetILNS1_3genE6ELNS1_11target_archE950ELNS1_3gpuE13ELNS1_3repE0EEENS1_47radix_sort_onesweep_sort_config_static_selectorELNS0_4arch9wavefront6targetE1EEEvSI_.has_indirect_call, 0
	.section	.AMDGPU.csdata,"",@progbits
; Kernel info:
; codeLenInByte = 22584
; TotalNumSgprs: 76
; NumVgprs: 88
; NumAgprs: 0
; TotalNumVgprs: 88
; ScratchSize: 80
; MemoryBound: 0
; FloatMode: 240
; IeeeMode: 1
; LDSByteSize: 20552 bytes/workgroup (compile time only)
; SGPRBlocks: 9
; VGPRBlocks: 10
; NumSGPRsForWavesPerEU: 76
; NumVGPRsForWavesPerEU: 88
; AccumOffset: 88
; Occupancy: 5
; WaveLimiterHint : 1
; COMPUTE_PGM_RSRC2:SCRATCH_EN: 1
; COMPUTE_PGM_RSRC2:USER_SGPR: 2
; COMPUTE_PGM_RSRC2:TRAP_HANDLER: 0
; COMPUTE_PGM_RSRC2:TGID_X_EN: 1
; COMPUTE_PGM_RSRC2:TGID_Y_EN: 0
; COMPUTE_PGM_RSRC2:TGID_Z_EN: 0
; COMPUTE_PGM_RSRC2:TIDIG_COMP_CNT: 2
; COMPUTE_PGM_RSRC3_GFX90A:ACCUM_OFFSET: 21
; COMPUTE_PGM_RSRC3_GFX90A:TG_SPLIT: 0
	.section	.text._ZN7rocprim17ROCPRIM_400000_NS6detail17trampoline_kernelINS0_14default_configENS1_35radix_sort_onesweep_config_selectorIiiEEZZNS1_29radix_sort_onesweep_iterationIS3_Lb1EN6thrust23THRUST_200600_302600_NS6detail15normal_iteratorINS8_10device_ptrIiEEEESD_SD_SD_jNS0_19identity_decomposerENS1_16block_id_wrapperIjLb0EEEEE10hipError_tT1_PNSt15iterator_traitsISI_E10value_typeET2_T3_PNSJ_ISO_E10value_typeET4_T5_PST_SU_PNS1_23onesweep_lookback_stateEbbT6_jjT7_P12ihipStream_tbENKUlT_T0_SI_SN_E_clIPiSD_S15_SD_EEDaS11_S12_SI_SN_EUlS11_E_NS1_11comp_targetILNS1_3genE5ELNS1_11target_archE942ELNS1_3gpuE9ELNS1_3repE0EEENS1_47radix_sort_onesweep_sort_config_static_selectorELNS0_4arch9wavefront6targetE1EEEvSI_,"axG",@progbits,_ZN7rocprim17ROCPRIM_400000_NS6detail17trampoline_kernelINS0_14default_configENS1_35radix_sort_onesweep_config_selectorIiiEEZZNS1_29radix_sort_onesweep_iterationIS3_Lb1EN6thrust23THRUST_200600_302600_NS6detail15normal_iteratorINS8_10device_ptrIiEEEESD_SD_SD_jNS0_19identity_decomposerENS1_16block_id_wrapperIjLb0EEEEE10hipError_tT1_PNSt15iterator_traitsISI_E10value_typeET2_T3_PNSJ_ISO_E10value_typeET4_T5_PST_SU_PNS1_23onesweep_lookback_stateEbbT6_jjT7_P12ihipStream_tbENKUlT_T0_SI_SN_E_clIPiSD_S15_SD_EEDaS11_S12_SI_SN_EUlS11_E_NS1_11comp_targetILNS1_3genE5ELNS1_11target_archE942ELNS1_3gpuE9ELNS1_3repE0EEENS1_47radix_sort_onesweep_sort_config_static_selectorELNS0_4arch9wavefront6targetE1EEEvSI_,comdat
	.protected	_ZN7rocprim17ROCPRIM_400000_NS6detail17trampoline_kernelINS0_14default_configENS1_35radix_sort_onesweep_config_selectorIiiEEZZNS1_29radix_sort_onesweep_iterationIS3_Lb1EN6thrust23THRUST_200600_302600_NS6detail15normal_iteratorINS8_10device_ptrIiEEEESD_SD_SD_jNS0_19identity_decomposerENS1_16block_id_wrapperIjLb0EEEEE10hipError_tT1_PNSt15iterator_traitsISI_E10value_typeET2_T3_PNSJ_ISO_E10value_typeET4_T5_PST_SU_PNS1_23onesweep_lookback_stateEbbT6_jjT7_P12ihipStream_tbENKUlT_T0_SI_SN_E_clIPiSD_S15_SD_EEDaS11_S12_SI_SN_EUlS11_E_NS1_11comp_targetILNS1_3genE5ELNS1_11target_archE942ELNS1_3gpuE9ELNS1_3repE0EEENS1_47radix_sort_onesweep_sort_config_static_selectorELNS0_4arch9wavefront6targetE1EEEvSI_ ; -- Begin function _ZN7rocprim17ROCPRIM_400000_NS6detail17trampoline_kernelINS0_14default_configENS1_35radix_sort_onesweep_config_selectorIiiEEZZNS1_29radix_sort_onesweep_iterationIS3_Lb1EN6thrust23THRUST_200600_302600_NS6detail15normal_iteratorINS8_10device_ptrIiEEEESD_SD_SD_jNS0_19identity_decomposerENS1_16block_id_wrapperIjLb0EEEEE10hipError_tT1_PNSt15iterator_traitsISI_E10value_typeET2_T3_PNSJ_ISO_E10value_typeET4_T5_PST_SU_PNS1_23onesweep_lookback_stateEbbT6_jjT7_P12ihipStream_tbENKUlT_T0_SI_SN_E_clIPiSD_S15_SD_EEDaS11_S12_SI_SN_EUlS11_E_NS1_11comp_targetILNS1_3genE5ELNS1_11target_archE942ELNS1_3gpuE9ELNS1_3repE0EEENS1_47radix_sort_onesweep_sort_config_static_selectorELNS0_4arch9wavefront6targetE1EEEvSI_
	.globl	_ZN7rocprim17ROCPRIM_400000_NS6detail17trampoline_kernelINS0_14default_configENS1_35radix_sort_onesweep_config_selectorIiiEEZZNS1_29radix_sort_onesweep_iterationIS3_Lb1EN6thrust23THRUST_200600_302600_NS6detail15normal_iteratorINS8_10device_ptrIiEEEESD_SD_SD_jNS0_19identity_decomposerENS1_16block_id_wrapperIjLb0EEEEE10hipError_tT1_PNSt15iterator_traitsISI_E10value_typeET2_T3_PNSJ_ISO_E10value_typeET4_T5_PST_SU_PNS1_23onesweep_lookback_stateEbbT6_jjT7_P12ihipStream_tbENKUlT_T0_SI_SN_E_clIPiSD_S15_SD_EEDaS11_S12_SI_SN_EUlS11_E_NS1_11comp_targetILNS1_3genE5ELNS1_11target_archE942ELNS1_3gpuE9ELNS1_3repE0EEENS1_47radix_sort_onesweep_sort_config_static_selectorELNS0_4arch9wavefront6targetE1EEEvSI_
	.p2align	8
	.type	_ZN7rocprim17ROCPRIM_400000_NS6detail17trampoline_kernelINS0_14default_configENS1_35radix_sort_onesweep_config_selectorIiiEEZZNS1_29radix_sort_onesweep_iterationIS3_Lb1EN6thrust23THRUST_200600_302600_NS6detail15normal_iteratorINS8_10device_ptrIiEEEESD_SD_SD_jNS0_19identity_decomposerENS1_16block_id_wrapperIjLb0EEEEE10hipError_tT1_PNSt15iterator_traitsISI_E10value_typeET2_T3_PNSJ_ISO_E10value_typeET4_T5_PST_SU_PNS1_23onesweep_lookback_stateEbbT6_jjT7_P12ihipStream_tbENKUlT_T0_SI_SN_E_clIPiSD_S15_SD_EEDaS11_S12_SI_SN_EUlS11_E_NS1_11comp_targetILNS1_3genE5ELNS1_11target_archE942ELNS1_3gpuE9ELNS1_3repE0EEENS1_47radix_sort_onesweep_sort_config_static_selectorELNS0_4arch9wavefront6targetE1EEEvSI_,@function
_ZN7rocprim17ROCPRIM_400000_NS6detail17trampoline_kernelINS0_14default_configENS1_35radix_sort_onesweep_config_selectorIiiEEZZNS1_29radix_sort_onesweep_iterationIS3_Lb1EN6thrust23THRUST_200600_302600_NS6detail15normal_iteratorINS8_10device_ptrIiEEEESD_SD_SD_jNS0_19identity_decomposerENS1_16block_id_wrapperIjLb0EEEEE10hipError_tT1_PNSt15iterator_traitsISI_E10value_typeET2_T3_PNSJ_ISO_E10value_typeET4_T5_PST_SU_PNS1_23onesweep_lookback_stateEbbT6_jjT7_P12ihipStream_tbENKUlT_T0_SI_SN_E_clIPiSD_S15_SD_EEDaS11_S12_SI_SN_EUlS11_E_NS1_11comp_targetILNS1_3genE5ELNS1_11target_archE942ELNS1_3gpuE9ELNS1_3repE0EEENS1_47radix_sort_onesweep_sort_config_static_selectorELNS0_4arch9wavefront6targetE1EEEvSI_: ; @_ZN7rocprim17ROCPRIM_400000_NS6detail17trampoline_kernelINS0_14default_configENS1_35radix_sort_onesweep_config_selectorIiiEEZZNS1_29radix_sort_onesweep_iterationIS3_Lb1EN6thrust23THRUST_200600_302600_NS6detail15normal_iteratorINS8_10device_ptrIiEEEESD_SD_SD_jNS0_19identity_decomposerENS1_16block_id_wrapperIjLb0EEEEE10hipError_tT1_PNSt15iterator_traitsISI_E10value_typeET2_T3_PNSJ_ISO_E10value_typeET4_T5_PST_SU_PNS1_23onesweep_lookback_stateEbbT6_jjT7_P12ihipStream_tbENKUlT_T0_SI_SN_E_clIPiSD_S15_SD_EEDaS11_S12_SI_SN_EUlS11_E_NS1_11comp_targetILNS1_3genE5ELNS1_11target_archE942ELNS1_3gpuE9ELNS1_3repE0EEENS1_47radix_sort_onesweep_sort_config_static_selectorELNS0_4arch9wavefront6targetE1EEEvSI_
; %bb.0:
	.section	.rodata,"a",@progbits
	.p2align	6, 0x0
	.amdhsa_kernel _ZN7rocprim17ROCPRIM_400000_NS6detail17trampoline_kernelINS0_14default_configENS1_35radix_sort_onesweep_config_selectorIiiEEZZNS1_29radix_sort_onesweep_iterationIS3_Lb1EN6thrust23THRUST_200600_302600_NS6detail15normal_iteratorINS8_10device_ptrIiEEEESD_SD_SD_jNS0_19identity_decomposerENS1_16block_id_wrapperIjLb0EEEEE10hipError_tT1_PNSt15iterator_traitsISI_E10value_typeET2_T3_PNSJ_ISO_E10value_typeET4_T5_PST_SU_PNS1_23onesweep_lookback_stateEbbT6_jjT7_P12ihipStream_tbENKUlT_T0_SI_SN_E_clIPiSD_S15_SD_EEDaS11_S12_SI_SN_EUlS11_E_NS1_11comp_targetILNS1_3genE5ELNS1_11target_archE942ELNS1_3gpuE9ELNS1_3repE0EEENS1_47radix_sort_onesweep_sort_config_static_selectorELNS0_4arch9wavefront6targetE1EEEvSI_
		.amdhsa_group_segment_fixed_size 0
		.amdhsa_private_segment_fixed_size 0
		.amdhsa_kernarg_size 88
		.amdhsa_user_sgpr_count 2
		.amdhsa_user_sgpr_dispatch_ptr 0
		.amdhsa_user_sgpr_queue_ptr 0
		.amdhsa_user_sgpr_kernarg_segment_ptr 1
		.amdhsa_user_sgpr_dispatch_id 0
		.amdhsa_user_sgpr_kernarg_preload_length 0
		.amdhsa_user_sgpr_kernarg_preload_offset 0
		.amdhsa_user_sgpr_private_segment_size 0
		.amdhsa_uses_dynamic_stack 0
		.amdhsa_enable_private_segment 0
		.amdhsa_system_sgpr_workgroup_id_x 1
		.amdhsa_system_sgpr_workgroup_id_y 0
		.amdhsa_system_sgpr_workgroup_id_z 0
		.amdhsa_system_sgpr_workgroup_info 0
		.amdhsa_system_vgpr_workitem_id 0
		.amdhsa_next_free_vgpr 1
		.amdhsa_next_free_sgpr 0
		.amdhsa_accum_offset 4
		.amdhsa_reserve_vcc 0
		.amdhsa_float_round_mode_32 0
		.amdhsa_float_round_mode_16_64 0
		.amdhsa_float_denorm_mode_32 3
		.amdhsa_float_denorm_mode_16_64 3
		.amdhsa_dx10_clamp 1
		.amdhsa_ieee_mode 1
		.amdhsa_fp16_overflow 0
		.amdhsa_tg_split 0
		.amdhsa_exception_fp_ieee_invalid_op 0
		.amdhsa_exception_fp_denorm_src 0
		.amdhsa_exception_fp_ieee_div_zero 0
		.amdhsa_exception_fp_ieee_overflow 0
		.amdhsa_exception_fp_ieee_underflow 0
		.amdhsa_exception_fp_ieee_inexact 0
		.amdhsa_exception_int_div_zero 0
	.end_amdhsa_kernel
	.section	.text._ZN7rocprim17ROCPRIM_400000_NS6detail17trampoline_kernelINS0_14default_configENS1_35radix_sort_onesweep_config_selectorIiiEEZZNS1_29radix_sort_onesweep_iterationIS3_Lb1EN6thrust23THRUST_200600_302600_NS6detail15normal_iteratorINS8_10device_ptrIiEEEESD_SD_SD_jNS0_19identity_decomposerENS1_16block_id_wrapperIjLb0EEEEE10hipError_tT1_PNSt15iterator_traitsISI_E10value_typeET2_T3_PNSJ_ISO_E10value_typeET4_T5_PST_SU_PNS1_23onesweep_lookback_stateEbbT6_jjT7_P12ihipStream_tbENKUlT_T0_SI_SN_E_clIPiSD_S15_SD_EEDaS11_S12_SI_SN_EUlS11_E_NS1_11comp_targetILNS1_3genE5ELNS1_11target_archE942ELNS1_3gpuE9ELNS1_3repE0EEENS1_47radix_sort_onesweep_sort_config_static_selectorELNS0_4arch9wavefront6targetE1EEEvSI_,"axG",@progbits,_ZN7rocprim17ROCPRIM_400000_NS6detail17trampoline_kernelINS0_14default_configENS1_35radix_sort_onesweep_config_selectorIiiEEZZNS1_29radix_sort_onesweep_iterationIS3_Lb1EN6thrust23THRUST_200600_302600_NS6detail15normal_iteratorINS8_10device_ptrIiEEEESD_SD_SD_jNS0_19identity_decomposerENS1_16block_id_wrapperIjLb0EEEEE10hipError_tT1_PNSt15iterator_traitsISI_E10value_typeET2_T3_PNSJ_ISO_E10value_typeET4_T5_PST_SU_PNS1_23onesweep_lookback_stateEbbT6_jjT7_P12ihipStream_tbENKUlT_T0_SI_SN_E_clIPiSD_S15_SD_EEDaS11_S12_SI_SN_EUlS11_E_NS1_11comp_targetILNS1_3genE5ELNS1_11target_archE942ELNS1_3gpuE9ELNS1_3repE0EEENS1_47radix_sort_onesweep_sort_config_static_selectorELNS0_4arch9wavefront6targetE1EEEvSI_,comdat
.Lfunc_end1046:
	.size	_ZN7rocprim17ROCPRIM_400000_NS6detail17trampoline_kernelINS0_14default_configENS1_35radix_sort_onesweep_config_selectorIiiEEZZNS1_29radix_sort_onesweep_iterationIS3_Lb1EN6thrust23THRUST_200600_302600_NS6detail15normal_iteratorINS8_10device_ptrIiEEEESD_SD_SD_jNS0_19identity_decomposerENS1_16block_id_wrapperIjLb0EEEEE10hipError_tT1_PNSt15iterator_traitsISI_E10value_typeET2_T3_PNSJ_ISO_E10value_typeET4_T5_PST_SU_PNS1_23onesweep_lookback_stateEbbT6_jjT7_P12ihipStream_tbENKUlT_T0_SI_SN_E_clIPiSD_S15_SD_EEDaS11_S12_SI_SN_EUlS11_E_NS1_11comp_targetILNS1_3genE5ELNS1_11target_archE942ELNS1_3gpuE9ELNS1_3repE0EEENS1_47radix_sort_onesweep_sort_config_static_selectorELNS0_4arch9wavefront6targetE1EEEvSI_, .Lfunc_end1046-_ZN7rocprim17ROCPRIM_400000_NS6detail17trampoline_kernelINS0_14default_configENS1_35radix_sort_onesweep_config_selectorIiiEEZZNS1_29radix_sort_onesweep_iterationIS3_Lb1EN6thrust23THRUST_200600_302600_NS6detail15normal_iteratorINS8_10device_ptrIiEEEESD_SD_SD_jNS0_19identity_decomposerENS1_16block_id_wrapperIjLb0EEEEE10hipError_tT1_PNSt15iterator_traitsISI_E10value_typeET2_T3_PNSJ_ISO_E10value_typeET4_T5_PST_SU_PNS1_23onesweep_lookback_stateEbbT6_jjT7_P12ihipStream_tbENKUlT_T0_SI_SN_E_clIPiSD_S15_SD_EEDaS11_S12_SI_SN_EUlS11_E_NS1_11comp_targetILNS1_3genE5ELNS1_11target_archE942ELNS1_3gpuE9ELNS1_3repE0EEENS1_47radix_sort_onesweep_sort_config_static_selectorELNS0_4arch9wavefront6targetE1EEEvSI_
                                        ; -- End function
	.set _ZN7rocprim17ROCPRIM_400000_NS6detail17trampoline_kernelINS0_14default_configENS1_35radix_sort_onesweep_config_selectorIiiEEZZNS1_29radix_sort_onesweep_iterationIS3_Lb1EN6thrust23THRUST_200600_302600_NS6detail15normal_iteratorINS8_10device_ptrIiEEEESD_SD_SD_jNS0_19identity_decomposerENS1_16block_id_wrapperIjLb0EEEEE10hipError_tT1_PNSt15iterator_traitsISI_E10value_typeET2_T3_PNSJ_ISO_E10value_typeET4_T5_PST_SU_PNS1_23onesweep_lookback_stateEbbT6_jjT7_P12ihipStream_tbENKUlT_T0_SI_SN_E_clIPiSD_S15_SD_EEDaS11_S12_SI_SN_EUlS11_E_NS1_11comp_targetILNS1_3genE5ELNS1_11target_archE942ELNS1_3gpuE9ELNS1_3repE0EEENS1_47radix_sort_onesweep_sort_config_static_selectorELNS0_4arch9wavefront6targetE1EEEvSI_.num_vgpr, 0
	.set _ZN7rocprim17ROCPRIM_400000_NS6detail17trampoline_kernelINS0_14default_configENS1_35radix_sort_onesweep_config_selectorIiiEEZZNS1_29radix_sort_onesweep_iterationIS3_Lb1EN6thrust23THRUST_200600_302600_NS6detail15normal_iteratorINS8_10device_ptrIiEEEESD_SD_SD_jNS0_19identity_decomposerENS1_16block_id_wrapperIjLb0EEEEE10hipError_tT1_PNSt15iterator_traitsISI_E10value_typeET2_T3_PNSJ_ISO_E10value_typeET4_T5_PST_SU_PNS1_23onesweep_lookback_stateEbbT6_jjT7_P12ihipStream_tbENKUlT_T0_SI_SN_E_clIPiSD_S15_SD_EEDaS11_S12_SI_SN_EUlS11_E_NS1_11comp_targetILNS1_3genE5ELNS1_11target_archE942ELNS1_3gpuE9ELNS1_3repE0EEENS1_47radix_sort_onesweep_sort_config_static_selectorELNS0_4arch9wavefront6targetE1EEEvSI_.num_agpr, 0
	.set _ZN7rocprim17ROCPRIM_400000_NS6detail17trampoline_kernelINS0_14default_configENS1_35radix_sort_onesweep_config_selectorIiiEEZZNS1_29radix_sort_onesweep_iterationIS3_Lb1EN6thrust23THRUST_200600_302600_NS6detail15normal_iteratorINS8_10device_ptrIiEEEESD_SD_SD_jNS0_19identity_decomposerENS1_16block_id_wrapperIjLb0EEEEE10hipError_tT1_PNSt15iterator_traitsISI_E10value_typeET2_T3_PNSJ_ISO_E10value_typeET4_T5_PST_SU_PNS1_23onesweep_lookback_stateEbbT6_jjT7_P12ihipStream_tbENKUlT_T0_SI_SN_E_clIPiSD_S15_SD_EEDaS11_S12_SI_SN_EUlS11_E_NS1_11comp_targetILNS1_3genE5ELNS1_11target_archE942ELNS1_3gpuE9ELNS1_3repE0EEENS1_47radix_sort_onesweep_sort_config_static_selectorELNS0_4arch9wavefront6targetE1EEEvSI_.numbered_sgpr, 0
	.set _ZN7rocprim17ROCPRIM_400000_NS6detail17trampoline_kernelINS0_14default_configENS1_35radix_sort_onesweep_config_selectorIiiEEZZNS1_29radix_sort_onesweep_iterationIS3_Lb1EN6thrust23THRUST_200600_302600_NS6detail15normal_iteratorINS8_10device_ptrIiEEEESD_SD_SD_jNS0_19identity_decomposerENS1_16block_id_wrapperIjLb0EEEEE10hipError_tT1_PNSt15iterator_traitsISI_E10value_typeET2_T3_PNSJ_ISO_E10value_typeET4_T5_PST_SU_PNS1_23onesweep_lookback_stateEbbT6_jjT7_P12ihipStream_tbENKUlT_T0_SI_SN_E_clIPiSD_S15_SD_EEDaS11_S12_SI_SN_EUlS11_E_NS1_11comp_targetILNS1_3genE5ELNS1_11target_archE942ELNS1_3gpuE9ELNS1_3repE0EEENS1_47radix_sort_onesweep_sort_config_static_selectorELNS0_4arch9wavefront6targetE1EEEvSI_.num_named_barrier, 0
	.set _ZN7rocprim17ROCPRIM_400000_NS6detail17trampoline_kernelINS0_14default_configENS1_35radix_sort_onesweep_config_selectorIiiEEZZNS1_29radix_sort_onesweep_iterationIS3_Lb1EN6thrust23THRUST_200600_302600_NS6detail15normal_iteratorINS8_10device_ptrIiEEEESD_SD_SD_jNS0_19identity_decomposerENS1_16block_id_wrapperIjLb0EEEEE10hipError_tT1_PNSt15iterator_traitsISI_E10value_typeET2_T3_PNSJ_ISO_E10value_typeET4_T5_PST_SU_PNS1_23onesweep_lookback_stateEbbT6_jjT7_P12ihipStream_tbENKUlT_T0_SI_SN_E_clIPiSD_S15_SD_EEDaS11_S12_SI_SN_EUlS11_E_NS1_11comp_targetILNS1_3genE5ELNS1_11target_archE942ELNS1_3gpuE9ELNS1_3repE0EEENS1_47radix_sort_onesweep_sort_config_static_selectorELNS0_4arch9wavefront6targetE1EEEvSI_.private_seg_size, 0
	.set _ZN7rocprim17ROCPRIM_400000_NS6detail17trampoline_kernelINS0_14default_configENS1_35radix_sort_onesweep_config_selectorIiiEEZZNS1_29radix_sort_onesweep_iterationIS3_Lb1EN6thrust23THRUST_200600_302600_NS6detail15normal_iteratorINS8_10device_ptrIiEEEESD_SD_SD_jNS0_19identity_decomposerENS1_16block_id_wrapperIjLb0EEEEE10hipError_tT1_PNSt15iterator_traitsISI_E10value_typeET2_T3_PNSJ_ISO_E10value_typeET4_T5_PST_SU_PNS1_23onesweep_lookback_stateEbbT6_jjT7_P12ihipStream_tbENKUlT_T0_SI_SN_E_clIPiSD_S15_SD_EEDaS11_S12_SI_SN_EUlS11_E_NS1_11comp_targetILNS1_3genE5ELNS1_11target_archE942ELNS1_3gpuE9ELNS1_3repE0EEENS1_47radix_sort_onesweep_sort_config_static_selectorELNS0_4arch9wavefront6targetE1EEEvSI_.uses_vcc, 0
	.set _ZN7rocprim17ROCPRIM_400000_NS6detail17trampoline_kernelINS0_14default_configENS1_35radix_sort_onesweep_config_selectorIiiEEZZNS1_29radix_sort_onesweep_iterationIS3_Lb1EN6thrust23THRUST_200600_302600_NS6detail15normal_iteratorINS8_10device_ptrIiEEEESD_SD_SD_jNS0_19identity_decomposerENS1_16block_id_wrapperIjLb0EEEEE10hipError_tT1_PNSt15iterator_traitsISI_E10value_typeET2_T3_PNSJ_ISO_E10value_typeET4_T5_PST_SU_PNS1_23onesweep_lookback_stateEbbT6_jjT7_P12ihipStream_tbENKUlT_T0_SI_SN_E_clIPiSD_S15_SD_EEDaS11_S12_SI_SN_EUlS11_E_NS1_11comp_targetILNS1_3genE5ELNS1_11target_archE942ELNS1_3gpuE9ELNS1_3repE0EEENS1_47radix_sort_onesweep_sort_config_static_selectorELNS0_4arch9wavefront6targetE1EEEvSI_.uses_flat_scratch, 0
	.set _ZN7rocprim17ROCPRIM_400000_NS6detail17trampoline_kernelINS0_14default_configENS1_35radix_sort_onesweep_config_selectorIiiEEZZNS1_29radix_sort_onesweep_iterationIS3_Lb1EN6thrust23THRUST_200600_302600_NS6detail15normal_iteratorINS8_10device_ptrIiEEEESD_SD_SD_jNS0_19identity_decomposerENS1_16block_id_wrapperIjLb0EEEEE10hipError_tT1_PNSt15iterator_traitsISI_E10value_typeET2_T3_PNSJ_ISO_E10value_typeET4_T5_PST_SU_PNS1_23onesweep_lookback_stateEbbT6_jjT7_P12ihipStream_tbENKUlT_T0_SI_SN_E_clIPiSD_S15_SD_EEDaS11_S12_SI_SN_EUlS11_E_NS1_11comp_targetILNS1_3genE5ELNS1_11target_archE942ELNS1_3gpuE9ELNS1_3repE0EEENS1_47radix_sort_onesweep_sort_config_static_selectorELNS0_4arch9wavefront6targetE1EEEvSI_.has_dyn_sized_stack, 0
	.set _ZN7rocprim17ROCPRIM_400000_NS6detail17trampoline_kernelINS0_14default_configENS1_35radix_sort_onesweep_config_selectorIiiEEZZNS1_29radix_sort_onesweep_iterationIS3_Lb1EN6thrust23THRUST_200600_302600_NS6detail15normal_iteratorINS8_10device_ptrIiEEEESD_SD_SD_jNS0_19identity_decomposerENS1_16block_id_wrapperIjLb0EEEEE10hipError_tT1_PNSt15iterator_traitsISI_E10value_typeET2_T3_PNSJ_ISO_E10value_typeET4_T5_PST_SU_PNS1_23onesweep_lookback_stateEbbT6_jjT7_P12ihipStream_tbENKUlT_T0_SI_SN_E_clIPiSD_S15_SD_EEDaS11_S12_SI_SN_EUlS11_E_NS1_11comp_targetILNS1_3genE5ELNS1_11target_archE942ELNS1_3gpuE9ELNS1_3repE0EEENS1_47radix_sort_onesweep_sort_config_static_selectorELNS0_4arch9wavefront6targetE1EEEvSI_.has_recursion, 0
	.set _ZN7rocprim17ROCPRIM_400000_NS6detail17trampoline_kernelINS0_14default_configENS1_35radix_sort_onesweep_config_selectorIiiEEZZNS1_29radix_sort_onesweep_iterationIS3_Lb1EN6thrust23THRUST_200600_302600_NS6detail15normal_iteratorINS8_10device_ptrIiEEEESD_SD_SD_jNS0_19identity_decomposerENS1_16block_id_wrapperIjLb0EEEEE10hipError_tT1_PNSt15iterator_traitsISI_E10value_typeET2_T3_PNSJ_ISO_E10value_typeET4_T5_PST_SU_PNS1_23onesweep_lookback_stateEbbT6_jjT7_P12ihipStream_tbENKUlT_T0_SI_SN_E_clIPiSD_S15_SD_EEDaS11_S12_SI_SN_EUlS11_E_NS1_11comp_targetILNS1_3genE5ELNS1_11target_archE942ELNS1_3gpuE9ELNS1_3repE0EEENS1_47radix_sort_onesweep_sort_config_static_selectorELNS0_4arch9wavefront6targetE1EEEvSI_.has_indirect_call, 0
	.section	.AMDGPU.csdata,"",@progbits
; Kernel info:
; codeLenInByte = 0
; TotalNumSgprs: 6
; NumVgprs: 0
; NumAgprs: 0
; TotalNumVgprs: 0
; ScratchSize: 0
; MemoryBound: 0
; FloatMode: 240
; IeeeMode: 1
; LDSByteSize: 0 bytes/workgroup (compile time only)
; SGPRBlocks: 0
; VGPRBlocks: 0
; NumSGPRsForWavesPerEU: 6
; NumVGPRsForWavesPerEU: 1
; AccumOffset: 4
; Occupancy: 8
; WaveLimiterHint : 0
; COMPUTE_PGM_RSRC2:SCRATCH_EN: 0
; COMPUTE_PGM_RSRC2:USER_SGPR: 2
; COMPUTE_PGM_RSRC2:TRAP_HANDLER: 0
; COMPUTE_PGM_RSRC2:TGID_X_EN: 1
; COMPUTE_PGM_RSRC2:TGID_Y_EN: 0
; COMPUTE_PGM_RSRC2:TGID_Z_EN: 0
; COMPUTE_PGM_RSRC2:TIDIG_COMP_CNT: 0
; COMPUTE_PGM_RSRC3_GFX90A:ACCUM_OFFSET: 0
; COMPUTE_PGM_RSRC3_GFX90A:TG_SPLIT: 0
	.section	.text._ZN7rocprim17ROCPRIM_400000_NS6detail17trampoline_kernelINS0_14default_configENS1_35radix_sort_onesweep_config_selectorIiiEEZZNS1_29radix_sort_onesweep_iterationIS3_Lb1EN6thrust23THRUST_200600_302600_NS6detail15normal_iteratorINS8_10device_ptrIiEEEESD_SD_SD_jNS0_19identity_decomposerENS1_16block_id_wrapperIjLb0EEEEE10hipError_tT1_PNSt15iterator_traitsISI_E10value_typeET2_T3_PNSJ_ISO_E10value_typeET4_T5_PST_SU_PNS1_23onesweep_lookback_stateEbbT6_jjT7_P12ihipStream_tbENKUlT_T0_SI_SN_E_clIPiSD_S15_SD_EEDaS11_S12_SI_SN_EUlS11_E_NS1_11comp_targetILNS1_3genE2ELNS1_11target_archE906ELNS1_3gpuE6ELNS1_3repE0EEENS1_47radix_sort_onesweep_sort_config_static_selectorELNS0_4arch9wavefront6targetE1EEEvSI_,"axG",@progbits,_ZN7rocprim17ROCPRIM_400000_NS6detail17trampoline_kernelINS0_14default_configENS1_35radix_sort_onesweep_config_selectorIiiEEZZNS1_29radix_sort_onesweep_iterationIS3_Lb1EN6thrust23THRUST_200600_302600_NS6detail15normal_iteratorINS8_10device_ptrIiEEEESD_SD_SD_jNS0_19identity_decomposerENS1_16block_id_wrapperIjLb0EEEEE10hipError_tT1_PNSt15iterator_traitsISI_E10value_typeET2_T3_PNSJ_ISO_E10value_typeET4_T5_PST_SU_PNS1_23onesweep_lookback_stateEbbT6_jjT7_P12ihipStream_tbENKUlT_T0_SI_SN_E_clIPiSD_S15_SD_EEDaS11_S12_SI_SN_EUlS11_E_NS1_11comp_targetILNS1_3genE2ELNS1_11target_archE906ELNS1_3gpuE6ELNS1_3repE0EEENS1_47radix_sort_onesweep_sort_config_static_selectorELNS0_4arch9wavefront6targetE1EEEvSI_,comdat
	.protected	_ZN7rocprim17ROCPRIM_400000_NS6detail17trampoline_kernelINS0_14default_configENS1_35radix_sort_onesweep_config_selectorIiiEEZZNS1_29radix_sort_onesweep_iterationIS3_Lb1EN6thrust23THRUST_200600_302600_NS6detail15normal_iteratorINS8_10device_ptrIiEEEESD_SD_SD_jNS0_19identity_decomposerENS1_16block_id_wrapperIjLb0EEEEE10hipError_tT1_PNSt15iterator_traitsISI_E10value_typeET2_T3_PNSJ_ISO_E10value_typeET4_T5_PST_SU_PNS1_23onesweep_lookback_stateEbbT6_jjT7_P12ihipStream_tbENKUlT_T0_SI_SN_E_clIPiSD_S15_SD_EEDaS11_S12_SI_SN_EUlS11_E_NS1_11comp_targetILNS1_3genE2ELNS1_11target_archE906ELNS1_3gpuE6ELNS1_3repE0EEENS1_47radix_sort_onesweep_sort_config_static_selectorELNS0_4arch9wavefront6targetE1EEEvSI_ ; -- Begin function _ZN7rocprim17ROCPRIM_400000_NS6detail17trampoline_kernelINS0_14default_configENS1_35radix_sort_onesweep_config_selectorIiiEEZZNS1_29radix_sort_onesweep_iterationIS3_Lb1EN6thrust23THRUST_200600_302600_NS6detail15normal_iteratorINS8_10device_ptrIiEEEESD_SD_SD_jNS0_19identity_decomposerENS1_16block_id_wrapperIjLb0EEEEE10hipError_tT1_PNSt15iterator_traitsISI_E10value_typeET2_T3_PNSJ_ISO_E10value_typeET4_T5_PST_SU_PNS1_23onesweep_lookback_stateEbbT6_jjT7_P12ihipStream_tbENKUlT_T0_SI_SN_E_clIPiSD_S15_SD_EEDaS11_S12_SI_SN_EUlS11_E_NS1_11comp_targetILNS1_3genE2ELNS1_11target_archE906ELNS1_3gpuE6ELNS1_3repE0EEENS1_47radix_sort_onesweep_sort_config_static_selectorELNS0_4arch9wavefront6targetE1EEEvSI_
	.globl	_ZN7rocprim17ROCPRIM_400000_NS6detail17trampoline_kernelINS0_14default_configENS1_35radix_sort_onesweep_config_selectorIiiEEZZNS1_29radix_sort_onesweep_iterationIS3_Lb1EN6thrust23THRUST_200600_302600_NS6detail15normal_iteratorINS8_10device_ptrIiEEEESD_SD_SD_jNS0_19identity_decomposerENS1_16block_id_wrapperIjLb0EEEEE10hipError_tT1_PNSt15iterator_traitsISI_E10value_typeET2_T3_PNSJ_ISO_E10value_typeET4_T5_PST_SU_PNS1_23onesweep_lookback_stateEbbT6_jjT7_P12ihipStream_tbENKUlT_T0_SI_SN_E_clIPiSD_S15_SD_EEDaS11_S12_SI_SN_EUlS11_E_NS1_11comp_targetILNS1_3genE2ELNS1_11target_archE906ELNS1_3gpuE6ELNS1_3repE0EEENS1_47radix_sort_onesweep_sort_config_static_selectorELNS0_4arch9wavefront6targetE1EEEvSI_
	.p2align	8
	.type	_ZN7rocprim17ROCPRIM_400000_NS6detail17trampoline_kernelINS0_14default_configENS1_35radix_sort_onesweep_config_selectorIiiEEZZNS1_29radix_sort_onesweep_iterationIS3_Lb1EN6thrust23THRUST_200600_302600_NS6detail15normal_iteratorINS8_10device_ptrIiEEEESD_SD_SD_jNS0_19identity_decomposerENS1_16block_id_wrapperIjLb0EEEEE10hipError_tT1_PNSt15iterator_traitsISI_E10value_typeET2_T3_PNSJ_ISO_E10value_typeET4_T5_PST_SU_PNS1_23onesweep_lookback_stateEbbT6_jjT7_P12ihipStream_tbENKUlT_T0_SI_SN_E_clIPiSD_S15_SD_EEDaS11_S12_SI_SN_EUlS11_E_NS1_11comp_targetILNS1_3genE2ELNS1_11target_archE906ELNS1_3gpuE6ELNS1_3repE0EEENS1_47radix_sort_onesweep_sort_config_static_selectorELNS0_4arch9wavefront6targetE1EEEvSI_,@function
_ZN7rocprim17ROCPRIM_400000_NS6detail17trampoline_kernelINS0_14default_configENS1_35radix_sort_onesweep_config_selectorIiiEEZZNS1_29radix_sort_onesweep_iterationIS3_Lb1EN6thrust23THRUST_200600_302600_NS6detail15normal_iteratorINS8_10device_ptrIiEEEESD_SD_SD_jNS0_19identity_decomposerENS1_16block_id_wrapperIjLb0EEEEE10hipError_tT1_PNSt15iterator_traitsISI_E10value_typeET2_T3_PNSJ_ISO_E10value_typeET4_T5_PST_SU_PNS1_23onesweep_lookback_stateEbbT6_jjT7_P12ihipStream_tbENKUlT_T0_SI_SN_E_clIPiSD_S15_SD_EEDaS11_S12_SI_SN_EUlS11_E_NS1_11comp_targetILNS1_3genE2ELNS1_11target_archE906ELNS1_3gpuE6ELNS1_3repE0EEENS1_47radix_sort_onesweep_sort_config_static_selectorELNS0_4arch9wavefront6targetE1EEEvSI_: ; @_ZN7rocprim17ROCPRIM_400000_NS6detail17trampoline_kernelINS0_14default_configENS1_35radix_sort_onesweep_config_selectorIiiEEZZNS1_29radix_sort_onesweep_iterationIS3_Lb1EN6thrust23THRUST_200600_302600_NS6detail15normal_iteratorINS8_10device_ptrIiEEEESD_SD_SD_jNS0_19identity_decomposerENS1_16block_id_wrapperIjLb0EEEEE10hipError_tT1_PNSt15iterator_traitsISI_E10value_typeET2_T3_PNSJ_ISO_E10value_typeET4_T5_PST_SU_PNS1_23onesweep_lookback_stateEbbT6_jjT7_P12ihipStream_tbENKUlT_T0_SI_SN_E_clIPiSD_S15_SD_EEDaS11_S12_SI_SN_EUlS11_E_NS1_11comp_targetILNS1_3genE2ELNS1_11target_archE906ELNS1_3gpuE6ELNS1_3repE0EEENS1_47radix_sort_onesweep_sort_config_static_selectorELNS0_4arch9wavefront6targetE1EEEvSI_
; %bb.0:
	.section	.rodata,"a",@progbits
	.p2align	6, 0x0
	.amdhsa_kernel _ZN7rocprim17ROCPRIM_400000_NS6detail17trampoline_kernelINS0_14default_configENS1_35radix_sort_onesweep_config_selectorIiiEEZZNS1_29radix_sort_onesweep_iterationIS3_Lb1EN6thrust23THRUST_200600_302600_NS6detail15normal_iteratorINS8_10device_ptrIiEEEESD_SD_SD_jNS0_19identity_decomposerENS1_16block_id_wrapperIjLb0EEEEE10hipError_tT1_PNSt15iterator_traitsISI_E10value_typeET2_T3_PNSJ_ISO_E10value_typeET4_T5_PST_SU_PNS1_23onesweep_lookback_stateEbbT6_jjT7_P12ihipStream_tbENKUlT_T0_SI_SN_E_clIPiSD_S15_SD_EEDaS11_S12_SI_SN_EUlS11_E_NS1_11comp_targetILNS1_3genE2ELNS1_11target_archE906ELNS1_3gpuE6ELNS1_3repE0EEENS1_47radix_sort_onesweep_sort_config_static_selectorELNS0_4arch9wavefront6targetE1EEEvSI_
		.amdhsa_group_segment_fixed_size 0
		.amdhsa_private_segment_fixed_size 0
		.amdhsa_kernarg_size 88
		.amdhsa_user_sgpr_count 2
		.amdhsa_user_sgpr_dispatch_ptr 0
		.amdhsa_user_sgpr_queue_ptr 0
		.amdhsa_user_sgpr_kernarg_segment_ptr 1
		.amdhsa_user_sgpr_dispatch_id 0
		.amdhsa_user_sgpr_kernarg_preload_length 0
		.amdhsa_user_sgpr_kernarg_preload_offset 0
		.amdhsa_user_sgpr_private_segment_size 0
		.amdhsa_uses_dynamic_stack 0
		.amdhsa_enable_private_segment 0
		.amdhsa_system_sgpr_workgroup_id_x 1
		.amdhsa_system_sgpr_workgroup_id_y 0
		.amdhsa_system_sgpr_workgroup_id_z 0
		.amdhsa_system_sgpr_workgroup_info 0
		.amdhsa_system_vgpr_workitem_id 0
		.amdhsa_next_free_vgpr 1
		.amdhsa_next_free_sgpr 0
		.amdhsa_accum_offset 4
		.amdhsa_reserve_vcc 0
		.amdhsa_float_round_mode_32 0
		.amdhsa_float_round_mode_16_64 0
		.amdhsa_float_denorm_mode_32 3
		.amdhsa_float_denorm_mode_16_64 3
		.amdhsa_dx10_clamp 1
		.amdhsa_ieee_mode 1
		.amdhsa_fp16_overflow 0
		.amdhsa_tg_split 0
		.amdhsa_exception_fp_ieee_invalid_op 0
		.amdhsa_exception_fp_denorm_src 0
		.amdhsa_exception_fp_ieee_div_zero 0
		.amdhsa_exception_fp_ieee_overflow 0
		.amdhsa_exception_fp_ieee_underflow 0
		.amdhsa_exception_fp_ieee_inexact 0
		.amdhsa_exception_int_div_zero 0
	.end_amdhsa_kernel
	.section	.text._ZN7rocprim17ROCPRIM_400000_NS6detail17trampoline_kernelINS0_14default_configENS1_35radix_sort_onesweep_config_selectorIiiEEZZNS1_29radix_sort_onesweep_iterationIS3_Lb1EN6thrust23THRUST_200600_302600_NS6detail15normal_iteratorINS8_10device_ptrIiEEEESD_SD_SD_jNS0_19identity_decomposerENS1_16block_id_wrapperIjLb0EEEEE10hipError_tT1_PNSt15iterator_traitsISI_E10value_typeET2_T3_PNSJ_ISO_E10value_typeET4_T5_PST_SU_PNS1_23onesweep_lookback_stateEbbT6_jjT7_P12ihipStream_tbENKUlT_T0_SI_SN_E_clIPiSD_S15_SD_EEDaS11_S12_SI_SN_EUlS11_E_NS1_11comp_targetILNS1_3genE2ELNS1_11target_archE906ELNS1_3gpuE6ELNS1_3repE0EEENS1_47radix_sort_onesweep_sort_config_static_selectorELNS0_4arch9wavefront6targetE1EEEvSI_,"axG",@progbits,_ZN7rocprim17ROCPRIM_400000_NS6detail17trampoline_kernelINS0_14default_configENS1_35radix_sort_onesweep_config_selectorIiiEEZZNS1_29radix_sort_onesweep_iterationIS3_Lb1EN6thrust23THRUST_200600_302600_NS6detail15normal_iteratorINS8_10device_ptrIiEEEESD_SD_SD_jNS0_19identity_decomposerENS1_16block_id_wrapperIjLb0EEEEE10hipError_tT1_PNSt15iterator_traitsISI_E10value_typeET2_T3_PNSJ_ISO_E10value_typeET4_T5_PST_SU_PNS1_23onesweep_lookback_stateEbbT6_jjT7_P12ihipStream_tbENKUlT_T0_SI_SN_E_clIPiSD_S15_SD_EEDaS11_S12_SI_SN_EUlS11_E_NS1_11comp_targetILNS1_3genE2ELNS1_11target_archE906ELNS1_3gpuE6ELNS1_3repE0EEENS1_47radix_sort_onesweep_sort_config_static_selectorELNS0_4arch9wavefront6targetE1EEEvSI_,comdat
.Lfunc_end1047:
	.size	_ZN7rocprim17ROCPRIM_400000_NS6detail17trampoline_kernelINS0_14default_configENS1_35radix_sort_onesweep_config_selectorIiiEEZZNS1_29radix_sort_onesweep_iterationIS3_Lb1EN6thrust23THRUST_200600_302600_NS6detail15normal_iteratorINS8_10device_ptrIiEEEESD_SD_SD_jNS0_19identity_decomposerENS1_16block_id_wrapperIjLb0EEEEE10hipError_tT1_PNSt15iterator_traitsISI_E10value_typeET2_T3_PNSJ_ISO_E10value_typeET4_T5_PST_SU_PNS1_23onesweep_lookback_stateEbbT6_jjT7_P12ihipStream_tbENKUlT_T0_SI_SN_E_clIPiSD_S15_SD_EEDaS11_S12_SI_SN_EUlS11_E_NS1_11comp_targetILNS1_3genE2ELNS1_11target_archE906ELNS1_3gpuE6ELNS1_3repE0EEENS1_47radix_sort_onesweep_sort_config_static_selectorELNS0_4arch9wavefront6targetE1EEEvSI_, .Lfunc_end1047-_ZN7rocprim17ROCPRIM_400000_NS6detail17trampoline_kernelINS0_14default_configENS1_35radix_sort_onesweep_config_selectorIiiEEZZNS1_29radix_sort_onesweep_iterationIS3_Lb1EN6thrust23THRUST_200600_302600_NS6detail15normal_iteratorINS8_10device_ptrIiEEEESD_SD_SD_jNS0_19identity_decomposerENS1_16block_id_wrapperIjLb0EEEEE10hipError_tT1_PNSt15iterator_traitsISI_E10value_typeET2_T3_PNSJ_ISO_E10value_typeET4_T5_PST_SU_PNS1_23onesweep_lookback_stateEbbT6_jjT7_P12ihipStream_tbENKUlT_T0_SI_SN_E_clIPiSD_S15_SD_EEDaS11_S12_SI_SN_EUlS11_E_NS1_11comp_targetILNS1_3genE2ELNS1_11target_archE906ELNS1_3gpuE6ELNS1_3repE0EEENS1_47radix_sort_onesweep_sort_config_static_selectorELNS0_4arch9wavefront6targetE1EEEvSI_
                                        ; -- End function
	.set _ZN7rocprim17ROCPRIM_400000_NS6detail17trampoline_kernelINS0_14default_configENS1_35radix_sort_onesweep_config_selectorIiiEEZZNS1_29radix_sort_onesweep_iterationIS3_Lb1EN6thrust23THRUST_200600_302600_NS6detail15normal_iteratorINS8_10device_ptrIiEEEESD_SD_SD_jNS0_19identity_decomposerENS1_16block_id_wrapperIjLb0EEEEE10hipError_tT1_PNSt15iterator_traitsISI_E10value_typeET2_T3_PNSJ_ISO_E10value_typeET4_T5_PST_SU_PNS1_23onesweep_lookback_stateEbbT6_jjT7_P12ihipStream_tbENKUlT_T0_SI_SN_E_clIPiSD_S15_SD_EEDaS11_S12_SI_SN_EUlS11_E_NS1_11comp_targetILNS1_3genE2ELNS1_11target_archE906ELNS1_3gpuE6ELNS1_3repE0EEENS1_47radix_sort_onesweep_sort_config_static_selectorELNS0_4arch9wavefront6targetE1EEEvSI_.num_vgpr, 0
	.set _ZN7rocprim17ROCPRIM_400000_NS6detail17trampoline_kernelINS0_14default_configENS1_35radix_sort_onesweep_config_selectorIiiEEZZNS1_29radix_sort_onesweep_iterationIS3_Lb1EN6thrust23THRUST_200600_302600_NS6detail15normal_iteratorINS8_10device_ptrIiEEEESD_SD_SD_jNS0_19identity_decomposerENS1_16block_id_wrapperIjLb0EEEEE10hipError_tT1_PNSt15iterator_traitsISI_E10value_typeET2_T3_PNSJ_ISO_E10value_typeET4_T5_PST_SU_PNS1_23onesweep_lookback_stateEbbT6_jjT7_P12ihipStream_tbENKUlT_T0_SI_SN_E_clIPiSD_S15_SD_EEDaS11_S12_SI_SN_EUlS11_E_NS1_11comp_targetILNS1_3genE2ELNS1_11target_archE906ELNS1_3gpuE6ELNS1_3repE0EEENS1_47radix_sort_onesweep_sort_config_static_selectorELNS0_4arch9wavefront6targetE1EEEvSI_.num_agpr, 0
	.set _ZN7rocprim17ROCPRIM_400000_NS6detail17trampoline_kernelINS0_14default_configENS1_35radix_sort_onesweep_config_selectorIiiEEZZNS1_29radix_sort_onesweep_iterationIS3_Lb1EN6thrust23THRUST_200600_302600_NS6detail15normal_iteratorINS8_10device_ptrIiEEEESD_SD_SD_jNS0_19identity_decomposerENS1_16block_id_wrapperIjLb0EEEEE10hipError_tT1_PNSt15iterator_traitsISI_E10value_typeET2_T3_PNSJ_ISO_E10value_typeET4_T5_PST_SU_PNS1_23onesweep_lookback_stateEbbT6_jjT7_P12ihipStream_tbENKUlT_T0_SI_SN_E_clIPiSD_S15_SD_EEDaS11_S12_SI_SN_EUlS11_E_NS1_11comp_targetILNS1_3genE2ELNS1_11target_archE906ELNS1_3gpuE6ELNS1_3repE0EEENS1_47radix_sort_onesweep_sort_config_static_selectorELNS0_4arch9wavefront6targetE1EEEvSI_.numbered_sgpr, 0
	.set _ZN7rocprim17ROCPRIM_400000_NS6detail17trampoline_kernelINS0_14default_configENS1_35radix_sort_onesweep_config_selectorIiiEEZZNS1_29radix_sort_onesweep_iterationIS3_Lb1EN6thrust23THRUST_200600_302600_NS6detail15normal_iteratorINS8_10device_ptrIiEEEESD_SD_SD_jNS0_19identity_decomposerENS1_16block_id_wrapperIjLb0EEEEE10hipError_tT1_PNSt15iterator_traitsISI_E10value_typeET2_T3_PNSJ_ISO_E10value_typeET4_T5_PST_SU_PNS1_23onesweep_lookback_stateEbbT6_jjT7_P12ihipStream_tbENKUlT_T0_SI_SN_E_clIPiSD_S15_SD_EEDaS11_S12_SI_SN_EUlS11_E_NS1_11comp_targetILNS1_3genE2ELNS1_11target_archE906ELNS1_3gpuE6ELNS1_3repE0EEENS1_47radix_sort_onesweep_sort_config_static_selectorELNS0_4arch9wavefront6targetE1EEEvSI_.num_named_barrier, 0
	.set _ZN7rocprim17ROCPRIM_400000_NS6detail17trampoline_kernelINS0_14default_configENS1_35radix_sort_onesweep_config_selectorIiiEEZZNS1_29radix_sort_onesweep_iterationIS3_Lb1EN6thrust23THRUST_200600_302600_NS6detail15normal_iteratorINS8_10device_ptrIiEEEESD_SD_SD_jNS0_19identity_decomposerENS1_16block_id_wrapperIjLb0EEEEE10hipError_tT1_PNSt15iterator_traitsISI_E10value_typeET2_T3_PNSJ_ISO_E10value_typeET4_T5_PST_SU_PNS1_23onesweep_lookback_stateEbbT6_jjT7_P12ihipStream_tbENKUlT_T0_SI_SN_E_clIPiSD_S15_SD_EEDaS11_S12_SI_SN_EUlS11_E_NS1_11comp_targetILNS1_3genE2ELNS1_11target_archE906ELNS1_3gpuE6ELNS1_3repE0EEENS1_47radix_sort_onesweep_sort_config_static_selectorELNS0_4arch9wavefront6targetE1EEEvSI_.private_seg_size, 0
	.set _ZN7rocprim17ROCPRIM_400000_NS6detail17trampoline_kernelINS0_14default_configENS1_35radix_sort_onesweep_config_selectorIiiEEZZNS1_29radix_sort_onesweep_iterationIS3_Lb1EN6thrust23THRUST_200600_302600_NS6detail15normal_iteratorINS8_10device_ptrIiEEEESD_SD_SD_jNS0_19identity_decomposerENS1_16block_id_wrapperIjLb0EEEEE10hipError_tT1_PNSt15iterator_traitsISI_E10value_typeET2_T3_PNSJ_ISO_E10value_typeET4_T5_PST_SU_PNS1_23onesweep_lookback_stateEbbT6_jjT7_P12ihipStream_tbENKUlT_T0_SI_SN_E_clIPiSD_S15_SD_EEDaS11_S12_SI_SN_EUlS11_E_NS1_11comp_targetILNS1_3genE2ELNS1_11target_archE906ELNS1_3gpuE6ELNS1_3repE0EEENS1_47radix_sort_onesweep_sort_config_static_selectorELNS0_4arch9wavefront6targetE1EEEvSI_.uses_vcc, 0
	.set _ZN7rocprim17ROCPRIM_400000_NS6detail17trampoline_kernelINS0_14default_configENS1_35radix_sort_onesweep_config_selectorIiiEEZZNS1_29radix_sort_onesweep_iterationIS3_Lb1EN6thrust23THRUST_200600_302600_NS6detail15normal_iteratorINS8_10device_ptrIiEEEESD_SD_SD_jNS0_19identity_decomposerENS1_16block_id_wrapperIjLb0EEEEE10hipError_tT1_PNSt15iterator_traitsISI_E10value_typeET2_T3_PNSJ_ISO_E10value_typeET4_T5_PST_SU_PNS1_23onesweep_lookback_stateEbbT6_jjT7_P12ihipStream_tbENKUlT_T0_SI_SN_E_clIPiSD_S15_SD_EEDaS11_S12_SI_SN_EUlS11_E_NS1_11comp_targetILNS1_3genE2ELNS1_11target_archE906ELNS1_3gpuE6ELNS1_3repE0EEENS1_47radix_sort_onesweep_sort_config_static_selectorELNS0_4arch9wavefront6targetE1EEEvSI_.uses_flat_scratch, 0
	.set _ZN7rocprim17ROCPRIM_400000_NS6detail17trampoline_kernelINS0_14default_configENS1_35radix_sort_onesweep_config_selectorIiiEEZZNS1_29radix_sort_onesweep_iterationIS3_Lb1EN6thrust23THRUST_200600_302600_NS6detail15normal_iteratorINS8_10device_ptrIiEEEESD_SD_SD_jNS0_19identity_decomposerENS1_16block_id_wrapperIjLb0EEEEE10hipError_tT1_PNSt15iterator_traitsISI_E10value_typeET2_T3_PNSJ_ISO_E10value_typeET4_T5_PST_SU_PNS1_23onesweep_lookback_stateEbbT6_jjT7_P12ihipStream_tbENKUlT_T0_SI_SN_E_clIPiSD_S15_SD_EEDaS11_S12_SI_SN_EUlS11_E_NS1_11comp_targetILNS1_3genE2ELNS1_11target_archE906ELNS1_3gpuE6ELNS1_3repE0EEENS1_47radix_sort_onesweep_sort_config_static_selectorELNS0_4arch9wavefront6targetE1EEEvSI_.has_dyn_sized_stack, 0
	.set _ZN7rocprim17ROCPRIM_400000_NS6detail17trampoline_kernelINS0_14default_configENS1_35radix_sort_onesweep_config_selectorIiiEEZZNS1_29radix_sort_onesweep_iterationIS3_Lb1EN6thrust23THRUST_200600_302600_NS6detail15normal_iteratorINS8_10device_ptrIiEEEESD_SD_SD_jNS0_19identity_decomposerENS1_16block_id_wrapperIjLb0EEEEE10hipError_tT1_PNSt15iterator_traitsISI_E10value_typeET2_T3_PNSJ_ISO_E10value_typeET4_T5_PST_SU_PNS1_23onesweep_lookback_stateEbbT6_jjT7_P12ihipStream_tbENKUlT_T0_SI_SN_E_clIPiSD_S15_SD_EEDaS11_S12_SI_SN_EUlS11_E_NS1_11comp_targetILNS1_3genE2ELNS1_11target_archE906ELNS1_3gpuE6ELNS1_3repE0EEENS1_47radix_sort_onesweep_sort_config_static_selectorELNS0_4arch9wavefront6targetE1EEEvSI_.has_recursion, 0
	.set _ZN7rocprim17ROCPRIM_400000_NS6detail17trampoline_kernelINS0_14default_configENS1_35radix_sort_onesweep_config_selectorIiiEEZZNS1_29radix_sort_onesweep_iterationIS3_Lb1EN6thrust23THRUST_200600_302600_NS6detail15normal_iteratorINS8_10device_ptrIiEEEESD_SD_SD_jNS0_19identity_decomposerENS1_16block_id_wrapperIjLb0EEEEE10hipError_tT1_PNSt15iterator_traitsISI_E10value_typeET2_T3_PNSJ_ISO_E10value_typeET4_T5_PST_SU_PNS1_23onesweep_lookback_stateEbbT6_jjT7_P12ihipStream_tbENKUlT_T0_SI_SN_E_clIPiSD_S15_SD_EEDaS11_S12_SI_SN_EUlS11_E_NS1_11comp_targetILNS1_3genE2ELNS1_11target_archE906ELNS1_3gpuE6ELNS1_3repE0EEENS1_47radix_sort_onesweep_sort_config_static_selectorELNS0_4arch9wavefront6targetE1EEEvSI_.has_indirect_call, 0
	.section	.AMDGPU.csdata,"",@progbits
; Kernel info:
; codeLenInByte = 0
; TotalNumSgprs: 6
; NumVgprs: 0
; NumAgprs: 0
; TotalNumVgprs: 0
; ScratchSize: 0
; MemoryBound: 0
; FloatMode: 240
; IeeeMode: 1
; LDSByteSize: 0 bytes/workgroup (compile time only)
; SGPRBlocks: 0
; VGPRBlocks: 0
; NumSGPRsForWavesPerEU: 6
; NumVGPRsForWavesPerEU: 1
; AccumOffset: 4
; Occupancy: 8
; WaveLimiterHint : 0
; COMPUTE_PGM_RSRC2:SCRATCH_EN: 0
; COMPUTE_PGM_RSRC2:USER_SGPR: 2
; COMPUTE_PGM_RSRC2:TRAP_HANDLER: 0
; COMPUTE_PGM_RSRC2:TGID_X_EN: 1
; COMPUTE_PGM_RSRC2:TGID_Y_EN: 0
; COMPUTE_PGM_RSRC2:TGID_Z_EN: 0
; COMPUTE_PGM_RSRC2:TIDIG_COMP_CNT: 0
; COMPUTE_PGM_RSRC3_GFX90A:ACCUM_OFFSET: 0
; COMPUTE_PGM_RSRC3_GFX90A:TG_SPLIT: 0
	.section	.text._ZN7rocprim17ROCPRIM_400000_NS6detail17trampoline_kernelINS0_14default_configENS1_35radix_sort_onesweep_config_selectorIiiEEZZNS1_29radix_sort_onesweep_iterationIS3_Lb1EN6thrust23THRUST_200600_302600_NS6detail15normal_iteratorINS8_10device_ptrIiEEEESD_SD_SD_jNS0_19identity_decomposerENS1_16block_id_wrapperIjLb0EEEEE10hipError_tT1_PNSt15iterator_traitsISI_E10value_typeET2_T3_PNSJ_ISO_E10value_typeET4_T5_PST_SU_PNS1_23onesweep_lookback_stateEbbT6_jjT7_P12ihipStream_tbENKUlT_T0_SI_SN_E_clIPiSD_S15_SD_EEDaS11_S12_SI_SN_EUlS11_E_NS1_11comp_targetILNS1_3genE4ELNS1_11target_archE910ELNS1_3gpuE8ELNS1_3repE0EEENS1_47radix_sort_onesweep_sort_config_static_selectorELNS0_4arch9wavefront6targetE1EEEvSI_,"axG",@progbits,_ZN7rocprim17ROCPRIM_400000_NS6detail17trampoline_kernelINS0_14default_configENS1_35radix_sort_onesweep_config_selectorIiiEEZZNS1_29radix_sort_onesweep_iterationIS3_Lb1EN6thrust23THRUST_200600_302600_NS6detail15normal_iteratorINS8_10device_ptrIiEEEESD_SD_SD_jNS0_19identity_decomposerENS1_16block_id_wrapperIjLb0EEEEE10hipError_tT1_PNSt15iterator_traitsISI_E10value_typeET2_T3_PNSJ_ISO_E10value_typeET4_T5_PST_SU_PNS1_23onesweep_lookback_stateEbbT6_jjT7_P12ihipStream_tbENKUlT_T0_SI_SN_E_clIPiSD_S15_SD_EEDaS11_S12_SI_SN_EUlS11_E_NS1_11comp_targetILNS1_3genE4ELNS1_11target_archE910ELNS1_3gpuE8ELNS1_3repE0EEENS1_47radix_sort_onesweep_sort_config_static_selectorELNS0_4arch9wavefront6targetE1EEEvSI_,comdat
	.protected	_ZN7rocprim17ROCPRIM_400000_NS6detail17trampoline_kernelINS0_14default_configENS1_35radix_sort_onesweep_config_selectorIiiEEZZNS1_29radix_sort_onesweep_iterationIS3_Lb1EN6thrust23THRUST_200600_302600_NS6detail15normal_iteratorINS8_10device_ptrIiEEEESD_SD_SD_jNS0_19identity_decomposerENS1_16block_id_wrapperIjLb0EEEEE10hipError_tT1_PNSt15iterator_traitsISI_E10value_typeET2_T3_PNSJ_ISO_E10value_typeET4_T5_PST_SU_PNS1_23onesweep_lookback_stateEbbT6_jjT7_P12ihipStream_tbENKUlT_T0_SI_SN_E_clIPiSD_S15_SD_EEDaS11_S12_SI_SN_EUlS11_E_NS1_11comp_targetILNS1_3genE4ELNS1_11target_archE910ELNS1_3gpuE8ELNS1_3repE0EEENS1_47radix_sort_onesweep_sort_config_static_selectorELNS0_4arch9wavefront6targetE1EEEvSI_ ; -- Begin function _ZN7rocprim17ROCPRIM_400000_NS6detail17trampoline_kernelINS0_14default_configENS1_35radix_sort_onesweep_config_selectorIiiEEZZNS1_29radix_sort_onesweep_iterationIS3_Lb1EN6thrust23THRUST_200600_302600_NS6detail15normal_iteratorINS8_10device_ptrIiEEEESD_SD_SD_jNS0_19identity_decomposerENS1_16block_id_wrapperIjLb0EEEEE10hipError_tT1_PNSt15iterator_traitsISI_E10value_typeET2_T3_PNSJ_ISO_E10value_typeET4_T5_PST_SU_PNS1_23onesweep_lookback_stateEbbT6_jjT7_P12ihipStream_tbENKUlT_T0_SI_SN_E_clIPiSD_S15_SD_EEDaS11_S12_SI_SN_EUlS11_E_NS1_11comp_targetILNS1_3genE4ELNS1_11target_archE910ELNS1_3gpuE8ELNS1_3repE0EEENS1_47radix_sort_onesweep_sort_config_static_selectorELNS0_4arch9wavefront6targetE1EEEvSI_
	.globl	_ZN7rocprim17ROCPRIM_400000_NS6detail17trampoline_kernelINS0_14default_configENS1_35radix_sort_onesweep_config_selectorIiiEEZZNS1_29radix_sort_onesweep_iterationIS3_Lb1EN6thrust23THRUST_200600_302600_NS6detail15normal_iteratorINS8_10device_ptrIiEEEESD_SD_SD_jNS0_19identity_decomposerENS1_16block_id_wrapperIjLb0EEEEE10hipError_tT1_PNSt15iterator_traitsISI_E10value_typeET2_T3_PNSJ_ISO_E10value_typeET4_T5_PST_SU_PNS1_23onesweep_lookback_stateEbbT6_jjT7_P12ihipStream_tbENKUlT_T0_SI_SN_E_clIPiSD_S15_SD_EEDaS11_S12_SI_SN_EUlS11_E_NS1_11comp_targetILNS1_3genE4ELNS1_11target_archE910ELNS1_3gpuE8ELNS1_3repE0EEENS1_47radix_sort_onesweep_sort_config_static_selectorELNS0_4arch9wavefront6targetE1EEEvSI_
	.p2align	8
	.type	_ZN7rocprim17ROCPRIM_400000_NS6detail17trampoline_kernelINS0_14default_configENS1_35radix_sort_onesweep_config_selectorIiiEEZZNS1_29radix_sort_onesweep_iterationIS3_Lb1EN6thrust23THRUST_200600_302600_NS6detail15normal_iteratorINS8_10device_ptrIiEEEESD_SD_SD_jNS0_19identity_decomposerENS1_16block_id_wrapperIjLb0EEEEE10hipError_tT1_PNSt15iterator_traitsISI_E10value_typeET2_T3_PNSJ_ISO_E10value_typeET4_T5_PST_SU_PNS1_23onesweep_lookback_stateEbbT6_jjT7_P12ihipStream_tbENKUlT_T0_SI_SN_E_clIPiSD_S15_SD_EEDaS11_S12_SI_SN_EUlS11_E_NS1_11comp_targetILNS1_3genE4ELNS1_11target_archE910ELNS1_3gpuE8ELNS1_3repE0EEENS1_47radix_sort_onesweep_sort_config_static_selectorELNS0_4arch9wavefront6targetE1EEEvSI_,@function
_ZN7rocprim17ROCPRIM_400000_NS6detail17trampoline_kernelINS0_14default_configENS1_35radix_sort_onesweep_config_selectorIiiEEZZNS1_29radix_sort_onesweep_iterationIS3_Lb1EN6thrust23THRUST_200600_302600_NS6detail15normal_iteratorINS8_10device_ptrIiEEEESD_SD_SD_jNS0_19identity_decomposerENS1_16block_id_wrapperIjLb0EEEEE10hipError_tT1_PNSt15iterator_traitsISI_E10value_typeET2_T3_PNSJ_ISO_E10value_typeET4_T5_PST_SU_PNS1_23onesweep_lookback_stateEbbT6_jjT7_P12ihipStream_tbENKUlT_T0_SI_SN_E_clIPiSD_S15_SD_EEDaS11_S12_SI_SN_EUlS11_E_NS1_11comp_targetILNS1_3genE4ELNS1_11target_archE910ELNS1_3gpuE8ELNS1_3repE0EEENS1_47radix_sort_onesweep_sort_config_static_selectorELNS0_4arch9wavefront6targetE1EEEvSI_: ; @_ZN7rocprim17ROCPRIM_400000_NS6detail17trampoline_kernelINS0_14default_configENS1_35radix_sort_onesweep_config_selectorIiiEEZZNS1_29radix_sort_onesweep_iterationIS3_Lb1EN6thrust23THRUST_200600_302600_NS6detail15normal_iteratorINS8_10device_ptrIiEEEESD_SD_SD_jNS0_19identity_decomposerENS1_16block_id_wrapperIjLb0EEEEE10hipError_tT1_PNSt15iterator_traitsISI_E10value_typeET2_T3_PNSJ_ISO_E10value_typeET4_T5_PST_SU_PNS1_23onesweep_lookback_stateEbbT6_jjT7_P12ihipStream_tbENKUlT_T0_SI_SN_E_clIPiSD_S15_SD_EEDaS11_S12_SI_SN_EUlS11_E_NS1_11comp_targetILNS1_3genE4ELNS1_11target_archE910ELNS1_3gpuE8ELNS1_3repE0EEENS1_47radix_sort_onesweep_sort_config_static_selectorELNS0_4arch9wavefront6targetE1EEEvSI_
; %bb.0:
	.section	.rodata,"a",@progbits
	.p2align	6, 0x0
	.amdhsa_kernel _ZN7rocprim17ROCPRIM_400000_NS6detail17trampoline_kernelINS0_14default_configENS1_35radix_sort_onesweep_config_selectorIiiEEZZNS1_29radix_sort_onesweep_iterationIS3_Lb1EN6thrust23THRUST_200600_302600_NS6detail15normal_iteratorINS8_10device_ptrIiEEEESD_SD_SD_jNS0_19identity_decomposerENS1_16block_id_wrapperIjLb0EEEEE10hipError_tT1_PNSt15iterator_traitsISI_E10value_typeET2_T3_PNSJ_ISO_E10value_typeET4_T5_PST_SU_PNS1_23onesweep_lookback_stateEbbT6_jjT7_P12ihipStream_tbENKUlT_T0_SI_SN_E_clIPiSD_S15_SD_EEDaS11_S12_SI_SN_EUlS11_E_NS1_11comp_targetILNS1_3genE4ELNS1_11target_archE910ELNS1_3gpuE8ELNS1_3repE0EEENS1_47radix_sort_onesweep_sort_config_static_selectorELNS0_4arch9wavefront6targetE1EEEvSI_
		.amdhsa_group_segment_fixed_size 0
		.amdhsa_private_segment_fixed_size 0
		.amdhsa_kernarg_size 88
		.amdhsa_user_sgpr_count 2
		.amdhsa_user_sgpr_dispatch_ptr 0
		.amdhsa_user_sgpr_queue_ptr 0
		.amdhsa_user_sgpr_kernarg_segment_ptr 1
		.amdhsa_user_sgpr_dispatch_id 0
		.amdhsa_user_sgpr_kernarg_preload_length 0
		.amdhsa_user_sgpr_kernarg_preload_offset 0
		.amdhsa_user_sgpr_private_segment_size 0
		.amdhsa_uses_dynamic_stack 0
		.amdhsa_enable_private_segment 0
		.amdhsa_system_sgpr_workgroup_id_x 1
		.amdhsa_system_sgpr_workgroup_id_y 0
		.amdhsa_system_sgpr_workgroup_id_z 0
		.amdhsa_system_sgpr_workgroup_info 0
		.amdhsa_system_vgpr_workitem_id 0
		.amdhsa_next_free_vgpr 1
		.amdhsa_next_free_sgpr 0
		.amdhsa_accum_offset 4
		.amdhsa_reserve_vcc 0
		.amdhsa_float_round_mode_32 0
		.amdhsa_float_round_mode_16_64 0
		.amdhsa_float_denorm_mode_32 3
		.amdhsa_float_denorm_mode_16_64 3
		.amdhsa_dx10_clamp 1
		.amdhsa_ieee_mode 1
		.amdhsa_fp16_overflow 0
		.amdhsa_tg_split 0
		.amdhsa_exception_fp_ieee_invalid_op 0
		.amdhsa_exception_fp_denorm_src 0
		.amdhsa_exception_fp_ieee_div_zero 0
		.amdhsa_exception_fp_ieee_overflow 0
		.amdhsa_exception_fp_ieee_underflow 0
		.amdhsa_exception_fp_ieee_inexact 0
		.amdhsa_exception_int_div_zero 0
	.end_amdhsa_kernel
	.section	.text._ZN7rocprim17ROCPRIM_400000_NS6detail17trampoline_kernelINS0_14default_configENS1_35radix_sort_onesweep_config_selectorIiiEEZZNS1_29radix_sort_onesweep_iterationIS3_Lb1EN6thrust23THRUST_200600_302600_NS6detail15normal_iteratorINS8_10device_ptrIiEEEESD_SD_SD_jNS0_19identity_decomposerENS1_16block_id_wrapperIjLb0EEEEE10hipError_tT1_PNSt15iterator_traitsISI_E10value_typeET2_T3_PNSJ_ISO_E10value_typeET4_T5_PST_SU_PNS1_23onesweep_lookback_stateEbbT6_jjT7_P12ihipStream_tbENKUlT_T0_SI_SN_E_clIPiSD_S15_SD_EEDaS11_S12_SI_SN_EUlS11_E_NS1_11comp_targetILNS1_3genE4ELNS1_11target_archE910ELNS1_3gpuE8ELNS1_3repE0EEENS1_47radix_sort_onesweep_sort_config_static_selectorELNS0_4arch9wavefront6targetE1EEEvSI_,"axG",@progbits,_ZN7rocprim17ROCPRIM_400000_NS6detail17trampoline_kernelINS0_14default_configENS1_35radix_sort_onesweep_config_selectorIiiEEZZNS1_29radix_sort_onesweep_iterationIS3_Lb1EN6thrust23THRUST_200600_302600_NS6detail15normal_iteratorINS8_10device_ptrIiEEEESD_SD_SD_jNS0_19identity_decomposerENS1_16block_id_wrapperIjLb0EEEEE10hipError_tT1_PNSt15iterator_traitsISI_E10value_typeET2_T3_PNSJ_ISO_E10value_typeET4_T5_PST_SU_PNS1_23onesweep_lookback_stateEbbT6_jjT7_P12ihipStream_tbENKUlT_T0_SI_SN_E_clIPiSD_S15_SD_EEDaS11_S12_SI_SN_EUlS11_E_NS1_11comp_targetILNS1_3genE4ELNS1_11target_archE910ELNS1_3gpuE8ELNS1_3repE0EEENS1_47radix_sort_onesweep_sort_config_static_selectorELNS0_4arch9wavefront6targetE1EEEvSI_,comdat
.Lfunc_end1048:
	.size	_ZN7rocprim17ROCPRIM_400000_NS6detail17trampoline_kernelINS0_14default_configENS1_35radix_sort_onesweep_config_selectorIiiEEZZNS1_29radix_sort_onesweep_iterationIS3_Lb1EN6thrust23THRUST_200600_302600_NS6detail15normal_iteratorINS8_10device_ptrIiEEEESD_SD_SD_jNS0_19identity_decomposerENS1_16block_id_wrapperIjLb0EEEEE10hipError_tT1_PNSt15iterator_traitsISI_E10value_typeET2_T3_PNSJ_ISO_E10value_typeET4_T5_PST_SU_PNS1_23onesweep_lookback_stateEbbT6_jjT7_P12ihipStream_tbENKUlT_T0_SI_SN_E_clIPiSD_S15_SD_EEDaS11_S12_SI_SN_EUlS11_E_NS1_11comp_targetILNS1_3genE4ELNS1_11target_archE910ELNS1_3gpuE8ELNS1_3repE0EEENS1_47radix_sort_onesweep_sort_config_static_selectorELNS0_4arch9wavefront6targetE1EEEvSI_, .Lfunc_end1048-_ZN7rocprim17ROCPRIM_400000_NS6detail17trampoline_kernelINS0_14default_configENS1_35radix_sort_onesweep_config_selectorIiiEEZZNS1_29radix_sort_onesweep_iterationIS3_Lb1EN6thrust23THRUST_200600_302600_NS6detail15normal_iteratorINS8_10device_ptrIiEEEESD_SD_SD_jNS0_19identity_decomposerENS1_16block_id_wrapperIjLb0EEEEE10hipError_tT1_PNSt15iterator_traitsISI_E10value_typeET2_T3_PNSJ_ISO_E10value_typeET4_T5_PST_SU_PNS1_23onesweep_lookback_stateEbbT6_jjT7_P12ihipStream_tbENKUlT_T0_SI_SN_E_clIPiSD_S15_SD_EEDaS11_S12_SI_SN_EUlS11_E_NS1_11comp_targetILNS1_3genE4ELNS1_11target_archE910ELNS1_3gpuE8ELNS1_3repE0EEENS1_47radix_sort_onesweep_sort_config_static_selectorELNS0_4arch9wavefront6targetE1EEEvSI_
                                        ; -- End function
	.set _ZN7rocprim17ROCPRIM_400000_NS6detail17trampoline_kernelINS0_14default_configENS1_35radix_sort_onesweep_config_selectorIiiEEZZNS1_29radix_sort_onesweep_iterationIS3_Lb1EN6thrust23THRUST_200600_302600_NS6detail15normal_iteratorINS8_10device_ptrIiEEEESD_SD_SD_jNS0_19identity_decomposerENS1_16block_id_wrapperIjLb0EEEEE10hipError_tT1_PNSt15iterator_traitsISI_E10value_typeET2_T3_PNSJ_ISO_E10value_typeET4_T5_PST_SU_PNS1_23onesweep_lookback_stateEbbT6_jjT7_P12ihipStream_tbENKUlT_T0_SI_SN_E_clIPiSD_S15_SD_EEDaS11_S12_SI_SN_EUlS11_E_NS1_11comp_targetILNS1_3genE4ELNS1_11target_archE910ELNS1_3gpuE8ELNS1_3repE0EEENS1_47radix_sort_onesweep_sort_config_static_selectorELNS0_4arch9wavefront6targetE1EEEvSI_.num_vgpr, 0
	.set _ZN7rocprim17ROCPRIM_400000_NS6detail17trampoline_kernelINS0_14default_configENS1_35radix_sort_onesweep_config_selectorIiiEEZZNS1_29radix_sort_onesweep_iterationIS3_Lb1EN6thrust23THRUST_200600_302600_NS6detail15normal_iteratorINS8_10device_ptrIiEEEESD_SD_SD_jNS0_19identity_decomposerENS1_16block_id_wrapperIjLb0EEEEE10hipError_tT1_PNSt15iterator_traitsISI_E10value_typeET2_T3_PNSJ_ISO_E10value_typeET4_T5_PST_SU_PNS1_23onesweep_lookback_stateEbbT6_jjT7_P12ihipStream_tbENKUlT_T0_SI_SN_E_clIPiSD_S15_SD_EEDaS11_S12_SI_SN_EUlS11_E_NS1_11comp_targetILNS1_3genE4ELNS1_11target_archE910ELNS1_3gpuE8ELNS1_3repE0EEENS1_47radix_sort_onesweep_sort_config_static_selectorELNS0_4arch9wavefront6targetE1EEEvSI_.num_agpr, 0
	.set _ZN7rocprim17ROCPRIM_400000_NS6detail17trampoline_kernelINS0_14default_configENS1_35radix_sort_onesweep_config_selectorIiiEEZZNS1_29radix_sort_onesweep_iterationIS3_Lb1EN6thrust23THRUST_200600_302600_NS6detail15normal_iteratorINS8_10device_ptrIiEEEESD_SD_SD_jNS0_19identity_decomposerENS1_16block_id_wrapperIjLb0EEEEE10hipError_tT1_PNSt15iterator_traitsISI_E10value_typeET2_T3_PNSJ_ISO_E10value_typeET4_T5_PST_SU_PNS1_23onesweep_lookback_stateEbbT6_jjT7_P12ihipStream_tbENKUlT_T0_SI_SN_E_clIPiSD_S15_SD_EEDaS11_S12_SI_SN_EUlS11_E_NS1_11comp_targetILNS1_3genE4ELNS1_11target_archE910ELNS1_3gpuE8ELNS1_3repE0EEENS1_47radix_sort_onesweep_sort_config_static_selectorELNS0_4arch9wavefront6targetE1EEEvSI_.numbered_sgpr, 0
	.set _ZN7rocprim17ROCPRIM_400000_NS6detail17trampoline_kernelINS0_14default_configENS1_35radix_sort_onesweep_config_selectorIiiEEZZNS1_29radix_sort_onesweep_iterationIS3_Lb1EN6thrust23THRUST_200600_302600_NS6detail15normal_iteratorINS8_10device_ptrIiEEEESD_SD_SD_jNS0_19identity_decomposerENS1_16block_id_wrapperIjLb0EEEEE10hipError_tT1_PNSt15iterator_traitsISI_E10value_typeET2_T3_PNSJ_ISO_E10value_typeET4_T5_PST_SU_PNS1_23onesweep_lookback_stateEbbT6_jjT7_P12ihipStream_tbENKUlT_T0_SI_SN_E_clIPiSD_S15_SD_EEDaS11_S12_SI_SN_EUlS11_E_NS1_11comp_targetILNS1_3genE4ELNS1_11target_archE910ELNS1_3gpuE8ELNS1_3repE0EEENS1_47radix_sort_onesweep_sort_config_static_selectorELNS0_4arch9wavefront6targetE1EEEvSI_.num_named_barrier, 0
	.set _ZN7rocprim17ROCPRIM_400000_NS6detail17trampoline_kernelINS0_14default_configENS1_35radix_sort_onesweep_config_selectorIiiEEZZNS1_29radix_sort_onesweep_iterationIS3_Lb1EN6thrust23THRUST_200600_302600_NS6detail15normal_iteratorINS8_10device_ptrIiEEEESD_SD_SD_jNS0_19identity_decomposerENS1_16block_id_wrapperIjLb0EEEEE10hipError_tT1_PNSt15iterator_traitsISI_E10value_typeET2_T3_PNSJ_ISO_E10value_typeET4_T5_PST_SU_PNS1_23onesweep_lookback_stateEbbT6_jjT7_P12ihipStream_tbENKUlT_T0_SI_SN_E_clIPiSD_S15_SD_EEDaS11_S12_SI_SN_EUlS11_E_NS1_11comp_targetILNS1_3genE4ELNS1_11target_archE910ELNS1_3gpuE8ELNS1_3repE0EEENS1_47radix_sort_onesweep_sort_config_static_selectorELNS0_4arch9wavefront6targetE1EEEvSI_.private_seg_size, 0
	.set _ZN7rocprim17ROCPRIM_400000_NS6detail17trampoline_kernelINS0_14default_configENS1_35radix_sort_onesweep_config_selectorIiiEEZZNS1_29radix_sort_onesweep_iterationIS3_Lb1EN6thrust23THRUST_200600_302600_NS6detail15normal_iteratorINS8_10device_ptrIiEEEESD_SD_SD_jNS0_19identity_decomposerENS1_16block_id_wrapperIjLb0EEEEE10hipError_tT1_PNSt15iterator_traitsISI_E10value_typeET2_T3_PNSJ_ISO_E10value_typeET4_T5_PST_SU_PNS1_23onesweep_lookback_stateEbbT6_jjT7_P12ihipStream_tbENKUlT_T0_SI_SN_E_clIPiSD_S15_SD_EEDaS11_S12_SI_SN_EUlS11_E_NS1_11comp_targetILNS1_3genE4ELNS1_11target_archE910ELNS1_3gpuE8ELNS1_3repE0EEENS1_47radix_sort_onesweep_sort_config_static_selectorELNS0_4arch9wavefront6targetE1EEEvSI_.uses_vcc, 0
	.set _ZN7rocprim17ROCPRIM_400000_NS6detail17trampoline_kernelINS0_14default_configENS1_35radix_sort_onesweep_config_selectorIiiEEZZNS1_29radix_sort_onesweep_iterationIS3_Lb1EN6thrust23THRUST_200600_302600_NS6detail15normal_iteratorINS8_10device_ptrIiEEEESD_SD_SD_jNS0_19identity_decomposerENS1_16block_id_wrapperIjLb0EEEEE10hipError_tT1_PNSt15iterator_traitsISI_E10value_typeET2_T3_PNSJ_ISO_E10value_typeET4_T5_PST_SU_PNS1_23onesweep_lookback_stateEbbT6_jjT7_P12ihipStream_tbENKUlT_T0_SI_SN_E_clIPiSD_S15_SD_EEDaS11_S12_SI_SN_EUlS11_E_NS1_11comp_targetILNS1_3genE4ELNS1_11target_archE910ELNS1_3gpuE8ELNS1_3repE0EEENS1_47radix_sort_onesweep_sort_config_static_selectorELNS0_4arch9wavefront6targetE1EEEvSI_.uses_flat_scratch, 0
	.set _ZN7rocprim17ROCPRIM_400000_NS6detail17trampoline_kernelINS0_14default_configENS1_35radix_sort_onesweep_config_selectorIiiEEZZNS1_29radix_sort_onesweep_iterationIS3_Lb1EN6thrust23THRUST_200600_302600_NS6detail15normal_iteratorINS8_10device_ptrIiEEEESD_SD_SD_jNS0_19identity_decomposerENS1_16block_id_wrapperIjLb0EEEEE10hipError_tT1_PNSt15iterator_traitsISI_E10value_typeET2_T3_PNSJ_ISO_E10value_typeET4_T5_PST_SU_PNS1_23onesweep_lookback_stateEbbT6_jjT7_P12ihipStream_tbENKUlT_T0_SI_SN_E_clIPiSD_S15_SD_EEDaS11_S12_SI_SN_EUlS11_E_NS1_11comp_targetILNS1_3genE4ELNS1_11target_archE910ELNS1_3gpuE8ELNS1_3repE0EEENS1_47radix_sort_onesweep_sort_config_static_selectorELNS0_4arch9wavefront6targetE1EEEvSI_.has_dyn_sized_stack, 0
	.set _ZN7rocprim17ROCPRIM_400000_NS6detail17trampoline_kernelINS0_14default_configENS1_35radix_sort_onesweep_config_selectorIiiEEZZNS1_29radix_sort_onesweep_iterationIS3_Lb1EN6thrust23THRUST_200600_302600_NS6detail15normal_iteratorINS8_10device_ptrIiEEEESD_SD_SD_jNS0_19identity_decomposerENS1_16block_id_wrapperIjLb0EEEEE10hipError_tT1_PNSt15iterator_traitsISI_E10value_typeET2_T3_PNSJ_ISO_E10value_typeET4_T5_PST_SU_PNS1_23onesweep_lookback_stateEbbT6_jjT7_P12ihipStream_tbENKUlT_T0_SI_SN_E_clIPiSD_S15_SD_EEDaS11_S12_SI_SN_EUlS11_E_NS1_11comp_targetILNS1_3genE4ELNS1_11target_archE910ELNS1_3gpuE8ELNS1_3repE0EEENS1_47radix_sort_onesweep_sort_config_static_selectorELNS0_4arch9wavefront6targetE1EEEvSI_.has_recursion, 0
	.set _ZN7rocprim17ROCPRIM_400000_NS6detail17trampoline_kernelINS0_14default_configENS1_35radix_sort_onesweep_config_selectorIiiEEZZNS1_29radix_sort_onesweep_iterationIS3_Lb1EN6thrust23THRUST_200600_302600_NS6detail15normal_iteratorINS8_10device_ptrIiEEEESD_SD_SD_jNS0_19identity_decomposerENS1_16block_id_wrapperIjLb0EEEEE10hipError_tT1_PNSt15iterator_traitsISI_E10value_typeET2_T3_PNSJ_ISO_E10value_typeET4_T5_PST_SU_PNS1_23onesweep_lookback_stateEbbT6_jjT7_P12ihipStream_tbENKUlT_T0_SI_SN_E_clIPiSD_S15_SD_EEDaS11_S12_SI_SN_EUlS11_E_NS1_11comp_targetILNS1_3genE4ELNS1_11target_archE910ELNS1_3gpuE8ELNS1_3repE0EEENS1_47radix_sort_onesweep_sort_config_static_selectorELNS0_4arch9wavefront6targetE1EEEvSI_.has_indirect_call, 0
	.section	.AMDGPU.csdata,"",@progbits
; Kernel info:
; codeLenInByte = 0
; TotalNumSgprs: 6
; NumVgprs: 0
; NumAgprs: 0
; TotalNumVgprs: 0
; ScratchSize: 0
; MemoryBound: 0
; FloatMode: 240
; IeeeMode: 1
; LDSByteSize: 0 bytes/workgroup (compile time only)
; SGPRBlocks: 0
; VGPRBlocks: 0
; NumSGPRsForWavesPerEU: 6
; NumVGPRsForWavesPerEU: 1
; AccumOffset: 4
; Occupancy: 8
; WaveLimiterHint : 0
; COMPUTE_PGM_RSRC2:SCRATCH_EN: 0
; COMPUTE_PGM_RSRC2:USER_SGPR: 2
; COMPUTE_PGM_RSRC2:TRAP_HANDLER: 0
; COMPUTE_PGM_RSRC2:TGID_X_EN: 1
; COMPUTE_PGM_RSRC2:TGID_Y_EN: 0
; COMPUTE_PGM_RSRC2:TGID_Z_EN: 0
; COMPUTE_PGM_RSRC2:TIDIG_COMP_CNT: 0
; COMPUTE_PGM_RSRC3_GFX90A:ACCUM_OFFSET: 0
; COMPUTE_PGM_RSRC3_GFX90A:TG_SPLIT: 0
	.section	.text._ZN7rocprim17ROCPRIM_400000_NS6detail17trampoline_kernelINS0_14default_configENS1_35radix_sort_onesweep_config_selectorIiiEEZZNS1_29radix_sort_onesweep_iterationIS3_Lb1EN6thrust23THRUST_200600_302600_NS6detail15normal_iteratorINS8_10device_ptrIiEEEESD_SD_SD_jNS0_19identity_decomposerENS1_16block_id_wrapperIjLb0EEEEE10hipError_tT1_PNSt15iterator_traitsISI_E10value_typeET2_T3_PNSJ_ISO_E10value_typeET4_T5_PST_SU_PNS1_23onesweep_lookback_stateEbbT6_jjT7_P12ihipStream_tbENKUlT_T0_SI_SN_E_clIPiSD_S15_SD_EEDaS11_S12_SI_SN_EUlS11_E_NS1_11comp_targetILNS1_3genE3ELNS1_11target_archE908ELNS1_3gpuE7ELNS1_3repE0EEENS1_47radix_sort_onesweep_sort_config_static_selectorELNS0_4arch9wavefront6targetE1EEEvSI_,"axG",@progbits,_ZN7rocprim17ROCPRIM_400000_NS6detail17trampoline_kernelINS0_14default_configENS1_35radix_sort_onesweep_config_selectorIiiEEZZNS1_29radix_sort_onesweep_iterationIS3_Lb1EN6thrust23THRUST_200600_302600_NS6detail15normal_iteratorINS8_10device_ptrIiEEEESD_SD_SD_jNS0_19identity_decomposerENS1_16block_id_wrapperIjLb0EEEEE10hipError_tT1_PNSt15iterator_traitsISI_E10value_typeET2_T3_PNSJ_ISO_E10value_typeET4_T5_PST_SU_PNS1_23onesweep_lookback_stateEbbT6_jjT7_P12ihipStream_tbENKUlT_T0_SI_SN_E_clIPiSD_S15_SD_EEDaS11_S12_SI_SN_EUlS11_E_NS1_11comp_targetILNS1_3genE3ELNS1_11target_archE908ELNS1_3gpuE7ELNS1_3repE0EEENS1_47radix_sort_onesweep_sort_config_static_selectorELNS0_4arch9wavefront6targetE1EEEvSI_,comdat
	.protected	_ZN7rocprim17ROCPRIM_400000_NS6detail17trampoline_kernelINS0_14default_configENS1_35radix_sort_onesweep_config_selectorIiiEEZZNS1_29radix_sort_onesweep_iterationIS3_Lb1EN6thrust23THRUST_200600_302600_NS6detail15normal_iteratorINS8_10device_ptrIiEEEESD_SD_SD_jNS0_19identity_decomposerENS1_16block_id_wrapperIjLb0EEEEE10hipError_tT1_PNSt15iterator_traitsISI_E10value_typeET2_T3_PNSJ_ISO_E10value_typeET4_T5_PST_SU_PNS1_23onesweep_lookback_stateEbbT6_jjT7_P12ihipStream_tbENKUlT_T0_SI_SN_E_clIPiSD_S15_SD_EEDaS11_S12_SI_SN_EUlS11_E_NS1_11comp_targetILNS1_3genE3ELNS1_11target_archE908ELNS1_3gpuE7ELNS1_3repE0EEENS1_47radix_sort_onesweep_sort_config_static_selectorELNS0_4arch9wavefront6targetE1EEEvSI_ ; -- Begin function _ZN7rocprim17ROCPRIM_400000_NS6detail17trampoline_kernelINS0_14default_configENS1_35radix_sort_onesweep_config_selectorIiiEEZZNS1_29radix_sort_onesweep_iterationIS3_Lb1EN6thrust23THRUST_200600_302600_NS6detail15normal_iteratorINS8_10device_ptrIiEEEESD_SD_SD_jNS0_19identity_decomposerENS1_16block_id_wrapperIjLb0EEEEE10hipError_tT1_PNSt15iterator_traitsISI_E10value_typeET2_T3_PNSJ_ISO_E10value_typeET4_T5_PST_SU_PNS1_23onesweep_lookback_stateEbbT6_jjT7_P12ihipStream_tbENKUlT_T0_SI_SN_E_clIPiSD_S15_SD_EEDaS11_S12_SI_SN_EUlS11_E_NS1_11comp_targetILNS1_3genE3ELNS1_11target_archE908ELNS1_3gpuE7ELNS1_3repE0EEENS1_47radix_sort_onesweep_sort_config_static_selectorELNS0_4arch9wavefront6targetE1EEEvSI_
	.globl	_ZN7rocprim17ROCPRIM_400000_NS6detail17trampoline_kernelINS0_14default_configENS1_35radix_sort_onesweep_config_selectorIiiEEZZNS1_29radix_sort_onesweep_iterationIS3_Lb1EN6thrust23THRUST_200600_302600_NS6detail15normal_iteratorINS8_10device_ptrIiEEEESD_SD_SD_jNS0_19identity_decomposerENS1_16block_id_wrapperIjLb0EEEEE10hipError_tT1_PNSt15iterator_traitsISI_E10value_typeET2_T3_PNSJ_ISO_E10value_typeET4_T5_PST_SU_PNS1_23onesweep_lookback_stateEbbT6_jjT7_P12ihipStream_tbENKUlT_T0_SI_SN_E_clIPiSD_S15_SD_EEDaS11_S12_SI_SN_EUlS11_E_NS1_11comp_targetILNS1_3genE3ELNS1_11target_archE908ELNS1_3gpuE7ELNS1_3repE0EEENS1_47radix_sort_onesweep_sort_config_static_selectorELNS0_4arch9wavefront6targetE1EEEvSI_
	.p2align	8
	.type	_ZN7rocprim17ROCPRIM_400000_NS6detail17trampoline_kernelINS0_14default_configENS1_35radix_sort_onesweep_config_selectorIiiEEZZNS1_29radix_sort_onesweep_iterationIS3_Lb1EN6thrust23THRUST_200600_302600_NS6detail15normal_iteratorINS8_10device_ptrIiEEEESD_SD_SD_jNS0_19identity_decomposerENS1_16block_id_wrapperIjLb0EEEEE10hipError_tT1_PNSt15iterator_traitsISI_E10value_typeET2_T3_PNSJ_ISO_E10value_typeET4_T5_PST_SU_PNS1_23onesweep_lookback_stateEbbT6_jjT7_P12ihipStream_tbENKUlT_T0_SI_SN_E_clIPiSD_S15_SD_EEDaS11_S12_SI_SN_EUlS11_E_NS1_11comp_targetILNS1_3genE3ELNS1_11target_archE908ELNS1_3gpuE7ELNS1_3repE0EEENS1_47radix_sort_onesweep_sort_config_static_selectorELNS0_4arch9wavefront6targetE1EEEvSI_,@function
_ZN7rocprim17ROCPRIM_400000_NS6detail17trampoline_kernelINS0_14default_configENS1_35radix_sort_onesweep_config_selectorIiiEEZZNS1_29radix_sort_onesweep_iterationIS3_Lb1EN6thrust23THRUST_200600_302600_NS6detail15normal_iteratorINS8_10device_ptrIiEEEESD_SD_SD_jNS0_19identity_decomposerENS1_16block_id_wrapperIjLb0EEEEE10hipError_tT1_PNSt15iterator_traitsISI_E10value_typeET2_T3_PNSJ_ISO_E10value_typeET4_T5_PST_SU_PNS1_23onesweep_lookback_stateEbbT6_jjT7_P12ihipStream_tbENKUlT_T0_SI_SN_E_clIPiSD_S15_SD_EEDaS11_S12_SI_SN_EUlS11_E_NS1_11comp_targetILNS1_3genE3ELNS1_11target_archE908ELNS1_3gpuE7ELNS1_3repE0EEENS1_47radix_sort_onesweep_sort_config_static_selectorELNS0_4arch9wavefront6targetE1EEEvSI_: ; @_ZN7rocprim17ROCPRIM_400000_NS6detail17trampoline_kernelINS0_14default_configENS1_35radix_sort_onesweep_config_selectorIiiEEZZNS1_29radix_sort_onesweep_iterationIS3_Lb1EN6thrust23THRUST_200600_302600_NS6detail15normal_iteratorINS8_10device_ptrIiEEEESD_SD_SD_jNS0_19identity_decomposerENS1_16block_id_wrapperIjLb0EEEEE10hipError_tT1_PNSt15iterator_traitsISI_E10value_typeET2_T3_PNSJ_ISO_E10value_typeET4_T5_PST_SU_PNS1_23onesweep_lookback_stateEbbT6_jjT7_P12ihipStream_tbENKUlT_T0_SI_SN_E_clIPiSD_S15_SD_EEDaS11_S12_SI_SN_EUlS11_E_NS1_11comp_targetILNS1_3genE3ELNS1_11target_archE908ELNS1_3gpuE7ELNS1_3repE0EEENS1_47radix_sort_onesweep_sort_config_static_selectorELNS0_4arch9wavefront6targetE1EEEvSI_
; %bb.0:
	.section	.rodata,"a",@progbits
	.p2align	6, 0x0
	.amdhsa_kernel _ZN7rocprim17ROCPRIM_400000_NS6detail17trampoline_kernelINS0_14default_configENS1_35radix_sort_onesweep_config_selectorIiiEEZZNS1_29radix_sort_onesweep_iterationIS3_Lb1EN6thrust23THRUST_200600_302600_NS6detail15normal_iteratorINS8_10device_ptrIiEEEESD_SD_SD_jNS0_19identity_decomposerENS1_16block_id_wrapperIjLb0EEEEE10hipError_tT1_PNSt15iterator_traitsISI_E10value_typeET2_T3_PNSJ_ISO_E10value_typeET4_T5_PST_SU_PNS1_23onesweep_lookback_stateEbbT6_jjT7_P12ihipStream_tbENKUlT_T0_SI_SN_E_clIPiSD_S15_SD_EEDaS11_S12_SI_SN_EUlS11_E_NS1_11comp_targetILNS1_3genE3ELNS1_11target_archE908ELNS1_3gpuE7ELNS1_3repE0EEENS1_47radix_sort_onesweep_sort_config_static_selectorELNS0_4arch9wavefront6targetE1EEEvSI_
		.amdhsa_group_segment_fixed_size 0
		.amdhsa_private_segment_fixed_size 0
		.amdhsa_kernarg_size 88
		.amdhsa_user_sgpr_count 2
		.amdhsa_user_sgpr_dispatch_ptr 0
		.amdhsa_user_sgpr_queue_ptr 0
		.amdhsa_user_sgpr_kernarg_segment_ptr 1
		.amdhsa_user_sgpr_dispatch_id 0
		.amdhsa_user_sgpr_kernarg_preload_length 0
		.amdhsa_user_sgpr_kernarg_preload_offset 0
		.amdhsa_user_sgpr_private_segment_size 0
		.amdhsa_uses_dynamic_stack 0
		.amdhsa_enable_private_segment 0
		.amdhsa_system_sgpr_workgroup_id_x 1
		.amdhsa_system_sgpr_workgroup_id_y 0
		.amdhsa_system_sgpr_workgroup_id_z 0
		.amdhsa_system_sgpr_workgroup_info 0
		.amdhsa_system_vgpr_workitem_id 0
		.amdhsa_next_free_vgpr 1
		.amdhsa_next_free_sgpr 0
		.amdhsa_accum_offset 4
		.amdhsa_reserve_vcc 0
		.amdhsa_float_round_mode_32 0
		.amdhsa_float_round_mode_16_64 0
		.amdhsa_float_denorm_mode_32 3
		.amdhsa_float_denorm_mode_16_64 3
		.amdhsa_dx10_clamp 1
		.amdhsa_ieee_mode 1
		.amdhsa_fp16_overflow 0
		.amdhsa_tg_split 0
		.amdhsa_exception_fp_ieee_invalid_op 0
		.amdhsa_exception_fp_denorm_src 0
		.amdhsa_exception_fp_ieee_div_zero 0
		.amdhsa_exception_fp_ieee_overflow 0
		.amdhsa_exception_fp_ieee_underflow 0
		.amdhsa_exception_fp_ieee_inexact 0
		.amdhsa_exception_int_div_zero 0
	.end_amdhsa_kernel
	.section	.text._ZN7rocprim17ROCPRIM_400000_NS6detail17trampoline_kernelINS0_14default_configENS1_35radix_sort_onesweep_config_selectorIiiEEZZNS1_29radix_sort_onesweep_iterationIS3_Lb1EN6thrust23THRUST_200600_302600_NS6detail15normal_iteratorINS8_10device_ptrIiEEEESD_SD_SD_jNS0_19identity_decomposerENS1_16block_id_wrapperIjLb0EEEEE10hipError_tT1_PNSt15iterator_traitsISI_E10value_typeET2_T3_PNSJ_ISO_E10value_typeET4_T5_PST_SU_PNS1_23onesweep_lookback_stateEbbT6_jjT7_P12ihipStream_tbENKUlT_T0_SI_SN_E_clIPiSD_S15_SD_EEDaS11_S12_SI_SN_EUlS11_E_NS1_11comp_targetILNS1_3genE3ELNS1_11target_archE908ELNS1_3gpuE7ELNS1_3repE0EEENS1_47radix_sort_onesweep_sort_config_static_selectorELNS0_4arch9wavefront6targetE1EEEvSI_,"axG",@progbits,_ZN7rocprim17ROCPRIM_400000_NS6detail17trampoline_kernelINS0_14default_configENS1_35radix_sort_onesweep_config_selectorIiiEEZZNS1_29radix_sort_onesweep_iterationIS3_Lb1EN6thrust23THRUST_200600_302600_NS6detail15normal_iteratorINS8_10device_ptrIiEEEESD_SD_SD_jNS0_19identity_decomposerENS1_16block_id_wrapperIjLb0EEEEE10hipError_tT1_PNSt15iterator_traitsISI_E10value_typeET2_T3_PNSJ_ISO_E10value_typeET4_T5_PST_SU_PNS1_23onesweep_lookback_stateEbbT6_jjT7_P12ihipStream_tbENKUlT_T0_SI_SN_E_clIPiSD_S15_SD_EEDaS11_S12_SI_SN_EUlS11_E_NS1_11comp_targetILNS1_3genE3ELNS1_11target_archE908ELNS1_3gpuE7ELNS1_3repE0EEENS1_47radix_sort_onesweep_sort_config_static_selectorELNS0_4arch9wavefront6targetE1EEEvSI_,comdat
.Lfunc_end1049:
	.size	_ZN7rocprim17ROCPRIM_400000_NS6detail17trampoline_kernelINS0_14default_configENS1_35radix_sort_onesweep_config_selectorIiiEEZZNS1_29radix_sort_onesweep_iterationIS3_Lb1EN6thrust23THRUST_200600_302600_NS6detail15normal_iteratorINS8_10device_ptrIiEEEESD_SD_SD_jNS0_19identity_decomposerENS1_16block_id_wrapperIjLb0EEEEE10hipError_tT1_PNSt15iterator_traitsISI_E10value_typeET2_T3_PNSJ_ISO_E10value_typeET4_T5_PST_SU_PNS1_23onesweep_lookback_stateEbbT6_jjT7_P12ihipStream_tbENKUlT_T0_SI_SN_E_clIPiSD_S15_SD_EEDaS11_S12_SI_SN_EUlS11_E_NS1_11comp_targetILNS1_3genE3ELNS1_11target_archE908ELNS1_3gpuE7ELNS1_3repE0EEENS1_47radix_sort_onesweep_sort_config_static_selectorELNS0_4arch9wavefront6targetE1EEEvSI_, .Lfunc_end1049-_ZN7rocprim17ROCPRIM_400000_NS6detail17trampoline_kernelINS0_14default_configENS1_35radix_sort_onesweep_config_selectorIiiEEZZNS1_29radix_sort_onesweep_iterationIS3_Lb1EN6thrust23THRUST_200600_302600_NS6detail15normal_iteratorINS8_10device_ptrIiEEEESD_SD_SD_jNS0_19identity_decomposerENS1_16block_id_wrapperIjLb0EEEEE10hipError_tT1_PNSt15iterator_traitsISI_E10value_typeET2_T3_PNSJ_ISO_E10value_typeET4_T5_PST_SU_PNS1_23onesweep_lookback_stateEbbT6_jjT7_P12ihipStream_tbENKUlT_T0_SI_SN_E_clIPiSD_S15_SD_EEDaS11_S12_SI_SN_EUlS11_E_NS1_11comp_targetILNS1_3genE3ELNS1_11target_archE908ELNS1_3gpuE7ELNS1_3repE0EEENS1_47radix_sort_onesweep_sort_config_static_selectorELNS0_4arch9wavefront6targetE1EEEvSI_
                                        ; -- End function
	.set _ZN7rocprim17ROCPRIM_400000_NS6detail17trampoline_kernelINS0_14default_configENS1_35radix_sort_onesweep_config_selectorIiiEEZZNS1_29radix_sort_onesweep_iterationIS3_Lb1EN6thrust23THRUST_200600_302600_NS6detail15normal_iteratorINS8_10device_ptrIiEEEESD_SD_SD_jNS0_19identity_decomposerENS1_16block_id_wrapperIjLb0EEEEE10hipError_tT1_PNSt15iterator_traitsISI_E10value_typeET2_T3_PNSJ_ISO_E10value_typeET4_T5_PST_SU_PNS1_23onesweep_lookback_stateEbbT6_jjT7_P12ihipStream_tbENKUlT_T0_SI_SN_E_clIPiSD_S15_SD_EEDaS11_S12_SI_SN_EUlS11_E_NS1_11comp_targetILNS1_3genE3ELNS1_11target_archE908ELNS1_3gpuE7ELNS1_3repE0EEENS1_47radix_sort_onesweep_sort_config_static_selectorELNS0_4arch9wavefront6targetE1EEEvSI_.num_vgpr, 0
	.set _ZN7rocprim17ROCPRIM_400000_NS6detail17trampoline_kernelINS0_14default_configENS1_35radix_sort_onesweep_config_selectorIiiEEZZNS1_29radix_sort_onesweep_iterationIS3_Lb1EN6thrust23THRUST_200600_302600_NS6detail15normal_iteratorINS8_10device_ptrIiEEEESD_SD_SD_jNS0_19identity_decomposerENS1_16block_id_wrapperIjLb0EEEEE10hipError_tT1_PNSt15iterator_traitsISI_E10value_typeET2_T3_PNSJ_ISO_E10value_typeET4_T5_PST_SU_PNS1_23onesweep_lookback_stateEbbT6_jjT7_P12ihipStream_tbENKUlT_T0_SI_SN_E_clIPiSD_S15_SD_EEDaS11_S12_SI_SN_EUlS11_E_NS1_11comp_targetILNS1_3genE3ELNS1_11target_archE908ELNS1_3gpuE7ELNS1_3repE0EEENS1_47radix_sort_onesweep_sort_config_static_selectorELNS0_4arch9wavefront6targetE1EEEvSI_.num_agpr, 0
	.set _ZN7rocprim17ROCPRIM_400000_NS6detail17trampoline_kernelINS0_14default_configENS1_35radix_sort_onesweep_config_selectorIiiEEZZNS1_29radix_sort_onesweep_iterationIS3_Lb1EN6thrust23THRUST_200600_302600_NS6detail15normal_iteratorINS8_10device_ptrIiEEEESD_SD_SD_jNS0_19identity_decomposerENS1_16block_id_wrapperIjLb0EEEEE10hipError_tT1_PNSt15iterator_traitsISI_E10value_typeET2_T3_PNSJ_ISO_E10value_typeET4_T5_PST_SU_PNS1_23onesweep_lookback_stateEbbT6_jjT7_P12ihipStream_tbENKUlT_T0_SI_SN_E_clIPiSD_S15_SD_EEDaS11_S12_SI_SN_EUlS11_E_NS1_11comp_targetILNS1_3genE3ELNS1_11target_archE908ELNS1_3gpuE7ELNS1_3repE0EEENS1_47radix_sort_onesweep_sort_config_static_selectorELNS0_4arch9wavefront6targetE1EEEvSI_.numbered_sgpr, 0
	.set _ZN7rocprim17ROCPRIM_400000_NS6detail17trampoline_kernelINS0_14default_configENS1_35radix_sort_onesweep_config_selectorIiiEEZZNS1_29radix_sort_onesweep_iterationIS3_Lb1EN6thrust23THRUST_200600_302600_NS6detail15normal_iteratorINS8_10device_ptrIiEEEESD_SD_SD_jNS0_19identity_decomposerENS1_16block_id_wrapperIjLb0EEEEE10hipError_tT1_PNSt15iterator_traitsISI_E10value_typeET2_T3_PNSJ_ISO_E10value_typeET4_T5_PST_SU_PNS1_23onesweep_lookback_stateEbbT6_jjT7_P12ihipStream_tbENKUlT_T0_SI_SN_E_clIPiSD_S15_SD_EEDaS11_S12_SI_SN_EUlS11_E_NS1_11comp_targetILNS1_3genE3ELNS1_11target_archE908ELNS1_3gpuE7ELNS1_3repE0EEENS1_47radix_sort_onesweep_sort_config_static_selectorELNS0_4arch9wavefront6targetE1EEEvSI_.num_named_barrier, 0
	.set _ZN7rocprim17ROCPRIM_400000_NS6detail17trampoline_kernelINS0_14default_configENS1_35radix_sort_onesweep_config_selectorIiiEEZZNS1_29radix_sort_onesweep_iterationIS3_Lb1EN6thrust23THRUST_200600_302600_NS6detail15normal_iteratorINS8_10device_ptrIiEEEESD_SD_SD_jNS0_19identity_decomposerENS1_16block_id_wrapperIjLb0EEEEE10hipError_tT1_PNSt15iterator_traitsISI_E10value_typeET2_T3_PNSJ_ISO_E10value_typeET4_T5_PST_SU_PNS1_23onesweep_lookback_stateEbbT6_jjT7_P12ihipStream_tbENKUlT_T0_SI_SN_E_clIPiSD_S15_SD_EEDaS11_S12_SI_SN_EUlS11_E_NS1_11comp_targetILNS1_3genE3ELNS1_11target_archE908ELNS1_3gpuE7ELNS1_3repE0EEENS1_47radix_sort_onesweep_sort_config_static_selectorELNS0_4arch9wavefront6targetE1EEEvSI_.private_seg_size, 0
	.set _ZN7rocprim17ROCPRIM_400000_NS6detail17trampoline_kernelINS0_14default_configENS1_35radix_sort_onesweep_config_selectorIiiEEZZNS1_29radix_sort_onesweep_iterationIS3_Lb1EN6thrust23THRUST_200600_302600_NS6detail15normal_iteratorINS8_10device_ptrIiEEEESD_SD_SD_jNS0_19identity_decomposerENS1_16block_id_wrapperIjLb0EEEEE10hipError_tT1_PNSt15iterator_traitsISI_E10value_typeET2_T3_PNSJ_ISO_E10value_typeET4_T5_PST_SU_PNS1_23onesweep_lookback_stateEbbT6_jjT7_P12ihipStream_tbENKUlT_T0_SI_SN_E_clIPiSD_S15_SD_EEDaS11_S12_SI_SN_EUlS11_E_NS1_11comp_targetILNS1_3genE3ELNS1_11target_archE908ELNS1_3gpuE7ELNS1_3repE0EEENS1_47radix_sort_onesweep_sort_config_static_selectorELNS0_4arch9wavefront6targetE1EEEvSI_.uses_vcc, 0
	.set _ZN7rocprim17ROCPRIM_400000_NS6detail17trampoline_kernelINS0_14default_configENS1_35radix_sort_onesweep_config_selectorIiiEEZZNS1_29radix_sort_onesweep_iterationIS3_Lb1EN6thrust23THRUST_200600_302600_NS6detail15normal_iteratorINS8_10device_ptrIiEEEESD_SD_SD_jNS0_19identity_decomposerENS1_16block_id_wrapperIjLb0EEEEE10hipError_tT1_PNSt15iterator_traitsISI_E10value_typeET2_T3_PNSJ_ISO_E10value_typeET4_T5_PST_SU_PNS1_23onesweep_lookback_stateEbbT6_jjT7_P12ihipStream_tbENKUlT_T0_SI_SN_E_clIPiSD_S15_SD_EEDaS11_S12_SI_SN_EUlS11_E_NS1_11comp_targetILNS1_3genE3ELNS1_11target_archE908ELNS1_3gpuE7ELNS1_3repE0EEENS1_47radix_sort_onesweep_sort_config_static_selectorELNS0_4arch9wavefront6targetE1EEEvSI_.uses_flat_scratch, 0
	.set _ZN7rocprim17ROCPRIM_400000_NS6detail17trampoline_kernelINS0_14default_configENS1_35radix_sort_onesweep_config_selectorIiiEEZZNS1_29radix_sort_onesweep_iterationIS3_Lb1EN6thrust23THRUST_200600_302600_NS6detail15normal_iteratorINS8_10device_ptrIiEEEESD_SD_SD_jNS0_19identity_decomposerENS1_16block_id_wrapperIjLb0EEEEE10hipError_tT1_PNSt15iterator_traitsISI_E10value_typeET2_T3_PNSJ_ISO_E10value_typeET4_T5_PST_SU_PNS1_23onesweep_lookback_stateEbbT6_jjT7_P12ihipStream_tbENKUlT_T0_SI_SN_E_clIPiSD_S15_SD_EEDaS11_S12_SI_SN_EUlS11_E_NS1_11comp_targetILNS1_3genE3ELNS1_11target_archE908ELNS1_3gpuE7ELNS1_3repE0EEENS1_47radix_sort_onesweep_sort_config_static_selectorELNS0_4arch9wavefront6targetE1EEEvSI_.has_dyn_sized_stack, 0
	.set _ZN7rocprim17ROCPRIM_400000_NS6detail17trampoline_kernelINS0_14default_configENS1_35radix_sort_onesweep_config_selectorIiiEEZZNS1_29radix_sort_onesweep_iterationIS3_Lb1EN6thrust23THRUST_200600_302600_NS6detail15normal_iteratorINS8_10device_ptrIiEEEESD_SD_SD_jNS0_19identity_decomposerENS1_16block_id_wrapperIjLb0EEEEE10hipError_tT1_PNSt15iterator_traitsISI_E10value_typeET2_T3_PNSJ_ISO_E10value_typeET4_T5_PST_SU_PNS1_23onesweep_lookback_stateEbbT6_jjT7_P12ihipStream_tbENKUlT_T0_SI_SN_E_clIPiSD_S15_SD_EEDaS11_S12_SI_SN_EUlS11_E_NS1_11comp_targetILNS1_3genE3ELNS1_11target_archE908ELNS1_3gpuE7ELNS1_3repE0EEENS1_47radix_sort_onesweep_sort_config_static_selectorELNS0_4arch9wavefront6targetE1EEEvSI_.has_recursion, 0
	.set _ZN7rocprim17ROCPRIM_400000_NS6detail17trampoline_kernelINS0_14default_configENS1_35radix_sort_onesweep_config_selectorIiiEEZZNS1_29radix_sort_onesweep_iterationIS3_Lb1EN6thrust23THRUST_200600_302600_NS6detail15normal_iteratorINS8_10device_ptrIiEEEESD_SD_SD_jNS0_19identity_decomposerENS1_16block_id_wrapperIjLb0EEEEE10hipError_tT1_PNSt15iterator_traitsISI_E10value_typeET2_T3_PNSJ_ISO_E10value_typeET4_T5_PST_SU_PNS1_23onesweep_lookback_stateEbbT6_jjT7_P12ihipStream_tbENKUlT_T0_SI_SN_E_clIPiSD_S15_SD_EEDaS11_S12_SI_SN_EUlS11_E_NS1_11comp_targetILNS1_3genE3ELNS1_11target_archE908ELNS1_3gpuE7ELNS1_3repE0EEENS1_47radix_sort_onesweep_sort_config_static_selectorELNS0_4arch9wavefront6targetE1EEEvSI_.has_indirect_call, 0
	.section	.AMDGPU.csdata,"",@progbits
; Kernel info:
; codeLenInByte = 0
; TotalNumSgprs: 6
; NumVgprs: 0
; NumAgprs: 0
; TotalNumVgprs: 0
; ScratchSize: 0
; MemoryBound: 0
; FloatMode: 240
; IeeeMode: 1
; LDSByteSize: 0 bytes/workgroup (compile time only)
; SGPRBlocks: 0
; VGPRBlocks: 0
; NumSGPRsForWavesPerEU: 6
; NumVGPRsForWavesPerEU: 1
; AccumOffset: 4
; Occupancy: 8
; WaveLimiterHint : 0
; COMPUTE_PGM_RSRC2:SCRATCH_EN: 0
; COMPUTE_PGM_RSRC2:USER_SGPR: 2
; COMPUTE_PGM_RSRC2:TRAP_HANDLER: 0
; COMPUTE_PGM_RSRC2:TGID_X_EN: 1
; COMPUTE_PGM_RSRC2:TGID_Y_EN: 0
; COMPUTE_PGM_RSRC2:TGID_Z_EN: 0
; COMPUTE_PGM_RSRC2:TIDIG_COMP_CNT: 0
; COMPUTE_PGM_RSRC3_GFX90A:ACCUM_OFFSET: 0
; COMPUTE_PGM_RSRC3_GFX90A:TG_SPLIT: 0
	.section	.text._ZN7rocprim17ROCPRIM_400000_NS6detail17trampoline_kernelINS0_14default_configENS1_35radix_sort_onesweep_config_selectorIiiEEZZNS1_29radix_sort_onesweep_iterationIS3_Lb1EN6thrust23THRUST_200600_302600_NS6detail15normal_iteratorINS8_10device_ptrIiEEEESD_SD_SD_jNS0_19identity_decomposerENS1_16block_id_wrapperIjLb0EEEEE10hipError_tT1_PNSt15iterator_traitsISI_E10value_typeET2_T3_PNSJ_ISO_E10value_typeET4_T5_PST_SU_PNS1_23onesweep_lookback_stateEbbT6_jjT7_P12ihipStream_tbENKUlT_T0_SI_SN_E_clIPiSD_S15_SD_EEDaS11_S12_SI_SN_EUlS11_E_NS1_11comp_targetILNS1_3genE10ELNS1_11target_archE1201ELNS1_3gpuE5ELNS1_3repE0EEENS1_47radix_sort_onesweep_sort_config_static_selectorELNS0_4arch9wavefront6targetE1EEEvSI_,"axG",@progbits,_ZN7rocprim17ROCPRIM_400000_NS6detail17trampoline_kernelINS0_14default_configENS1_35radix_sort_onesweep_config_selectorIiiEEZZNS1_29radix_sort_onesweep_iterationIS3_Lb1EN6thrust23THRUST_200600_302600_NS6detail15normal_iteratorINS8_10device_ptrIiEEEESD_SD_SD_jNS0_19identity_decomposerENS1_16block_id_wrapperIjLb0EEEEE10hipError_tT1_PNSt15iterator_traitsISI_E10value_typeET2_T3_PNSJ_ISO_E10value_typeET4_T5_PST_SU_PNS1_23onesweep_lookback_stateEbbT6_jjT7_P12ihipStream_tbENKUlT_T0_SI_SN_E_clIPiSD_S15_SD_EEDaS11_S12_SI_SN_EUlS11_E_NS1_11comp_targetILNS1_3genE10ELNS1_11target_archE1201ELNS1_3gpuE5ELNS1_3repE0EEENS1_47radix_sort_onesweep_sort_config_static_selectorELNS0_4arch9wavefront6targetE1EEEvSI_,comdat
	.protected	_ZN7rocprim17ROCPRIM_400000_NS6detail17trampoline_kernelINS0_14default_configENS1_35radix_sort_onesweep_config_selectorIiiEEZZNS1_29radix_sort_onesweep_iterationIS3_Lb1EN6thrust23THRUST_200600_302600_NS6detail15normal_iteratorINS8_10device_ptrIiEEEESD_SD_SD_jNS0_19identity_decomposerENS1_16block_id_wrapperIjLb0EEEEE10hipError_tT1_PNSt15iterator_traitsISI_E10value_typeET2_T3_PNSJ_ISO_E10value_typeET4_T5_PST_SU_PNS1_23onesweep_lookback_stateEbbT6_jjT7_P12ihipStream_tbENKUlT_T0_SI_SN_E_clIPiSD_S15_SD_EEDaS11_S12_SI_SN_EUlS11_E_NS1_11comp_targetILNS1_3genE10ELNS1_11target_archE1201ELNS1_3gpuE5ELNS1_3repE0EEENS1_47radix_sort_onesweep_sort_config_static_selectorELNS0_4arch9wavefront6targetE1EEEvSI_ ; -- Begin function _ZN7rocprim17ROCPRIM_400000_NS6detail17trampoline_kernelINS0_14default_configENS1_35radix_sort_onesweep_config_selectorIiiEEZZNS1_29radix_sort_onesweep_iterationIS3_Lb1EN6thrust23THRUST_200600_302600_NS6detail15normal_iteratorINS8_10device_ptrIiEEEESD_SD_SD_jNS0_19identity_decomposerENS1_16block_id_wrapperIjLb0EEEEE10hipError_tT1_PNSt15iterator_traitsISI_E10value_typeET2_T3_PNSJ_ISO_E10value_typeET4_T5_PST_SU_PNS1_23onesweep_lookback_stateEbbT6_jjT7_P12ihipStream_tbENKUlT_T0_SI_SN_E_clIPiSD_S15_SD_EEDaS11_S12_SI_SN_EUlS11_E_NS1_11comp_targetILNS1_3genE10ELNS1_11target_archE1201ELNS1_3gpuE5ELNS1_3repE0EEENS1_47radix_sort_onesweep_sort_config_static_selectorELNS0_4arch9wavefront6targetE1EEEvSI_
	.globl	_ZN7rocprim17ROCPRIM_400000_NS6detail17trampoline_kernelINS0_14default_configENS1_35radix_sort_onesweep_config_selectorIiiEEZZNS1_29radix_sort_onesweep_iterationIS3_Lb1EN6thrust23THRUST_200600_302600_NS6detail15normal_iteratorINS8_10device_ptrIiEEEESD_SD_SD_jNS0_19identity_decomposerENS1_16block_id_wrapperIjLb0EEEEE10hipError_tT1_PNSt15iterator_traitsISI_E10value_typeET2_T3_PNSJ_ISO_E10value_typeET4_T5_PST_SU_PNS1_23onesweep_lookback_stateEbbT6_jjT7_P12ihipStream_tbENKUlT_T0_SI_SN_E_clIPiSD_S15_SD_EEDaS11_S12_SI_SN_EUlS11_E_NS1_11comp_targetILNS1_3genE10ELNS1_11target_archE1201ELNS1_3gpuE5ELNS1_3repE0EEENS1_47radix_sort_onesweep_sort_config_static_selectorELNS0_4arch9wavefront6targetE1EEEvSI_
	.p2align	8
	.type	_ZN7rocprim17ROCPRIM_400000_NS6detail17trampoline_kernelINS0_14default_configENS1_35radix_sort_onesweep_config_selectorIiiEEZZNS1_29radix_sort_onesweep_iterationIS3_Lb1EN6thrust23THRUST_200600_302600_NS6detail15normal_iteratorINS8_10device_ptrIiEEEESD_SD_SD_jNS0_19identity_decomposerENS1_16block_id_wrapperIjLb0EEEEE10hipError_tT1_PNSt15iterator_traitsISI_E10value_typeET2_T3_PNSJ_ISO_E10value_typeET4_T5_PST_SU_PNS1_23onesweep_lookback_stateEbbT6_jjT7_P12ihipStream_tbENKUlT_T0_SI_SN_E_clIPiSD_S15_SD_EEDaS11_S12_SI_SN_EUlS11_E_NS1_11comp_targetILNS1_3genE10ELNS1_11target_archE1201ELNS1_3gpuE5ELNS1_3repE0EEENS1_47radix_sort_onesweep_sort_config_static_selectorELNS0_4arch9wavefront6targetE1EEEvSI_,@function
_ZN7rocprim17ROCPRIM_400000_NS6detail17trampoline_kernelINS0_14default_configENS1_35radix_sort_onesweep_config_selectorIiiEEZZNS1_29radix_sort_onesweep_iterationIS3_Lb1EN6thrust23THRUST_200600_302600_NS6detail15normal_iteratorINS8_10device_ptrIiEEEESD_SD_SD_jNS0_19identity_decomposerENS1_16block_id_wrapperIjLb0EEEEE10hipError_tT1_PNSt15iterator_traitsISI_E10value_typeET2_T3_PNSJ_ISO_E10value_typeET4_T5_PST_SU_PNS1_23onesweep_lookback_stateEbbT6_jjT7_P12ihipStream_tbENKUlT_T0_SI_SN_E_clIPiSD_S15_SD_EEDaS11_S12_SI_SN_EUlS11_E_NS1_11comp_targetILNS1_3genE10ELNS1_11target_archE1201ELNS1_3gpuE5ELNS1_3repE0EEENS1_47radix_sort_onesweep_sort_config_static_selectorELNS0_4arch9wavefront6targetE1EEEvSI_: ; @_ZN7rocprim17ROCPRIM_400000_NS6detail17trampoline_kernelINS0_14default_configENS1_35radix_sort_onesweep_config_selectorIiiEEZZNS1_29radix_sort_onesweep_iterationIS3_Lb1EN6thrust23THRUST_200600_302600_NS6detail15normal_iteratorINS8_10device_ptrIiEEEESD_SD_SD_jNS0_19identity_decomposerENS1_16block_id_wrapperIjLb0EEEEE10hipError_tT1_PNSt15iterator_traitsISI_E10value_typeET2_T3_PNSJ_ISO_E10value_typeET4_T5_PST_SU_PNS1_23onesweep_lookback_stateEbbT6_jjT7_P12ihipStream_tbENKUlT_T0_SI_SN_E_clIPiSD_S15_SD_EEDaS11_S12_SI_SN_EUlS11_E_NS1_11comp_targetILNS1_3genE10ELNS1_11target_archE1201ELNS1_3gpuE5ELNS1_3repE0EEENS1_47radix_sort_onesweep_sort_config_static_selectorELNS0_4arch9wavefront6targetE1EEEvSI_
; %bb.0:
	.section	.rodata,"a",@progbits
	.p2align	6, 0x0
	.amdhsa_kernel _ZN7rocprim17ROCPRIM_400000_NS6detail17trampoline_kernelINS0_14default_configENS1_35radix_sort_onesweep_config_selectorIiiEEZZNS1_29radix_sort_onesweep_iterationIS3_Lb1EN6thrust23THRUST_200600_302600_NS6detail15normal_iteratorINS8_10device_ptrIiEEEESD_SD_SD_jNS0_19identity_decomposerENS1_16block_id_wrapperIjLb0EEEEE10hipError_tT1_PNSt15iterator_traitsISI_E10value_typeET2_T3_PNSJ_ISO_E10value_typeET4_T5_PST_SU_PNS1_23onesweep_lookback_stateEbbT6_jjT7_P12ihipStream_tbENKUlT_T0_SI_SN_E_clIPiSD_S15_SD_EEDaS11_S12_SI_SN_EUlS11_E_NS1_11comp_targetILNS1_3genE10ELNS1_11target_archE1201ELNS1_3gpuE5ELNS1_3repE0EEENS1_47radix_sort_onesweep_sort_config_static_selectorELNS0_4arch9wavefront6targetE1EEEvSI_
		.amdhsa_group_segment_fixed_size 0
		.amdhsa_private_segment_fixed_size 0
		.amdhsa_kernarg_size 88
		.amdhsa_user_sgpr_count 2
		.amdhsa_user_sgpr_dispatch_ptr 0
		.amdhsa_user_sgpr_queue_ptr 0
		.amdhsa_user_sgpr_kernarg_segment_ptr 1
		.amdhsa_user_sgpr_dispatch_id 0
		.amdhsa_user_sgpr_kernarg_preload_length 0
		.amdhsa_user_sgpr_kernarg_preload_offset 0
		.amdhsa_user_sgpr_private_segment_size 0
		.amdhsa_uses_dynamic_stack 0
		.amdhsa_enable_private_segment 0
		.amdhsa_system_sgpr_workgroup_id_x 1
		.amdhsa_system_sgpr_workgroup_id_y 0
		.amdhsa_system_sgpr_workgroup_id_z 0
		.amdhsa_system_sgpr_workgroup_info 0
		.amdhsa_system_vgpr_workitem_id 0
		.amdhsa_next_free_vgpr 1
		.amdhsa_next_free_sgpr 0
		.amdhsa_accum_offset 4
		.amdhsa_reserve_vcc 0
		.amdhsa_float_round_mode_32 0
		.amdhsa_float_round_mode_16_64 0
		.amdhsa_float_denorm_mode_32 3
		.amdhsa_float_denorm_mode_16_64 3
		.amdhsa_dx10_clamp 1
		.amdhsa_ieee_mode 1
		.amdhsa_fp16_overflow 0
		.amdhsa_tg_split 0
		.amdhsa_exception_fp_ieee_invalid_op 0
		.amdhsa_exception_fp_denorm_src 0
		.amdhsa_exception_fp_ieee_div_zero 0
		.amdhsa_exception_fp_ieee_overflow 0
		.amdhsa_exception_fp_ieee_underflow 0
		.amdhsa_exception_fp_ieee_inexact 0
		.amdhsa_exception_int_div_zero 0
	.end_amdhsa_kernel
	.section	.text._ZN7rocprim17ROCPRIM_400000_NS6detail17trampoline_kernelINS0_14default_configENS1_35radix_sort_onesweep_config_selectorIiiEEZZNS1_29radix_sort_onesweep_iterationIS3_Lb1EN6thrust23THRUST_200600_302600_NS6detail15normal_iteratorINS8_10device_ptrIiEEEESD_SD_SD_jNS0_19identity_decomposerENS1_16block_id_wrapperIjLb0EEEEE10hipError_tT1_PNSt15iterator_traitsISI_E10value_typeET2_T3_PNSJ_ISO_E10value_typeET4_T5_PST_SU_PNS1_23onesweep_lookback_stateEbbT6_jjT7_P12ihipStream_tbENKUlT_T0_SI_SN_E_clIPiSD_S15_SD_EEDaS11_S12_SI_SN_EUlS11_E_NS1_11comp_targetILNS1_3genE10ELNS1_11target_archE1201ELNS1_3gpuE5ELNS1_3repE0EEENS1_47radix_sort_onesweep_sort_config_static_selectorELNS0_4arch9wavefront6targetE1EEEvSI_,"axG",@progbits,_ZN7rocprim17ROCPRIM_400000_NS6detail17trampoline_kernelINS0_14default_configENS1_35radix_sort_onesweep_config_selectorIiiEEZZNS1_29radix_sort_onesweep_iterationIS3_Lb1EN6thrust23THRUST_200600_302600_NS6detail15normal_iteratorINS8_10device_ptrIiEEEESD_SD_SD_jNS0_19identity_decomposerENS1_16block_id_wrapperIjLb0EEEEE10hipError_tT1_PNSt15iterator_traitsISI_E10value_typeET2_T3_PNSJ_ISO_E10value_typeET4_T5_PST_SU_PNS1_23onesweep_lookback_stateEbbT6_jjT7_P12ihipStream_tbENKUlT_T0_SI_SN_E_clIPiSD_S15_SD_EEDaS11_S12_SI_SN_EUlS11_E_NS1_11comp_targetILNS1_3genE10ELNS1_11target_archE1201ELNS1_3gpuE5ELNS1_3repE0EEENS1_47radix_sort_onesweep_sort_config_static_selectorELNS0_4arch9wavefront6targetE1EEEvSI_,comdat
.Lfunc_end1050:
	.size	_ZN7rocprim17ROCPRIM_400000_NS6detail17trampoline_kernelINS0_14default_configENS1_35radix_sort_onesweep_config_selectorIiiEEZZNS1_29radix_sort_onesweep_iterationIS3_Lb1EN6thrust23THRUST_200600_302600_NS6detail15normal_iteratorINS8_10device_ptrIiEEEESD_SD_SD_jNS0_19identity_decomposerENS1_16block_id_wrapperIjLb0EEEEE10hipError_tT1_PNSt15iterator_traitsISI_E10value_typeET2_T3_PNSJ_ISO_E10value_typeET4_T5_PST_SU_PNS1_23onesweep_lookback_stateEbbT6_jjT7_P12ihipStream_tbENKUlT_T0_SI_SN_E_clIPiSD_S15_SD_EEDaS11_S12_SI_SN_EUlS11_E_NS1_11comp_targetILNS1_3genE10ELNS1_11target_archE1201ELNS1_3gpuE5ELNS1_3repE0EEENS1_47radix_sort_onesweep_sort_config_static_selectorELNS0_4arch9wavefront6targetE1EEEvSI_, .Lfunc_end1050-_ZN7rocprim17ROCPRIM_400000_NS6detail17trampoline_kernelINS0_14default_configENS1_35radix_sort_onesweep_config_selectorIiiEEZZNS1_29radix_sort_onesweep_iterationIS3_Lb1EN6thrust23THRUST_200600_302600_NS6detail15normal_iteratorINS8_10device_ptrIiEEEESD_SD_SD_jNS0_19identity_decomposerENS1_16block_id_wrapperIjLb0EEEEE10hipError_tT1_PNSt15iterator_traitsISI_E10value_typeET2_T3_PNSJ_ISO_E10value_typeET4_T5_PST_SU_PNS1_23onesweep_lookback_stateEbbT6_jjT7_P12ihipStream_tbENKUlT_T0_SI_SN_E_clIPiSD_S15_SD_EEDaS11_S12_SI_SN_EUlS11_E_NS1_11comp_targetILNS1_3genE10ELNS1_11target_archE1201ELNS1_3gpuE5ELNS1_3repE0EEENS1_47radix_sort_onesweep_sort_config_static_selectorELNS0_4arch9wavefront6targetE1EEEvSI_
                                        ; -- End function
	.set _ZN7rocprim17ROCPRIM_400000_NS6detail17trampoline_kernelINS0_14default_configENS1_35radix_sort_onesweep_config_selectorIiiEEZZNS1_29radix_sort_onesweep_iterationIS3_Lb1EN6thrust23THRUST_200600_302600_NS6detail15normal_iteratorINS8_10device_ptrIiEEEESD_SD_SD_jNS0_19identity_decomposerENS1_16block_id_wrapperIjLb0EEEEE10hipError_tT1_PNSt15iterator_traitsISI_E10value_typeET2_T3_PNSJ_ISO_E10value_typeET4_T5_PST_SU_PNS1_23onesweep_lookback_stateEbbT6_jjT7_P12ihipStream_tbENKUlT_T0_SI_SN_E_clIPiSD_S15_SD_EEDaS11_S12_SI_SN_EUlS11_E_NS1_11comp_targetILNS1_3genE10ELNS1_11target_archE1201ELNS1_3gpuE5ELNS1_3repE0EEENS1_47radix_sort_onesweep_sort_config_static_selectorELNS0_4arch9wavefront6targetE1EEEvSI_.num_vgpr, 0
	.set _ZN7rocprim17ROCPRIM_400000_NS6detail17trampoline_kernelINS0_14default_configENS1_35radix_sort_onesweep_config_selectorIiiEEZZNS1_29radix_sort_onesweep_iterationIS3_Lb1EN6thrust23THRUST_200600_302600_NS6detail15normal_iteratorINS8_10device_ptrIiEEEESD_SD_SD_jNS0_19identity_decomposerENS1_16block_id_wrapperIjLb0EEEEE10hipError_tT1_PNSt15iterator_traitsISI_E10value_typeET2_T3_PNSJ_ISO_E10value_typeET4_T5_PST_SU_PNS1_23onesweep_lookback_stateEbbT6_jjT7_P12ihipStream_tbENKUlT_T0_SI_SN_E_clIPiSD_S15_SD_EEDaS11_S12_SI_SN_EUlS11_E_NS1_11comp_targetILNS1_3genE10ELNS1_11target_archE1201ELNS1_3gpuE5ELNS1_3repE0EEENS1_47radix_sort_onesweep_sort_config_static_selectorELNS0_4arch9wavefront6targetE1EEEvSI_.num_agpr, 0
	.set _ZN7rocprim17ROCPRIM_400000_NS6detail17trampoline_kernelINS0_14default_configENS1_35radix_sort_onesweep_config_selectorIiiEEZZNS1_29radix_sort_onesweep_iterationIS3_Lb1EN6thrust23THRUST_200600_302600_NS6detail15normal_iteratorINS8_10device_ptrIiEEEESD_SD_SD_jNS0_19identity_decomposerENS1_16block_id_wrapperIjLb0EEEEE10hipError_tT1_PNSt15iterator_traitsISI_E10value_typeET2_T3_PNSJ_ISO_E10value_typeET4_T5_PST_SU_PNS1_23onesweep_lookback_stateEbbT6_jjT7_P12ihipStream_tbENKUlT_T0_SI_SN_E_clIPiSD_S15_SD_EEDaS11_S12_SI_SN_EUlS11_E_NS1_11comp_targetILNS1_3genE10ELNS1_11target_archE1201ELNS1_3gpuE5ELNS1_3repE0EEENS1_47radix_sort_onesweep_sort_config_static_selectorELNS0_4arch9wavefront6targetE1EEEvSI_.numbered_sgpr, 0
	.set _ZN7rocprim17ROCPRIM_400000_NS6detail17trampoline_kernelINS0_14default_configENS1_35radix_sort_onesweep_config_selectorIiiEEZZNS1_29radix_sort_onesweep_iterationIS3_Lb1EN6thrust23THRUST_200600_302600_NS6detail15normal_iteratorINS8_10device_ptrIiEEEESD_SD_SD_jNS0_19identity_decomposerENS1_16block_id_wrapperIjLb0EEEEE10hipError_tT1_PNSt15iterator_traitsISI_E10value_typeET2_T3_PNSJ_ISO_E10value_typeET4_T5_PST_SU_PNS1_23onesweep_lookback_stateEbbT6_jjT7_P12ihipStream_tbENKUlT_T0_SI_SN_E_clIPiSD_S15_SD_EEDaS11_S12_SI_SN_EUlS11_E_NS1_11comp_targetILNS1_3genE10ELNS1_11target_archE1201ELNS1_3gpuE5ELNS1_3repE0EEENS1_47radix_sort_onesweep_sort_config_static_selectorELNS0_4arch9wavefront6targetE1EEEvSI_.num_named_barrier, 0
	.set _ZN7rocprim17ROCPRIM_400000_NS6detail17trampoline_kernelINS0_14default_configENS1_35radix_sort_onesweep_config_selectorIiiEEZZNS1_29radix_sort_onesweep_iterationIS3_Lb1EN6thrust23THRUST_200600_302600_NS6detail15normal_iteratorINS8_10device_ptrIiEEEESD_SD_SD_jNS0_19identity_decomposerENS1_16block_id_wrapperIjLb0EEEEE10hipError_tT1_PNSt15iterator_traitsISI_E10value_typeET2_T3_PNSJ_ISO_E10value_typeET4_T5_PST_SU_PNS1_23onesweep_lookback_stateEbbT6_jjT7_P12ihipStream_tbENKUlT_T0_SI_SN_E_clIPiSD_S15_SD_EEDaS11_S12_SI_SN_EUlS11_E_NS1_11comp_targetILNS1_3genE10ELNS1_11target_archE1201ELNS1_3gpuE5ELNS1_3repE0EEENS1_47radix_sort_onesweep_sort_config_static_selectorELNS0_4arch9wavefront6targetE1EEEvSI_.private_seg_size, 0
	.set _ZN7rocprim17ROCPRIM_400000_NS6detail17trampoline_kernelINS0_14default_configENS1_35radix_sort_onesweep_config_selectorIiiEEZZNS1_29radix_sort_onesweep_iterationIS3_Lb1EN6thrust23THRUST_200600_302600_NS6detail15normal_iteratorINS8_10device_ptrIiEEEESD_SD_SD_jNS0_19identity_decomposerENS1_16block_id_wrapperIjLb0EEEEE10hipError_tT1_PNSt15iterator_traitsISI_E10value_typeET2_T3_PNSJ_ISO_E10value_typeET4_T5_PST_SU_PNS1_23onesweep_lookback_stateEbbT6_jjT7_P12ihipStream_tbENKUlT_T0_SI_SN_E_clIPiSD_S15_SD_EEDaS11_S12_SI_SN_EUlS11_E_NS1_11comp_targetILNS1_3genE10ELNS1_11target_archE1201ELNS1_3gpuE5ELNS1_3repE0EEENS1_47radix_sort_onesweep_sort_config_static_selectorELNS0_4arch9wavefront6targetE1EEEvSI_.uses_vcc, 0
	.set _ZN7rocprim17ROCPRIM_400000_NS6detail17trampoline_kernelINS0_14default_configENS1_35radix_sort_onesweep_config_selectorIiiEEZZNS1_29radix_sort_onesweep_iterationIS3_Lb1EN6thrust23THRUST_200600_302600_NS6detail15normal_iteratorINS8_10device_ptrIiEEEESD_SD_SD_jNS0_19identity_decomposerENS1_16block_id_wrapperIjLb0EEEEE10hipError_tT1_PNSt15iterator_traitsISI_E10value_typeET2_T3_PNSJ_ISO_E10value_typeET4_T5_PST_SU_PNS1_23onesweep_lookback_stateEbbT6_jjT7_P12ihipStream_tbENKUlT_T0_SI_SN_E_clIPiSD_S15_SD_EEDaS11_S12_SI_SN_EUlS11_E_NS1_11comp_targetILNS1_3genE10ELNS1_11target_archE1201ELNS1_3gpuE5ELNS1_3repE0EEENS1_47radix_sort_onesweep_sort_config_static_selectorELNS0_4arch9wavefront6targetE1EEEvSI_.uses_flat_scratch, 0
	.set _ZN7rocprim17ROCPRIM_400000_NS6detail17trampoline_kernelINS0_14default_configENS1_35radix_sort_onesweep_config_selectorIiiEEZZNS1_29radix_sort_onesweep_iterationIS3_Lb1EN6thrust23THRUST_200600_302600_NS6detail15normal_iteratorINS8_10device_ptrIiEEEESD_SD_SD_jNS0_19identity_decomposerENS1_16block_id_wrapperIjLb0EEEEE10hipError_tT1_PNSt15iterator_traitsISI_E10value_typeET2_T3_PNSJ_ISO_E10value_typeET4_T5_PST_SU_PNS1_23onesweep_lookback_stateEbbT6_jjT7_P12ihipStream_tbENKUlT_T0_SI_SN_E_clIPiSD_S15_SD_EEDaS11_S12_SI_SN_EUlS11_E_NS1_11comp_targetILNS1_3genE10ELNS1_11target_archE1201ELNS1_3gpuE5ELNS1_3repE0EEENS1_47radix_sort_onesweep_sort_config_static_selectorELNS0_4arch9wavefront6targetE1EEEvSI_.has_dyn_sized_stack, 0
	.set _ZN7rocprim17ROCPRIM_400000_NS6detail17trampoline_kernelINS0_14default_configENS1_35radix_sort_onesweep_config_selectorIiiEEZZNS1_29radix_sort_onesweep_iterationIS3_Lb1EN6thrust23THRUST_200600_302600_NS6detail15normal_iteratorINS8_10device_ptrIiEEEESD_SD_SD_jNS0_19identity_decomposerENS1_16block_id_wrapperIjLb0EEEEE10hipError_tT1_PNSt15iterator_traitsISI_E10value_typeET2_T3_PNSJ_ISO_E10value_typeET4_T5_PST_SU_PNS1_23onesweep_lookback_stateEbbT6_jjT7_P12ihipStream_tbENKUlT_T0_SI_SN_E_clIPiSD_S15_SD_EEDaS11_S12_SI_SN_EUlS11_E_NS1_11comp_targetILNS1_3genE10ELNS1_11target_archE1201ELNS1_3gpuE5ELNS1_3repE0EEENS1_47radix_sort_onesweep_sort_config_static_selectorELNS0_4arch9wavefront6targetE1EEEvSI_.has_recursion, 0
	.set _ZN7rocprim17ROCPRIM_400000_NS6detail17trampoline_kernelINS0_14default_configENS1_35radix_sort_onesweep_config_selectorIiiEEZZNS1_29radix_sort_onesweep_iterationIS3_Lb1EN6thrust23THRUST_200600_302600_NS6detail15normal_iteratorINS8_10device_ptrIiEEEESD_SD_SD_jNS0_19identity_decomposerENS1_16block_id_wrapperIjLb0EEEEE10hipError_tT1_PNSt15iterator_traitsISI_E10value_typeET2_T3_PNSJ_ISO_E10value_typeET4_T5_PST_SU_PNS1_23onesweep_lookback_stateEbbT6_jjT7_P12ihipStream_tbENKUlT_T0_SI_SN_E_clIPiSD_S15_SD_EEDaS11_S12_SI_SN_EUlS11_E_NS1_11comp_targetILNS1_3genE10ELNS1_11target_archE1201ELNS1_3gpuE5ELNS1_3repE0EEENS1_47radix_sort_onesweep_sort_config_static_selectorELNS0_4arch9wavefront6targetE1EEEvSI_.has_indirect_call, 0
	.section	.AMDGPU.csdata,"",@progbits
; Kernel info:
; codeLenInByte = 0
; TotalNumSgprs: 6
; NumVgprs: 0
; NumAgprs: 0
; TotalNumVgprs: 0
; ScratchSize: 0
; MemoryBound: 0
; FloatMode: 240
; IeeeMode: 1
; LDSByteSize: 0 bytes/workgroup (compile time only)
; SGPRBlocks: 0
; VGPRBlocks: 0
; NumSGPRsForWavesPerEU: 6
; NumVGPRsForWavesPerEU: 1
; AccumOffset: 4
; Occupancy: 8
; WaveLimiterHint : 0
; COMPUTE_PGM_RSRC2:SCRATCH_EN: 0
; COMPUTE_PGM_RSRC2:USER_SGPR: 2
; COMPUTE_PGM_RSRC2:TRAP_HANDLER: 0
; COMPUTE_PGM_RSRC2:TGID_X_EN: 1
; COMPUTE_PGM_RSRC2:TGID_Y_EN: 0
; COMPUTE_PGM_RSRC2:TGID_Z_EN: 0
; COMPUTE_PGM_RSRC2:TIDIG_COMP_CNT: 0
; COMPUTE_PGM_RSRC3_GFX90A:ACCUM_OFFSET: 0
; COMPUTE_PGM_RSRC3_GFX90A:TG_SPLIT: 0
	.section	.text._ZN7rocprim17ROCPRIM_400000_NS6detail17trampoline_kernelINS0_14default_configENS1_35radix_sort_onesweep_config_selectorIiiEEZZNS1_29radix_sort_onesweep_iterationIS3_Lb1EN6thrust23THRUST_200600_302600_NS6detail15normal_iteratorINS8_10device_ptrIiEEEESD_SD_SD_jNS0_19identity_decomposerENS1_16block_id_wrapperIjLb0EEEEE10hipError_tT1_PNSt15iterator_traitsISI_E10value_typeET2_T3_PNSJ_ISO_E10value_typeET4_T5_PST_SU_PNS1_23onesweep_lookback_stateEbbT6_jjT7_P12ihipStream_tbENKUlT_T0_SI_SN_E_clIPiSD_S15_SD_EEDaS11_S12_SI_SN_EUlS11_E_NS1_11comp_targetILNS1_3genE9ELNS1_11target_archE1100ELNS1_3gpuE3ELNS1_3repE0EEENS1_47radix_sort_onesweep_sort_config_static_selectorELNS0_4arch9wavefront6targetE1EEEvSI_,"axG",@progbits,_ZN7rocprim17ROCPRIM_400000_NS6detail17trampoline_kernelINS0_14default_configENS1_35radix_sort_onesweep_config_selectorIiiEEZZNS1_29radix_sort_onesweep_iterationIS3_Lb1EN6thrust23THRUST_200600_302600_NS6detail15normal_iteratorINS8_10device_ptrIiEEEESD_SD_SD_jNS0_19identity_decomposerENS1_16block_id_wrapperIjLb0EEEEE10hipError_tT1_PNSt15iterator_traitsISI_E10value_typeET2_T3_PNSJ_ISO_E10value_typeET4_T5_PST_SU_PNS1_23onesweep_lookback_stateEbbT6_jjT7_P12ihipStream_tbENKUlT_T0_SI_SN_E_clIPiSD_S15_SD_EEDaS11_S12_SI_SN_EUlS11_E_NS1_11comp_targetILNS1_3genE9ELNS1_11target_archE1100ELNS1_3gpuE3ELNS1_3repE0EEENS1_47radix_sort_onesweep_sort_config_static_selectorELNS0_4arch9wavefront6targetE1EEEvSI_,comdat
	.protected	_ZN7rocprim17ROCPRIM_400000_NS6detail17trampoline_kernelINS0_14default_configENS1_35radix_sort_onesweep_config_selectorIiiEEZZNS1_29radix_sort_onesweep_iterationIS3_Lb1EN6thrust23THRUST_200600_302600_NS6detail15normal_iteratorINS8_10device_ptrIiEEEESD_SD_SD_jNS0_19identity_decomposerENS1_16block_id_wrapperIjLb0EEEEE10hipError_tT1_PNSt15iterator_traitsISI_E10value_typeET2_T3_PNSJ_ISO_E10value_typeET4_T5_PST_SU_PNS1_23onesweep_lookback_stateEbbT6_jjT7_P12ihipStream_tbENKUlT_T0_SI_SN_E_clIPiSD_S15_SD_EEDaS11_S12_SI_SN_EUlS11_E_NS1_11comp_targetILNS1_3genE9ELNS1_11target_archE1100ELNS1_3gpuE3ELNS1_3repE0EEENS1_47radix_sort_onesweep_sort_config_static_selectorELNS0_4arch9wavefront6targetE1EEEvSI_ ; -- Begin function _ZN7rocprim17ROCPRIM_400000_NS6detail17trampoline_kernelINS0_14default_configENS1_35radix_sort_onesweep_config_selectorIiiEEZZNS1_29radix_sort_onesweep_iterationIS3_Lb1EN6thrust23THRUST_200600_302600_NS6detail15normal_iteratorINS8_10device_ptrIiEEEESD_SD_SD_jNS0_19identity_decomposerENS1_16block_id_wrapperIjLb0EEEEE10hipError_tT1_PNSt15iterator_traitsISI_E10value_typeET2_T3_PNSJ_ISO_E10value_typeET4_T5_PST_SU_PNS1_23onesweep_lookback_stateEbbT6_jjT7_P12ihipStream_tbENKUlT_T0_SI_SN_E_clIPiSD_S15_SD_EEDaS11_S12_SI_SN_EUlS11_E_NS1_11comp_targetILNS1_3genE9ELNS1_11target_archE1100ELNS1_3gpuE3ELNS1_3repE0EEENS1_47radix_sort_onesweep_sort_config_static_selectorELNS0_4arch9wavefront6targetE1EEEvSI_
	.globl	_ZN7rocprim17ROCPRIM_400000_NS6detail17trampoline_kernelINS0_14default_configENS1_35radix_sort_onesweep_config_selectorIiiEEZZNS1_29radix_sort_onesweep_iterationIS3_Lb1EN6thrust23THRUST_200600_302600_NS6detail15normal_iteratorINS8_10device_ptrIiEEEESD_SD_SD_jNS0_19identity_decomposerENS1_16block_id_wrapperIjLb0EEEEE10hipError_tT1_PNSt15iterator_traitsISI_E10value_typeET2_T3_PNSJ_ISO_E10value_typeET4_T5_PST_SU_PNS1_23onesweep_lookback_stateEbbT6_jjT7_P12ihipStream_tbENKUlT_T0_SI_SN_E_clIPiSD_S15_SD_EEDaS11_S12_SI_SN_EUlS11_E_NS1_11comp_targetILNS1_3genE9ELNS1_11target_archE1100ELNS1_3gpuE3ELNS1_3repE0EEENS1_47radix_sort_onesweep_sort_config_static_selectorELNS0_4arch9wavefront6targetE1EEEvSI_
	.p2align	8
	.type	_ZN7rocprim17ROCPRIM_400000_NS6detail17trampoline_kernelINS0_14default_configENS1_35radix_sort_onesweep_config_selectorIiiEEZZNS1_29radix_sort_onesweep_iterationIS3_Lb1EN6thrust23THRUST_200600_302600_NS6detail15normal_iteratorINS8_10device_ptrIiEEEESD_SD_SD_jNS0_19identity_decomposerENS1_16block_id_wrapperIjLb0EEEEE10hipError_tT1_PNSt15iterator_traitsISI_E10value_typeET2_T3_PNSJ_ISO_E10value_typeET4_T5_PST_SU_PNS1_23onesweep_lookback_stateEbbT6_jjT7_P12ihipStream_tbENKUlT_T0_SI_SN_E_clIPiSD_S15_SD_EEDaS11_S12_SI_SN_EUlS11_E_NS1_11comp_targetILNS1_3genE9ELNS1_11target_archE1100ELNS1_3gpuE3ELNS1_3repE0EEENS1_47radix_sort_onesweep_sort_config_static_selectorELNS0_4arch9wavefront6targetE1EEEvSI_,@function
_ZN7rocprim17ROCPRIM_400000_NS6detail17trampoline_kernelINS0_14default_configENS1_35radix_sort_onesweep_config_selectorIiiEEZZNS1_29radix_sort_onesweep_iterationIS3_Lb1EN6thrust23THRUST_200600_302600_NS6detail15normal_iteratorINS8_10device_ptrIiEEEESD_SD_SD_jNS0_19identity_decomposerENS1_16block_id_wrapperIjLb0EEEEE10hipError_tT1_PNSt15iterator_traitsISI_E10value_typeET2_T3_PNSJ_ISO_E10value_typeET4_T5_PST_SU_PNS1_23onesweep_lookback_stateEbbT6_jjT7_P12ihipStream_tbENKUlT_T0_SI_SN_E_clIPiSD_S15_SD_EEDaS11_S12_SI_SN_EUlS11_E_NS1_11comp_targetILNS1_3genE9ELNS1_11target_archE1100ELNS1_3gpuE3ELNS1_3repE0EEENS1_47radix_sort_onesweep_sort_config_static_selectorELNS0_4arch9wavefront6targetE1EEEvSI_: ; @_ZN7rocprim17ROCPRIM_400000_NS6detail17trampoline_kernelINS0_14default_configENS1_35radix_sort_onesweep_config_selectorIiiEEZZNS1_29radix_sort_onesweep_iterationIS3_Lb1EN6thrust23THRUST_200600_302600_NS6detail15normal_iteratorINS8_10device_ptrIiEEEESD_SD_SD_jNS0_19identity_decomposerENS1_16block_id_wrapperIjLb0EEEEE10hipError_tT1_PNSt15iterator_traitsISI_E10value_typeET2_T3_PNSJ_ISO_E10value_typeET4_T5_PST_SU_PNS1_23onesweep_lookback_stateEbbT6_jjT7_P12ihipStream_tbENKUlT_T0_SI_SN_E_clIPiSD_S15_SD_EEDaS11_S12_SI_SN_EUlS11_E_NS1_11comp_targetILNS1_3genE9ELNS1_11target_archE1100ELNS1_3gpuE3ELNS1_3repE0EEENS1_47radix_sort_onesweep_sort_config_static_selectorELNS0_4arch9wavefront6targetE1EEEvSI_
; %bb.0:
	.section	.rodata,"a",@progbits
	.p2align	6, 0x0
	.amdhsa_kernel _ZN7rocprim17ROCPRIM_400000_NS6detail17trampoline_kernelINS0_14default_configENS1_35radix_sort_onesweep_config_selectorIiiEEZZNS1_29radix_sort_onesweep_iterationIS3_Lb1EN6thrust23THRUST_200600_302600_NS6detail15normal_iteratorINS8_10device_ptrIiEEEESD_SD_SD_jNS0_19identity_decomposerENS1_16block_id_wrapperIjLb0EEEEE10hipError_tT1_PNSt15iterator_traitsISI_E10value_typeET2_T3_PNSJ_ISO_E10value_typeET4_T5_PST_SU_PNS1_23onesweep_lookback_stateEbbT6_jjT7_P12ihipStream_tbENKUlT_T0_SI_SN_E_clIPiSD_S15_SD_EEDaS11_S12_SI_SN_EUlS11_E_NS1_11comp_targetILNS1_3genE9ELNS1_11target_archE1100ELNS1_3gpuE3ELNS1_3repE0EEENS1_47radix_sort_onesweep_sort_config_static_selectorELNS0_4arch9wavefront6targetE1EEEvSI_
		.amdhsa_group_segment_fixed_size 0
		.amdhsa_private_segment_fixed_size 0
		.amdhsa_kernarg_size 88
		.amdhsa_user_sgpr_count 2
		.amdhsa_user_sgpr_dispatch_ptr 0
		.amdhsa_user_sgpr_queue_ptr 0
		.amdhsa_user_sgpr_kernarg_segment_ptr 1
		.amdhsa_user_sgpr_dispatch_id 0
		.amdhsa_user_sgpr_kernarg_preload_length 0
		.amdhsa_user_sgpr_kernarg_preload_offset 0
		.amdhsa_user_sgpr_private_segment_size 0
		.amdhsa_uses_dynamic_stack 0
		.amdhsa_enable_private_segment 0
		.amdhsa_system_sgpr_workgroup_id_x 1
		.amdhsa_system_sgpr_workgroup_id_y 0
		.amdhsa_system_sgpr_workgroup_id_z 0
		.amdhsa_system_sgpr_workgroup_info 0
		.amdhsa_system_vgpr_workitem_id 0
		.amdhsa_next_free_vgpr 1
		.amdhsa_next_free_sgpr 0
		.amdhsa_accum_offset 4
		.amdhsa_reserve_vcc 0
		.amdhsa_float_round_mode_32 0
		.amdhsa_float_round_mode_16_64 0
		.amdhsa_float_denorm_mode_32 3
		.amdhsa_float_denorm_mode_16_64 3
		.amdhsa_dx10_clamp 1
		.amdhsa_ieee_mode 1
		.amdhsa_fp16_overflow 0
		.amdhsa_tg_split 0
		.amdhsa_exception_fp_ieee_invalid_op 0
		.amdhsa_exception_fp_denorm_src 0
		.amdhsa_exception_fp_ieee_div_zero 0
		.amdhsa_exception_fp_ieee_overflow 0
		.amdhsa_exception_fp_ieee_underflow 0
		.amdhsa_exception_fp_ieee_inexact 0
		.amdhsa_exception_int_div_zero 0
	.end_amdhsa_kernel
	.section	.text._ZN7rocprim17ROCPRIM_400000_NS6detail17trampoline_kernelINS0_14default_configENS1_35radix_sort_onesweep_config_selectorIiiEEZZNS1_29radix_sort_onesweep_iterationIS3_Lb1EN6thrust23THRUST_200600_302600_NS6detail15normal_iteratorINS8_10device_ptrIiEEEESD_SD_SD_jNS0_19identity_decomposerENS1_16block_id_wrapperIjLb0EEEEE10hipError_tT1_PNSt15iterator_traitsISI_E10value_typeET2_T3_PNSJ_ISO_E10value_typeET4_T5_PST_SU_PNS1_23onesweep_lookback_stateEbbT6_jjT7_P12ihipStream_tbENKUlT_T0_SI_SN_E_clIPiSD_S15_SD_EEDaS11_S12_SI_SN_EUlS11_E_NS1_11comp_targetILNS1_3genE9ELNS1_11target_archE1100ELNS1_3gpuE3ELNS1_3repE0EEENS1_47radix_sort_onesweep_sort_config_static_selectorELNS0_4arch9wavefront6targetE1EEEvSI_,"axG",@progbits,_ZN7rocprim17ROCPRIM_400000_NS6detail17trampoline_kernelINS0_14default_configENS1_35radix_sort_onesweep_config_selectorIiiEEZZNS1_29radix_sort_onesweep_iterationIS3_Lb1EN6thrust23THRUST_200600_302600_NS6detail15normal_iteratorINS8_10device_ptrIiEEEESD_SD_SD_jNS0_19identity_decomposerENS1_16block_id_wrapperIjLb0EEEEE10hipError_tT1_PNSt15iterator_traitsISI_E10value_typeET2_T3_PNSJ_ISO_E10value_typeET4_T5_PST_SU_PNS1_23onesweep_lookback_stateEbbT6_jjT7_P12ihipStream_tbENKUlT_T0_SI_SN_E_clIPiSD_S15_SD_EEDaS11_S12_SI_SN_EUlS11_E_NS1_11comp_targetILNS1_3genE9ELNS1_11target_archE1100ELNS1_3gpuE3ELNS1_3repE0EEENS1_47radix_sort_onesweep_sort_config_static_selectorELNS0_4arch9wavefront6targetE1EEEvSI_,comdat
.Lfunc_end1051:
	.size	_ZN7rocprim17ROCPRIM_400000_NS6detail17trampoline_kernelINS0_14default_configENS1_35radix_sort_onesweep_config_selectorIiiEEZZNS1_29radix_sort_onesweep_iterationIS3_Lb1EN6thrust23THRUST_200600_302600_NS6detail15normal_iteratorINS8_10device_ptrIiEEEESD_SD_SD_jNS0_19identity_decomposerENS1_16block_id_wrapperIjLb0EEEEE10hipError_tT1_PNSt15iterator_traitsISI_E10value_typeET2_T3_PNSJ_ISO_E10value_typeET4_T5_PST_SU_PNS1_23onesweep_lookback_stateEbbT6_jjT7_P12ihipStream_tbENKUlT_T0_SI_SN_E_clIPiSD_S15_SD_EEDaS11_S12_SI_SN_EUlS11_E_NS1_11comp_targetILNS1_3genE9ELNS1_11target_archE1100ELNS1_3gpuE3ELNS1_3repE0EEENS1_47radix_sort_onesweep_sort_config_static_selectorELNS0_4arch9wavefront6targetE1EEEvSI_, .Lfunc_end1051-_ZN7rocprim17ROCPRIM_400000_NS6detail17trampoline_kernelINS0_14default_configENS1_35radix_sort_onesweep_config_selectorIiiEEZZNS1_29radix_sort_onesweep_iterationIS3_Lb1EN6thrust23THRUST_200600_302600_NS6detail15normal_iteratorINS8_10device_ptrIiEEEESD_SD_SD_jNS0_19identity_decomposerENS1_16block_id_wrapperIjLb0EEEEE10hipError_tT1_PNSt15iterator_traitsISI_E10value_typeET2_T3_PNSJ_ISO_E10value_typeET4_T5_PST_SU_PNS1_23onesweep_lookback_stateEbbT6_jjT7_P12ihipStream_tbENKUlT_T0_SI_SN_E_clIPiSD_S15_SD_EEDaS11_S12_SI_SN_EUlS11_E_NS1_11comp_targetILNS1_3genE9ELNS1_11target_archE1100ELNS1_3gpuE3ELNS1_3repE0EEENS1_47radix_sort_onesweep_sort_config_static_selectorELNS0_4arch9wavefront6targetE1EEEvSI_
                                        ; -- End function
	.set _ZN7rocprim17ROCPRIM_400000_NS6detail17trampoline_kernelINS0_14default_configENS1_35radix_sort_onesweep_config_selectorIiiEEZZNS1_29radix_sort_onesweep_iterationIS3_Lb1EN6thrust23THRUST_200600_302600_NS6detail15normal_iteratorINS8_10device_ptrIiEEEESD_SD_SD_jNS0_19identity_decomposerENS1_16block_id_wrapperIjLb0EEEEE10hipError_tT1_PNSt15iterator_traitsISI_E10value_typeET2_T3_PNSJ_ISO_E10value_typeET4_T5_PST_SU_PNS1_23onesweep_lookback_stateEbbT6_jjT7_P12ihipStream_tbENKUlT_T0_SI_SN_E_clIPiSD_S15_SD_EEDaS11_S12_SI_SN_EUlS11_E_NS1_11comp_targetILNS1_3genE9ELNS1_11target_archE1100ELNS1_3gpuE3ELNS1_3repE0EEENS1_47radix_sort_onesweep_sort_config_static_selectorELNS0_4arch9wavefront6targetE1EEEvSI_.num_vgpr, 0
	.set _ZN7rocprim17ROCPRIM_400000_NS6detail17trampoline_kernelINS0_14default_configENS1_35radix_sort_onesweep_config_selectorIiiEEZZNS1_29radix_sort_onesweep_iterationIS3_Lb1EN6thrust23THRUST_200600_302600_NS6detail15normal_iteratorINS8_10device_ptrIiEEEESD_SD_SD_jNS0_19identity_decomposerENS1_16block_id_wrapperIjLb0EEEEE10hipError_tT1_PNSt15iterator_traitsISI_E10value_typeET2_T3_PNSJ_ISO_E10value_typeET4_T5_PST_SU_PNS1_23onesweep_lookback_stateEbbT6_jjT7_P12ihipStream_tbENKUlT_T0_SI_SN_E_clIPiSD_S15_SD_EEDaS11_S12_SI_SN_EUlS11_E_NS1_11comp_targetILNS1_3genE9ELNS1_11target_archE1100ELNS1_3gpuE3ELNS1_3repE0EEENS1_47radix_sort_onesweep_sort_config_static_selectorELNS0_4arch9wavefront6targetE1EEEvSI_.num_agpr, 0
	.set _ZN7rocprim17ROCPRIM_400000_NS6detail17trampoline_kernelINS0_14default_configENS1_35radix_sort_onesweep_config_selectorIiiEEZZNS1_29radix_sort_onesweep_iterationIS3_Lb1EN6thrust23THRUST_200600_302600_NS6detail15normal_iteratorINS8_10device_ptrIiEEEESD_SD_SD_jNS0_19identity_decomposerENS1_16block_id_wrapperIjLb0EEEEE10hipError_tT1_PNSt15iterator_traitsISI_E10value_typeET2_T3_PNSJ_ISO_E10value_typeET4_T5_PST_SU_PNS1_23onesweep_lookback_stateEbbT6_jjT7_P12ihipStream_tbENKUlT_T0_SI_SN_E_clIPiSD_S15_SD_EEDaS11_S12_SI_SN_EUlS11_E_NS1_11comp_targetILNS1_3genE9ELNS1_11target_archE1100ELNS1_3gpuE3ELNS1_3repE0EEENS1_47radix_sort_onesweep_sort_config_static_selectorELNS0_4arch9wavefront6targetE1EEEvSI_.numbered_sgpr, 0
	.set _ZN7rocprim17ROCPRIM_400000_NS6detail17trampoline_kernelINS0_14default_configENS1_35radix_sort_onesweep_config_selectorIiiEEZZNS1_29radix_sort_onesweep_iterationIS3_Lb1EN6thrust23THRUST_200600_302600_NS6detail15normal_iteratorINS8_10device_ptrIiEEEESD_SD_SD_jNS0_19identity_decomposerENS1_16block_id_wrapperIjLb0EEEEE10hipError_tT1_PNSt15iterator_traitsISI_E10value_typeET2_T3_PNSJ_ISO_E10value_typeET4_T5_PST_SU_PNS1_23onesweep_lookback_stateEbbT6_jjT7_P12ihipStream_tbENKUlT_T0_SI_SN_E_clIPiSD_S15_SD_EEDaS11_S12_SI_SN_EUlS11_E_NS1_11comp_targetILNS1_3genE9ELNS1_11target_archE1100ELNS1_3gpuE3ELNS1_3repE0EEENS1_47radix_sort_onesweep_sort_config_static_selectorELNS0_4arch9wavefront6targetE1EEEvSI_.num_named_barrier, 0
	.set _ZN7rocprim17ROCPRIM_400000_NS6detail17trampoline_kernelINS0_14default_configENS1_35radix_sort_onesweep_config_selectorIiiEEZZNS1_29radix_sort_onesweep_iterationIS3_Lb1EN6thrust23THRUST_200600_302600_NS6detail15normal_iteratorINS8_10device_ptrIiEEEESD_SD_SD_jNS0_19identity_decomposerENS1_16block_id_wrapperIjLb0EEEEE10hipError_tT1_PNSt15iterator_traitsISI_E10value_typeET2_T3_PNSJ_ISO_E10value_typeET4_T5_PST_SU_PNS1_23onesweep_lookback_stateEbbT6_jjT7_P12ihipStream_tbENKUlT_T0_SI_SN_E_clIPiSD_S15_SD_EEDaS11_S12_SI_SN_EUlS11_E_NS1_11comp_targetILNS1_3genE9ELNS1_11target_archE1100ELNS1_3gpuE3ELNS1_3repE0EEENS1_47radix_sort_onesweep_sort_config_static_selectorELNS0_4arch9wavefront6targetE1EEEvSI_.private_seg_size, 0
	.set _ZN7rocprim17ROCPRIM_400000_NS6detail17trampoline_kernelINS0_14default_configENS1_35radix_sort_onesweep_config_selectorIiiEEZZNS1_29radix_sort_onesweep_iterationIS3_Lb1EN6thrust23THRUST_200600_302600_NS6detail15normal_iteratorINS8_10device_ptrIiEEEESD_SD_SD_jNS0_19identity_decomposerENS1_16block_id_wrapperIjLb0EEEEE10hipError_tT1_PNSt15iterator_traitsISI_E10value_typeET2_T3_PNSJ_ISO_E10value_typeET4_T5_PST_SU_PNS1_23onesweep_lookback_stateEbbT6_jjT7_P12ihipStream_tbENKUlT_T0_SI_SN_E_clIPiSD_S15_SD_EEDaS11_S12_SI_SN_EUlS11_E_NS1_11comp_targetILNS1_3genE9ELNS1_11target_archE1100ELNS1_3gpuE3ELNS1_3repE0EEENS1_47radix_sort_onesweep_sort_config_static_selectorELNS0_4arch9wavefront6targetE1EEEvSI_.uses_vcc, 0
	.set _ZN7rocprim17ROCPRIM_400000_NS6detail17trampoline_kernelINS0_14default_configENS1_35radix_sort_onesweep_config_selectorIiiEEZZNS1_29radix_sort_onesweep_iterationIS3_Lb1EN6thrust23THRUST_200600_302600_NS6detail15normal_iteratorINS8_10device_ptrIiEEEESD_SD_SD_jNS0_19identity_decomposerENS1_16block_id_wrapperIjLb0EEEEE10hipError_tT1_PNSt15iterator_traitsISI_E10value_typeET2_T3_PNSJ_ISO_E10value_typeET4_T5_PST_SU_PNS1_23onesweep_lookback_stateEbbT6_jjT7_P12ihipStream_tbENKUlT_T0_SI_SN_E_clIPiSD_S15_SD_EEDaS11_S12_SI_SN_EUlS11_E_NS1_11comp_targetILNS1_3genE9ELNS1_11target_archE1100ELNS1_3gpuE3ELNS1_3repE0EEENS1_47radix_sort_onesweep_sort_config_static_selectorELNS0_4arch9wavefront6targetE1EEEvSI_.uses_flat_scratch, 0
	.set _ZN7rocprim17ROCPRIM_400000_NS6detail17trampoline_kernelINS0_14default_configENS1_35radix_sort_onesweep_config_selectorIiiEEZZNS1_29radix_sort_onesweep_iterationIS3_Lb1EN6thrust23THRUST_200600_302600_NS6detail15normal_iteratorINS8_10device_ptrIiEEEESD_SD_SD_jNS0_19identity_decomposerENS1_16block_id_wrapperIjLb0EEEEE10hipError_tT1_PNSt15iterator_traitsISI_E10value_typeET2_T3_PNSJ_ISO_E10value_typeET4_T5_PST_SU_PNS1_23onesweep_lookback_stateEbbT6_jjT7_P12ihipStream_tbENKUlT_T0_SI_SN_E_clIPiSD_S15_SD_EEDaS11_S12_SI_SN_EUlS11_E_NS1_11comp_targetILNS1_3genE9ELNS1_11target_archE1100ELNS1_3gpuE3ELNS1_3repE0EEENS1_47radix_sort_onesweep_sort_config_static_selectorELNS0_4arch9wavefront6targetE1EEEvSI_.has_dyn_sized_stack, 0
	.set _ZN7rocprim17ROCPRIM_400000_NS6detail17trampoline_kernelINS0_14default_configENS1_35radix_sort_onesweep_config_selectorIiiEEZZNS1_29radix_sort_onesweep_iterationIS3_Lb1EN6thrust23THRUST_200600_302600_NS6detail15normal_iteratorINS8_10device_ptrIiEEEESD_SD_SD_jNS0_19identity_decomposerENS1_16block_id_wrapperIjLb0EEEEE10hipError_tT1_PNSt15iterator_traitsISI_E10value_typeET2_T3_PNSJ_ISO_E10value_typeET4_T5_PST_SU_PNS1_23onesweep_lookback_stateEbbT6_jjT7_P12ihipStream_tbENKUlT_T0_SI_SN_E_clIPiSD_S15_SD_EEDaS11_S12_SI_SN_EUlS11_E_NS1_11comp_targetILNS1_3genE9ELNS1_11target_archE1100ELNS1_3gpuE3ELNS1_3repE0EEENS1_47radix_sort_onesweep_sort_config_static_selectorELNS0_4arch9wavefront6targetE1EEEvSI_.has_recursion, 0
	.set _ZN7rocprim17ROCPRIM_400000_NS6detail17trampoline_kernelINS0_14default_configENS1_35radix_sort_onesweep_config_selectorIiiEEZZNS1_29radix_sort_onesweep_iterationIS3_Lb1EN6thrust23THRUST_200600_302600_NS6detail15normal_iteratorINS8_10device_ptrIiEEEESD_SD_SD_jNS0_19identity_decomposerENS1_16block_id_wrapperIjLb0EEEEE10hipError_tT1_PNSt15iterator_traitsISI_E10value_typeET2_T3_PNSJ_ISO_E10value_typeET4_T5_PST_SU_PNS1_23onesweep_lookback_stateEbbT6_jjT7_P12ihipStream_tbENKUlT_T0_SI_SN_E_clIPiSD_S15_SD_EEDaS11_S12_SI_SN_EUlS11_E_NS1_11comp_targetILNS1_3genE9ELNS1_11target_archE1100ELNS1_3gpuE3ELNS1_3repE0EEENS1_47radix_sort_onesweep_sort_config_static_selectorELNS0_4arch9wavefront6targetE1EEEvSI_.has_indirect_call, 0
	.section	.AMDGPU.csdata,"",@progbits
; Kernel info:
; codeLenInByte = 0
; TotalNumSgprs: 6
; NumVgprs: 0
; NumAgprs: 0
; TotalNumVgprs: 0
; ScratchSize: 0
; MemoryBound: 0
; FloatMode: 240
; IeeeMode: 1
; LDSByteSize: 0 bytes/workgroup (compile time only)
; SGPRBlocks: 0
; VGPRBlocks: 0
; NumSGPRsForWavesPerEU: 6
; NumVGPRsForWavesPerEU: 1
; AccumOffset: 4
; Occupancy: 8
; WaveLimiterHint : 0
; COMPUTE_PGM_RSRC2:SCRATCH_EN: 0
; COMPUTE_PGM_RSRC2:USER_SGPR: 2
; COMPUTE_PGM_RSRC2:TRAP_HANDLER: 0
; COMPUTE_PGM_RSRC2:TGID_X_EN: 1
; COMPUTE_PGM_RSRC2:TGID_Y_EN: 0
; COMPUTE_PGM_RSRC2:TGID_Z_EN: 0
; COMPUTE_PGM_RSRC2:TIDIG_COMP_CNT: 0
; COMPUTE_PGM_RSRC3_GFX90A:ACCUM_OFFSET: 0
; COMPUTE_PGM_RSRC3_GFX90A:TG_SPLIT: 0
	.section	.text._ZN7rocprim17ROCPRIM_400000_NS6detail17trampoline_kernelINS0_14default_configENS1_35radix_sort_onesweep_config_selectorIiiEEZZNS1_29radix_sort_onesweep_iterationIS3_Lb1EN6thrust23THRUST_200600_302600_NS6detail15normal_iteratorINS8_10device_ptrIiEEEESD_SD_SD_jNS0_19identity_decomposerENS1_16block_id_wrapperIjLb0EEEEE10hipError_tT1_PNSt15iterator_traitsISI_E10value_typeET2_T3_PNSJ_ISO_E10value_typeET4_T5_PST_SU_PNS1_23onesweep_lookback_stateEbbT6_jjT7_P12ihipStream_tbENKUlT_T0_SI_SN_E_clIPiSD_S15_SD_EEDaS11_S12_SI_SN_EUlS11_E_NS1_11comp_targetILNS1_3genE8ELNS1_11target_archE1030ELNS1_3gpuE2ELNS1_3repE0EEENS1_47radix_sort_onesweep_sort_config_static_selectorELNS0_4arch9wavefront6targetE1EEEvSI_,"axG",@progbits,_ZN7rocprim17ROCPRIM_400000_NS6detail17trampoline_kernelINS0_14default_configENS1_35radix_sort_onesweep_config_selectorIiiEEZZNS1_29radix_sort_onesweep_iterationIS3_Lb1EN6thrust23THRUST_200600_302600_NS6detail15normal_iteratorINS8_10device_ptrIiEEEESD_SD_SD_jNS0_19identity_decomposerENS1_16block_id_wrapperIjLb0EEEEE10hipError_tT1_PNSt15iterator_traitsISI_E10value_typeET2_T3_PNSJ_ISO_E10value_typeET4_T5_PST_SU_PNS1_23onesweep_lookback_stateEbbT6_jjT7_P12ihipStream_tbENKUlT_T0_SI_SN_E_clIPiSD_S15_SD_EEDaS11_S12_SI_SN_EUlS11_E_NS1_11comp_targetILNS1_3genE8ELNS1_11target_archE1030ELNS1_3gpuE2ELNS1_3repE0EEENS1_47radix_sort_onesweep_sort_config_static_selectorELNS0_4arch9wavefront6targetE1EEEvSI_,comdat
	.protected	_ZN7rocprim17ROCPRIM_400000_NS6detail17trampoline_kernelINS0_14default_configENS1_35radix_sort_onesweep_config_selectorIiiEEZZNS1_29radix_sort_onesweep_iterationIS3_Lb1EN6thrust23THRUST_200600_302600_NS6detail15normal_iteratorINS8_10device_ptrIiEEEESD_SD_SD_jNS0_19identity_decomposerENS1_16block_id_wrapperIjLb0EEEEE10hipError_tT1_PNSt15iterator_traitsISI_E10value_typeET2_T3_PNSJ_ISO_E10value_typeET4_T5_PST_SU_PNS1_23onesweep_lookback_stateEbbT6_jjT7_P12ihipStream_tbENKUlT_T0_SI_SN_E_clIPiSD_S15_SD_EEDaS11_S12_SI_SN_EUlS11_E_NS1_11comp_targetILNS1_3genE8ELNS1_11target_archE1030ELNS1_3gpuE2ELNS1_3repE0EEENS1_47radix_sort_onesweep_sort_config_static_selectorELNS0_4arch9wavefront6targetE1EEEvSI_ ; -- Begin function _ZN7rocprim17ROCPRIM_400000_NS6detail17trampoline_kernelINS0_14default_configENS1_35radix_sort_onesweep_config_selectorIiiEEZZNS1_29radix_sort_onesweep_iterationIS3_Lb1EN6thrust23THRUST_200600_302600_NS6detail15normal_iteratorINS8_10device_ptrIiEEEESD_SD_SD_jNS0_19identity_decomposerENS1_16block_id_wrapperIjLb0EEEEE10hipError_tT1_PNSt15iterator_traitsISI_E10value_typeET2_T3_PNSJ_ISO_E10value_typeET4_T5_PST_SU_PNS1_23onesweep_lookback_stateEbbT6_jjT7_P12ihipStream_tbENKUlT_T0_SI_SN_E_clIPiSD_S15_SD_EEDaS11_S12_SI_SN_EUlS11_E_NS1_11comp_targetILNS1_3genE8ELNS1_11target_archE1030ELNS1_3gpuE2ELNS1_3repE0EEENS1_47radix_sort_onesweep_sort_config_static_selectorELNS0_4arch9wavefront6targetE1EEEvSI_
	.globl	_ZN7rocprim17ROCPRIM_400000_NS6detail17trampoline_kernelINS0_14default_configENS1_35radix_sort_onesweep_config_selectorIiiEEZZNS1_29radix_sort_onesweep_iterationIS3_Lb1EN6thrust23THRUST_200600_302600_NS6detail15normal_iteratorINS8_10device_ptrIiEEEESD_SD_SD_jNS0_19identity_decomposerENS1_16block_id_wrapperIjLb0EEEEE10hipError_tT1_PNSt15iterator_traitsISI_E10value_typeET2_T3_PNSJ_ISO_E10value_typeET4_T5_PST_SU_PNS1_23onesweep_lookback_stateEbbT6_jjT7_P12ihipStream_tbENKUlT_T0_SI_SN_E_clIPiSD_S15_SD_EEDaS11_S12_SI_SN_EUlS11_E_NS1_11comp_targetILNS1_3genE8ELNS1_11target_archE1030ELNS1_3gpuE2ELNS1_3repE0EEENS1_47radix_sort_onesweep_sort_config_static_selectorELNS0_4arch9wavefront6targetE1EEEvSI_
	.p2align	8
	.type	_ZN7rocprim17ROCPRIM_400000_NS6detail17trampoline_kernelINS0_14default_configENS1_35radix_sort_onesweep_config_selectorIiiEEZZNS1_29radix_sort_onesweep_iterationIS3_Lb1EN6thrust23THRUST_200600_302600_NS6detail15normal_iteratorINS8_10device_ptrIiEEEESD_SD_SD_jNS0_19identity_decomposerENS1_16block_id_wrapperIjLb0EEEEE10hipError_tT1_PNSt15iterator_traitsISI_E10value_typeET2_T3_PNSJ_ISO_E10value_typeET4_T5_PST_SU_PNS1_23onesweep_lookback_stateEbbT6_jjT7_P12ihipStream_tbENKUlT_T0_SI_SN_E_clIPiSD_S15_SD_EEDaS11_S12_SI_SN_EUlS11_E_NS1_11comp_targetILNS1_3genE8ELNS1_11target_archE1030ELNS1_3gpuE2ELNS1_3repE0EEENS1_47radix_sort_onesweep_sort_config_static_selectorELNS0_4arch9wavefront6targetE1EEEvSI_,@function
_ZN7rocprim17ROCPRIM_400000_NS6detail17trampoline_kernelINS0_14default_configENS1_35radix_sort_onesweep_config_selectorIiiEEZZNS1_29radix_sort_onesweep_iterationIS3_Lb1EN6thrust23THRUST_200600_302600_NS6detail15normal_iteratorINS8_10device_ptrIiEEEESD_SD_SD_jNS0_19identity_decomposerENS1_16block_id_wrapperIjLb0EEEEE10hipError_tT1_PNSt15iterator_traitsISI_E10value_typeET2_T3_PNSJ_ISO_E10value_typeET4_T5_PST_SU_PNS1_23onesweep_lookback_stateEbbT6_jjT7_P12ihipStream_tbENKUlT_T0_SI_SN_E_clIPiSD_S15_SD_EEDaS11_S12_SI_SN_EUlS11_E_NS1_11comp_targetILNS1_3genE8ELNS1_11target_archE1030ELNS1_3gpuE2ELNS1_3repE0EEENS1_47radix_sort_onesweep_sort_config_static_selectorELNS0_4arch9wavefront6targetE1EEEvSI_: ; @_ZN7rocprim17ROCPRIM_400000_NS6detail17trampoline_kernelINS0_14default_configENS1_35radix_sort_onesweep_config_selectorIiiEEZZNS1_29radix_sort_onesweep_iterationIS3_Lb1EN6thrust23THRUST_200600_302600_NS6detail15normal_iteratorINS8_10device_ptrIiEEEESD_SD_SD_jNS0_19identity_decomposerENS1_16block_id_wrapperIjLb0EEEEE10hipError_tT1_PNSt15iterator_traitsISI_E10value_typeET2_T3_PNSJ_ISO_E10value_typeET4_T5_PST_SU_PNS1_23onesweep_lookback_stateEbbT6_jjT7_P12ihipStream_tbENKUlT_T0_SI_SN_E_clIPiSD_S15_SD_EEDaS11_S12_SI_SN_EUlS11_E_NS1_11comp_targetILNS1_3genE8ELNS1_11target_archE1030ELNS1_3gpuE2ELNS1_3repE0EEENS1_47radix_sort_onesweep_sort_config_static_selectorELNS0_4arch9wavefront6targetE1EEEvSI_
; %bb.0:
	.section	.rodata,"a",@progbits
	.p2align	6, 0x0
	.amdhsa_kernel _ZN7rocprim17ROCPRIM_400000_NS6detail17trampoline_kernelINS0_14default_configENS1_35radix_sort_onesweep_config_selectorIiiEEZZNS1_29radix_sort_onesweep_iterationIS3_Lb1EN6thrust23THRUST_200600_302600_NS6detail15normal_iteratorINS8_10device_ptrIiEEEESD_SD_SD_jNS0_19identity_decomposerENS1_16block_id_wrapperIjLb0EEEEE10hipError_tT1_PNSt15iterator_traitsISI_E10value_typeET2_T3_PNSJ_ISO_E10value_typeET4_T5_PST_SU_PNS1_23onesweep_lookback_stateEbbT6_jjT7_P12ihipStream_tbENKUlT_T0_SI_SN_E_clIPiSD_S15_SD_EEDaS11_S12_SI_SN_EUlS11_E_NS1_11comp_targetILNS1_3genE8ELNS1_11target_archE1030ELNS1_3gpuE2ELNS1_3repE0EEENS1_47radix_sort_onesweep_sort_config_static_selectorELNS0_4arch9wavefront6targetE1EEEvSI_
		.amdhsa_group_segment_fixed_size 0
		.amdhsa_private_segment_fixed_size 0
		.amdhsa_kernarg_size 88
		.amdhsa_user_sgpr_count 2
		.amdhsa_user_sgpr_dispatch_ptr 0
		.amdhsa_user_sgpr_queue_ptr 0
		.amdhsa_user_sgpr_kernarg_segment_ptr 1
		.amdhsa_user_sgpr_dispatch_id 0
		.amdhsa_user_sgpr_kernarg_preload_length 0
		.amdhsa_user_sgpr_kernarg_preload_offset 0
		.amdhsa_user_sgpr_private_segment_size 0
		.amdhsa_uses_dynamic_stack 0
		.amdhsa_enable_private_segment 0
		.amdhsa_system_sgpr_workgroup_id_x 1
		.amdhsa_system_sgpr_workgroup_id_y 0
		.amdhsa_system_sgpr_workgroup_id_z 0
		.amdhsa_system_sgpr_workgroup_info 0
		.amdhsa_system_vgpr_workitem_id 0
		.amdhsa_next_free_vgpr 1
		.amdhsa_next_free_sgpr 0
		.amdhsa_accum_offset 4
		.amdhsa_reserve_vcc 0
		.amdhsa_float_round_mode_32 0
		.amdhsa_float_round_mode_16_64 0
		.amdhsa_float_denorm_mode_32 3
		.amdhsa_float_denorm_mode_16_64 3
		.amdhsa_dx10_clamp 1
		.amdhsa_ieee_mode 1
		.amdhsa_fp16_overflow 0
		.amdhsa_tg_split 0
		.amdhsa_exception_fp_ieee_invalid_op 0
		.amdhsa_exception_fp_denorm_src 0
		.amdhsa_exception_fp_ieee_div_zero 0
		.amdhsa_exception_fp_ieee_overflow 0
		.amdhsa_exception_fp_ieee_underflow 0
		.amdhsa_exception_fp_ieee_inexact 0
		.amdhsa_exception_int_div_zero 0
	.end_amdhsa_kernel
	.section	.text._ZN7rocprim17ROCPRIM_400000_NS6detail17trampoline_kernelINS0_14default_configENS1_35radix_sort_onesweep_config_selectorIiiEEZZNS1_29radix_sort_onesweep_iterationIS3_Lb1EN6thrust23THRUST_200600_302600_NS6detail15normal_iteratorINS8_10device_ptrIiEEEESD_SD_SD_jNS0_19identity_decomposerENS1_16block_id_wrapperIjLb0EEEEE10hipError_tT1_PNSt15iterator_traitsISI_E10value_typeET2_T3_PNSJ_ISO_E10value_typeET4_T5_PST_SU_PNS1_23onesweep_lookback_stateEbbT6_jjT7_P12ihipStream_tbENKUlT_T0_SI_SN_E_clIPiSD_S15_SD_EEDaS11_S12_SI_SN_EUlS11_E_NS1_11comp_targetILNS1_3genE8ELNS1_11target_archE1030ELNS1_3gpuE2ELNS1_3repE0EEENS1_47radix_sort_onesweep_sort_config_static_selectorELNS0_4arch9wavefront6targetE1EEEvSI_,"axG",@progbits,_ZN7rocprim17ROCPRIM_400000_NS6detail17trampoline_kernelINS0_14default_configENS1_35radix_sort_onesweep_config_selectorIiiEEZZNS1_29radix_sort_onesweep_iterationIS3_Lb1EN6thrust23THRUST_200600_302600_NS6detail15normal_iteratorINS8_10device_ptrIiEEEESD_SD_SD_jNS0_19identity_decomposerENS1_16block_id_wrapperIjLb0EEEEE10hipError_tT1_PNSt15iterator_traitsISI_E10value_typeET2_T3_PNSJ_ISO_E10value_typeET4_T5_PST_SU_PNS1_23onesweep_lookback_stateEbbT6_jjT7_P12ihipStream_tbENKUlT_T0_SI_SN_E_clIPiSD_S15_SD_EEDaS11_S12_SI_SN_EUlS11_E_NS1_11comp_targetILNS1_3genE8ELNS1_11target_archE1030ELNS1_3gpuE2ELNS1_3repE0EEENS1_47radix_sort_onesweep_sort_config_static_selectorELNS0_4arch9wavefront6targetE1EEEvSI_,comdat
.Lfunc_end1052:
	.size	_ZN7rocprim17ROCPRIM_400000_NS6detail17trampoline_kernelINS0_14default_configENS1_35radix_sort_onesweep_config_selectorIiiEEZZNS1_29radix_sort_onesweep_iterationIS3_Lb1EN6thrust23THRUST_200600_302600_NS6detail15normal_iteratorINS8_10device_ptrIiEEEESD_SD_SD_jNS0_19identity_decomposerENS1_16block_id_wrapperIjLb0EEEEE10hipError_tT1_PNSt15iterator_traitsISI_E10value_typeET2_T3_PNSJ_ISO_E10value_typeET4_T5_PST_SU_PNS1_23onesweep_lookback_stateEbbT6_jjT7_P12ihipStream_tbENKUlT_T0_SI_SN_E_clIPiSD_S15_SD_EEDaS11_S12_SI_SN_EUlS11_E_NS1_11comp_targetILNS1_3genE8ELNS1_11target_archE1030ELNS1_3gpuE2ELNS1_3repE0EEENS1_47radix_sort_onesweep_sort_config_static_selectorELNS0_4arch9wavefront6targetE1EEEvSI_, .Lfunc_end1052-_ZN7rocprim17ROCPRIM_400000_NS6detail17trampoline_kernelINS0_14default_configENS1_35radix_sort_onesweep_config_selectorIiiEEZZNS1_29radix_sort_onesweep_iterationIS3_Lb1EN6thrust23THRUST_200600_302600_NS6detail15normal_iteratorINS8_10device_ptrIiEEEESD_SD_SD_jNS0_19identity_decomposerENS1_16block_id_wrapperIjLb0EEEEE10hipError_tT1_PNSt15iterator_traitsISI_E10value_typeET2_T3_PNSJ_ISO_E10value_typeET4_T5_PST_SU_PNS1_23onesweep_lookback_stateEbbT6_jjT7_P12ihipStream_tbENKUlT_T0_SI_SN_E_clIPiSD_S15_SD_EEDaS11_S12_SI_SN_EUlS11_E_NS1_11comp_targetILNS1_3genE8ELNS1_11target_archE1030ELNS1_3gpuE2ELNS1_3repE0EEENS1_47radix_sort_onesweep_sort_config_static_selectorELNS0_4arch9wavefront6targetE1EEEvSI_
                                        ; -- End function
	.set _ZN7rocprim17ROCPRIM_400000_NS6detail17trampoline_kernelINS0_14default_configENS1_35radix_sort_onesweep_config_selectorIiiEEZZNS1_29radix_sort_onesweep_iterationIS3_Lb1EN6thrust23THRUST_200600_302600_NS6detail15normal_iteratorINS8_10device_ptrIiEEEESD_SD_SD_jNS0_19identity_decomposerENS1_16block_id_wrapperIjLb0EEEEE10hipError_tT1_PNSt15iterator_traitsISI_E10value_typeET2_T3_PNSJ_ISO_E10value_typeET4_T5_PST_SU_PNS1_23onesweep_lookback_stateEbbT6_jjT7_P12ihipStream_tbENKUlT_T0_SI_SN_E_clIPiSD_S15_SD_EEDaS11_S12_SI_SN_EUlS11_E_NS1_11comp_targetILNS1_3genE8ELNS1_11target_archE1030ELNS1_3gpuE2ELNS1_3repE0EEENS1_47radix_sort_onesweep_sort_config_static_selectorELNS0_4arch9wavefront6targetE1EEEvSI_.num_vgpr, 0
	.set _ZN7rocprim17ROCPRIM_400000_NS6detail17trampoline_kernelINS0_14default_configENS1_35radix_sort_onesweep_config_selectorIiiEEZZNS1_29radix_sort_onesweep_iterationIS3_Lb1EN6thrust23THRUST_200600_302600_NS6detail15normal_iteratorINS8_10device_ptrIiEEEESD_SD_SD_jNS0_19identity_decomposerENS1_16block_id_wrapperIjLb0EEEEE10hipError_tT1_PNSt15iterator_traitsISI_E10value_typeET2_T3_PNSJ_ISO_E10value_typeET4_T5_PST_SU_PNS1_23onesweep_lookback_stateEbbT6_jjT7_P12ihipStream_tbENKUlT_T0_SI_SN_E_clIPiSD_S15_SD_EEDaS11_S12_SI_SN_EUlS11_E_NS1_11comp_targetILNS1_3genE8ELNS1_11target_archE1030ELNS1_3gpuE2ELNS1_3repE0EEENS1_47radix_sort_onesweep_sort_config_static_selectorELNS0_4arch9wavefront6targetE1EEEvSI_.num_agpr, 0
	.set _ZN7rocprim17ROCPRIM_400000_NS6detail17trampoline_kernelINS0_14default_configENS1_35radix_sort_onesweep_config_selectorIiiEEZZNS1_29radix_sort_onesweep_iterationIS3_Lb1EN6thrust23THRUST_200600_302600_NS6detail15normal_iteratorINS8_10device_ptrIiEEEESD_SD_SD_jNS0_19identity_decomposerENS1_16block_id_wrapperIjLb0EEEEE10hipError_tT1_PNSt15iterator_traitsISI_E10value_typeET2_T3_PNSJ_ISO_E10value_typeET4_T5_PST_SU_PNS1_23onesweep_lookback_stateEbbT6_jjT7_P12ihipStream_tbENKUlT_T0_SI_SN_E_clIPiSD_S15_SD_EEDaS11_S12_SI_SN_EUlS11_E_NS1_11comp_targetILNS1_3genE8ELNS1_11target_archE1030ELNS1_3gpuE2ELNS1_3repE0EEENS1_47radix_sort_onesweep_sort_config_static_selectorELNS0_4arch9wavefront6targetE1EEEvSI_.numbered_sgpr, 0
	.set _ZN7rocprim17ROCPRIM_400000_NS6detail17trampoline_kernelINS0_14default_configENS1_35radix_sort_onesweep_config_selectorIiiEEZZNS1_29radix_sort_onesweep_iterationIS3_Lb1EN6thrust23THRUST_200600_302600_NS6detail15normal_iteratorINS8_10device_ptrIiEEEESD_SD_SD_jNS0_19identity_decomposerENS1_16block_id_wrapperIjLb0EEEEE10hipError_tT1_PNSt15iterator_traitsISI_E10value_typeET2_T3_PNSJ_ISO_E10value_typeET4_T5_PST_SU_PNS1_23onesweep_lookback_stateEbbT6_jjT7_P12ihipStream_tbENKUlT_T0_SI_SN_E_clIPiSD_S15_SD_EEDaS11_S12_SI_SN_EUlS11_E_NS1_11comp_targetILNS1_3genE8ELNS1_11target_archE1030ELNS1_3gpuE2ELNS1_3repE0EEENS1_47radix_sort_onesweep_sort_config_static_selectorELNS0_4arch9wavefront6targetE1EEEvSI_.num_named_barrier, 0
	.set _ZN7rocprim17ROCPRIM_400000_NS6detail17trampoline_kernelINS0_14default_configENS1_35radix_sort_onesweep_config_selectorIiiEEZZNS1_29radix_sort_onesweep_iterationIS3_Lb1EN6thrust23THRUST_200600_302600_NS6detail15normal_iteratorINS8_10device_ptrIiEEEESD_SD_SD_jNS0_19identity_decomposerENS1_16block_id_wrapperIjLb0EEEEE10hipError_tT1_PNSt15iterator_traitsISI_E10value_typeET2_T3_PNSJ_ISO_E10value_typeET4_T5_PST_SU_PNS1_23onesweep_lookback_stateEbbT6_jjT7_P12ihipStream_tbENKUlT_T0_SI_SN_E_clIPiSD_S15_SD_EEDaS11_S12_SI_SN_EUlS11_E_NS1_11comp_targetILNS1_3genE8ELNS1_11target_archE1030ELNS1_3gpuE2ELNS1_3repE0EEENS1_47radix_sort_onesweep_sort_config_static_selectorELNS0_4arch9wavefront6targetE1EEEvSI_.private_seg_size, 0
	.set _ZN7rocprim17ROCPRIM_400000_NS6detail17trampoline_kernelINS0_14default_configENS1_35radix_sort_onesweep_config_selectorIiiEEZZNS1_29radix_sort_onesweep_iterationIS3_Lb1EN6thrust23THRUST_200600_302600_NS6detail15normal_iteratorINS8_10device_ptrIiEEEESD_SD_SD_jNS0_19identity_decomposerENS1_16block_id_wrapperIjLb0EEEEE10hipError_tT1_PNSt15iterator_traitsISI_E10value_typeET2_T3_PNSJ_ISO_E10value_typeET4_T5_PST_SU_PNS1_23onesweep_lookback_stateEbbT6_jjT7_P12ihipStream_tbENKUlT_T0_SI_SN_E_clIPiSD_S15_SD_EEDaS11_S12_SI_SN_EUlS11_E_NS1_11comp_targetILNS1_3genE8ELNS1_11target_archE1030ELNS1_3gpuE2ELNS1_3repE0EEENS1_47radix_sort_onesweep_sort_config_static_selectorELNS0_4arch9wavefront6targetE1EEEvSI_.uses_vcc, 0
	.set _ZN7rocprim17ROCPRIM_400000_NS6detail17trampoline_kernelINS0_14default_configENS1_35radix_sort_onesweep_config_selectorIiiEEZZNS1_29radix_sort_onesweep_iterationIS3_Lb1EN6thrust23THRUST_200600_302600_NS6detail15normal_iteratorINS8_10device_ptrIiEEEESD_SD_SD_jNS0_19identity_decomposerENS1_16block_id_wrapperIjLb0EEEEE10hipError_tT1_PNSt15iterator_traitsISI_E10value_typeET2_T3_PNSJ_ISO_E10value_typeET4_T5_PST_SU_PNS1_23onesweep_lookback_stateEbbT6_jjT7_P12ihipStream_tbENKUlT_T0_SI_SN_E_clIPiSD_S15_SD_EEDaS11_S12_SI_SN_EUlS11_E_NS1_11comp_targetILNS1_3genE8ELNS1_11target_archE1030ELNS1_3gpuE2ELNS1_3repE0EEENS1_47radix_sort_onesweep_sort_config_static_selectorELNS0_4arch9wavefront6targetE1EEEvSI_.uses_flat_scratch, 0
	.set _ZN7rocprim17ROCPRIM_400000_NS6detail17trampoline_kernelINS0_14default_configENS1_35radix_sort_onesweep_config_selectorIiiEEZZNS1_29radix_sort_onesweep_iterationIS3_Lb1EN6thrust23THRUST_200600_302600_NS6detail15normal_iteratorINS8_10device_ptrIiEEEESD_SD_SD_jNS0_19identity_decomposerENS1_16block_id_wrapperIjLb0EEEEE10hipError_tT1_PNSt15iterator_traitsISI_E10value_typeET2_T3_PNSJ_ISO_E10value_typeET4_T5_PST_SU_PNS1_23onesweep_lookback_stateEbbT6_jjT7_P12ihipStream_tbENKUlT_T0_SI_SN_E_clIPiSD_S15_SD_EEDaS11_S12_SI_SN_EUlS11_E_NS1_11comp_targetILNS1_3genE8ELNS1_11target_archE1030ELNS1_3gpuE2ELNS1_3repE0EEENS1_47radix_sort_onesweep_sort_config_static_selectorELNS0_4arch9wavefront6targetE1EEEvSI_.has_dyn_sized_stack, 0
	.set _ZN7rocprim17ROCPRIM_400000_NS6detail17trampoline_kernelINS0_14default_configENS1_35radix_sort_onesweep_config_selectorIiiEEZZNS1_29radix_sort_onesweep_iterationIS3_Lb1EN6thrust23THRUST_200600_302600_NS6detail15normal_iteratorINS8_10device_ptrIiEEEESD_SD_SD_jNS0_19identity_decomposerENS1_16block_id_wrapperIjLb0EEEEE10hipError_tT1_PNSt15iterator_traitsISI_E10value_typeET2_T3_PNSJ_ISO_E10value_typeET4_T5_PST_SU_PNS1_23onesweep_lookback_stateEbbT6_jjT7_P12ihipStream_tbENKUlT_T0_SI_SN_E_clIPiSD_S15_SD_EEDaS11_S12_SI_SN_EUlS11_E_NS1_11comp_targetILNS1_3genE8ELNS1_11target_archE1030ELNS1_3gpuE2ELNS1_3repE0EEENS1_47radix_sort_onesweep_sort_config_static_selectorELNS0_4arch9wavefront6targetE1EEEvSI_.has_recursion, 0
	.set _ZN7rocprim17ROCPRIM_400000_NS6detail17trampoline_kernelINS0_14default_configENS1_35radix_sort_onesweep_config_selectorIiiEEZZNS1_29radix_sort_onesweep_iterationIS3_Lb1EN6thrust23THRUST_200600_302600_NS6detail15normal_iteratorINS8_10device_ptrIiEEEESD_SD_SD_jNS0_19identity_decomposerENS1_16block_id_wrapperIjLb0EEEEE10hipError_tT1_PNSt15iterator_traitsISI_E10value_typeET2_T3_PNSJ_ISO_E10value_typeET4_T5_PST_SU_PNS1_23onesweep_lookback_stateEbbT6_jjT7_P12ihipStream_tbENKUlT_T0_SI_SN_E_clIPiSD_S15_SD_EEDaS11_S12_SI_SN_EUlS11_E_NS1_11comp_targetILNS1_3genE8ELNS1_11target_archE1030ELNS1_3gpuE2ELNS1_3repE0EEENS1_47radix_sort_onesweep_sort_config_static_selectorELNS0_4arch9wavefront6targetE1EEEvSI_.has_indirect_call, 0
	.section	.AMDGPU.csdata,"",@progbits
; Kernel info:
; codeLenInByte = 0
; TotalNumSgprs: 6
; NumVgprs: 0
; NumAgprs: 0
; TotalNumVgprs: 0
; ScratchSize: 0
; MemoryBound: 0
; FloatMode: 240
; IeeeMode: 1
; LDSByteSize: 0 bytes/workgroup (compile time only)
; SGPRBlocks: 0
; VGPRBlocks: 0
; NumSGPRsForWavesPerEU: 6
; NumVGPRsForWavesPerEU: 1
; AccumOffset: 4
; Occupancy: 8
; WaveLimiterHint : 0
; COMPUTE_PGM_RSRC2:SCRATCH_EN: 0
; COMPUTE_PGM_RSRC2:USER_SGPR: 2
; COMPUTE_PGM_RSRC2:TRAP_HANDLER: 0
; COMPUTE_PGM_RSRC2:TGID_X_EN: 1
; COMPUTE_PGM_RSRC2:TGID_Y_EN: 0
; COMPUTE_PGM_RSRC2:TGID_Z_EN: 0
; COMPUTE_PGM_RSRC2:TIDIG_COMP_CNT: 0
; COMPUTE_PGM_RSRC3_GFX90A:ACCUM_OFFSET: 0
; COMPUTE_PGM_RSRC3_GFX90A:TG_SPLIT: 0
	.section	.AMDGPU.gpr_maximums,"",@progbits
	.set amdgpu.max_num_vgpr, 0
	.set amdgpu.max_num_agpr, 0
	.set amdgpu.max_num_sgpr, 0
	.section	.AMDGPU.csdata,"",@progbits
	.protected	_ZN7rocprim17ROCPRIM_400000_NS16block_radix_sortIiLj256ELj4ENS0_10empty_typeELj1ELj1ELj0ELNS0_26block_radix_rank_algorithmE1ELNS0_18block_padding_hintE2ELNS0_4arch9wavefront6targetE1EE19radix_bits_per_passE ; @_ZN7rocprim17ROCPRIM_400000_NS16block_radix_sortIiLj256ELj4ENS0_10empty_typeELj1ELj1ELj0ELNS0_26block_radix_rank_algorithmE1ELNS0_18block_padding_hintE2ELNS0_4arch9wavefront6targetE1EE19radix_bits_per_passE
	.type	_ZN7rocprim17ROCPRIM_400000_NS16block_radix_sortIiLj256ELj4ENS0_10empty_typeELj1ELj1ELj0ELNS0_26block_radix_rank_algorithmE1ELNS0_18block_padding_hintE2ELNS0_4arch9wavefront6targetE1EE19radix_bits_per_passE,@object
	.section	.rodata._ZN7rocprim17ROCPRIM_400000_NS16block_radix_sortIiLj256ELj4ENS0_10empty_typeELj1ELj1ELj0ELNS0_26block_radix_rank_algorithmE1ELNS0_18block_padding_hintE2ELNS0_4arch9wavefront6targetE1EE19radix_bits_per_passE,"aG",@progbits,_ZN7rocprim17ROCPRIM_400000_NS16block_radix_sortIiLj256ELj4ENS0_10empty_typeELj1ELj1ELj0ELNS0_26block_radix_rank_algorithmE1ELNS0_18block_padding_hintE2ELNS0_4arch9wavefront6targetE1EE19radix_bits_per_passE,comdat
	.weak	_ZN7rocprim17ROCPRIM_400000_NS16block_radix_sortIiLj256ELj4ENS0_10empty_typeELj1ELj1ELj0ELNS0_26block_radix_rank_algorithmE1ELNS0_18block_padding_hintE2ELNS0_4arch9wavefront6targetE1EE19radix_bits_per_passE
	.p2align	2, 0x0
_ZN7rocprim17ROCPRIM_400000_NS16block_radix_sortIiLj256ELj4ENS0_10empty_typeELj1ELj1ELj0ELNS0_26block_radix_rank_algorithmE1ELNS0_18block_padding_hintE2ELNS0_4arch9wavefront6targetE1EE19radix_bits_per_passE:
	.long	8                               ; 0x8
	.size	_ZN7rocprim17ROCPRIM_400000_NS16block_radix_sortIiLj256ELj4ENS0_10empty_typeELj1ELj1ELj0ELNS0_26block_radix_rank_algorithmE1ELNS0_18block_padding_hintE2ELNS0_4arch9wavefront6targetE1EE19radix_bits_per_passE, 4

	.protected	_ZN7rocprim17ROCPRIM_400000_NS16block_radix_sortIfLj256ELj4ENS0_10empty_typeELj1ELj1ELj0ELNS0_26block_radix_rank_algorithmE1ELNS0_18block_padding_hintE2ELNS0_4arch9wavefront6targetE1EE19radix_bits_per_passE ; @_ZN7rocprim17ROCPRIM_400000_NS16block_radix_sortIfLj256ELj4ENS0_10empty_typeELj1ELj1ELj0ELNS0_26block_radix_rank_algorithmE1ELNS0_18block_padding_hintE2ELNS0_4arch9wavefront6targetE1EE19radix_bits_per_passE
	.type	_ZN7rocprim17ROCPRIM_400000_NS16block_radix_sortIfLj256ELj4ENS0_10empty_typeELj1ELj1ELj0ELNS0_26block_radix_rank_algorithmE1ELNS0_18block_padding_hintE2ELNS0_4arch9wavefront6targetE1EE19radix_bits_per_passE,@object
	.section	.rodata._ZN7rocprim17ROCPRIM_400000_NS16block_radix_sortIfLj256ELj4ENS0_10empty_typeELj1ELj1ELj0ELNS0_26block_radix_rank_algorithmE1ELNS0_18block_padding_hintE2ELNS0_4arch9wavefront6targetE1EE19radix_bits_per_passE,"aG",@progbits,_ZN7rocprim17ROCPRIM_400000_NS16block_radix_sortIfLj256ELj4ENS0_10empty_typeELj1ELj1ELj0ELNS0_26block_radix_rank_algorithmE1ELNS0_18block_padding_hintE2ELNS0_4arch9wavefront6targetE1EE19radix_bits_per_passE,comdat
	.weak	_ZN7rocprim17ROCPRIM_400000_NS16block_radix_sortIfLj256ELj4ENS0_10empty_typeELj1ELj1ELj0ELNS0_26block_radix_rank_algorithmE1ELNS0_18block_padding_hintE2ELNS0_4arch9wavefront6targetE1EE19radix_bits_per_passE
	.p2align	2, 0x0
_ZN7rocprim17ROCPRIM_400000_NS16block_radix_sortIfLj256ELj4ENS0_10empty_typeELj1ELj1ELj0ELNS0_26block_radix_rank_algorithmE1ELNS0_18block_padding_hintE2ELNS0_4arch9wavefront6targetE1EE19radix_bits_per_passE:
	.long	8                               ; 0x8
	.size	_ZN7rocprim17ROCPRIM_400000_NS16block_radix_sortIfLj256ELj4ENS0_10empty_typeELj1ELj1ELj0ELNS0_26block_radix_rank_algorithmE1ELNS0_18block_padding_hintE2ELNS0_4arch9wavefront6targetE1EE19radix_bits_per_passE, 4

	.protected	_ZN7rocprim17ROCPRIM_400000_NS16block_radix_sortIiLj256ELj4EiLj1ELj1ELj0ELNS0_26block_radix_rank_algorithmE1ELNS0_18block_padding_hintE2ELNS0_4arch9wavefront6targetE1EE19radix_bits_per_passE ; @_ZN7rocprim17ROCPRIM_400000_NS16block_radix_sortIiLj256ELj4EiLj1ELj1ELj0ELNS0_26block_radix_rank_algorithmE1ELNS0_18block_padding_hintE2ELNS0_4arch9wavefront6targetE1EE19radix_bits_per_passE
	.type	_ZN7rocprim17ROCPRIM_400000_NS16block_radix_sortIiLj256ELj4EiLj1ELj1ELj0ELNS0_26block_radix_rank_algorithmE1ELNS0_18block_padding_hintE2ELNS0_4arch9wavefront6targetE1EE19radix_bits_per_passE,@object
	.section	.rodata._ZN7rocprim17ROCPRIM_400000_NS16block_radix_sortIiLj256ELj4EiLj1ELj1ELj0ELNS0_26block_radix_rank_algorithmE1ELNS0_18block_padding_hintE2ELNS0_4arch9wavefront6targetE1EE19radix_bits_per_passE,"aG",@progbits,_ZN7rocprim17ROCPRIM_400000_NS16block_radix_sortIiLj256ELj4EiLj1ELj1ELj0ELNS0_26block_radix_rank_algorithmE1ELNS0_18block_padding_hintE2ELNS0_4arch9wavefront6targetE1EE19radix_bits_per_passE,comdat
	.weak	_ZN7rocprim17ROCPRIM_400000_NS16block_radix_sortIiLj256ELj4EiLj1ELj1ELj0ELNS0_26block_radix_rank_algorithmE1ELNS0_18block_padding_hintE2ELNS0_4arch9wavefront6targetE1EE19radix_bits_per_passE
	.p2align	2, 0x0
_ZN7rocprim17ROCPRIM_400000_NS16block_radix_sortIiLj256ELj4EiLj1ELj1ELj0ELNS0_26block_radix_rank_algorithmE1ELNS0_18block_padding_hintE2ELNS0_4arch9wavefront6targetE1EE19radix_bits_per_passE:
	.long	8                               ; 0x8
	.size	_ZN7rocprim17ROCPRIM_400000_NS16block_radix_sortIiLj256ELj4EiLj1ELj1ELj0ELNS0_26block_radix_rank_algorithmE1ELNS0_18block_padding_hintE2ELNS0_4arch9wavefront6targetE1EE19radix_bits_per_passE, 4

	.type	__hip_cuid_3983fbea66fecc98,@object ; @__hip_cuid_3983fbea66fecc98
	.section	.bss,"aw",@nobits
	.globl	__hip_cuid_3983fbea66fecc98
__hip_cuid_3983fbea66fecc98:
	.byte	0                               ; 0x0
	.size	__hip_cuid_3983fbea66fecc98, 1

	.ident	"AMD clang version 22.0.0git (https://github.com/RadeonOpenCompute/llvm-project roc-7.2.4 26084 f58b06dce1f9c15707c5f808fd002e18c2accf7e)"
	.section	".note.GNU-stack","",@progbits
	.addrsig
	.addrsig_sym __hip_cuid_3983fbea66fecc98
	.amdgpu_metadata
---
amdhsa.kernels:
  - .agpr_count:     0
    .args:
      - .offset:         0
        .size:           16
        .value_kind:     by_value
      - .offset:         16
        .size:           8
        .value_kind:     by_value
      - .offset:         24
        .size:           8
        .value_kind:     by_value
    .group_segment_fixed_size: 0
    .kernarg_segment_align: 8
    .kernarg_segment_size: 32
    .language:       OpenCL C
    .language_version:
      - 2
      - 0
    .max_flat_workgroup_size: 256
    .name:           _ZN6thrust23THRUST_200600_302600_NS11hip_rocprim14__parallel_for6kernelILj256ENS1_20__uninitialized_fill7functorINS0_10device_ptrIiEEiEEmLj1EEEvT0_T1_SA_
    .private_segment_fixed_size: 0
    .sgpr_count:     22
    .sgpr_spill_count: 0
    .symbol:         _ZN6thrust23THRUST_200600_302600_NS11hip_rocprim14__parallel_for6kernelILj256ENS1_20__uninitialized_fill7functorINS0_10device_ptrIiEEiEEmLj1EEEvT0_T1_SA_.kd
    .uniform_work_group_size: 1
    .uses_dynamic_stack: false
    .vgpr_count:     4
    .vgpr_spill_count: 0
    .wavefront_size: 64
  - .agpr_count:     0
    .args:
      - .offset:         0
        .size:           48
        .value_kind:     by_value
      - .offset:         48
        .size:           4
        .value_kind:     hidden_block_count_x
      - .offset:         52
        .size:           4
        .value_kind:     hidden_block_count_y
      - .offset:         56
        .size:           4
        .value_kind:     hidden_block_count_z
      - .offset:         60
        .size:           2
        .value_kind:     hidden_group_size_x
      - .offset:         62
        .size:           2
        .value_kind:     hidden_group_size_y
      - .offset:         64
        .size:           2
        .value_kind:     hidden_group_size_z
      - .offset:         66
        .size:           2
        .value_kind:     hidden_remainder_x
      - .offset:         68
        .size:           2
        .value_kind:     hidden_remainder_y
      - .offset:         70
        .size:           2
        .value_kind:     hidden_remainder_z
      - .offset:         88
        .size:           8
        .value_kind:     hidden_global_offset_x
      - .offset:         96
        .size:           8
        .value_kind:     hidden_global_offset_y
      - .offset:         104
        .size:           8
        .value_kind:     hidden_global_offset_z
      - .offset:         112
        .size:           2
        .value_kind:     hidden_grid_dims
    .group_segment_fixed_size: 4112
    .kernarg_segment_align: 8
    .kernarg_segment_size: 304
    .language:       OpenCL C
    .language_version:
      - 2
      - 0
    .max_flat_workgroup_size: 256
    .name:           _ZN7rocprim17ROCPRIM_400000_NS6detail17trampoline_kernelINS0_13kernel_configILj256ELj4ELj4294967295EEENS1_37radix_sort_block_sort_config_selectorIiNS0_10empty_typeEEEZNS1_21radix_sort_block_sortIS4_Lb0EN6thrust23THRUST_200600_302600_NS6detail15normal_iteratorINSA_10device_ptrIiEEEESF_PS6_SG_NS0_19identity_decomposerEEE10hipError_tT1_T2_T3_T4_jRjT5_jjP12ihipStream_tbEUlT_E_NS1_11comp_targetILNS1_3genE0ELNS1_11target_archE4294967295ELNS1_3gpuE0ELNS1_3repE0EEENS1_44radix_sort_block_sort_config_static_selectorELNS0_4arch9wavefront6targetE1EEEvSJ_
    .private_segment_fixed_size: 0
    .sgpr_count:     50
    .sgpr_spill_count: 0
    .symbol:         _ZN7rocprim17ROCPRIM_400000_NS6detail17trampoline_kernelINS0_13kernel_configILj256ELj4ELj4294967295EEENS1_37radix_sort_block_sort_config_selectorIiNS0_10empty_typeEEEZNS1_21radix_sort_block_sortIS4_Lb0EN6thrust23THRUST_200600_302600_NS6detail15normal_iteratorINSA_10device_ptrIiEEEESF_PS6_SG_NS0_19identity_decomposerEEE10hipError_tT1_T2_T3_T4_jRjT5_jjP12ihipStream_tbEUlT_E_NS1_11comp_targetILNS1_3genE0ELNS1_11target_archE4294967295ELNS1_3gpuE0ELNS1_3repE0EEENS1_44radix_sort_block_sort_config_static_selectorELNS0_4arch9wavefront6targetE1EEEvSJ_.kd
    .uniform_work_group_size: 1
    .uses_dynamic_stack: false
    .vgpr_count:     36
    .vgpr_spill_count: 0
    .wavefront_size: 64
  - .agpr_count:     0
    .args:
      - .offset:         0
        .size:           48
        .value_kind:     by_value
    .group_segment_fixed_size: 0
    .kernarg_segment_align: 8
    .kernarg_segment_size: 48
    .language:       OpenCL C
    .language_version:
      - 2
      - 0
    .max_flat_workgroup_size: 256
    .name:           _ZN7rocprim17ROCPRIM_400000_NS6detail17trampoline_kernelINS0_13kernel_configILj256ELj4ELj4294967295EEENS1_37radix_sort_block_sort_config_selectorIiNS0_10empty_typeEEEZNS1_21radix_sort_block_sortIS4_Lb0EN6thrust23THRUST_200600_302600_NS6detail15normal_iteratorINSA_10device_ptrIiEEEESF_PS6_SG_NS0_19identity_decomposerEEE10hipError_tT1_T2_T3_T4_jRjT5_jjP12ihipStream_tbEUlT_E_NS1_11comp_targetILNS1_3genE5ELNS1_11target_archE942ELNS1_3gpuE9ELNS1_3repE0EEENS1_44radix_sort_block_sort_config_static_selectorELNS0_4arch9wavefront6targetE1EEEvSJ_
    .private_segment_fixed_size: 0
    .sgpr_count:     6
    .sgpr_spill_count: 0
    .symbol:         _ZN7rocprim17ROCPRIM_400000_NS6detail17trampoline_kernelINS0_13kernel_configILj256ELj4ELj4294967295EEENS1_37radix_sort_block_sort_config_selectorIiNS0_10empty_typeEEEZNS1_21radix_sort_block_sortIS4_Lb0EN6thrust23THRUST_200600_302600_NS6detail15normal_iteratorINSA_10device_ptrIiEEEESF_PS6_SG_NS0_19identity_decomposerEEE10hipError_tT1_T2_T3_T4_jRjT5_jjP12ihipStream_tbEUlT_E_NS1_11comp_targetILNS1_3genE5ELNS1_11target_archE942ELNS1_3gpuE9ELNS1_3repE0EEENS1_44radix_sort_block_sort_config_static_selectorELNS0_4arch9wavefront6targetE1EEEvSJ_.kd
    .uniform_work_group_size: 1
    .uses_dynamic_stack: false
    .vgpr_count:     0
    .vgpr_spill_count: 0
    .wavefront_size: 64
  - .agpr_count:     0
    .args:
      - .offset:         0
        .size:           48
        .value_kind:     by_value
    .group_segment_fixed_size: 0
    .kernarg_segment_align: 8
    .kernarg_segment_size: 48
    .language:       OpenCL C
    .language_version:
      - 2
      - 0
    .max_flat_workgroup_size: 256
    .name:           _ZN7rocprim17ROCPRIM_400000_NS6detail17trampoline_kernelINS0_13kernel_configILj256ELj4ELj4294967295EEENS1_37radix_sort_block_sort_config_selectorIiNS0_10empty_typeEEEZNS1_21radix_sort_block_sortIS4_Lb0EN6thrust23THRUST_200600_302600_NS6detail15normal_iteratorINSA_10device_ptrIiEEEESF_PS6_SG_NS0_19identity_decomposerEEE10hipError_tT1_T2_T3_T4_jRjT5_jjP12ihipStream_tbEUlT_E_NS1_11comp_targetILNS1_3genE4ELNS1_11target_archE910ELNS1_3gpuE8ELNS1_3repE0EEENS1_44radix_sort_block_sort_config_static_selectorELNS0_4arch9wavefront6targetE1EEEvSJ_
    .private_segment_fixed_size: 0
    .sgpr_count:     6
    .sgpr_spill_count: 0
    .symbol:         _ZN7rocprim17ROCPRIM_400000_NS6detail17trampoline_kernelINS0_13kernel_configILj256ELj4ELj4294967295EEENS1_37radix_sort_block_sort_config_selectorIiNS0_10empty_typeEEEZNS1_21radix_sort_block_sortIS4_Lb0EN6thrust23THRUST_200600_302600_NS6detail15normal_iteratorINSA_10device_ptrIiEEEESF_PS6_SG_NS0_19identity_decomposerEEE10hipError_tT1_T2_T3_T4_jRjT5_jjP12ihipStream_tbEUlT_E_NS1_11comp_targetILNS1_3genE4ELNS1_11target_archE910ELNS1_3gpuE8ELNS1_3repE0EEENS1_44radix_sort_block_sort_config_static_selectorELNS0_4arch9wavefront6targetE1EEEvSJ_.kd
    .uniform_work_group_size: 1
    .uses_dynamic_stack: false
    .vgpr_count:     0
    .vgpr_spill_count: 0
    .wavefront_size: 64
  - .agpr_count:     0
    .args:
      - .offset:         0
        .size:           48
        .value_kind:     by_value
    .group_segment_fixed_size: 0
    .kernarg_segment_align: 8
    .kernarg_segment_size: 48
    .language:       OpenCL C
    .language_version:
      - 2
      - 0
    .max_flat_workgroup_size: 256
    .name:           _ZN7rocprim17ROCPRIM_400000_NS6detail17trampoline_kernelINS0_13kernel_configILj256ELj4ELj4294967295EEENS1_37radix_sort_block_sort_config_selectorIiNS0_10empty_typeEEEZNS1_21radix_sort_block_sortIS4_Lb0EN6thrust23THRUST_200600_302600_NS6detail15normal_iteratorINSA_10device_ptrIiEEEESF_PS6_SG_NS0_19identity_decomposerEEE10hipError_tT1_T2_T3_T4_jRjT5_jjP12ihipStream_tbEUlT_E_NS1_11comp_targetILNS1_3genE3ELNS1_11target_archE908ELNS1_3gpuE7ELNS1_3repE0EEENS1_44radix_sort_block_sort_config_static_selectorELNS0_4arch9wavefront6targetE1EEEvSJ_
    .private_segment_fixed_size: 0
    .sgpr_count:     6
    .sgpr_spill_count: 0
    .symbol:         _ZN7rocprim17ROCPRIM_400000_NS6detail17trampoline_kernelINS0_13kernel_configILj256ELj4ELj4294967295EEENS1_37radix_sort_block_sort_config_selectorIiNS0_10empty_typeEEEZNS1_21radix_sort_block_sortIS4_Lb0EN6thrust23THRUST_200600_302600_NS6detail15normal_iteratorINSA_10device_ptrIiEEEESF_PS6_SG_NS0_19identity_decomposerEEE10hipError_tT1_T2_T3_T4_jRjT5_jjP12ihipStream_tbEUlT_E_NS1_11comp_targetILNS1_3genE3ELNS1_11target_archE908ELNS1_3gpuE7ELNS1_3repE0EEENS1_44radix_sort_block_sort_config_static_selectorELNS0_4arch9wavefront6targetE1EEEvSJ_.kd
    .uniform_work_group_size: 1
    .uses_dynamic_stack: false
    .vgpr_count:     0
    .vgpr_spill_count: 0
    .wavefront_size: 64
  - .agpr_count:     0
    .args:
      - .offset:         0
        .size:           48
        .value_kind:     by_value
    .group_segment_fixed_size: 0
    .kernarg_segment_align: 8
    .kernarg_segment_size: 48
    .language:       OpenCL C
    .language_version:
      - 2
      - 0
    .max_flat_workgroup_size: 256
    .name:           _ZN7rocprim17ROCPRIM_400000_NS6detail17trampoline_kernelINS0_13kernel_configILj256ELj4ELj4294967295EEENS1_37radix_sort_block_sort_config_selectorIiNS0_10empty_typeEEEZNS1_21radix_sort_block_sortIS4_Lb0EN6thrust23THRUST_200600_302600_NS6detail15normal_iteratorINSA_10device_ptrIiEEEESF_PS6_SG_NS0_19identity_decomposerEEE10hipError_tT1_T2_T3_T4_jRjT5_jjP12ihipStream_tbEUlT_E_NS1_11comp_targetILNS1_3genE2ELNS1_11target_archE906ELNS1_3gpuE6ELNS1_3repE0EEENS1_44radix_sort_block_sort_config_static_selectorELNS0_4arch9wavefront6targetE1EEEvSJ_
    .private_segment_fixed_size: 0
    .sgpr_count:     6
    .sgpr_spill_count: 0
    .symbol:         _ZN7rocprim17ROCPRIM_400000_NS6detail17trampoline_kernelINS0_13kernel_configILj256ELj4ELj4294967295EEENS1_37radix_sort_block_sort_config_selectorIiNS0_10empty_typeEEEZNS1_21radix_sort_block_sortIS4_Lb0EN6thrust23THRUST_200600_302600_NS6detail15normal_iteratorINSA_10device_ptrIiEEEESF_PS6_SG_NS0_19identity_decomposerEEE10hipError_tT1_T2_T3_T4_jRjT5_jjP12ihipStream_tbEUlT_E_NS1_11comp_targetILNS1_3genE2ELNS1_11target_archE906ELNS1_3gpuE6ELNS1_3repE0EEENS1_44radix_sort_block_sort_config_static_selectorELNS0_4arch9wavefront6targetE1EEEvSJ_.kd
    .uniform_work_group_size: 1
    .uses_dynamic_stack: false
    .vgpr_count:     0
    .vgpr_spill_count: 0
    .wavefront_size: 64
  - .agpr_count:     0
    .args:
      - .offset:         0
        .size:           48
        .value_kind:     by_value
    .group_segment_fixed_size: 0
    .kernarg_segment_align: 8
    .kernarg_segment_size: 48
    .language:       OpenCL C
    .language_version:
      - 2
      - 0
    .max_flat_workgroup_size: 256
    .name:           _ZN7rocprim17ROCPRIM_400000_NS6detail17trampoline_kernelINS0_13kernel_configILj256ELj4ELj4294967295EEENS1_37radix_sort_block_sort_config_selectorIiNS0_10empty_typeEEEZNS1_21radix_sort_block_sortIS4_Lb0EN6thrust23THRUST_200600_302600_NS6detail15normal_iteratorINSA_10device_ptrIiEEEESF_PS6_SG_NS0_19identity_decomposerEEE10hipError_tT1_T2_T3_T4_jRjT5_jjP12ihipStream_tbEUlT_E_NS1_11comp_targetILNS1_3genE10ELNS1_11target_archE1201ELNS1_3gpuE5ELNS1_3repE0EEENS1_44radix_sort_block_sort_config_static_selectorELNS0_4arch9wavefront6targetE1EEEvSJ_
    .private_segment_fixed_size: 0
    .sgpr_count:     6
    .sgpr_spill_count: 0
    .symbol:         _ZN7rocprim17ROCPRIM_400000_NS6detail17trampoline_kernelINS0_13kernel_configILj256ELj4ELj4294967295EEENS1_37radix_sort_block_sort_config_selectorIiNS0_10empty_typeEEEZNS1_21radix_sort_block_sortIS4_Lb0EN6thrust23THRUST_200600_302600_NS6detail15normal_iteratorINSA_10device_ptrIiEEEESF_PS6_SG_NS0_19identity_decomposerEEE10hipError_tT1_T2_T3_T4_jRjT5_jjP12ihipStream_tbEUlT_E_NS1_11comp_targetILNS1_3genE10ELNS1_11target_archE1201ELNS1_3gpuE5ELNS1_3repE0EEENS1_44radix_sort_block_sort_config_static_selectorELNS0_4arch9wavefront6targetE1EEEvSJ_.kd
    .uniform_work_group_size: 1
    .uses_dynamic_stack: false
    .vgpr_count:     0
    .vgpr_spill_count: 0
    .wavefront_size: 64
  - .agpr_count:     0
    .args:
      - .offset:         0
        .size:           48
        .value_kind:     by_value
    .group_segment_fixed_size: 0
    .kernarg_segment_align: 8
    .kernarg_segment_size: 48
    .language:       OpenCL C
    .language_version:
      - 2
      - 0
    .max_flat_workgroup_size: 256
    .name:           _ZN7rocprim17ROCPRIM_400000_NS6detail17trampoline_kernelINS0_13kernel_configILj256ELj4ELj4294967295EEENS1_37radix_sort_block_sort_config_selectorIiNS0_10empty_typeEEEZNS1_21radix_sort_block_sortIS4_Lb0EN6thrust23THRUST_200600_302600_NS6detail15normal_iteratorINSA_10device_ptrIiEEEESF_PS6_SG_NS0_19identity_decomposerEEE10hipError_tT1_T2_T3_T4_jRjT5_jjP12ihipStream_tbEUlT_E_NS1_11comp_targetILNS1_3genE10ELNS1_11target_archE1200ELNS1_3gpuE4ELNS1_3repE0EEENS1_44radix_sort_block_sort_config_static_selectorELNS0_4arch9wavefront6targetE1EEEvSJ_
    .private_segment_fixed_size: 0
    .sgpr_count:     6
    .sgpr_spill_count: 0
    .symbol:         _ZN7rocprim17ROCPRIM_400000_NS6detail17trampoline_kernelINS0_13kernel_configILj256ELj4ELj4294967295EEENS1_37radix_sort_block_sort_config_selectorIiNS0_10empty_typeEEEZNS1_21radix_sort_block_sortIS4_Lb0EN6thrust23THRUST_200600_302600_NS6detail15normal_iteratorINSA_10device_ptrIiEEEESF_PS6_SG_NS0_19identity_decomposerEEE10hipError_tT1_T2_T3_T4_jRjT5_jjP12ihipStream_tbEUlT_E_NS1_11comp_targetILNS1_3genE10ELNS1_11target_archE1200ELNS1_3gpuE4ELNS1_3repE0EEENS1_44radix_sort_block_sort_config_static_selectorELNS0_4arch9wavefront6targetE1EEEvSJ_.kd
    .uniform_work_group_size: 1
    .uses_dynamic_stack: false
    .vgpr_count:     0
    .vgpr_spill_count: 0
    .wavefront_size: 64
  - .agpr_count:     0
    .args:
      - .offset:         0
        .size:           48
        .value_kind:     by_value
    .group_segment_fixed_size: 0
    .kernarg_segment_align: 8
    .kernarg_segment_size: 48
    .language:       OpenCL C
    .language_version:
      - 2
      - 0
    .max_flat_workgroup_size: 256
    .name:           _ZN7rocprim17ROCPRIM_400000_NS6detail17trampoline_kernelINS0_13kernel_configILj256ELj4ELj4294967295EEENS1_37radix_sort_block_sort_config_selectorIiNS0_10empty_typeEEEZNS1_21radix_sort_block_sortIS4_Lb0EN6thrust23THRUST_200600_302600_NS6detail15normal_iteratorINSA_10device_ptrIiEEEESF_PS6_SG_NS0_19identity_decomposerEEE10hipError_tT1_T2_T3_T4_jRjT5_jjP12ihipStream_tbEUlT_E_NS1_11comp_targetILNS1_3genE9ELNS1_11target_archE1100ELNS1_3gpuE3ELNS1_3repE0EEENS1_44radix_sort_block_sort_config_static_selectorELNS0_4arch9wavefront6targetE1EEEvSJ_
    .private_segment_fixed_size: 0
    .sgpr_count:     6
    .sgpr_spill_count: 0
    .symbol:         _ZN7rocprim17ROCPRIM_400000_NS6detail17trampoline_kernelINS0_13kernel_configILj256ELj4ELj4294967295EEENS1_37radix_sort_block_sort_config_selectorIiNS0_10empty_typeEEEZNS1_21radix_sort_block_sortIS4_Lb0EN6thrust23THRUST_200600_302600_NS6detail15normal_iteratorINSA_10device_ptrIiEEEESF_PS6_SG_NS0_19identity_decomposerEEE10hipError_tT1_T2_T3_T4_jRjT5_jjP12ihipStream_tbEUlT_E_NS1_11comp_targetILNS1_3genE9ELNS1_11target_archE1100ELNS1_3gpuE3ELNS1_3repE0EEENS1_44radix_sort_block_sort_config_static_selectorELNS0_4arch9wavefront6targetE1EEEvSJ_.kd
    .uniform_work_group_size: 1
    .uses_dynamic_stack: false
    .vgpr_count:     0
    .vgpr_spill_count: 0
    .wavefront_size: 64
  - .agpr_count:     0
    .args:
      - .offset:         0
        .size:           48
        .value_kind:     by_value
    .group_segment_fixed_size: 0
    .kernarg_segment_align: 8
    .kernarg_segment_size: 48
    .language:       OpenCL C
    .language_version:
      - 2
      - 0
    .max_flat_workgroup_size: 256
    .name:           _ZN7rocprim17ROCPRIM_400000_NS6detail17trampoline_kernelINS0_13kernel_configILj256ELj4ELj4294967295EEENS1_37radix_sort_block_sort_config_selectorIiNS0_10empty_typeEEEZNS1_21radix_sort_block_sortIS4_Lb0EN6thrust23THRUST_200600_302600_NS6detail15normal_iteratorINSA_10device_ptrIiEEEESF_PS6_SG_NS0_19identity_decomposerEEE10hipError_tT1_T2_T3_T4_jRjT5_jjP12ihipStream_tbEUlT_E_NS1_11comp_targetILNS1_3genE8ELNS1_11target_archE1030ELNS1_3gpuE2ELNS1_3repE0EEENS1_44radix_sort_block_sort_config_static_selectorELNS0_4arch9wavefront6targetE1EEEvSJ_
    .private_segment_fixed_size: 0
    .sgpr_count:     6
    .sgpr_spill_count: 0
    .symbol:         _ZN7rocprim17ROCPRIM_400000_NS6detail17trampoline_kernelINS0_13kernel_configILj256ELj4ELj4294967295EEENS1_37radix_sort_block_sort_config_selectorIiNS0_10empty_typeEEEZNS1_21radix_sort_block_sortIS4_Lb0EN6thrust23THRUST_200600_302600_NS6detail15normal_iteratorINSA_10device_ptrIiEEEESF_PS6_SG_NS0_19identity_decomposerEEE10hipError_tT1_T2_T3_T4_jRjT5_jjP12ihipStream_tbEUlT_E_NS1_11comp_targetILNS1_3genE8ELNS1_11target_archE1030ELNS1_3gpuE2ELNS1_3repE0EEENS1_44radix_sort_block_sort_config_static_selectorELNS0_4arch9wavefront6targetE1EEEvSJ_.kd
    .uniform_work_group_size: 1
    .uses_dynamic_stack: false
    .vgpr_count:     0
    .vgpr_spill_count: 0
    .wavefront_size: 64
  - .agpr_count:     0
    .args:           []
    .group_segment_fixed_size: 0
    .kernarg_segment_align: 4
    .kernarg_segment_size: 0
    .language:       OpenCL C
    .language_version:
      - 2
      - 0
    .max_flat_workgroup_size: 1024
    .name:           _ZN7rocprim17ROCPRIM_400000_NS6detail44device_merge_sort_compile_time_verifier_archINS1_11comp_targetILNS1_3genE0ELNS1_11target_archE4294967295ELNS1_3gpuE0ELNS1_3repE0EEES8_NS1_28merge_sort_block_sort_configILj256ELj4ELNS0_20block_sort_algorithmE0EEENS0_14default_configENS1_37merge_sort_block_sort_config_selectorIiNS0_10empty_typeEEENS1_38merge_sort_block_merge_config_selectorIiSE_EEEEvv
    .private_segment_fixed_size: 0
    .sgpr_count:     6
    .sgpr_spill_count: 0
    .symbol:         _ZN7rocprim17ROCPRIM_400000_NS6detail44device_merge_sort_compile_time_verifier_archINS1_11comp_targetILNS1_3genE0ELNS1_11target_archE4294967295ELNS1_3gpuE0ELNS1_3repE0EEES8_NS1_28merge_sort_block_sort_configILj256ELj4ELNS0_20block_sort_algorithmE0EEENS0_14default_configENS1_37merge_sort_block_sort_config_selectorIiNS0_10empty_typeEEENS1_38merge_sort_block_merge_config_selectorIiSE_EEEEvv.kd
    .uniform_work_group_size: 1
    .uses_dynamic_stack: false
    .vgpr_count:     0
    .vgpr_spill_count: 0
    .wavefront_size: 64
  - .agpr_count:     0
    .args:           []
    .group_segment_fixed_size: 0
    .kernarg_segment_align: 4
    .kernarg_segment_size: 0
    .language:       OpenCL C
    .language_version:
      - 2
      - 0
    .max_flat_workgroup_size: 1024
    .name:           _ZN7rocprim17ROCPRIM_400000_NS6detail44device_merge_sort_compile_time_verifier_archINS1_11comp_targetILNS1_3genE5ELNS1_11target_archE942ELNS1_3gpuE9ELNS1_3repE0EEES8_NS1_28merge_sort_block_sort_configILj256ELj4ELNS0_20block_sort_algorithmE0EEENS0_14default_configENS1_37merge_sort_block_sort_config_selectorIiNS0_10empty_typeEEENS1_38merge_sort_block_merge_config_selectorIiSE_EEEEvv
    .private_segment_fixed_size: 0
    .sgpr_count:     6
    .sgpr_spill_count: 0
    .symbol:         _ZN7rocprim17ROCPRIM_400000_NS6detail44device_merge_sort_compile_time_verifier_archINS1_11comp_targetILNS1_3genE5ELNS1_11target_archE942ELNS1_3gpuE9ELNS1_3repE0EEES8_NS1_28merge_sort_block_sort_configILj256ELj4ELNS0_20block_sort_algorithmE0EEENS0_14default_configENS1_37merge_sort_block_sort_config_selectorIiNS0_10empty_typeEEENS1_38merge_sort_block_merge_config_selectorIiSE_EEEEvv.kd
    .uniform_work_group_size: 1
    .uses_dynamic_stack: false
    .vgpr_count:     0
    .vgpr_spill_count: 0
    .wavefront_size: 64
  - .agpr_count:     0
    .args:           []
    .group_segment_fixed_size: 0
    .kernarg_segment_align: 4
    .kernarg_segment_size: 0
    .language:       OpenCL C
    .language_version:
      - 2
      - 0
    .max_flat_workgroup_size: 1024
    .name:           _ZN7rocprim17ROCPRIM_400000_NS6detail44device_merge_sort_compile_time_verifier_archINS1_11comp_targetILNS1_3genE4ELNS1_11target_archE910ELNS1_3gpuE8ELNS1_3repE0EEES8_NS1_28merge_sort_block_sort_configILj256ELj4ELNS0_20block_sort_algorithmE0EEENS0_14default_configENS1_37merge_sort_block_sort_config_selectorIiNS0_10empty_typeEEENS1_38merge_sort_block_merge_config_selectorIiSE_EEEEvv
    .private_segment_fixed_size: 0
    .sgpr_count:     6
    .sgpr_spill_count: 0
    .symbol:         _ZN7rocprim17ROCPRIM_400000_NS6detail44device_merge_sort_compile_time_verifier_archINS1_11comp_targetILNS1_3genE4ELNS1_11target_archE910ELNS1_3gpuE8ELNS1_3repE0EEES8_NS1_28merge_sort_block_sort_configILj256ELj4ELNS0_20block_sort_algorithmE0EEENS0_14default_configENS1_37merge_sort_block_sort_config_selectorIiNS0_10empty_typeEEENS1_38merge_sort_block_merge_config_selectorIiSE_EEEEvv.kd
    .uniform_work_group_size: 1
    .uses_dynamic_stack: false
    .vgpr_count:     0
    .vgpr_spill_count: 0
    .wavefront_size: 64
  - .agpr_count:     0
    .args:           []
    .group_segment_fixed_size: 0
    .kernarg_segment_align: 4
    .kernarg_segment_size: 0
    .language:       OpenCL C
    .language_version:
      - 2
      - 0
    .max_flat_workgroup_size: 1024
    .name:           _ZN7rocprim17ROCPRIM_400000_NS6detail44device_merge_sort_compile_time_verifier_archINS1_11comp_targetILNS1_3genE3ELNS1_11target_archE908ELNS1_3gpuE7ELNS1_3repE0EEES8_NS1_28merge_sort_block_sort_configILj256ELj4ELNS0_20block_sort_algorithmE0EEENS0_14default_configENS1_37merge_sort_block_sort_config_selectorIiNS0_10empty_typeEEENS1_38merge_sort_block_merge_config_selectorIiSE_EEEEvv
    .private_segment_fixed_size: 0
    .sgpr_count:     6
    .sgpr_spill_count: 0
    .symbol:         _ZN7rocprim17ROCPRIM_400000_NS6detail44device_merge_sort_compile_time_verifier_archINS1_11comp_targetILNS1_3genE3ELNS1_11target_archE908ELNS1_3gpuE7ELNS1_3repE0EEES8_NS1_28merge_sort_block_sort_configILj256ELj4ELNS0_20block_sort_algorithmE0EEENS0_14default_configENS1_37merge_sort_block_sort_config_selectorIiNS0_10empty_typeEEENS1_38merge_sort_block_merge_config_selectorIiSE_EEEEvv.kd
    .uniform_work_group_size: 1
    .uses_dynamic_stack: false
    .vgpr_count:     0
    .vgpr_spill_count: 0
    .wavefront_size: 64
  - .agpr_count:     0
    .args:           []
    .group_segment_fixed_size: 0
    .kernarg_segment_align: 4
    .kernarg_segment_size: 0
    .language:       OpenCL C
    .language_version:
      - 2
      - 0
    .max_flat_workgroup_size: 1024
    .name:           _ZN7rocprim17ROCPRIM_400000_NS6detail44device_merge_sort_compile_time_verifier_archINS1_11comp_targetILNS1_3genE2ELNS1_11target_archE906ELNS1_3gpuE6ELNS1_3repE0EEES8_NS1_28merge_sort_block_sort_configILj256ELj4ELNS0_20block_sort_algorithmE0EEENS0_14default_configENS1_37merge_sort_block_sort_config_selectorIiNS0_10empty_typeEEENS1_38merge_sort_block_merge_config_selectorIiSE_EEEEvv
    .private_segment_fixed_size: 0
    .sgpr_count:     6
    .sgpr_spill_count: 0
    .symbol:         _ZN7rocprim17ROCPRIM_400000_NS6detail44device_merge_sort_compile_time_verifier_archINS1_11comp_targetILNS1_3genE2ELNS1_11target_archE906ELNS1_3gpuE6ELNS1_3repE0EEES8_NS1_28merge_sort_block_sort_configILj256ELj4ELNS0_20block_sort_algorithmE0EEENS0_14default_configENS1_37merge_sort_block_sort_config_selectorIiNS0_10empty_typeEEENS1_38merge_sort_block_merge_config_selectorIiSE_EEEEvv.kd
    .uniform_work_group_size: 1
    .uses_dynamic_stack: false
    .vgpr_count:     0
    .vgpr_spill_count: 0
    .wavefront_size: 64
  - .agpr_count:     0
    .args:           []
    .group_segment_fixed_size: 0
    .kernarg_segment_align: 4
    .kernarg_segment_size: 0
    .language:       OpenCL C
    .language_version:
      - 2
      - 0
    .max_flat_workgroup_size: 1024
    .name:           _ZN7rocprim17ROCPRIM_400000_NS6detail44device_merge_sort_compile_time_verifier_archINS1_11comp_targetILNS1_3genE10ELNS1_11target_archE1201ELNS1_3gpuE5ELNS1_3repE0EEES8_NS1_28merge_sort_block_sort_configILj256ELj4ELNS0_20block_sort_algorithmE0EEENS0_14default_configENS1_37merge_sort_block_sort_config_selectorIiNS0_10empty_typeEEENS1_38merge_sort_block_merge_config_selectorIiSE_EEEEvv
    .private_segment_fixed_size: 0
    .sgpr_count:     6
    .sgpr_spill_count: 0
    .symbol:         _ZN7rocprim17ROCPRIM_400000_NS6detail44device_merge_sort_compile_time_verifier_archINS1_11comp_targetILNS1_3genE10ELNS1_11target_archE1201ELNS1_3gpuE5ELNS1_3repE0EEES8_NS1_28merge_sort_block_sort_configILj256ELj4ELNS0_20block_sort_algorithmE0EEENS0_14default_configENS1_37merge_sort_block_sort_config_selectorIiNS0_10empty_typeEEENS1_38merge_sort_block_merge_config_selectorIiSE_EEEEvv.kd
    .uniform_work_group_size: 1
    .uses_dynamic_stack: false
    .vgpr_count:     0
    .vgpr_spill_count: 0
    .wavefront_size: 64
  - .agpr_count:     0
    .args:           []
    .group_segment_fixed_size: 0
    .kernarg_segment_align: 4
    .kernarg_segment_size: 0
    .language:       OpenCL C
    .language_version:
      - 2
      - 0
    .max_flat_workgroup_size: 1024
    .name:           _ZN7rocprim17ROCPRIM_400000_NS6detail44device_merge_sort_compile_time_verifier_archINS1_11comp_targetILNS1_3genE10ELNS1_11target_archE1200ELNS1_3gpuE4ELNS1_3repE0EEENS3_ILS4_10ELS5_1201ELS6_5ELS7_0EEENS1_28merge_sort_block_sort_configILj256ELj4ELNS0_20block_sort_algorithmE0EEENS0_14default_configENS1_37merge_sort_block_sort_config_selectorIiNS0_10empty_typeEEENS1_38merge_sort_block_merge_config_selectorIiSF_EEEEvv
    .private_segment_fixed_size: 0
    .sgpr_count:     6
    .sgpr_spill_count: 0
    .symbol:         _ZN7rocprim17ROCPRIM_400000_NS6detail44device_merge_sort_compile_time_verifier_archINS1_11comp_targetILNS1_3genE10ELNS1_11target_archE1200ELNS1_3gpuE4ELNS1_3repE0EEENS3_ILS4_10ELS5_1201ELS6_5ELS7_0EEENS1_28merge_sort_block_sort_configILj256ELj4ELNS0_20block_sort_algorithmE0EEENS0_14default_configENS1_37merge_sort_block_sort_config_selectorIiNS0_10empty_typeEEENS1_38merge_sort_block_merge_config_selectorIiSF_EEEEvv.kd
    .uniform_work_group_size: 1
    .uses_dynamic_stack: false
    .vgpr_count:     0
    .vgpr_spill_count: 0
    .wavefront_size: 64
  - .agpr_count:     0
    .args:           []
    .group_segment_fixed_size: 0
    .kernarg_segment_align: 4
    .kernarg_segment_size: 0
    .language:       OpenCL C
    .language_version:
      - 2
      - 0
    .max_flat_workgroup_size: 1024
    .name:           _ZN7rocprim17ROCPRIM_400000_NS6detail44device_merge_sort_compile_time_verifier_archINS1_11comp_targetILNS1_3genE9ELNS1_11target_archE1100ELNS1_3gpuE3ELNS1_3repE0EEES8_NS1_28merge_sort_block_sort_configILj256ELj4ELNS0_20block_sort_algorithmE0EEENS0_14default_configENS1_37merge_sort_block_sort_config_selectorIiNS0_10empty_typeEEENS1_38merge_sort_block_merge_config_selectorIiSE_EEEEvv
    .private_segment_fixed_size: 0
    .sgpr_count:     6
    .sgpr_spill_count: 0
    .symbol:         _ZN7rocprim17ROCPRIM_400000_NS6detail44device_merge_sort_compile_time_verifier_archINS1_11comp_targetILNS1_3genE9ELNS1_11target_archE1100ELNS1_3gpuE3ELNS1_3repE0EEES8_NS1_28merge_sort_block_sort_configILj256ELj4ELNS0_20block_sort_algorithmE0EEENS0_14default_configENS1_37merge_sort_block_sort_config_selectorIiNS0_10empty_typeEEENS1_38merge_sort_block_merge_config_selectorIiSE_EEEEvv.kd
    .uniform_work_group_size: 1
    .uses_dynamic_stack: false
    .vgpr_count:     0
    .vgpr_spill_count: 0
    .wavefront_size: 64
  - .agpr_count:     0
    .args:           []
    .group_segment_fixed_size: 0
    .kernarg_segment_align: 4
    .kernarg_segment_size: 0
    .language:       OpenCL C
    .language_version:
      - 2
      - 0
    .max_flat_workgroup_size: 1024
    .name:           _ZN7rocprim17ROCPRIM_400000_NS6detail44device_merge_sort_compile_time_verifier_archINS1_11comp_targetILNS1_3genE8ELNS1_11target_archE1030ELNS1_3gpuE2ELNS1_3repE0EEES8_NS1_28merge_sort_block_sort_configILj256ELj4ELNS0_20block_sort_algorithmE0EEENS0_14default_configENS1_37merge_sort_block_sort_config_selectorIiNS0_10empty_typeEEENS1_38merge_sort_block_merge_config_selectorIiSE_EEEEvv
    .private_segment_fixed_size: 0
    .sgpr_count:     6
    .sgpr_spill_count: 0
    .symbol:         _ZN7rocprim17ROCPRIM_400000_NS6detail44device_merge_sort_compile_time_verifier_archINS1_11comp_targetILNS1_3genE8ELNS1_11target_archE1030ELNS1_3gpuE2ELNS1_3repE0EEES8_NS1_28merge_sort_block_sort_configILj256ELj4ELNS0_20block_sort_algorithmE0EEENS0_14default_configENS1_37merge_sort_block_sort_config_selectorIiNS0_10empty_typeEEENS1_38merge_sort_block_merge_config_selectorIiSE_EEEEvv.kd
    .uniform_work_group_size: 1
    .uses_dynamic_stack: false
    .vgpr_count:     0
    .vgpr_spill_count: 0
    .wavefront_size: 64
  - .agpr_count:     0
    .args:
      - .offset:         0
        .size:           40
        .value_kind:     by_value
    .group_segment_fixed_size: 0
    .kernarg_segment_align: 8
    .kernarg_segment_size: 40
    .language:       OpenCL C
    .language_version:
      - 2
      - 0
    .max_flat_workgroup_size: 128
    .name:           _ZN7rocprim17ROCPRIM_400000_NS6detail17trampoline_kernelINS0_14default_configENS1_38merge_sort_block_merge_config_selectorIiNS0_10empty_typeEEEZZNS1_27merge_sort_block_merge_implIS3_N6thrust23THRUST_200600_302600_NS6detail15normal_iteratorINS9_10device_ptrIiEEEEPS5_jNS1_19radix_merge_compareILb0ELb0EiNS0_19identity_decomposerEEEEE10hipError_tT0_T1_T2_jT3_P12ihipStream_tbPNSt15iterator_traitsISK_E10value_typeEPNSQ_ISL_E10value_typeEPSM_NS1_7vsmem_tEENKUlT_SK_SL_SM_E_clIPiSE_SF_SF_EESJ_SZ_SK_SL_SM_EUlSZ_E_NS1_11comp_targetILNS1_3genE0ELNS1_11target_archE4294967295ELNS1_3gpuE0ELNS1_3repE0EEENS1_48merge_mergepath_partition_config_static_selectorELNS0_4arch9wavefront6targetE1EEEvSL_
    .private_segment_fixed_size: 0
    .sgpr_count:     14
    .sgpr_spill_count: 0
    .symbol:         _ZN7rocprim17ROCPRIM_400000_NS6detail17trampoline_kernelINS0_14default_configENS1_38merge_sort_block_merge_config_selectorIiNS0_10empty_typeEEEZZNS1_27merge_sort_block_merge_implIS3_N6thrust23THRUST_200600_302600_NS6detail15normal_iteratorINS9_10device_ptrIiEEEEPS5_jNS1_19radix_merge_compareILb0ELb0EiNS0_19identity_decomposerEEEEE10hipError_tT0_T1_T2_jT3_P12ihipStream_tbPNSt15iterator_traitsISK_E10value_typeEPNSQ_ISL_E10value_typeEPSM_NS1_7vsmem_tEENKUlT_SK_SL_SM_E_clIPiSE_SF_SF_EESJ_SZ_SK_SL_SM_EUlSZ_E_NS1_11comp_targetILNS1_3genE0ELNS1_11target_archE4294967295ELNS1_3gpuE0ELNS1_3repE0EEENS1_48merge_mergepath_partition_config_static_selectorELNS0_4arch9wavefront6targetE1EEEvSL_.kd
    .uniform_work_group_size: 1
    .uses_dynamic_stack: false
    .vgpr_count:     17
    .vgpr_spill_count: 0
    .wavefront_size: 64
  - .agpr_count:     0
    .args:
      - .offset:         0
        .size:           40
        .value_kind:     by_value
    .group_segment_fixed_size: 0
    .kernarg_segment_align: 8
    .kernarg_segment_size: 40
    .language:       OpenCL C
    .language_version:
      - 2
      - 0
    .max_flat_workgroup_size: 128
    .name:           _ZN7rocprim17ROCPRIM_400000_NS6detail17trampoline_kernelINS0_14default_configENS1_38merge_sort_block_merge_config_selectorIiNS0_10empty_typeEEEZZNS1_27merge_sort_block_merge_implIS3_N6thrust23THRUST_200600_302600_NS6detail15normal_iteratorINS9_10device_ptrIiEEEEPS5_jNS1_19radix_merge_compareILb0ELb0EiNS0_19identity_decomposerEEEEE10hipError_tT0_T1_T2_jT3_P12ihipStream_tbPNSt15iterator_traitsISK_E10value_typeEPNSQ_ISL_E10value_typeEPSM_NS1_7vsmem_tEENKUlT_SK_SL_SM_E_clIPiSE_SF_SF_EESJ_SZ_SK_SL_SM_EUlSZ_E_NS1_11comp_targetILNS1_3genE10ELNS1_11target_archE1201ELNS1_3gpuE5ELNS1_3repE0EEENS1_48merge_mergepath_partition_config_static_selectorELNS0_4arch9wavefront6targetE1EEEvSL_
    .private_segment_fixed_size: 0
    .sgpr_count:     6
    .sgpr_spill_count: 0
    .symbol:         _ZN7rocprim17ROCPRIM_400000_NS6detail17trampoline_kernelINS0_14default_configENS1_38merge_sort_block_merge_config_selectorIiNS0_10empty_typeEEEZZNS1_27merge_sort_block_merge_implIS3_N6thrust23THRUST_200600_302600_NS6detail15normal_iteratorINS9_10device_ptrIiEEEEPS5_jNS1_19radix_merge_compareILb0ELb0EiNS0_19identity_decomposerEEEEE10hipError_tT0_T1_T2_jT3_P12ihipStream_tbPNSt15iterator_traitsISK_E10value_typeEPNSQ_ISL_E10value_typeEPSM_NS1_7vsmem_tEENKUlT_SK_SL_SM_E_clIPiSE_SF_SF_EESJ_SZ_SK_SL_SM_EUlSZ_E_NS1_11comp_targetILNS1_3genE10ELNS1_11target_archE1201ELNS1_3gpuE5ELNS1_3repE0EEENS1_48merge_mergepath_partition_config_static_selectorELNS0_4arch9wavefront6targetE1EEEvSL_.kd
    .uniform_work_group_size: 1
    .uses_dynamic_stack: false
    .vgpr_count:     0
    .vgpr_spill_count: 0
    .wavefront_size: 64
  - .agpr_count:     0
    .args:
      - .offset:         0
        .size:           40
        .value_kind:     by_value
    .group_segment_fixed_size: 0
    .kernarg_segment_align: 8
    .kernarg_segment_size: 40
    .language:       OpenCL C
    .language_version:
      - 2
      - 0
    .max_flat_workgroup_size: 128
    .name:           _ZN7rocprim17ROCPRIM_400000_NS6detail17trampoline_kernelINS0_14default_configENS1_38merge_sort_block_merge_config_selectorIiNS0_10empty_typeEEEZZNS1_27merge_sort_block_merge_implIS3_N6thrust23THRUST_200600_302600_NS6detail15normal_iteratorINS9_10device_ptrIiEEEEPS5_jNS1_19radix_merge_compareILb0ELb0EiNS0_19identity_decomposerEEEEE10hipError_tT0_T1_T2_jT3_P12ihipStream_tbPNSt15iterator_traitsISK_E10value_typeEPNSQ_ISL_E10value_typeEPSM_NS1_7vsmem_tEENKUlT_SK_SL_SM_E_clIPiSE_SF_SF_EESJ_SZ_SK_SL_SM_EUlSZ_E_NS1_11comp_targetILNS1_3genE5ELNS1_11target_archE942ELNS1_3gpuE9ELNS1_3repE0EEENS1_48merge_mergepath_partition_config_static_selectorELNS0_4arch9wavefront6targetE1EEEvSL_
    .private_segment_fixed_size: 0
    .sgpr_count:     6
    .sgpr_spill_count: 0
    .symbol:         _ZN7rocprim17ROCPRIM_400000_NS6detail17trampoline_kernelINS0_14default_configENS1_38merge_sort_block_merge_config_selectorIiNS0_10empty_typeEEEZZNS1_27merge_sort_block_merge_implIS3_N6thrust23THRUST_200600_302600_NS6detail15normal_iteratorINS9_10device_ptrIiEEEEPS5_jNS1_19radix_merge_compareILb0ELb0EiNS0_19identity_decomposerEEEEE10hipError_tT0_T1_T2_jT3_P12ihipStream_tbPNSt15iterator_traitsISK_E10value_typeEPNSQ_ISL_E10value_typeEPSM_NS1_7vsmem_tEENKUlT_SK_SL_SM_E_clIPiSE_SF_SF_EESJ_SZ_SK_SL_SM_EUlSZ_E_NS1_11comp_targetILNS1_3genE5ELNS1_11target_archE942ELNS1_3gpuE9ELNS1_3repE0EEENS1_48merge_mergepath_partition_config_static_selectorELNS0_4arch9wavefront6targetE1EEEvSL_.kd
    .uniform_work_group_size: 1
    .uses_dynamic_stack: false
    .vgpr_count:     0
    .vgpr_spill_count: 0
    .wavefront_size: 64
  - .agpr_count:     0
    .args:
      - .offset:         0
        .size:           40
        .value_kind:     by_value
    .group_segment_fixed_size: 0
    .kernarg_segment_align: 8
    .kernarg_segment_size: 40
    .language:       OpenCL C
    .language_version:
      - 2
      - 0
    .max_flat_workgroup_size: 128
    .name:           _ZN7rocprim17ROCPRIM_400000_NS6detail17trampoline_kernelINS0_14default_configENS1_38merge_sort_block_merge_config_selectorIiNS0_10empty_typeEEEZZNS1_27merge_sort_block_merge_implIS3_N6thrust23THRUST_200600_302600_NS6detail15normal_iteratorINS9_10device_ptrIiEEEEPS5_jNS1_19radix_merge_compareILb0ELb0EiNS0_19identity_decomposerEEEEE10hipError_tT0_T1_T2_jT3_P12ihipStream_tbPNSt15iterator_traitsISK_E10value_typeEPNSQ_ISL_E10value_typeEPSM_NS1_7vsmem_tEENKUlT_SK_SL_SM_E_clIPiSE_SF_SF_EESJ_SZ_SK_SL_SM_EUlSZ_E_NS1_11comp_targetILNS1_3genE4ELNS1_11target_archE910ELNS1_3gpuE8ELNS1_3repE0EEENS1_48merge_mergepath_partition_config_static_selectorELNS0_4arch9wavefront6targetE1EEEvSL_
    .private_segment_fixed_size: 0
    .sgpr_count:     6
    .sgpr_spill_count: 0
    .symbol:         _ZN7rocprim17ROCPRIM_400000_NS6detail17trampoline_kernelINS0_14default_configENS1_38merge_sort_block_merge_config_selectorIiNS0_10empty_typeEEEZZNS1_27merge_sort_block_merge_implIS3_N6thrust23THRUST_200600_302600_NS6detail15normal_iteratorINS9_10device_ptrIiEEEEPS5_jNS1_19radix_merge_compareILb0ELb0EiNS0_19identity_decomposerEEEEE10hipError_tT0_T1_T2_jT3_P12ihipStream_tbPNSt15iterator_traitsISK_E10value_typeEPNSQ_ISL_E10value_typeEPSM_NS1_7vsmem_tEENKUlT_SK_SL_SM_E_clIPiSE_SF_SF_EESJ_SZ_SK_SL_SM_EUlSZ_E_NS1_11comp_targetILNS1_3genE4ELNS1_11target_archE910ELNS1_3gpuE8ELNS1_3repE0EEENS1_48merge_mergepath_partition_config_static_selectorELNS0_4arch9wavefront6targetE1EEEvSL_.kd
    .uniform_work_group_size: 1
    .uses_dynamic_stack: false
    .vgpr_count:     0
    .vgpr_spill_count: 0
    .wavefront_size: 64
  - .agpr_count:     0
    .args:
      - .offset:         0
        .size:           40
        .value_kind:     by_value
    .group_segment_fixed_size: 0
    .kernarg_segment_align: 8
    .kernarg_segment_size: 40
    .language:       OpenCL C
    .language_version:
      - 2
      - 0
    .max_flat_workgroup_size: 128
    .name:           _ZN7rocprim17ROCPRIM_400000_NS6detail17trampoline_kernelINS0_14default_configENS1_38merge_sort_block_merge_config_selectorIiNS0_10empty_typeEEEZZNS1_27merge_sort_block_merge_implIS3_N6thrust23THRUST_200600_302600_NS6detail15normal_iteratorINS9_10device_ptrIiEEEEPS5_jNS1_19radix_merge_compareILb0ELb0EiNS0_19identity_decomposerEEEEE10hipError_tT0_T1_T2_jT3_P12ihipStream_tbPNSt15iterator_traitsISK_E10value_typeEPNSQ_ISL_E10value_typeEPSM_NS1_7vsmem_tEENKUlT_SK_SL_SM_E_clIPiSE_SF_SF_EESJ_SZ_SK_SL_SM_EUlSZ_E_NS1_11comp_targetILNS1_3genE3ELNS1_11target_archE908ELNS1_3gpuE7ELNS1_3repE0EEENS1_48merge_mergepath_partition_config_static_selectorELNS0_4arch9wavefront6targetE1EEEvSL_
    .private_segment_fixed_size: 0
    .sgpr_count:     6
    .sgpr_spill_count: 0
    .symbol:         _ZN7rocprim17ROCPRIM_400000_NS6detail17trampoline_kernelINS0_14default_configENS1_38merge_sort_block_merge_config_selectorIiNS0_10empty_typeEEEZZNS1_27merge_sort_block_merge_implIS3_N6thrust23THRUST_200600_302600_NS6detail15normal_iteratorINS9_10device_ptrIiEEEEPS5_jNS1_19radix_merge_compareILb0ELb0EiNS0_19identity_decomposerEEEEE10hipError_tT0_T1_T2_jT3_P12ihipStream_tbPNSt15iterator_traitsISK_E10value_typeEPNSQ_ISL_E10value_typeEPSM_NS1_7vsmem_tEENKUlT_SK_SL_SM_E_clIPiSE_SF_SF_EESJ_SZ_SK_SL_SM_EUlSZ_E_NS1_11comp_targetILNS1_3genE3ELNS1_11target_archE908ELNS1_3gpuE7ELNS1_3repE0EEENS1_48merge_mergepath_partition_config_static_selectorELNS0_4arch9wavefront6targetE1EEEvSL_.kd
    .uniform_work_group_size: 1
    .uses_dynamic_stack: false
    .vgpr_count:     0
    .vgpr_spill_count: 0
    .wavefront_size: 64
  - .agpr_count:     0
    .args:
      - .offset:         0
        .size:           40
        .value_kind:     by_value
    .group_segment_fixed_size: 0
    .kernarg_segment_align: 8
    .kernarg_segment_size: 40
    .language:       OpenCL C
    .language_version:
      - 2
      - 0
    .max_flat_workgroup_size: 128
    .name:           _ZN7rocprim17ROCPRIM_400000_NS6detail17trampoline_kernelINS0_14default_configENS1_38merge_sort_block_merge_config_selectorIiNS0_10empty_typeEEEZZNS1_27merge_sort_block_merge_implIS3_N6thrust23THRUST_200600_302600_NS6detail15normal_iteratorINS9_10device_ptrIiEEEEPS5_jNS1_19radix_merge_compareILb0ELb0EiNS0_19identity_decomposerEEEEE10hipError_tT0_T1_T2_jT3_P12ihipStream_tbPNSt15iterator_traitsISK_E10value_typeEPNSQ_ISL_E10value_typeEPSM_NS1_7vsmem_tEENKUlT_SK_SL_SM_E_clIPiSE_SF_SF_EESJ_SZ_SK_SL_SM_EUlSZ_E_NS1_11comp_targetILNS1_3genE2ELNS1_11target_archE906ELNS1_3gpuE6ELNS1_3repE0EEENS1_48merge_mergepath_partition_config_static_selectorELNS0_4arch9wavefront6targetE1EEEvSL_
    .private_segment_fixed_size: 0
    .sgpr_count:     6
    .sgpr_spill_count: 0
    .symbol:         _ZN7rocprim17ROCPRIM_400000_NS6detail17trampoline_kernelINS0_14default_configENS1_38merge_sort_block_merge_config_selectorIiNS0_10empty_typeEEEZZNS1_27merge_sort_block_merge_implIS3_N6thrust23THRUST_200600_302600_NS6detail15normal_iteratorINS9_10device_ptrIiEEEEPS5_jNS1_19radix_merge_compareILb0ELb0EiNS0_19identity_decomposerEEEEE10hipError_tT0_T1_T2_jT3_P12ihipStream_tbPNSt15iterator_traitsISK_E10value_typeEPNSQ_ISL_E10value_typeEPSM_NS1_7vsmem_tEENKUlT_SK_SL_SM_E_clIPiSE_SF_SF_EESJ_SZ_SK_SL_SM_EUlSZ_E_NS1_11comp_targetILNS1_3genE2ELNS1_11target_archE906ELNS1_3gpuE6ELNS1_3repE0EEENS1_48merge_mergepath_partition_config_static_selectorELNS0_4arch9wavefront6targetE1EEEvSL_.kd
    .uniform_work_group_size: 1
    .uses_dynamic_stack: false
    .vgpr_count:     0
    .vgpr_spill_count: 0
    .wavefront_size: 64
  - .agpr_count:     0
    .args:
      - .offset:         0
        .size:           40
        .value_kind:     by_value
    .group_segment_fixed_size: 0
    .kernarg_segment_align: 8
    .kernarg_segment_size: 40
    .language:       OpenCL C
    .language_version:
      - 2
      - 0
    .max_flat_workgroup_size: 128
    .name:           _ZN7rocprim17ROCPRIM_400000_NS6detail17trampoline_kernelINS0_14default_configENS1_38merge_sort_block_merge_config_selectorIiNS0_10empty_typeEEEZZNS1_27merge_sort_block_merge_implIS3_N6thrust23THRUST_200600_302600_NS6detail15normal_iteratorINS9_10device_ptrIiEEEEPS5_jNS1_19radix_merge_compareILb0ELb0EiNS0_19identity_decomposerEEEEE10hipError_tT0_T1_T2_jT3_P12ihipStream_tbPNSt15iterator_traitsISK_E10value_typeEPNSQ_ISL_E10value_typeEPSM_NS1_7vsmem_tEENKUlT_SK_SL_SM_E_clIPiSE_SF_SF_EESJ_SZ_SK_SL_SM_EUlSZ_E_NS1_11comp_targetILNS1_3genE9ELNS1_11target_archE1100ELNS1_3gpuE3ELNS1_3repE0EEENS1_48merge_mergepath_partition_config_static_selectorELNS0_4arch9wavefront6targetE1EEEvSL_
    .private_segment_fixed_size: 0
    .sgpr_count:     6
    .sgpr_spill_count: 0
    .symbol:         _ZN7rocprim17ROCPRIM_400000_NS6detail17trampoline_kernelINS0_14default_configENS1_38merge_sort_block_merge_config_selectorIiNS0_10empty_typeEEEZZNS1_27merge_sort_block_merge_implIS3_N6thrust23THRUST_200600_302600_NS6detail15normal_iteratorINS9_10device_ptrIiEEEEPS5_jNS1_19radix_merge_compareILb0ELb0EiNS0_19identity_decomposerEEEEE10hipError_tT0_T1_T2_jT3_P12ihipStream_tbPNSt15iterator_traitsISK_E10value_typeEPNSQ_ISL_E10value_typeEPSM_NS1_7vsmem_tEENKUlT_SK_SL_SM_E_clIPiSE_SF_SF_EESJ_SZ_SK_SL_SM_EUlSZ_E_NS1_11comp_targetILNS1_3genE9ELNS1_11target_archE1100ELNS1_3gpuE3ELNS1_3repE0EEENS1_48merge_mergepath_partition_config_static_selectorELNS0_4arch9wavefront6targetE1EEEvSL_.kd
    .uniform_work_group_size: 1
    .uses_dynamic_stack: false
    .vgpr_count:     0
    .vgpr_spill_count: 0
    .wavefront_size: 64
  - .agpr_count:     0
    .args:
      - .offset:         0
        .size:           40
        .value_kind:     by_value
    .group_segment_fixed_size: 0
    .kernarg_segment_align: 8
    .kernarg_segment_size: 40
    .language:       OpenCL C
    .language_version:
      - 2
      - 0
    .max_flat_workgroup_size: 128
    .name:           _ZN7rocprim17ROCPRIM_400000_NS6detail17trampoline_kernelINS0_14default_configENS1_38merge_sort_block_merge_config_selectorIiNS0_10empty_typeEEEZZNS1_27merge_sort_block_merge_implIS3_N6thrust23THRUST_200600_302600_NS6detail15normal_iteratorINS9_10device_ptrIiEEEEPS5_jNS1_19radix_merge_compareILb0ELb0EiNS0_19identity_decomposerEEEEE10hipError_tT0_T1_T2_jT3_P12ihipStream_tbPNSt15iterator_traitsISK_E10value_typeEPNSQ_ISL_E10value_typeEPSM_NS1_7vsmem_tEENKUlT_SK_SL_SM_E_clIPiSE_SF_SF_EESJ_SZ_SK_SL_SM_EUlSZ_E_NS1_11comp_targetILNS1_3genE8ELNS1_11target_archE1030ELNS1_3gpuE2ELNS1_3repE0EEENS1_48merge_mergepath_partition_config_static_selectorELNS0_4arch9wavefront6targetE1EEEvSL_
    .private_segment_fixed_size: 0
    .sgpr_count:     6
    .sgpr_spill_count: 0
    .symbol:         _ZN7rocprim17ROCPRIM_400000_NS6detail17trampoline_kernelINS0_14default_configENS1_38merge_sort_block_merge_config_selectorIiNS0_10empty_typeEEEZZNS1_27merge_sort_block_merge_implIS3_N6thrust23THRUST_200600_302600_NS6detail15normal_iteratorINS9_10device_ptrIiEEEEPS5_jNS1_19radix_merge_compareILb0ELb0EiNS0_19identity_decomposerEEEEE10hipError_tT0_T1_T2_jT3_P12ihipStream_tbPNSt15iterator_traitsISK_E10value_typeEPNSQ_ISL_E10value_typeEPSM_NS1_7vsmem_tEENKUlT_SK_SL_SM_E_clIPiSE_SF_SF_EESJ_SZ_SK_SL_SM_EUlSZ_E_NS1_11comp_targetILNS1_3genE8ELNS1_11target_archE1030ELNS1_3gpuE2ELNS1_3repE0EEENS1_48merge_mergepath_partition_config_static_selectorELNS0_4arch9wavefront6targetE1EEEvSL_.kd
    .uniform_work_group_size: 1
    .uses_dynamic_stack: false
    .vgpr_count:     0
    .vgpr_spill_count: 0
    .wavefront_size: 64
  - .agpr_count:     0
    .args:
      - .offset:         0
        .size:           64
        .value_kind:     by_value
      - .offset:         64
        .size:           4
        .value_kind:     hidden_block_count_x
      - .offset:         68
        .size:           4
        .value_kind:     hidden_block_count_y
      - .offset:         72
        .size:           4
        .value_kind:     hidden_block_count_z
      - .offset:         76
        .size:           2
        .value_kind:     hidden_group_size_x
      - .offset:         78
        .size:           2
        .value_kind:     hidden_group_size_y
      - .offset:         80
        .size:           2
        .value_kind:     hidden_group_size_z
      - .offset:         82
        .size:           2
        .value_kind:     hidden_remainder_x
      - .offset:         84
        .size:           2
        .value_kind:     hidden_remainder_y
      - .offset:         86
        .size:           2
        .value_kind:     hidden_remainder_z
      - .offset:         104
        .size:           8
        .value_kind:     hidden_global_offset_x
      - .offset:         112
        .size:           8
        .value_kind:     hidden_global_offset_y
      - .offset:         120
        .size:           8
        .value_kind:     hidden_global_offset_z
      - .offset:         128
        .size:           2
        .value_kind:     hidden_grid_dims
    .group_segment_fixed_size: 4224
    .kernarg_segment_align: 8
    .kernarg_segment_size: 320
    .language:       OpenCL C
    .language_version:
      - 2
      - 0
    .max_flat_workgroup_size: 128
    .name:           _ZN7rocprim17ROCPRIM_400000_NS6detail17trampoline_kernelINS0_14default_configENS1_38merge_sort_block_merge_config_selectorIiNS0_10empty_typeEEEZZNS1_27merge_sort_block_merge_implIS3_N6thrust23THRUST_200600_302600_NS6detail15normal_iteratorINS9_10device_ptrIiEEEEPS5_jNS1_19radix_merge_compareILb0ELb0EiNS0_19identity_decomposerEEEEE10hipError_tT0_T1_T2_jT3_P12ihipStream_tbPNSt15iterator_traitsISK_E10value_typeEPNSQ_ISL_E10value_typeEPSM_NS1_7vsmem_tEENKUlT_SK_SL_SM_E_clIPiSE_SF_SF_EESJ_SZ_SK_SL_SM_EUlSZ_E0_NS1_11comp_targetILNS1_3genE0ELNS1_11target_archE4294967295ELNS1_3gpuE0ELNS1_3repE0EEENS1_38merge_mergepath_config_static_selectorELNS0_4arch9wavefront6targetE1EEEvSL_
    .private_segment_fixed_size: 0
    .sgpr_count:     31
    .sgpr_spill_count: 0
    .symbol:         _ZN7rocprim17ROCPRIM_400000_NS6detail17trampoline_kernelINS0_14default_configENS1_38merge_sort_block_merge_config_selectorIiNS0_10empty_typeEEEZZNS1_27merge_sort_block_merge_implIS3_N6thrust23THRUST_200600_302600_NS6detail15normal_iteratorINS9_10device_ptrIiEEEEPS5_jNS1_19radix_merge_compareILb0ELb0EiNS0_19identity_decomposerEEEEE10hipError_tT0_T1_T2_jT3_P12ihipStream_tbPNSt15iterator_traitsISK_E10value_typeEPNSQ_ISL_E10value_typeEPSM_NS1_7vsmem_tEENKUlT_SK_SL_SM_E_clIPiSE_SF_SF_EESJ_SZ_SK_SL_SM_EUlSZ_E0_NS1_11comp_targetILNS1_3genE0ELNS1_11target_archE4294967295ELNS1_3gpuE0ELNS1_3repE0EEENS1_38merge_mergepath_config_static_selectorELNS0_4arch9wavefront6targetE1EEEvSL_.kd
    .uniform_work_group_size: 1
    .uses_dynamic_stack: false
    .vgpr_count:     26
    .vgpr_spill_count: 0
    .wavefront_size: 64
  - .agpr_count:     0
    .args:
      - .offset:         0
        .size:           64
        .value_kind:     by_value
    .group_segment_fixed_size: 0
    .kernarg_segment_align: 8
    .kernarg_segment_size: 64
    .language:       OpenCL C
    .language_version:
      - 2
      - 0
    .max_flat_workgroup_size: 256
    .name:           _ZN7rocprim17ROCPRIM_400000_NS6detail17trampoline_kernelINS0_14default_configENS1_38merge_sort_block_merge_config_selectorIiNS0_10empty_typeEEEZZNS1_27merge_sort_block_merge_implIS3_N6thrust23THRUST_200600_302600_NS6detail15normal_iteratorINS9_10device_ptrIiEEEEPS5_jNS1_19radix_merge_compareILb0ELb0EiNS0_19identity_decomposerEEEEE10hipError_tT0_T1_T2_jT3_P12ihipStream_tbPNSt15iterator_traitsISK_E10value_typeEPNSQ_ISL_E10value_typeEPSM_NS1_7vsmem_tEENKUlT_SK_SL_SM_E_clIPiSE_SF_SF_EESJ_SZ_SK_SL_SM_EUlSZ_E0_NS1_11comp_targetILNS1_3genE10ELNS1_11target_archE1201ELNS1_3gpuE5ELNS1_3repE0EEENS1_38merge_mergepath_config_static_selectorELNS0_4arch9wavefront6targetE1EEEvSL_
    .private_segment_fixed_size: 0
    .sgpr_count:     6
    .sgpr_spill_count: 0
    .symbol:         _ZN7rocprim17ROCPRIM_400000_NS6detail17trampoline_kernelINS0_14default_configENS1_38merge_sort_block_merge_config_selectorIiNS0_10empty_typeEEEZZNS1_27merge_sort_block_merge_implIS3_N6thrust23THRUST_200600_302600_NS6detail15normal_iteratorINS9_10device_ptrIiEEEEPS5_jNS1_19radix_merge_compareILb0ELb0EiNS0_19identity_decomposerEEEEE10hipError_tT0_T1_T2_jT3_P12ihipStream_tbPNSt15iterator_traitsISK_E10value_typeEPNSQ_ISL_E10value_typeEPSM_NS1_7vsmem_tEENKUlT_SK_SL_SM_E_clIPiSE_SF_SF_EESJ_SZ_SK_SL_SM_EUlSZ_E0_NS1_11comp_targetILNS1_3genE10ELNS1_11target_archE1201ELNS1_3gpuE5ELNS1_3repE0EEENS1_38merge_mergepath_config_static_selectorELNS0_4arch9wavefront6targetE1EEEvSL_.kd
    .uniform_work_group_size: 1
    .uses_dynamic_stack: false
    .vgpr_count:     0
    .vgpr_spill_count: 0
    .wavefront_size: 64
  - .agpr_count:     0
    .args:
      - .offset:         0
        .size:           64
        .value_kind:     by_value
    .group_segment_fixed_size: 0
    .kernarg_segment_align: 8
    .kernarg_segment_size: 64
    .language:       OpenCL C
    .language_version:
      - 2
      - 0
    .max_flat_workgroup_size: 128
    .name:           _ZN7rocprim17ROCPRIM_400000_NS6detail17trampoline_kernelINS0_14default_configENS1_38merge_sort_block_merge_config_selectorIiNS0_10empty_typeEEEZZNS1_27merge_sort_block_merge_implIS3_N6thrust23THRUST_200600_302600_NS6detail15normal_iteratorINS9_10device_ptrIiEEEEPS5_jNS1_19radix_merge_compareILb0ELb0EiNS0_19identity_decomposerEEEEE10hipError_tT0_T1_T2_jT3_P12ihipStream_tbPNSt15iterator_traitsISK_E10value_typeEPNSQ_ISL_E10value_typeEPSM_NS1_7vsmem_tEENKUlT_SK_SL_SM_E_clIPiSE_SF_SF_EESJ_SZ_SK_SL_SM_EUlSZ_E0_NS1_11comp_targetILNS1_3genE5ELNS1_11target_archE942ELNS1_3gpuE9ELNS1_3repE0EEENS1_38merge_mergepath_config_static_selectorELNS0_4arch9wavefront6targetE1EEEvSL_
    .private_segment_fixed_size: 0
    .sgpr_count:     6
    .sgpr_spill_count: 0
    .symbol:         _ZN7rocprim17ROCPRIM_400000_NS6detail17trampoline_kernelINS0_14default_configENS1_38merge_sort_block_merge_config_selectorIiNS0_10empty_typeEEEZZNS1_27merge_sort_block_merge_implIS3_N6thrust23THRUST_200600_302600_NS6detail15normal_iteratorINS9_10device_ptrIiEEEEPS5_jNS1_19radix_merge_compareILb0ELb0EiNS0_19identity_decomposerEEEEE10hipError_tT0_T1_T2_jT3_P12ihipStream_tbPNSt15iterator_traitsISK_E10value_typeEPNSQ_ISL_E10value_typeEPSM_NS1_7vsmem_tEENKUlT_SK_SL_SM_E_clIPiSE_SF_SF_EESJ_SZ_SK_SL_SM_EUlSZ_E0_NS1_11comp_targetILNS1_3genE5ELNS1_11target_archE942ELNS1_3gpuE9ELNS1_3repE0EEENS1_38merge_mergepath_config_static_selectorELNS0_4arch9wavefront6targetE1EEEvSL_.kd
    .uniform_work_group_size: 1
    .uses_dynamic_stack: false
    .vgpr_count:     0
    .vgpr_spill_count: 0
    .wavefront_size: 64
  - .agpr_count:     0
    .args:
      - .offset:         0
        .size:           64
        .value_kind:     by_value
    .group_segment_fixed_size: 0
    .kernarg_segment_align: 8
    .kernarg_segment_size: 64
    .language:       OpenCL C
    .language_version:
      - 2
      - 0
    .max_flat_workgroup_size: 128
    .name:           _ZN7rocprim17ROCPRIM_400000_NS6detail17trampoline_kernelINS0_14default_configENS1_38merge_sort_block_merge_config_selectorIiNS0_10empty_typeEEEZZNS1_27merge_sort_block_merge_implIS3_N6thrust23THRUST_200600_302600_NS6detail15normal_iteratorINS9_10device_ptrIiEEEEPS5_jNS1_19radix_merge_compareILb0ELb0EiNS0_19identity_decomposerEEEEE10hipError_tT0_T1_T2_jT3_P12ihipStream_tbPNSt15iterator_traitsISK_E10value_typeEPNSQ_ISL_E10value_typeEPSM_NS1_7vsmem_tEENKUlT_SK_SL_SM_E_clIPiSE_SF_SF_EESJ_SZ_SK_SL_SM_EUlSZ_E0_NS1_11comp_targetILNS1_3genE4ELNS1_11target_archE910ELNS1_3gpuE8ELNS1_3repE0EEENS1_38merge_mergepath_config_static_selectorELNS0_4arch9wavefront6targetE1EEEvSL_
    .private_segment_fixed_size: 0
    .sgpr_count:     6
    .sgpr_spill_count: 0
    .symbol:         _ZN7rocprim17ROCPRIM_400000_NS6detail17trampoline_kernelINS0_14default_configENS1_38merge_sort_block_merge_config_selectorIiNS0_10empty_typeEEEZZNS1_27merge_sort_block_merge_implIS3_N6thrust23THRUST_200600_302600_NS6detail15normal_iteratorINS9_10device_ptrIiEEEEPS5_jNS1_19radix_merge_compareILb0ELb0EiNS0_19identity_decomposerEEEEE10hipError_tT0_T1_T2_jT3_P12ihipStream_tbPNSt15iterator_traitsISK_E10value_typeEPNSQ_ISL_E10value_typeEPSM_NS1_7vsmem_tEENKUlT_SK_SL_SM_E_clIPiSE_SF_SF_EESJ_SZ_SK_SL_SM_EUlSZ_E0_NS1_11comp_targetILNS1_3genE4ELNS1_11target_archE910ELNS1_3gpuE8ELNS1_3repE0EEENS1_38merge_mergepath_config_static_selectorELNS0_4arch9wavefront6targetE1EEEvSL_.kd
    .uniform_work_group_size: 1
    .uses_dynamic_stack: false
    .vgpr_count:     0
    .vgpr_spill_count: 0
    .wavefront_size: 64
  - .agpr_count:     0
    .args:
      - .offset:         0
        .size:           64
        .value_kind:     by_value
    .group_segment_fixed_size: 0
    .kernarg_segment_align: 8
    .kernarg_segment_size: 64
    .language:       OpenCL C
    .language_version:
      - 2
      - 0
    .max_flat_workgroup_size: 128
    .name:           _ZN7rocprim17ROCPRIM_400000_NS6detail17trampoline_kernelINS0_14default_configENS1_38merge_sort_block_merge_config_selectorIiNS0_10empty_typeEEEZZNS1_27merge_sort_block_merge_implIS3_N6thrust23THRUST_200600_302600_NS6detail15normal_iteratorINS9_10device_ptrIiEEEEPS5_jNS1_19radix_merge_compareILb0ELb0EiNS0_19identity_decomposerEEEEE10hipError_tT0_T1_T2_jT3_P12ihipStream_tbPNSt15iterator_traitsISK_E10value_typeEPNSQ_ISL_E10value_typeEPSM_NS1_7vsmem_tEENKUlT_SK_SL_SM_E_clIPiSE_SF_SF_EESJ_SZ_SK_SL_SM_EUlSZ_E0_NS1_11comp_targetILNS1_3genE3ELNS1_11target_archE908ELNS1_3gpuE7ELNS1_3repE0EEENS1_38merge_mergepath_config_static_selectorELNS0_4arch9wavefront6targetE1EEEvSL_
    .private_segment_fixed_size: 0
    .sgpr_count:     6
    .sgpr_spill_count: 0
    .symbol:         _ZN7rocprim17ROCPRIM_400000_NS6detail17trampoline_kernelINS0_14default_configENS1_38merge_sort_block_merge_config_selectorIiNS0_10empty_typeEEEZZNS1_27merge_sort_block_merge_implIS3_N6thrust23THRUST_200600_302600_NS6detail15normal_iteratorINS9_10device_ptrIiEEEEPS5_jNS1_19radix_merge_compareILb0ELb0EiNS0_19identity_decomposerEEEEE10hipError_tT0_T1_T2_jT3_P12ihipStream_tbPNSt15iterator_traitsISK_E10value_typeEPNSQ_ISL_E10value_typeEPSM_NS1_7vsmem_tEENKUlT_SK_SL_SM_E_clIPiSE_SF_SF_EESJ_SZ_SK_SL_SM_EUlSZ_E0_NS1_11comp_targetILNS1_3genE3ELNS1_11target_archE908ELNS1_3gpuE7ELNS1_3repE0EEENS1_38merge_mergepath_config_static_selectorELNS0_4arch9wavefront6targetE1EEEvSL_.kd
    .uniform_work_group_size: 1
    .uses_dynamic_stack: false
    .vgpr_count:     0
    .vgpr_spill_count: 0
    .wavefront_size: 64
  - .agpr_count:     0
    .args:
      - .offset:         0
        .size:           64
        .value_kind:     by_value
    .group_segment_fixed_size: 0
    .kernarg_segment_align: 8
    .kernarg_segment_size: 64
    .language:       OpenCL C
    .language_version:
      - 2
      - 0
    .max_flat_workgroup_size: 128
    .name:           _ZN7rocprim17ROCPRIM_400000_NS6detail17trampoline_kernelINS0_14default_configENS1_38merge_sort_block_merge_config_selectorIiNS0_10empty_typeEEEZZNS1_27merge_sort_block_merge_implIS3_N6thrust23THRUST_200600_302600_NS6detail15normal_iteratorINS9_10device_ptrIiEEEEPS5_jNS1_19radix_merge_compareILb0ELb0EiNS0_19identity_decomposerEEEEE10hipError_tT0_T1_T2_jT3_P12ihipStream_tbPNSt15iterator_traitsISK_E10value_typeEPNSQ_ISL_E10value_typeEPSM_NS1_7vsmem_tEENKUlT_SK_SL_SM_E_clIPiSE_SF_SF_EESJ_SZ_SK_SL_SM_EUlSZ_E0_NS1_11comp_targetILNS1_3genE2ELNS1_11target_archE906ELNS1_3gpuE6ELNS1_3repE0EEENS1_38merge_mergepath_config_static_selectorELNS0_4arch9wavefront6targetE1EEEvSL_
    .private_segment_fixed_size: 0
    .sgpr_count:     6
    .sgpr_spill_count: 0
    .symbol:         _ZN7rocprim17ROCPRIM_400000_NS6detail17trampoline_kernelINS0_14default_configENS1_38merge_sort_block_merge_config_selectorIiNS0_10empty_typeEEEZZNS1_27merge_sort_block_merge_implIS3_N6thrust23THRUST_200600_302600_NS6detail15normal_iteratorINS9_10device_ptrIiEEEEPS5_jNS1_19radix_merge_compareILb0ELb0EiNS0_19identity_decomposerEEEEE10hipError_tT0_T1_T2_jT3_P12ihipStream_tbPNSt15iterator_traitsISK_E10value_typeEPNSQ_ISL_E10value_typeEPSM_NS1_7vsmem_tEENKUlT_SK_SL_SM_E_clIPiSE_SF_SF_EESJ_SZ_SK_SL_SM_EUlSZ_E0_NS1_11comp_targetILNS1_3genE2ELNS1_11target_archE906ELNS1_3gpuE6ELNS1_3repE0EEENS1_38merge_mergepath_config_static_selectorELNS0_4arch9wavefront6targetE1EEEvSL_.kd
    .uniform_work_group_size: 1
    .uses_dynamic_stack: false
    .vgpr_count:     0
    .vgpr_spill_count: 0
    .wavefront_size: 64
  - .agpr_count:     0
    .args:
      - .offset:         0
        .size:           64
        .value_kind:     by_value
    .group_segment_fixed_size: 0
    .kernarg_segment_align: 8
    .kernarg_segment_size: 64
    .language:       OpenCL C
    .language_version:
      - 2
      - 0
    .max_flat_workgroup_size: 256
    .name:           _ZN7rocprim17ROCPRIM_400000_NS6detail17trampoline_kernelINS0_14default_configENS1_38merge_sort_block_merge_config_selectorIiNS0_10empty_typeEEEZZNS1_27merge_sort_block_merge_implIS3_N6thrust23THRUST_200600_302600_NS6detail15normal_iteratorINS9_10device_ptrIiEEEEPS5_jNS1_19radix_merge_compareILb0ELb0EiNS0_19identity_decomposerEEEEE10hipError_tT0_T1_T2_jT3_P12ihipStream_tbPNSt15iterator_traitsISK_E10value_typeEPNSQ_ISL_E10value_typeEPSM_NS1_7vsmem_tEENKUlT_SK_SL_SM_E_clIPiSE_SF_SF_EESJ_SZ_SK_SL_SM_EUlSZ_E0_NS1_11comp_targetILNS1_3genE9ELNS1_11target_archE1100ELNS1_3gpuE3ELNS1_3repE0EEENS1_38merge_mergepath_config_static_selectorELNS0_4arch9wavefront6targetE1EEEvSL_
    .private_segment_fixed_size: 0
    .sgpr_count:     6
    .sgpr_spill_count: 0
    .symbol:         _ZN7rocprim17ROCPRIM_400000_NS6detail17trampoline_kernelINS0_14default_configENS1_38merge_sort_block_merge_config_selectorIiNS0_10empty_typeEEEZZNS1_27merge_sort_block_merge_implIS3_N6thrust23THRUST_200600_302600_NS6detail15normal_iteratorINS9_10device_ptrIiEEEEPS5_jNS1_19radix_merge_compareILb0ELb0EiNS0_19identity_decomposerEEEEE10hipError_tT0_T1_T2_jT3_P12ihipStream_tbPNSt15iterator_traitsISK_E10value_typeEPNSQ_ISL_E10value_typeEPSM_NS1_7vsmem_tEENKUlT_SK_SL_SM_E_clIPiSE_SF_SF_EESJ_SZ_SK_SL_SM_EUlSZ_E0_NS1_11comp_targetILNS1_3genE9ELNS1_11target_archE1100ELNS1_3gpuE3ELNS1_3repE0EEENS1_38merge_mergepath_config_static_selectorELNS0_4arch9wavefront6targetE1EEEvSL_.kd
    .uniform_work_group_size: 1
    .uses_dynamic_stack: false
    .vgpr_count:     0
    .vgpr_spill_count: 0
    .wavefront_size: 64
  - .agpr_count:     0
    .args:
      - .offset:         0
        .size:           64
        .value_kind:     by_value
    .group_segment_fixed_size: 0
    .kernarg_segment_align: 8
    .kernarg_segment_size: 64
    .language:       OpenCL C
    .language_version:
      - 2
      - 0
    .max_flat_workgroup_size: 512
    .name:           _ZN7rocprim17ROCPRIM_400000_NS6detail17trampoline_kernelINS0_14default_configENS1_38merge_sort_block_merge_config_selectorIiNS0_10empty_typeEEEZZNS1_27merge_sort_block_merge_implIS3_N6thrust23THRUST_200600_302600_NS6detail15normal_iteratorINS9_10device_ptrIiEEEEPS5_jNS1_19radix_merge_compareILb0ELb0EiNS0_19identity_decomposerEEEEE10hipError_tT0_T1_T2_jT3_P12ihipStream_tbPNSt15iterator_traitsISK_E10value_typeEPNSQ_ISL_E10value_typeEPSM_NS1_7vsmem_tEENKUlT_SK_SL_SM_E_clIPiSE_SF_SF_EESJ_SZ_SK_SL_SM_EUlSZ_E0_NS1_11comp_targetILNS1_3genE8ELNS1_11target_archE1030ELNS1_3gpuE2ELNS1_3repE0EEENS1_38merge_mergepath_config_static_selectorELNS0_4arch9wavefront6targetE1EEEvSL_
    .private_segment_fixed_size: 0
    .sgpr_count:     6
    .sgpr_spill_count: 0
    .symbol:         _ZN7rocprim17ROCPRIM_400000_NS6detail17trampoline_kernelINS0_14default_configENS1_38merge_sort_block_merge_config_selectorIiNS0_10empty_typeEEEZZNS1_27merge_sort_block_merge_implIS3_N6thrust23THRUST_200600_302600_NS6detail15normal_iteratorINS9_10device_ptrIiEEEEPS5_jNS1_19radix_merge_compareILb0ELb0EiNS0_19identity_decomposerEEEEE10hipError_tT0_T1_T2_jT3_P12ihipStream_tbPNSt15iterator_traitsISK_E10value_typeEPNSQ_ISL_E10value_typeEPSM_NS1_7vsmem_tEENKUlT_SK_SL_SM_E_clIPiSE_SF_SF_EESJ_SZ_SK_SL_SM_EUlSZ_E0_NS1_11comp_targetILNS1_3genE8ELNS1_11target_archE1030ELNS1_3gpuE2ELNS1_3repE0EEENS1_38merge_mergepath_config_static_selectorELNS0_4arch9wavefront6targetE1EEEvSL_.kd
    .uniform_work_group_size: 1
    .uses_dynamic_stack: false
    .vgpr_count:     0
    .vgpr_spill_count: 0
    .wavefront_size: 64
  - .agpr_count:     0
    .args:
      - .offset:         0
        .size:           48
        .value_kind:     by_value
    .group_segment_fixed_size: 0
    .kernarg_segment_align: 8
    .kernarg_segment_size: 48
    .language:       OpenCL C
    .language_version:
      - 2
      - 0
    .max_flat_workgroup_size: 256
    .name:           _ZN7rocprim17ROCPRIM_400000_NS6detail17trampoline_kernelINS0_14default_configENS1_38merge_sort_block_merge_config_selectorIiNS0_10empty_typeEEEZZNS1_27merge_sort_block_merge_implIS3_N6thrust23THRUST_200600_302600_NS6detail15normal_iteratorINS9_10device_ptrIiEEEEPS5_jNS1_19radix_merge_compareILb0ELb0EiNS0_19identity_decomposerEEEEE10hipError_tT0_T1_T2_jT3_P12ihipStream_tbPNSt15iterator_traitsISK_E10value_typeEPNSQ_ISL_E10value_typeEPSM_NS1_7vsmem_tEENKUlT_SK_SL_SM_E_clIPiSE_SF_SF_EESJ_SZ_SK_SL_SM_EUlSZ_E1_NS1_11comp_targetILNS1_3genE0ELNS1_11target_archE4294967295ELNS1_3gpuE0ELNS1_3repE0EEENS1_36merge_oddeven_config_static_selectorELNS0_4arch9wavefront6targetE1EEEvSL_
    .private_segment_fixed_size: 0
    .sgpr_count:     25
    .sgpr_spill_count: 0
    .symbol:         _ZN7rocprim17ROCPRIM_400000_NS6detail17trampoline_kernelINS0_14default_configENS1_38merge_sort_block_merge_config_selectorIiNS0_10empty_typeEEEZZNS1_27merge_sort_block_merge_implIS3_N6thrust23THRUST_200600_302600_NS6detail15normal_iteratorINS9_10device_ptrIiEEEEPS5_jNS1_19radix_merge_compareILb0ELb0EiNS0_19identity_decomposerEEEEE10hipError_tT0_T1_T2_jT3_P12ihipStream_tbPNSt15iterator_traitsISK_E10value_typeEPNSQ_ISL_E10value_typeEPSM_NS1_7vsmem_tEENKUlT_SK_SL_SM_E_clIPiSE_SF_SF_EESJ_SZ_SK_SL_SM_EUlSZ_E1_NS1_11comp_targetILNS1_3genE0ELNS1_11target_archE4294967295ELNS1_3gpuE0ELNS1_3repE0EEENS1_36merge_oddeven_config_static_selectorELNS0_4arch9wavefront6targetE1EEEvSL_.kd
    .uniform_work_group_size: 1
    .uses_dynamic_stack: false
    .vgpr_count:     9
    .vgpr_spill_count: 0
    .wavefront_size: 64
  - .agpr_count:     0
    .args:
      - .offset:         0
        .size:           48
        .value_kind:     by_value
    .group_segment_fixed_size: 0
    .kernarg_segment_align: 8
    .kernarg_segment_size: 48
    .language:       OpenCL C
    .language_version:
      - 2
      - 0
    .max_flat_workgroup_size: 256
    .name:           _ZN7rocprim17ROCPRIM_400000_NS6detail17trampoline_kernelINS0_14default_configENS1_38merge_sort_block_merge_config_selectorIiNS0_10empty_typeEEEZZNS1_27merge_sort_block_merge_implIS3_N6thrust23THRUST_200600_302600_NS6detail15normal_iteratorINS9_10device_ptrIiEEEEPS5_jNS1_19radix_merge_compareILb0ELb0EiNS0_19identity_decomposerEEEEE10hipError_tT0_T1_T2_jT3_P12ihipStream_tbPNSt15iterator_traitsISK_E10value_typeEPNSQ_ISL_E10value_typeEPSM_NS1_7vsmem_tEENKUlT_SK_SL_SM_E_clIPiSE_SF_SF_EESJ_SZ_SK_SL_SM_EUlSZ_E1_NS1_11comp_targetILNS1_3genE10ELNS1_11target_archE1201ELNS1_3gpuE5ELNS1_3repE0EEENS1_36merge_oddeven_config_static_selectorELNS0_4arch9wavefront6targetE1EEEvSL_
    .private_segment_fixed_size: 0
    .sgpr_count:     6
    .sgpr_spill_count: 0
    .symbol:         _ZN7rocprim17ROCPRIM_400000_NS6detail17trampoline_kernelINS0_14default_configENS1_38merge_sort_block_merge_config_selectorIiNS0_10empty_typeEEEZZNS1_27merge_sort_block_merge_implIS3_N6thrust23THRUST_200600_302600_NS6detail15normal_iteratorINS9_10device_ptrIiEEEEPS5_jNS1_19radix_merge_compareILb0ELb0EiNS0_19identity_decomposerEEEEE10hipError_tT0_T1_T2_jT3_P12ihipStream_tbPNSt15iterator_traitsISK_E10value_typeEPNSQ_ISL_E10value_typeEPSM_NS1_7vsmem_tEENKUlT_SK_SL_SM_E_clIPiSE_SF_SF_EESJ_SZ_SK_SL_SM_EUlSZ_E1_NS1_11comp_targetILNS1_3genE10ELNS1_11target_archE1201ELNS1_3gpuE5ELNS1_3repE0EEENS1_36merge_oddeven_config_static_selectorELNS0_4arch9wavefront6targetE1EEEvSL_.kd
    .uniform_work_group_size: 1
    .uses_dynamic_stack: false
    .vgpr_count:     0
    .vgpr_spill_count: 0
    .wavefront_size: 64
  - .agpr_count:     0
    .args:
      - .offset:         0
        .size:           48
        .value_kind:     by_value
    .group_segment_fixed_size: 0
    .kernarg_segment_align: 8
    .kernarg_segment_size: 48
    .language:       OpenCL C
    .language_version:
      - 2
      - 0
    .max_flat_workgroup_size: 256
    .name:           _ZN7rocprim17ROCPRIM_400000_NS6detail17trampoline_kernelINS0_14default_configENS1_38merge_sort_block_merge_config_selectorIiNS0_10empty_typeEEEZZNS1_27merge_sort_block_merge_implIS3_N6thrust23THRUST_200600_302600_NS6detail15normal_iteratorINS9_10device_ptrIiEEEEPS5_jNS1_19radix_merge_compareILb0ELb0EiNS0_19identity_decomposerEEEEE10hipError_tT0_T1_T2_jT3_P12ihipStream_tbPNSt15iterator_traitsISK_E10value_typeEPNSQ_ISL_E10value_typeEPSM_NS1_7vsmem_tEENKUlT_SK_SL_SM_E_clIPiSE_SF_SF_EESJ_SZ_SK_SL_SM_EUlSZ_E1_NS1_11comp_targetILNS1_3genE5ELNS1_11target_archE942ELNS1_3gpuE9ELNS1_3repE0EEENS1_36merge_oddeven_config_static_selectorELNS0_4arch9wavefront6targetE1EEEvSL_
    .private_segment_fixed_size: 0
    .sgpr_count:     6
    .sgpr_spill_count: 0
    .symbol:         _ZN7rocprim17ROCPRIM_400000_NS6detail17trampoline_kernelINS0_14default_configENS1_38merge_sort_block_merge_config_selectorIiNS0_10empty_typeEEEZZNS1_27merge_sort_block_merge_implIS3_N6thrust23THRUST_200600_302600_NS6detail15normal_iteratorINS9_10device_ptrIiEEEEPS5_jNS1_19radix_merge_compareILb0ELb0EiNS0_19identity_decomposerEEEEE10hipError_tT0_T1_T2_jT3_P12ihipStream_tbPNSt15iterator_traitsISK_E10value_typeEPNSQ_ISL_E10value_typeEPSM_NS1_7vsmem_tEENKUlT_SK_SL_SM_E_clIPiSE_SF_SF_EESJ_SZ_SK_SL_SM_EUlSZ_E1_NS1_11comp_targetILNS1_3genE5ELNS1_11target_archE942ELNS1_3gpuE9ELNS1_3repE0EEENS1_36merge_oddeven_config_static_selectorELNS0_4arch9wavefront6targetE1EEEvSL_.kd
    .uniform_work_group_size: 1
    .uses_dynamic_stack: false
    .vgpr_count:     0
    .vgpr_spill_count: 0
    .wavefront_size: 64
  - .agpr_count:     0
    .args:
      - .offset:         0
        .size:           48
        .value_kind:     by_value
    .group_segment_fixed_size: 0
    .kernarg_segment_align: 8
    .kernarg_segment_size: 48
    .language:       OpenCL C
    .language_version:
      - 2
      - 0
    .max_flat_workgroup_size: 256
    .name:           _ZN7rocprim17ROCPRIM_400000_NS6detail17trampoline_kernelINS0_14default_configENS1_38merge_sort_block_merge_config_selectorIiNS0_10empty_typeEEEZZNS1_27merge_sort_block_merge_implIS3_N6thrust23THRUST_200600_302600_NS6detail15normal_iteratorINS9_10device_ptrIiEEEEPS5_jNS1_19radix_merge_compareILb0ELb0EiNS0_19identity_decomposerEEEEE10hipError_tT0_T1_T2_jT3_P12ihipStream_tbPNSt15iterator_traitsISK_E10value_typeEPNSQ_ISL_E10value_typeEPSM_NS1_7vsmem_tEENKUlT_SK_SL_SM_E_clIPiSE_SF_SF_EESJ_SZ_SK_SL_SM_EUlSZ_E1_NS1_11comp_targetILNS1_3genE4ELNS1_11target_archE910ELNS1_3gpuE8ELNS1_3repE0EEENS1_36merge_oddeven_config_static_selectorELNS0_4arch9wavefront6targetE1EEEvSL_
    .private_segment_fixed_size: 0
    .sgpr_count:     6
    .sgpr_spill_count: 0
    .symbol:         _ZN7rocprim17ROCPRIM_400000_NS6detail17trampoline_kernelINS0_14default_configENS1_38merge_sort_block_merge_config_selectorIiNS0_10empty_typeEEEZZNS1_27merge_sort_block_merge_implIS3_N6thrust23THRUST_200600_302600_NS6detail15normal_iteratorINS9_10device_ptrIiEEEEPS5_jNS1_19radix_merge_compareILb0ELb0EiNS0_19identity_decomposerEEEEE10hipError_tT0_T1_T2_jT3_P12ihipStream_tbPNSt15iterator_traitsISK_E10value_typeEPNSQ_ISL_E10value_typeEPSM_NS1_7vsmem_tEENKUlT_SK_SL_SM_E_clIPiSE_SF_SF_EESJ_SZ_SK_SL_SM_EUlSZ_E1_NS1_11comp_targetILNS1_3genE4ELNS1_11target_archE910ELNS1_3gpuE8ELNS1_3repE0EEENS1_36merge_oddeven_config_static_selectorELNS0_4arch9wavefront6targetE1EEEvSL_.kd
    .uniform_work_group_size: 1
    .uses_dynamic_stack: false
    .vgpr_count:     0
    .vgpr_spill_count: 0
    .wavefront_size: 64
  - .agpr_count:     0
    .args:
      - .offset:         0
        .size:           48
        .value_kind:     by_value
    .group_segment_fixed_size: 0
    .kernarg_segment_align: 8
    .kernarg_segment_size: 48
    .language:       OpenCL C
    .language_version:
      - 2
      - 0
    .max_flat_workgroup_size: 256
    .name:           _ZN7rocprim17ROCPRIM_400000_NS6detail17trampoline_kernelINS0_14default_configENS1_38merge_sort_block_merge_config_selectorIiNS0_10empty_typeEEEZZNS1_27merge_sort_block_merge_implIS3_N6thrust23THRUST_200600_302600_NS6detail15normal_iteratorINS9_10device_ptrIiEEEEPS5_jNS1_19radix_merge_compareILb0ELb0EiNS0_19identity_decomposerEEEEE10hipError_tT0_T1_T2_jT3_P12ihipStream_tbPNSt15iterator_traitsISK_E10value_typeEPNSQ_ISL_E10value_typeEPSM_NS1_7vsmem_tEENKUlT_SK_SL_SM_E_clIPiSE_SF_SF_EESJ_SZ_SK_SL_SM_EUlSZ_E1_NS1_11comp_targetILNS1_3genE3ELNS1_11target_archE908ELNS1_3gpuE7ELNS1_3repE0EEENS1_36merge_oddeven_config_static_selectorELNS0_4arch9wavefront6targetE1EEEvSL_
    .private_segment_fixed_size: 0
    .sgpr_count:     6
    .sgpr_spill_count: 0
    .symbol:         _ZN7rocprim17ROCPRIM_400000_NS6detail17trampoline_kernelINS0_14default_configENS1_38merge_sort_block_merge_config_selectorIiNS0_10empty_typeEEEZZNS1_27merge_sort_block_merge_implIS3_N6thrust23THRUST_200600_302600_NS6detail15normal_iteratorINS9_10device_ptrIiEEEEPS5_jNS1_19radix_merge_compareILb0ELb0EiNS0_19identity_decomposerEEEEE10hipError_tT0_T1_T2_jT3_P12ihipStream_tbPNSt15iterator_traitsISK_E10value_typeEPNSQ_ISL_E10value_typeEPSM_NS1_7vsmem_tEENKUlT_SK_SL_SM_E_clIPiSE_SF_SF_EESJ_SZ_SK_SL_SM_EUlSZ_E1_NS1_11comp_targetILNS1_3genE3ELNS1_11target_archE908ELNS1_3gpuE7ELNS1_3repE0EEENS1_36merge_oddeven_config_static_selectorELNS0_4arch9wavefront6targetE1EEEvSL_.kd
    .uniform_work_group_size: 1
    .uses_dynamic_stack: false
    .vgpr_count:     0
    .vgpr_spill_count: 0
    .wavefront_size: 64
  - .agpr_count:     0
    .args:
      - .offset:         0
        .size:           48
        .value_kind:     by_value
    .group_segment_fixed_size: 0
    .kernarg_segment_align: 8
    .kernarg_segment_size: 48
    .language:       OpenCL C
    .language_version:
      - 2
      - 0
    .max_flat_workgroup_size: 256
    .name:           _ZN7rocprim17ROCPRIM_400000_NS6detail17trampoline_kernelINS0_14default_configENS1_38merge_sort_block_merge_config_selectorIiNS0_10empty_typeEEEZZNS1_27merge_sort_block_merge_implIS3_N6thrust23THRUST_200600_302600_NS6detail15normal_iteratorINS9_10device_ptrIiEEEEPS5_jNS1_19radix_merge_compareILb0ELb0EiNS0_19identity_decomposerEEEEE10hipError_tT0_T1_T2_jT3_P12ihipStream_tbPNSt15iterator_traitsISK_E10value_typeEPNSQ_ISL_E10value_typeEPSM_NS1_7vsmem_tEENKUlT_SK_SL_SM_E_clIPiSE_SF_SF_EESJ_SZ_SK_SL_SM_EUlSZ_E1_NS1_11comp_targetILNS1_3genE2ELNS1_11target_archE906ELNS1_3gpuE6ELNS1_3repE0EEENS1_36merge_oddeven_config_static_selectorELNS0_4arch9wavefront6targetE1EEEvSL_
    .private_segment_fixed_size: 0
    .sgpr_count:     6
    .sgpr_spill_count: 0
    .symbol:         _ZN7rocprim17ROCPRIM_400000_NS6detail17trampoline_kernelINS0_14default_configENS1_38merge_sort_block_merge_config_selectorIiNS0_10empty_typeEEEZZNS1_27merge_sort_block_merge_implIS3_N6thrust23THRUST_200600_302600_NS6detail15normal_iteratorINS9_10device_ptrIiEEEEPS5_jNS1_19radix_merge_compareILb0ELb0EiNS0_19identity_decomposerEEEEE10hipError_tT0_T1_T2_jT3_P12ihipStream_tbPNSt15iterator_traitsISK_E10value_typeEPNSQ_ISL_E10value_typeEPSM_NS1_7vsmem_tEENKUlT_SK_SL_SM_E_clIPiSE_SF_SF_EESJ_SZ_SK_SL_SM_EUlSZ_E1_NS1_11comp_targetILNS1_3genE2ELNS1_11target_archE906ELNS1_3gpuE6ELNS1_3repE0EEENS1_36merge_oddeven_config_static_selectorELNS0_4arch9wavefront6targetE1EEEvSL_.kd
    .uniform_work_group_size: 1
    .uses_dynamic_stack: false
    .vgpr_count:     0
    .vgpr_spill_count: 0
    .wavefront_size: 64
  - .agpr_count:     0
    .args:
      - .offset:         0
        .size:           48
        .value_kind:     by_value
    .group_segment_fixed_size: 0
    .kernarg_segment_align: 8
    .kernarg_segment_size: 48
    .language:       OpenCL C
    .language_version:
      - 2
      - 0
    .max_flat_workgroup_size: 256
    .name:           _ZN7rocprim17ROCPRIM_400000_NS6detail17trampoline_kernelINS0_14default_configENS1_38merge_sort_block_merge_config_selectorIiNS0_10empty_typeEEEZZNS1_27merge_sort_block_merge_implIS3_N6thrust23THRUST_200600_302600_NS6detail15normal_iteratorINS9_10device_ptrIiEEEEPS5_jNS1_19radix_merge_compareILb0ELb0EiNS0_19identity_decomposerEEEEE10hipError_tT0_T1_T2_jT3_P12ihipStream_tbPNSt15iterator_traitsISK_E10value_typeEPNSQ_ISL_E10value_typeEPSM_NS1_7vsmem_tEENKUlT_SK_SL_SM_E_clIPiSE_SF_SF_EESJ_SZ_SK_SL_SM_EUlSZ_E1_NS1_11comp_targetILNS1_3genE9ELNS1_11target_archE1100ELNS1_3gpuE3ELNS1_3repE0EEENS1_36merge_oddeven_config_static_selectorELNS0_4arch9wavefront6targetE1EEEvSL_
    .private_segment_fixed_size: 0
    .sgpr_count:     6
    .sgpr_spill_count: 0
    .symbol:         _ZN7rocprim17ROCPRIM_400000_NS6detail17trampoline_kernelINS0_14default_configENS1_38merge_sort_block_merge_config_selectorIiNS0_10empty_typeEEEZZNS1_27merge_sort_block_merge_implIS3_N6thrust23THRUST_200600_302600_NS6detail15normal_iteratorINS9_10device_ptrIiEEEEPS5_jNS1_19radix_merge_compareILb0ELb0EiNS0_19identity_decomposerEEEEE10hipError_tT0_T1_T2_jT3_P12ihipStream_tbPNSt15iterator_traitsISK_E10value_typeEPNSQ_ISL_E10value_typeEPSM_NS1_7vsmem_tEENKUlT_SK_SL_SM_E_clIPiSE_SF_SF_EESJ_SZ_SK_SL_SM_EUlSZ_E1_NS1_11comp_targetILNS1_3genE9ELNS1_11target_archE1100ELNS1_3gpuE3ELNS1_3repE0EEENS1_36merge_oddeven_config_static_selectorELNS0_4arch9wavefront6targetE1EEEvSL_.kd
    .uniform_work_group_size: 1
    .uses_dynamic_stack: false
    .vgpr_count:     0
    .vgpr_spill_count: 0
    .wavefront_size: 64
  - .agpr_count:     0
    .args:
      - .offset:         0
        .size:           48
        .value_kind:     by_value
    .group_segment_fixed_size: 0
    .kernarg_segment_align: 8
    .kernarg_segment_size: 48
    .language:       OpenCL C
    .language_version:
      - 2
      - 0
    .max_flat_workgroup_size: 256
    .name:           _ZN7rocprim17ROCPRIM_400000_NS6detail17trampoline_kernelINS0_14default_configENS1_38merge_sort_block_merge_config_selectorIiNS0_10empty_typeEEEZZNS1_27merge_sort_block_merge_implIS3_N6thrust23THRUST_200600_302600_NS6detail15normal_iteratorINS9_10device_ptrIiEEEEPS5_jNS1_19radix_merge_compareILb0ELb0EiNS0_19identity_decomposerEEEEE10hipError_tT0_T1_T2_jT3_P12ihipStream_tbPNSt15iterator_traitsISK_E10value_typeEPNSQ_ISL_E10value_typeEPSM_NS1_7vsmem_tEENKUlT_SK_SL_SM_E_clIPiSE_SF_SF_EESJ_SZ_SK_SL_SM_EUlSZ_E1_NS1_11comp_targetILNS1_3genE8ELNS1_11target_archE1030ELNS1_3gpuE2ELNS1_3repE0EEENS1_36merge_oddeven_config_static_selectorELNS0_4arch9wavefront6targetE1EEEvSL_
    .private_segment_fixed_size: 0
    .sgpr_count:     6
    .sgpr_spill_count: 0
    .symbol:         _ZN7rocprim17ROCPRIM_400000_NS6detail17trampoline_kernelINS0_14default_configENS1_38merge_sort_block_merge_config_selectorIiNS0_10empty_typeEEEZZNS1_27merge_sort_block_merge_implIS3_N6thrust23THRUST_200600_302600_NS6detail15normal_iteratorINS9_10device_ptrIiEEEEPS5_jNS1_19radix_merge_compareILb0ELb0EiNS0_19identity_decomposerEEEEE10hipError_tT0_T1_T2_jT3_P12ihipStream_tbPNSt15iterator_traitsISK_E10value_typeEPNSQ_ISL_E10value_typeEPSM_NS1_7vsmem_tEENKUlT_SK_SL_SM_E_clIPiSE_SF_SF_EESJ_SZ_SK_SL_SM_EUlSZ_E1_NS1_11comp_targetILNS1_3genE8ELNS1_11target_archE1030ELNS1_3gpuE2ELNS1_3repE0EEENS1_36merge_oddeven_config_static_selectorELNS0_4arch9wavefront6targetE1EEEvSL_.kd
    .uniform_work_group_size: 1
    .uses_dynamic_stack: false
    .vgpr_count:     0
    .vgpr_spill_count: 0
    .wavefront_size: 64
  - .agpr_count:     0
    .args:
      - .offset:         0
        .size:           40
        .value_kind:     by_value
    .group_segment_fixed_size: 0
    .kernarg_segment_align: 8
    .kernarg_segment_size: 40
    .language:       OpenCL C
    .language_version:
      - 2
      - 0
    .max_flat_workgroup_size: 128
    .name:           _ZN7rocprim17ROCPRIM_400000_NS6detail17trampoline_kernelINS0_14default_configENS1_38merge_sort_block_merge_config_selectorIiNS0_10empty_typeEEEZZNS1_27merge_sort_block_merge_implIS3_N6thrust23THRUST_200600_302600_NS6detail15normal_iteratorINS9_10device_ptrIiEEEEPS5_jNS1_19radix_merge_compareILb0ELb0EiNS0_19identity_decomposerEEEEE10hipError_tT0_T1_T2_jT3_P12ihipStream_tbPNSt15iterator_traitsISK_E10value_typeEPNSQ_ISL_E10value_typeEPSM_NS1_7vsmem_tEENKUlT_SK_SL_SM_E_clISE_PiSF_SF_EESJ_SZ_SK_SL_SM_EUlSZ_E_NS1_11comp_targetILNS1_3genE0ELNS1_11target_archE4294967295ELNS1_3gpuE0ELNS1_3repE0EEENS1_48merge_mergepath_partition_config_static_selectorELNS0_4arch9wavefront6targetE1EEEvSL_
    .private_segment_fixed_size: 0
    .sgpr_count:     14
    .sgpr_spill_count: 0
    .symbol:         _ZN7rocprim17ROCPRIM_400000_NS6detail17trampoline_kernelINS0_14default_configENS1_38merge_sort_block_merge_config_selectorIiNS0_10empty_typeEEEZZNS1_27merge_sort_block_merge_implIS3_N6thrust23THRUST_200600_302600_NS6detail15normal_iteratorINS9_10device_ptrIiEEEEPS5_jNS1_19radix_merge_compareILb0ELb0EiNS0_19identity_decomposerEEEEE10hipError_tT0_T1_T2_jT3_P12ihipStream_tbPNSt15iterator_traitsISK_E10value_typeEPNSQ_ISL_E10value_typeEPSM_NS1_7vsmem_tEENKUlT_SK_SL_SM_E_clISE_PiSF_SF_EESJ_SZ_SK_SL_SM_EUlSZ_E_NS1_11comp_targetILNS1_3genE0ELNS1_11target_archE4294967295ELNS1_3gpuE0ELNS1_3repE0EEENS1_48merge_mergepath_partition_config_static_selectorELNS0_4arch9wavefront6targetE1EEEvSL_.kd
    .uniform_work_group_size: 1
    .uses_dynamic_stack: false
    .vgpr_count:     17
    .vgpr_spill_count: 0
    .wavefront_size: 64
  - .agpr_count:     0
    .args:
      - .offset:         0
        .size:           40
        .value_kind:     by_value
    .group_segment_fixed_size: 0
    .kernarg_segment_align: 8
    .kernarg_segment_size: 40
    .language:       OpenCL C
    .language_version:
      - 2
      - 0
    .max_flat_workgroup_size: 128
    .name:           _ZN7rocprim17ROCPRIM_400000_NS6detail17trampoline_kernelINS0_14default_configENS1_38merge_sort_block_merge_config_selectorIiNS0_10empty_typeEEEZZNS1_27merge_sort_block_merge_implIS3_N6thrust23THRUST_200600_302600_NS6detail15normal_iteratorINS9_10device_ptrIiEEEEPS5_jNS1_19radix_merge_compareILb0ELb0EiNS0_19identity_decomposerEEEEE10hipError_tT0_T1_T2_jT3_P12ihipStream_tbPNSt15iterator_traitsISK_E10value_typeEPNSQ_ISL_E10value_typeEPSM_NS1_7vsmem_tEENKUlT_SK_SL_SM_E_clISE_PiSF_SF_EESJ_SZ_SK_SL_SM_EUlSZ_E_NS1_11comp_targetILNS1_3genE10ELNS1_11target_archE1201ELNS1_3gpuE5ELNS1_3repE0EEENS1_48merge_mergepath_partition_config_static_selectorELNS0_4arch9wavefront6targetE1EEEvSL_
    .private_segment_fixed_size: 0
    .sgpr_count:     6
    .sgpr_spill_count: 0
    .symbol:         _ZN7rocprim17ROCPRIM_400000_NS6detail17trampoline_kernelINS0_14default_configENS1_38merge_sort_block_merge_config_selectorIiNS0_10empty_typeEEEZZNS1_27merge_sort_block_merge_implIS3_N6thrust23THRUST_200600_302600_NS6detail15normal_iteratorINS9_10device_ptrIiEEEEPS5_jNS1_19radix_merge_compareILb0ELb0EiNS0_19identity_decomposerEEEEE10hipError_tT0_T1_T2_jT3_P12ihipStream_tbPNSt15iterator_traitsISK_E10value_typeEPNSQ_ISL_E10value_typeEPSM_NS1_7vsmem_tEENKUlT_SK_SL_SM_E_clISE_PiSF_SF_EESJ_SZ_SK_SL_SM_EUlSZ_E_NS1_11comp_targetILNS1_3genE10ELNS1_11target_archE1201ELNS1_3gpuE5ELNS1_3repE0EEENS1_48merge_mergepath_partition_config_static_selectorELNS0_4arch9wavefront6targetE1EEEvSL_.kd
    .uniform_work_group_size: 1
    .uses_dynamic_stack: false
    .vgpr_count:     0
    .vgpr_spill_count: 0
    .wavefront_size: 64
  - .agpr_count:     0
    .args:
      - .offset:         0
        .size:           40
        .value_kind:     by_value
    .group_segment_fixed_size: 0
    .kernarg_segment_align: 8
    .kernarg_segment_size: 40
    .language:       OpenCL C
    .language_version:
      - 2
      - 0
    .max_flat_workgroup_size: 128
    .name:           _ZN7rocprim17ROCPRIM_400000_NS6detail17trampoline_kernelINS0_14default_configENS1_38merge_sort_block_merge_config_selectorIiNS0_10empty_typeEEEZZNS1_27merge_sort_block_merge_implIS3_N6thrust23THRUST_200600_302600_NS6detail15normal_iteratorINS9_10device_ptrIiEEEEPS5_jNS1_19radix_merge_compareILb0ELb0EiNS0_19identity_decomposerEEEEE10hipError_tT0_T1_T2_jT3_P12ihipStream_tbPNSt15iterator_traitsISK_E10value_typeEPNSQ_ISL_E10value_typeEPSM_NS1_7vsmem_tEENKUlT_SK_SL_SM_E_clISE_PiSF_SF_EESJ_SZ_SK_SL_SM_EUlSZ_E_NS1_11comp_targetILNS1_3genE5ELNS1_11target_archE942ELNS1_3gpuE9ELNS1_3repE0EEENS1_48merge_mergepath_partition_config_static_selectorELNS0_4arch9wavefront6targetE1EEEvSL_
    .private_segment_fixed_size: 0
    .sgpr_count:     6
    .sgpr_spill_count: 0
    .symbol:         _ZN7rocprim17ROCPRIM_400000_NS6detail17trampoline_kernelINS0_14default_configENS1_38merge_sort_block_merge_config_selectorIiNS0_10empty_typeEEEZZNS1_27merge_sort_block_merge_implIS3_N6thrust23THRUST_200600_302600_NS6detail15normal_iteratorINS9_10device_ptrIiEEEEPS5_jNS1_19radix_merge_compareILb0ELb0EiNS0_19identity_decomposerEEEEE10hipError_tT0_T1_T2_jT3_P12ihipStream_tbPNSt15iterator_traitsISK_E10value_typeEPNSQ_ISL_E10value_typeEPSM_NS1_7vsmem_tEENKUlT_SK_SL_SM_E_clISE_PiSF_SF_EESJ_SZ_SK_SL_SM_EUlSZ_E_NS1_11comp_targetILNS1_3genE5ELNS1_11target_archE942ELNS1_3gpuE9ELNS1_3repE0EEENS1_48merge_mergepath_partition_config_static_selectorELNS0_4arch9wavefront6targetE1EEEvSL_.kd
    .uniform_work_group_size: 1
    .uses_dynamic_stack: false
    .vgpr_count:     0
    .vgpr_spill_count: 0
    .wavefront_size: 64
  - .agpr_count:     0
    .args:
      - .offset:         0
        .size:           40
        .value_kind:     by_value
    .group_segment_fixed_size: 0
    .kernarg_segment_align: 8
    .kernarg_segment_size: 40
    .language:       OpenCL C
    .language_version:
      - 2
      - 0
    .max_flat_workgroup_size: 128
    .name:           _ZN7rocprim17ROCPRIM_400000_NS6detail17trampoline_kernelINS0_14default_configENS1_38merge_sort_block_merge_config_selectorIiNS0_10empty_typeEEEZZNS1_27merge_sort_block_merge_implIS3_N6thrust23THRUST_200600_302600_NS6detail15normal_iteratorINS9_10device_ptrIiEEEEPS5_jNS1_19radix_merge_compareILb0ELb0EiNS0_19identity_decomposerEEEEE10hipError_tT0_T1_T2_jT3_P12ihipStream_tbPNSt15iterator_traitsISK_E10value_typeEPNSQ_ISL_E10value_typeEPSM_NS1_7vsmem_tEENKUlT_SK_SL_SM_E_clISE_PiSF_SF_EESJ_SZ_SK_SL_SM_EUlSZ_E_NS1_11comp_targetILNS1_3genE4ELNS1_11target_archE910ELNS1_3gpuE8ELNS1_3repE0EEENS1_48merge_mergepath_partition_config_static_selectorELNS0_4arch9wavefront6targetE1EEEvSL_
    .private_segment_fixed_size: 0
    .sgpr_count:     6
    .sgpr_spill_count: 0
    .symbol:         _ZN7rocprim17ROCPRIM_400000_NS6detail17trampoline_kernelINS0_14default_configENS1_38merge_sort_block_merge_config_selectorIiNS0_10empty_typeEEEZZNS1_27merge_sort_block_merge_implIS3_N6thrust23THRUST_200600_302600_NS6detail15normal_iteratorINS9_10device_ptrIiEEEEPS5_jNS1_19radix_merge_compareILb0ELb0EiNS0_19identity_decomposerEEEEE10hipError_tT0_T1_T2_jT3_P12ihipStream_tbPNSt15iterator_traitsISK_E10value_typeEPNSQ_ISL_E10value_typeEPSM_NS1_7vsmem_tEENKUlT_SK_SL_SM_E_clISE_PiSF_SF_EESJ_SZ_SK_SL_SM_EUlSZ_E_NS1_11comp_targetILNS1_3genE4ELNS1_11target_archE910ELNS1_3gpuE8ELNS1_3repE0EEENS1_48merge_mergepath_partition_config_static_selectorELNS0_4arch9wavefront6targetE1EEEvSL_.kd
    .uniform_work_group_size: 1
    .uses_dynamic_stack: false
    .vgpr_count:     0
    .vgpr_spill_count: 0
    .wavefront_size: 64
  - .agpr_count:     0
    .args:
      - .offset:         0
        .size:           40
        .value_kind:     by_value
    .group_segment_fixed_size: 0
    .kernarg_segment_align: 8
    .kernarg_segment_size: 40
    .language:       OpenCL C
    .language_version:
      - 2
      - 0
    .max_flat_workgroup_size: 128
    .name:           _ZN7rocprim17ROCPRIM_400000_NS6detail17trampoline_kernelINS0_14default_configENS1_38merge_sort_block_merge_config_selectorIiNS0_10empty_typeEEEZZNS1_27merge_sort_block_merge_implIS3_N6thrust23THRUST_200600_302600_NS6detail15normal_iteratorINS9_10device_ptrIiEEEEPS5_jNS1_19radix_merge_compareILb0ELb0EiNS0_19identity_decomposerEEEEE10hipError_tT0_T1_T2_jT3_P12ihipStream_tbPNSt15iterator_traitsISK_E10value_typeEPNSQ_ISL_E10value_typeEPSM_NS1_7vsmem_tEENKUlT_SK_SL_SM_E_clISE_PiSF_SF_EESJ_SZ_SK_SL_SM_EUlSZ_E_NS1_11comp_targetILNS1_3genE3ELNS1_11target_archE908ELNS1_3gpuE7ELNS1_3repE0EEENS1_48merge_mergepath_partition_config_static_selectorELNS0_4arch9wavefront6targetE1EEEvSL_
    .private_segment_fixed_size: 0
    .sgpr_count:     6
    .sgpr_spill_count: 0
    .symbol:         _ZN7rocprim17ROCPRIM_400000_NS6detail17trampoline_kernelINS0_14default_configENS1_38merge_sort_block_merge_config_selectorIiNS0_10empty_typeEEEZZNS1_27merge_sort_block_merge_implIS3_N6thrust23THRUST_200600_302600_NS6detail15normal_iteratorINS9_10device_ptrIiEEEEPS5_jNS1_19radix_merge_compareILb0ELb0EiNS0_19identity_decomposerEEEEE10hipError_tT0_T1_T2_jT3_P12ihipStream_tbPNSt15iterator_traitsISK_E10value_typeEPNSQ_ISL_E10value_typeEPSM_NS1_7vsmem_tEENKUlT_SK_SL_SM_E_clISE_PiSF_SF_EESJ_SZ_SK_SL_SM_EUlSZ_E_NS1_11comp_targetILNS1_3genE3ELNS1_11target_archE908ELNS1_3gpuE7ELNS1_3repE0EEENS1_48merge_mergepath_partition_config_static_selectorELNS0_4arch9wavefront6targetE1EEEvSL_.kd
    .uniform_work_group_size: 1
    .uses_dynamic_stack: false
    .vgpr_count:     0
    .vgpr_spill_count: 0
    .wavefront_size: 64
  - .agpr_count:     0
    .args:
      - .offset:         0
        .size:           40
        .value_kind:     by_value
    .group_segment_fixed_size: 0
    .kernarg_segment_align: 8
    .kernarg_segment_size: 40
    .language:       OpenCL C
    .language_version:
      - 2
      - 0
    .max_flat_workgroup_size: 128
    .name:           _ZN7rocprim17ROCPRIM_400000_NS6detail17trampoline_kernelINS0_14default_configENS1_38merge_sort_block_merge_config_selectorIiNS0_10empty_typeEEEZZNS1_27merge_sort_block_merge_implIS3_N6thrust23THRUST_200600_302600_NS6detail15normal_iteratorINS9_10device_ptrIiEEEEPS5_jNS1_19radix_merge_compareILb0ELb0EiNS0_19identity_decomposerEEEEE10hipError_tT0_T1_T2_jT3_P12ihipStream_tbPNSt15iterator_traitsISK_E10value_typeEPNSQ_ISL_E10value_typeEPSM_NS1_7vsmem_tEENKUlT_SK_SL_SM_E_clISE_PiSF_SF_EESJ_SZ_SK_SL_SM_EUlSZ_E_NS1_11comp_targetILNS1_3genE2ELNS1_11target_archE906ELNS1_3gpuE6ELNS1_3repE0EEENS1_48merge_mergepath_partition_config_static_selectorELNS0_4arch9wavefront6targetE1EEEvSL_
    .private_segment_fixed_size: 0
    .sgpr_count:     6
    .sgpr_spill_count: 0
    .symbol:         _ZN7rocprim17ROCPRIM_400000_NS6detail17trampoline_kernelINS0_14default_configENS1_38merge_sort_block_merge_config_selectorIiNS0_10empty_typeEEEZZNS1_27merge_sort_block_merge_implIS3_N6thrust23THRUST_200600_302600_NS6detail15normal_iteratorINS9_10device_ptrIiEEEEPS5_jNS1_19radix_merge_compareILb0ELb0EiNS0_19identity_decomposerEEEEE10hipError_tT0_T1_T2_jT3_P12ihipStream_tbPNSt15iterator_traitsISK_E10value_typeEPNSQ_ISL_E10value_typeEPSM_NS1_7vsmem_tEENKUlT_SK_SL_SM_E_clISE_PiSF_SF_EESJ_SZ_SK_SL_SM_EUlSZ_E_NS1_11comp_targetILNS1_3genE2ELNS1_11target_archE906ELNS1_3gpuE6ELNS1_3repE0EEENS1_48merge_mergepath_partition_config_static_selectorELNS0_4arch9wavefront6targetE1EEEvSL_.kd
    .uniform_work_group_size: 1
    .uses_dynamic_stack: false
    .vgpr_count:     0
    .vgpr_spill_count: 0
    .wavefront_size: 64
  - .agpr_count:     0
    .args:
      - .offset:         0
        .size:           40
        .value_kind:     by_value
    .group_segment_fixed_size: 0
    .kernarg_segment_align: 8
    .kernarg_segment_size: 40
    .language:       OpenCL C
    .language_version:
      - 2
      - 0
    .max_flat_workgroup_size: 128
    .name:           _ZN7rocprim17ROCPRIM_400000_NS6detail17trampoline_kernelINS0_14default_configENS1_38merge_sort_block_merge_config_selectorIiNS0_10empty_typeEEEZZNS1_27merge_sort_block_merge_implIS3_N6thrust23THRUST_200600_302600_NS6detail15normal_iteratorINS9_10device_ptrIiEEEEPS5_jNS1_19radix_merge_compareILb0ELb0EiNS0_19identity_decomposerEEEEE10hipError_tT0_T1_T2_jT3_P12ihipStream_tbPNSt15iterator_traitsISK_E10value_typeEPNSQ_ISL_E10value_typeEPSM_NS1_7vsmem_tEENKUlT_SK_SL_SM_E_clISE_PiSF_SF_EESJ_SZ_SK_SL_SM_EUlSZ_E_NS1_11comp_targetILNS1_3genE9ELNS1_11target_archE1100ELNS1_3gpuE3ELNS1_3repE0EEENS1_48merge_mergepath_partition_config_static_selectorELNS0_4arch9wavefront6targetE1EEEvSL_
    .private_segment_fixed_size: 0
    .sgpr_count:     6
    .sgpr_spill_count: 0
    .symbol:         _ZN7rocprim17ROCPRIM_400000_NS6detail17trampoline_kernelINS0_14default_configENS1_38merge_sort_block_merge_config_selectorIiNS0_10empty_typeEEEZZNS1_27merge_sort_block_merge_implIS3_N6thrust23THRUST_200600_302600_NS6detail15normal_iteratorINS9_10device_ptrIiEEEEPS5_jNS1_19radix_merge_compareILb0ELb0EiNS0_19identity_decomposerEEEEE10hipError_tT0_T1_T2_jT3_P12ihipStream_tbPNSt15iterator_traitsISK_E10value_typeEPNSQ_ISL_E10value_typeEPSM_NS1_7vsmem_tEENKUlT_SK_SL_SM_E_clISE_PiSF_SF_EESJ_SZ_SK_SL_SM_EUlSZ_E_NS1_11comp_targetILNS1_3genE9ELNS1_11target_archE1100ELNS1_3gpuE3ELNS1_3repE0EEENS1_48merge_mergepath_partition_config_static_selectorELNS0_4arch9wavefront6targetE1EEEvSL_.kd
    .uniform_work_group_size: 1
    .uses_dynamic_stack: false
    .vgpr_count:     0
    .vgpr_spill_count: 0
    .wavefront_size: 64
  - .agpr_count:     0
    .args:
      - .offset:         0
        .size:           40
        .value_kind:     by_value
    .group_segment_fixed_size: 0
    .kernarg_segment_align: 8
    .kernarg_segment_size: 40
    .language:       OpenCL C
    .language_version:
      - 2
      - 0
    .max_flat_workgroup_size: 128
    .name:           _ZN7rocprim17ROCPRIM_400000_NS6detail17trampoline_kernelINS0_14default_configENS1_38merge_sort_block_merge_config_selectorIiNS0_10empty_typeEEEZZNS1_27merge_sort_block_merge_implIS3_N6thrust23THRUST_200600_302600_NS6detail15normal_iteratorINS9_10device_ptrIiEEEEPS5_jNS1_19radix_merge_compareILb0ELb0EiNS0_19identity_decomposerEEEEE10hipError_tT0_T1_T2_jT3_P12ihipStream_tbPNSt15iterator_traitsISK_E10value_typeEPNSQ_ISL_E10value_typeEPSM_NS1_7vsmem_tEENKUlT_SK_SL_SM_E_clISE_PiSF_SF_EESJ_SZ_SK_SL_SM_EUlSZ_E_NS1_11comp_targetILNS1_3genE8ELNS1_11target_archE1030ELNS1_3gpuE2ELNS1_3repE0EEENS1_48merge_mergepath_partition_config_static_selectorELNS0_4arch9wavefront6targetE1EEEvSL_
    .private_segment_fixed_size: 0
    .sgpr_count:     6
    .sgpr_spill_count: 0
    .symbol:         _ZN7rocprim17ROCPRIM_400000_NS6detail17trampoline_kernelINS0_14default_configENS1_38merge_sort_block_merge_config_selectorIiNS0_10empty_typeEEEZZNS1_27merge_sort_block_merge_implIS3_N6thrust23THRUST_200600_302600_NS6detail15normal_iteratorINS9_10device_ptrIiEEEEPS5_jNS1_19radix_merge_compareILb0ELb0EiNS0_19identity_decomposerEEEEE10hipError_tT0_T1_T2_jT3_P12ihipStream_tbPNSt15iterator_traitsISK_E10value_typeEPNSQ_ISL_E10value_typeEPSM_NS1_7vsmem_tEENKUlT_SK_SL_SM_E_clISE_PiSF_SF_EESJ_SZ_SK_SL_SM_EUlSZ_E_NS1_11comp_targetILNS1_3genE8ELNS1_11target_archE1030ELNS1_3gpuE2ELNS1_3repE0EEENS1_48merge_mergepath_partition_config_static_selectorELNS0_4arch9wavefront6targetE1EEEvSL_.kd
    .uniform_work_group_size: 1
    .uses_dynamic_stack: false
    .vgpr_count:     0
    .vgpr_spill_count: 0
    .wavefront_size: 64
  - .agpr_count:     0
    .args:
      - .offset:         0
        .size:           64
        .value_kind:     by_value
      - .offset:         64
        .size:           4
        .value_kind:     hidden_block_count_x
      - .offset:         68
        .size:           4
        .value_kind:     hidden_block_count_y
      - .offset:         72
        .size:           4
        .value_kind:     hidden_block_count_z
      - .offset:         76
        .size:           2
        .value_kind:     hidden_group_size_x
      - .offset:         78
        .size:           2
        .value_kind:     hidden_group_size_y
      - .offset:         80
        .size:           2
        .value_kind:     hidden_group_size_z
      - .offset:         82
        .size:           2
        .value_kind:     hidden_remainder_x
      - .offset:         84
        .size:           2
        .value_kind:     hidden_remainder_y
      - .offset:         86
        .size:           2
        .value_kind:     hidden_remainder_z
      - .offset:         104
        .size:           8
        .value_kind:     hidden_global_offset_x
      - .offset:         112
        .size:           8
        .value_kind:     hidden_global_offset_y
      - .offset:         120
        .size:           8
        .value_kind:     hidden_global_offset_z
      - .offset:         128
        .size:           2
        .value_kind:     hidden_grid_dims
    .group_segment_fixed_size: 4224
    .kernarg_segment_align: 8
    .kernarg_segment_size: 320
    .language:       OpenCL C
    .language_version:
      - 2
      - 0
    .max_flat_workgroup_size: 128
    .name:           _ZN7rocprim17ROCPRIM_400000_NS6detail17trampoline_kernelINS0_14default_configENS1_38merge_sort_block_merge_config_selectorIiNS0_10empty_typeEEEZZNS1_27merge_sort_block_merge_implIS3_N6thrust23THRUST_200600_302600_NS6detail15normal_iteratorINS9_10device_ptrIiEEEEPS5_jNS1_19radix_merge_compareILb0ELb0EiNS0_19identity_decomposerEEEEE10hipError_tT0_T1_T2_jT3_P12ihipStream_tbPNSt15iterator_traitsISK_E10value_typeEPNSQ_ISL_E10value_typeEPSM_NS1_7vsmem_tEENKUlT_SK_SL_SM_E_clISE_PiSF_SF_EESJ_SZ_SK_SL_SM_EUlSZ_E0_NS1_11comp_targetILNS1_3genE0ELNS1_11target_archE4294967295ELNS1_3gpuE0ELNS1_3repE0EEENS1_38merge_mergepath_config_static_selectorELNS0_4arch9wavefront6targetE1EEEvSL_
    .private_segment_fixed_size: 0
    .sgpr_count:     31
    .sgpr_spill_count: 0
    .symbol:         _ZN7rocprim17ROCPRIM_400000_NS6detail17trampoline_kernelINS0_14default_configENS1_38merge_sort_block_merge_config_selectorIiNS0_10empty_typeEEEZZNS1_27merge_sort_block_merge_implIS3_N6thrust23THRUST_200600_302600_NS6detail15normal_iteratorINS9_10device_ptrIiEEEEPS5_jNS1_19radix_merge_compareILb0ELb0EiNS0_19identity_decomposerEEEEE10hipError_tT0_T1_T2_jT3_P12ihipStream_tbPNSt15iterator_traitsISK_E10value_typeEPNSQ_ISL_E10value_typeEPSM_NS1_7vsmem_tEENKUlT_SK_SL_SM_E_clISE_PiSF_SF_EESJ_SZ_SK_SL_SM_EUlSZ_E0_NS1_11comp_targetILNS1_3genE0ELNS1_11target_archE4294967295ELNS1_3gpuE0ELNS1_3repE0EEENS1_38merge_mergepath_config_static_selectorELNS0_4arch9wavefront6targetE1EEEvSL_.kd
    .uniform_work_group_size: 1
    .uses_dynamic_stack: false
    .vgpr_count:     26
    .vgpr_spill_count: 0
    .wavefront_size: 64
  - .agpr_count:     0
    .args:
      - .offset:         0
        .size:           64
        .value_kind:     by_value
    .group_segment_fixed_size: 0
    .kernarg_segment_align: 8
    .kernarg_segment_size: 64
    .language:       OpenCL C
    .language_version:
      - 2
      - 0
    .max_flat_workgroup_size: 256
    .name:           _ZN7rocprim17ROCPRIM_400000_NS6detail17trampoline_kernelINS0_14default_configENS1_38merge_sort_block_merge_config_selectorIiNS0_10empty_typeEEEZZNS1_27merge_sort_block_merge_implIS3_N6thrust23THRUST_200600_302600_NS6detail15normal_iteratorINS9_10device_ptrIiEEEEPS5_jNS1_19radix_merge_compareILb0ELb0EiNS0_19identity_decomposerEEEEE10hipError_tT0_T1_T2_jT3_P12ihipStream_tbPNSt15iterator_traitsISK_E10value_typeEPNSQ_ISL_E10value_typeEPSM_NS1_7vsmem_tEENKUlT_SK_SL_SM_E_clISE_PiSF_SF_EESJ_SZ_SK_SL_SM_EUlSZ_E0_NS1_11comp_targetILNS1_3genE10ELNS1_11target_archE1201ELNS1_3gpuE5ELNS1_3repE0EEENS1_38merge_mergepath_config_static_selectorELNS0_4arch9wavefront6targetE1EEEvSL_
    .private_segment_fixed_size: 0
    .sgpr_count:     6
    .sgpr_spill_count: 0
    .symbol:         _ZN7rocprim17ROCPRIM_400000_NS6detail17trampoline_kernelINS0_14default_configENS1_38merge_sort_block_merge_config_selectorIiNS0_10empty_typeEEEZZNS1_27merge_sort_block_merge_implIS3_N6thrust23THRUST_200600_302600_NS6detail15normal_iteratorINS9_10device_ptrIiEEEEPS5_jNS1_19radix_merge_compareILb0ELb0EiNS0_19identity_decomposerEEEEE10hipError_tT0_T1_T2_jT3_P12ihipStream_tbPNSt15iterator_traitsISK_E10value_typeEPNSQ_ISL_E10value_typeEPSM_NS1_7vsmem_tEENKUlT_SK_SL_SM_E_clISE_PiSF_SF_EESJ_SZ_SK_SL_SM_EUlSZ_E0_NS1_11comp_targetILNS1_3genE10ELNS1_11target_archE1201ELNS1_3gpuE5ELNS1_3repE0EEENS1_38merge_mergepath_config_static_selectorELNS0_4arch9wavefront6targetE1EEEvSL_.kd
    .uniform_work_group_size: 1
    .uses_dynamic_stack: false
    .vgpr_count:     0
    .vgpr_spill_count: 0
    .wavefront_size: 64
  - .agpr_count:     0
    .args:
      - .offset:         0
        .size:           64
        .value_kind:     by_value
    .group_segment_fixed_size: 0
    .kernarg_segment_align: 8
    .kernarg_segment_size: 64
    .language:       OpenCL C
    .language_version:
      - 2
      - 0
    .max_flat_workgroup_size: 128
    .name:           _ZN7rocprim17ROCPRIM_400000_NS6detail17trampoline_kernelINS0_14default_configENS1_38merge_sort_block_merge_config_selectorIiNS0_10empty_typeEEEZZNS1_27merge_sort_block_merge_implIS3_N6thrust23THRUST_200600_302600_NS6detail15normal_iteratorINS9_10device_ptrIiEEEEPS5_jNS1_19radix_merge_compareILb0ELb0EiNS0_19identity_decomposerEEEEE10hipError_tT0_T1_T2_jT3_P12ihipStream_tbPNSt15iterator_traitsISK_E10value_typeEPNSQ_ISL_E10value_typeEPSM_NS1_7vsmem_tEENKUlT_SK_SL_SM_E_clISE_PiSF_SF_EESJ_SZ_SK_SL_SM_EUlSZ_E0_NS1_11comp_targetILNS1_3genE5ELNS1_11target_archE942ELNS1_3gpuE9ELNS1_3repE0EEENS1_38merge_mergepath_config_static_selectorELNS0_4arch9wavefront6targetE1EEEvSL_
    .private_segment_fixed_size: 0
    .sgpr_count:     6
    .sgpr_spill_count: 0
    .symbol:         _ZN7rocprim17ROCPRIM_400000_NS6detail17trampoline_kernelINS0_14default_configENS1_38merge_sort_block_merge_config_selectorIiNS0_10empty_typeEEEZZNS1_27merge_sort_block_merge_implIS3_N6thrust23THRUST_200600_302600_NS6detail15normal_iteratorINS9_10device_ptrIiEEEEPS5_jNS1_19radix_merge_compareILb0ELb0EiNS0_19identity_decomposerEEEEE10hipError_tT0_T1_T2_jT3_P12ihipStream_tbPNSt15iterator_traitsISK_E10value_typeEPNSQ_ISL_E10value_typeEPSM_NS1_7vsmem_tEENKUlT_SK_SL_SM_E_clISE_PiSF_SF_EESJ_SZ_SK_SL_SM_EUlSZ_E0_NS1_11comp_targetILNS1_3genE5ELNS1_11target_archE942ELNS1_3gpuE9ELNS1_3repE0EEENS1_38merge_mergepath_config_static_selectorELNS0_4arch9wavefront6targetE1EEEvSL_.kd
    .uniform_work_group_size: 1
    .uses_dynamic_stack: false
    .vgpr_count:     0
    .vgpr_spill_count: 0
    .wavefront_size: 64
  - .agpr_count:     0
    .args:
      - .offset:         0
        .size:           64
        .value_kind:     by_value
    .group_segment_fixed_size: 0
    .kernarg_segment_align: 8
    .kernarg_segment_size: 64
    .language:       OpenCL C
    .language_version:
      - 2
      - 0
    .max_flat_workgroup_size: 128
    .name:           _ZN7rocprim17ROCPRIM_400000_NS6detail17trampoline_kernelINS0_14default_configENS1_38merge_sort_block_merge_config_selectorIiNS0_10empty_typeEEEZZNS1_27merge_sort_block_merge_implIS3_N6thrust23THRUST_200600_302600_NS6detail15normal_iteratorINS9_10device_ptrIiEEEEPS5_jNS1_19radix_merge_compareILb0ELb0EiNS0_19identity_decomposerEEEEE10hipError_tT0_T1_T2_jT3_P12ihipStream_tbPNSt15iterator_traitsISK_E10value_typeEPNSQ_ISL_E10value_typeEPSM_NS1_7vsmem_tEENKUlT_SK_SL_SM_E_clISE_PiSF_SF_EESJ_SZ_SK_SL_SM_EUlSZ_E0_NS1_11comp_targetILNS1_3genE4ELNS1_11target_archE910ELNS1_3gpuE8ELNS1_3repE0EEENS1_38merge_mergepath_config_static_selectorELNS0_4arch9wavefront6targetE1EEEvSL_
    .private_segment_fixed_size: 0
    .sgpr_count:     6
    .sgpr_spill_count: 0
    .symbol:         _ZN7rocprim17ROCPRIM_400000_NS6detail17trampoline_kernelINS0_14default_configENS1_38merge_sort_block_merge_config_selectorIiNS0_10empty_typeEEEZZNS1_27merge_sort_block_merge_implIS3_N6thrust23THRUST_200600_302600_NS6detail15normal_iteratorINS9_10device_ptrIiEEEEPS5_jNS1_19radix_merge_compareILb0ELb0EiNS0_19identity_decomposerEEEEE10hipError_tT0_T1_T2_jT3_P12ihipStream_tbPNSt15iterator_traitsISK_E10value_typeEPNSQ_ISL_E10value_typeEPSM_NS1_7vsmem_tEENKUlT_SK_SL_SM_E_clISE_PiSF_SF_EESJ_SZ_SK_SL_SM_EUlSZ_E0_NS1_11comp_targetILNS1_3genE4ELNS1_11target_archE910ELNS1_3gpuE8ELNS1_3repE0EEENS1_38merge_mergepath_config_static_selectorELNS0_4arch9wavefront6targetE1EEEvSL_.kd
    .uniform_work_group_size: 1
    .uses_dynamic_stack: false
    .vgpr_count:     0
    .vgpr_spill_count: 0
    .wavefront_size: 64
  - .agpr_count:     0
    .args:
      - .offset:         0
        .size:           64
        .value_kind:     by_value
    .group_segment_fixed_size: 0
    .kernarg_segment_align: 8
    .kernarg_segment_size: 64
    .language:       OpenCL C
    .language_version:
      - 2
      - 0
    .max_flat_workgroup_size: 128
    .name:           _ZN7rocprim17ROCPRIM_400000_NS6detail17trampoline_kernelINS0_14default_configENS1_38merge_sort_block_merge_config_selectorIiNS0_10empty_typeEEEZZNS1_27merge_sort_block_merge_implIS3_N6thrust23THRUST_200600_302600_NS6detail15normal_iteratorINS9_10device_ptrIiEEEEPS5_jNS1_19radix_merge_compareILb0ELb0EiNS0_19identity_decomposerEEEEE10hipError_tT0_T1_T2_jT3_P12ihipStream_tbPNSt15iterator_traitsISK_E10value_typeEPNSQ_ISL_E10value_typeEPSM_NS1_7vsmem_tEENKUlT_SK_SL_SM_E_clISE_PiSF_SF_EESJ_SZ_SK_SL_SM_EUlSZ_E0_NS1_11comp_targetILNS1_3genE3ELNS1_11target_archE908ELNS1_3gpuE7ELNS1_3repE0EEENS1_38merge_mergepath_config_static_selectorELNS0_4arch9wavefront6targetE1EEEvSL_
    .private_segment_fixed_size: 0
    .sgpr_count:     6
    .sgpr_spill_count: 0
    .symbol:         _ZN7rocprim17ROCPRIM_400000_NS6detail17trampoline_kernelINS0_14default_configENS1_38merge_sort_block_merge_config_selectorIiNS0_10empty_typeEEEZZNS1_27merge_sort_block_merge_implIS3_N6thrust23THRUST_200600_302600_NS6detail15normal_iteratorINS9_10device_ptrIiEEEEPS5_jNS1_19radix_merge_compareILb0ELb0EiNS0_19identity_decomposerEEEEE10hipError_tT0_T1_T2_jT3_P12ihipStream_tbPNSt15iterator_traitsISK_E10value_typeEPNSQ_ISL_E10value_typeEPSM_NS1_7vsmem_tEENKUlT_SK_SL_SM_E_clISE_PiSF_SF_EESJ_SZ_SK_SL_SM_EUlSZ_E0_NS1_11comp_targetILNS1_3genE3ELNS1_11target_archE908ELNS1_3gpuE7ELNS1_3repE0EEENS1_38merge_mergepath_config_static_selectorELNS0_4arch9wavefront6targetE1EEEvSL_.kd
    .uniform_work_group_size: 1
    .uses_dynamic_stack: false
    .vgpr_count:     0
    .vgpr_spill_count: 0
    .wavefront_size: 64
  - .agpr_count:     0
    .args:
      - .offset:         0
        .size:           64
        .value_kind:     by_value
    .group_segment_fixed_size: 0
    .kernarg_segment_align: 8
    .kernarg_segment_size: 64
    .language:       OpenCL C
    .language_version:
      - 2
      - 0
    .max_flat_workgroup_size: 128
    .name:           _ZN7rocprim17ROCPRIM_400000_NS6detail17trampoline_kernelINS0_14default_configENS1_38merge_sort_block_merge_config_selectorIiNS0_10empty_typeEEEZZNS1_27merge_sort_block_merge_implIS3_N6thrust23THRUST_200600_302600_NS6detail15normal_iteratorINS9_10device_ptrIiEEEEPS5_jNS1_19radix_merge_compareILb0ELb0EiNS0_19identity_decomposerEEEEE10hipError_tT0_T1_T2_jT3_P12ihipStream_tbPNSt15iterator_traitsISK_E10value_typeEPNSQ_ISL_E10value_typeEPSM_NS1_7vsmem_tEENKUlT_SK_SL_SM_E_clISE_PiSF_SF_EESJ_SZ_SK_SL_SM_EUlSZ_E0_NS1_11comp_targetILNS1_3genE2ELNS1_11target_archE906ELNS1_3gpuE6ELNS1_3repE0EEENS1_38merge_mergepath_config_static_selectorELNS0_4arch9wavefront6targetE1EEEvSL_
    .private_segment_fixed_size: 0
    .sgpr_count:     6
    .sgpr_spill_count: 0
    .symbol:         _ZN7rocprim17ROCPRIM_400000_NS6detail17trampoline_kernelINS0_14default_configENS1_38merge_sort_block_merge_config_selectorIiNS0_10empty_typeEEEZZNS1_27merge_sort_block_merge_implIS3_N6thrust23THRUST_200600_302600_NS6detail15normal_iteratorINS9_10device_ptrIiEEEEPS5_jNS1_19radix_merge_compareILb0ELb0EiNS0_19identity_decomposerEEEEE10hipError_tT0_T1_T2_jT3_P12ihipStream_tbPNSt15iterator_traitsISK_E10value_typeEPNSQ_ISL_E10value_typeEPSM_NS1_7vsmem_tEENKUlT_SK_SL_SM_E_clISE_PiSF_SF_EESJ_SZ_SK_SL_SM_EUlSZ_E0_NS1_11comp_targetILNS1_3genE2ELNS1_11target_archE906ELNS1_3gpuE6ELNS1_3repE0EEENS1_38merge_mergepath_config_static_selectorELNS0_4arch9wavefront6targetE1EEEvSL_.kd
    .uniform_work_group_size: 1
    .uses_dynamic_stack: false
    .vgpr_count:     0
    .vgpr_spill_count: 0
    .wavefront_size: 64
  - .agpr_count:     0
    .args:
      - .offset:         0
        .size:           64
        .value_kind:     by_value
    .group_segment_fixed_size: 0
    .kernarg_segment_align: 8
    .kernarg_segment_size: 64
    .language:       OpenCL C
    .language_version:
      - 2
      - 0
    .max_flat_workgroup_size: 256
    .name:           _ZN7rocprim17ROCPRIM_400000_NS6detail17trampoline_kernelINS0_14default_configENS1_38merge_sort_block_merge_config_selectorIiNS0_10empty_typeEEEZZNS1_27merge_sort_block_merge_implIS3_N6thrust23THRUST_200600_302600_NS6detail15normal_iteratorINS9_10device_ptrIiEEEEPS5_jNS1_19radix_merge_compareILb0ELb0EiNS0_19identity_decomposerEEEEE10hipError_tT0_T1_T2_jT3_P12ihipStream_tbPNSt15iterator_traitsISK_E10value_typeEPNSQ_ISL_E10value_typeEPSM_NS1_7vsmem_tEENKUlT_SK_SL_SM_E_clISE_PiSF_SF_EESJ_SZ_SK_SL_SM_EUlSZ_E0_NS1_11comp_targetILNS1_3genE9ELNS1_11target_archE1100ELNS1_3gpuE3ELNS1_3repE0EEENS1_38merge_mergepath_config_static_selectorELNS0_4arch9wavefront6targetE1EEEvSL_
    .private_segment_fixed_size: 0
    .sgpr_count:     6
    .sgpr_spill_count: 0
    .symbol:         _ZN7rocprim17ROCPRIM_400000_NS6detail17trampoline_kernelINS0_14default_configENS1_38merge_sort_block_merge_config_selectorIiNS0_10empty_typeEEEZZNS1_27merge_sort_block_merge_implIS3_N6thrust23THRUST_200600_302600_NS6detail15normal_iteratorINS9_10device_ptrIiEEEEPS5_jNS1_19radix_merge_compareILb0ELb0EiNS0_19identity_decomposerEEEEE10hipError_tT0_T1_T2_jT3_P12ihipStream_tbPNSt15iterator_traitsISK_E10value_typeEPNSQ_ISL_E10value_typeEPSM_NS1_7vsmem_tEENKUlT_SK_SL_SM_E_clISE_PiSF_SF_EESJ_SZ_SK_SL_SM_EUlSZ_E0_NS1_11comp_targetILNS1_3genE9ELNS1_11target_archE1100ELNS1_3gpuE3ELNS1_3repE0EEENS1_38merge_mergepath_config_static_selectorELNS0_4arch9wavefront6targetE1EEEvSL_.kd
    .uniform_work_group_size: 1
    .uses_dynamic_stack: false
    .vgpr_count:     0
    .vgpr_spill_count: 0
    .wavefront_size: 64
  - .agpr_count:     0
    .args:
      - .offset:         0
        .size:           64
        .value_kind:     by_value
    .group_segment_fixed_size: 0
    .kernarg_segment_align: 8
    .kernarg_segment_size: 64
    .language:       OpenCL C
    .language_version:
      - 2
      - 0
    .max_flat_workgroup_size: 512
    .name:           _ZN7rocprim17ROCPRIM_400000_NS6detail17trampoline_kernelINS0_14default_configENS1_38merge_sort_block_merge_config_selectorIiNS0_10empty_typeEEEZZNS1_27merge_sort_block_merge_implIS3_N6thrust23THRUST_200600_302600_NS6detail15normal_iteratorINS9_10device_ptrIiEEEEPS5_jNS1_19radix_merge_compareILb0ELb0EiNS0_19identity_decomposerEEEEE10hipError_tT0_T1_T2_jT3_P12ihipStream_tbPNSt15iterator_traitsISK_E10value_typeEPNSQ_ISL_E10value_typeEPSM_NS1_7vsmem_tEENKUlT_SK_SL_SM_E_clISE_PiSF_SF_EESJ_SZ_SK_SL_SM_EUlSZ_E0_NS1_11comp_targetILNS1_3genE8ELNS1_11target_archE1030ELNS1_3gpuE2ELNS1_3repE0EEENS1_38merge_mergepath_config_static_selectorELNS0_4arch9wavefront6targetE1EEEvSL_
    .private_segment_fixed_size: 0
    .sgpr_count:     6
    .sgpr_spill_count: 0
    .symbol:         _ZN7rocprim17ROCPRIM_400000_NS6detail17trampoline_kernelINS0_14default_configENS1_38merge_sort_block_merge_config_selectorIiNS0_10empty_typeEEEZZNS1_27merge_sort_block_merge_implIS3_N6thrust23THRUST_200600_302600_NS6detail15normal_iteratorINS9_10device_ptrIiEEEEPS5_jNS1_19radix_merge_compareILb0ELb0EiNS0_19identity_decomposerEEEEE10hipError_tT0_T1_T2_jT3_P12ihipStream_tbPNSt15iterator_traitsISK_E10value_typeEPNSQ_ISL_E10value_typeEPSM_NS1_7vsmem_tEENKUlT_SK_SL_SM_E_clISE_PiSF_SF_EESJ_SZ_SK_SL_SM_EUlSZ_E0_NS1_11comp_targetILNS1_3genE8ELNS1_11target_archE1030ELNS1_3gpuE2ELNS1_3repE0EEENS1_38merge_mergepath_config_static_selectorELNS0_4arch9wavefront6targetE1EEEvSL_.kd
    .uniform_work_group_size: 1
    .uses_dynamic_stack: false
    .vgpr_count:     0
    .vgpr_spill_count: 0
    .wavefront_size: 64
  - .agpr_count:     0
    .args:
      - .offset:         0
        .size:           48
        .value_kind:     by_value
    .group_segment_fixed_size: 0
    .kernarg_segment_align: 8
    .kernarg_segment_size: 48
    .language:       OpenCL C
    .language_version:
      - 2
      - 0
    .max_flat_workgroup_size: 256
    .name:           _ZN7rocprim17ROCPRIM_400000_NS6detail17trampoline_kernelINS0_14default_configENS1_38merge_sort_block_merge_config_selectorIiNS0_10empty_typeEEEZZNS1_27merge_sort_block_merge_implIS3_N6thrust23THRUST_200600_302600_NS6detail15normal_iteratorINS9_10device_ptrIiEEEEPS5_jNS1_19radix_merge_compareILb0ELb0EiNS0_19identity_decomposerEEEEE10hipError_tT0_T1_T2_jT3_P12ihipStream_tbPNSt15iterator_traitsISK_E10value_typeEPNSQ_ISL_E10value_typeEPSM_NS1_7vsmem_tEENKUlT_SK_SL_SM_E_clISE_PiSF_SF_EESJ_SZ_SK_SL_SM_EUlSZ_E1_NS1_11comp_targetILNS1_3genE0ELNS1_11target_archE4294967295ELNS1_3gpuE0ELNS1_3repE0EEENS1_36merge_oddeven_config_static_selectorELNS0_4arch9wavefront6targetE1EEEvSL_
    .private_segment_fixed_size: 0
    .sgpr_count:     25
    .sgpr_spill_count: 0
    .symbol:         _ZN7rocprim17ROCPRIM_400000_NS6detail17trampoline_kernelINS0_14default_configENS1_38merge_sort_block_merge_config_selectorIiNS0_10empty_typeEEEZZNS1_27merge_sort_block_merge_implIS3_N6thrust23THRUST_200600_302600_NS6detail15normal_iteratorINS9_10device_ptrIiEEEEPS5_jNS1_19radix_merge_compareILb0ELb0EiNS0_19identity_decomposerEEEEE10hipError_tT0_T1_T2_jT3_P12ihipStream_tbPNSt15iterator_traitsISK_E10value_typeEPNSQ_ISL_E10value_typeEPSM_NS1_7vsmem_tEENKUlT_SK_SL_SM_E_clISE_PiSF_SF_EESJ_SZ_SK_SL_SM_EUlSZ_E1_NS1_11comp_targetILNS1_3genE0ELNS1_11target_archE4294967295ELNS1_3gpuE0ELNS1_3repE0EEENS1_36merge_oddeven_config_static_selectorELNS0_4arch9wavefront6targetE1EEEvSL_.kd
    .uniform_work_group_size: 1
    .uses_dynamic_stack: false
    .vgpr_count:     9
    .vgpr_spill_count: 0
    .wavefront_size: 64
  - .agpr_count:     0
    .args:
      - .offset:         0
        .size:           48
        .value_kind:     by_value
    .group_segment_fixed_size: 0
    .kernarg_segment_align: 8
    .kernarg_segment_size: 48
    .language:       OpenCL C
    .language_version:
      - 2
      - 0
    .max_flat_workgroup_size: 256
    .name:           _ZN7rocprim17ROCPRIM_400000_NS6detail17trampoline_kernelINS0_14default_configENS1_38merge_sort_block_merge_config_selectorIiNS0_10empty_typeEEEZZNS1_27merge_sort_block_merge_implIS3_N6thrust23THRUST_200600_302600_NS6detail15normal_iteratorINS9_10device_ptrIiEEEEPS5_jNS1_19radix_merge_compareILb0ELb0EiNS0_19identity_decomposerEEEEE10hipError_tT0_T1_T2_jT3_P12ihipStream_tbPNSt15iterator_traitsISK_E10value_typeEPNSQ_ISL_E10value_typeEPSM_NS1_7vsmem_tEENKUlT_SK_SL_SM_E_clISE_PiSF_SF_EESJ_SZ_SK_SL_SM_EUlSZ_E1_NS1_11comp_targetILNS1_3genE10ELNS1_11target_archE1201ELNS1_3gpuE5ELNS1_3repE0EEENS1_36merge_oddeven_config_static_selectorELNS0_4arch9wavefront6targetE1EEEvSL_
    .private_segment_fixed_size: 0
    .sgpr_count:     6
    .sgpr_spill_count: 0
    .symbol:         _ZN7rocprim17ROCPRIM_400000_NS6detail17trampoline_kernelINS0_14default_configENS1_38merge_sort_block_merge_config_selectorIiNS0_10empty_typeEEEZZNS1_27merge_sort_block_merge_implIS3_N6thrust23THRUST_200600_302600_NS6detail15normal_iteratorINS9_10device_ptrIiEEEEPS5_jNS1_19radix_merge_compareILb0ELb0EiNS0_19identity_decomposerEEEEE10hipError_tT0_T1_T2_jT3_P12ihipStream_tbPNSt15iterator_traitsISK_E10value_typeEPNSQ_ISL_E10value_typeEPSM_NS1_7vsmem_tEENKUlT_SK_SL_SM_E_clISE_PiSF_SF_EESJ_SZ_SK_SL_SM_EUlSZ_E1_NS1_11comp_targetILNS1_3genE10ELNS1_11target_archE1201ELNS1_3gpuE5ELNS1_3repE0EEENS1_36merge_oddeven_config_static_selectorELNS0_4arch9wavefront6targetE1EEEvSL_.kd
    .uniform_work_group_size: 1
    .uses_dynamic_stack: false
    .vgpr_count:     0
    .vgpr_spill_count: 0
    .wavefront_size: 64
  - .agpr_count:     0
    .args:
      - .offset:         0
        .size:           48
        .value_kind:     by_value
    .group_segment_fixed_size: 0
    .kernarg_segment_align: 8
    .kernarg_segment_size: 48
    .language:       OpenCL C
    .language_version:
      - 2
      - 0
    .max_flat_workgroup_size: 256
    .name:           _ZN7rocprim17ROCPRIM_400000_NS6detail17trampoline_kernelINS0_14default_configENS1_38merge_sort_block_merge_config_selectorIiNS0_10empty_typeEEEZZNS1_27merge_sort_block_merge_implIS3_N6thrust23THRUST_200600_302600_NS6detail15normal_iteratorINS9_10device_ptrIiEEEEPS5_jNS1_19radix_merge_compareILb0ELb0EiNS0_19identity_decomposerEEEEE10hipError_tT0_T1_T2_jT3_P12ihipStream_tbPNSt15iterator_traitsISK_E10value_typeEPNSQ_ISL_E10value_typeEPSM_NS1_7vsmem_tEENKUlT_SK_SL_SM_E_clISE_PiSF_SF_EESJ_SZ_SK_SL_SM_EUlSZ_E1_NS1_11comp_targetILNS1_3genE5ELNS1_11target_archE942ELNS1_3gpuE9ELNS1_3repE0EEENS1_36merge_oddeven_config_static_selectorELNS0_4arch9wavefront6targetE1EEEvSL_
    .private_segment_fixed_size: 0
    .sgpr_count:     6
    .sgpr_spill_count: 0
    .symbol:         _ZN7rocprim17ROCPRIM_400000_NS6detail17trampoline_kernelINS0_14default_configENS1_38merge_sort_block_merge_config_selectorIiNS0_10empty_typeEEEZZNS1_27merge_sort_block_merge_implIS3_N6thrust23THRUST_200600_302600_NS6detail15normal_iteratorINS9_10device_ptrIiEEEEPS5_jNS1_19radix_merge_compareILb0ELb0EiNS0_19identity_decomposerEEEEE10hipError_tT0_T1_T2_jT3_P12ihipStream_tbPNSt15iterator_traitsISK_E10value_typeEPNSQ_ISL_E10value_typeEPSM_NS1_7vsmem_tEENKUlT_SK_SL_SM_E_clISE_PiSF_SF_EESJ_SZ_SK_SL_SM_EUlSZ_E1_NS1_11comp_targetILNS1_3genE5ELNS1_11target_archE942ELNS1_3gpuE9ELNS1_3repE0EEENS1_36merge_oddeven_config_static_selectorELNS0_4arch9wavefront6targetE1EEEvSL_.kd
    .uniform_work_group_size: 1
    .uses_dynamic_stack: false
    .vgpr_count:     0
    .vgpr_spill_count: 0
    .wavefront_size: 64
  - .agpr_count:     0
    .args:
      - .offset:         0
        .size:           48
        .value_kind:     by_value
    .group_segment_fixed_size: 0
    .kernarg_segment_align: 8
    .kernarg_segment_size: 48
    .language:       OpenCL C
    .language_version:
      - 2
      - 0
    .max_flat_workgroup_size: 256
    .name:           _ZN7rocprim17ROCPRIM_400000_NS6detail17trampoline_kernelINS0_14default_configENS1_38merge_sort_block_merge_config_selectorIiNS0_10empty_typeEEEZZNS1_27merge_sort_block_merge_implIS3_N6thrust23THRUST_200600_302600_NS6detail15normal_iteratorINS9_10device_ptrIiEEEEPS5_jNS1_19radix_merge_compareILb0ELb0EiNS0_19identity_decomposerEEEEE10hipError_tT0_T1_T2_jT3_P12ihipStream_tbPNSt15iterator_traitsISK_E10value_typeEPNSQ_ISL_E10value_typeEPSM_NS1_7vsmem_tEENKUlT_SK_SL_SM_E_clISE_PiSF_SF_EESJ_SZ_SK_SL_SM_EUlSZ_E1_NS1_11comp_targetILNS1_3genE4ELNS1_11target_archE910ELNS1_3gpuE8ELNS1_3repE0EEENS1_36merge_oddeven_config_static_selectorELNS0_4arch9wavefront6targetE1EEEvSL_
    .private_segment_fixed_size: 0
    .sgpr_count:     6
    .sgpr_spill_count: 0
    .symbol:         _ZN7rocprim17ROCPRIM_400000_NS6detail17trampoline_kernelINS0_14default_configENS1_38merge_sort_block_merge_config_selectorIiNS0_10empty_typeEEEZZNS1_27merge_sort_block_merge_implIS3_N6thrust23THRUST_200600_302600_NS6detail15normal_iteratorINS9_10device_ptrIiEEEEPS5_jNS1_19radix_merge_compareILb0ELb0EiNS0_19identity_decomposerEEEEE10hipError_tT0_T1_T2_jT3_P12ihipStream_tbPNSt15iterator_traitsISK_E10value_typeEPNSQ_ISL_E10value_typeEPSM_NS1_7vsmem_tEENKUlT_SK_SL_SM_E_clISE_PiSF_SF_EESJ_SZ_SK_SL_SM_EUlSZ_E1_NS1_11comp_targetILNS1_3genE4ELNS1_11target_archE910ELNS1_3gpuE8ELNS1_3repE0EEENS1_36merge_oddeven_config_static_selectorELNS0_4arch9wavefront6targetE1EEEvSL_.kd
    .uniform_work_group_size: 1
    .uses_dynamic_stack: false
    .vgpr_count:     0
    .vgpr_spill_count: 0
    .wavefront_size: 64
  - .agpr_count:     0
    .args:
      - .offset:         0
        .size:           48
        .value_kind:     by_value
    .group_segment_fixed_size: 0
    .kernarg_segment_align: 8
    .kernarg_segment_size: 48
    .language:       OpenCL C
    .language_version:
      - 2
      - 0
    .max_flat_workgroup_size: 256
    .name:           _ZN7rocprim17ROCPRIM_400000_NS6detail17trampoline_kernelINS0_14default_configENS1_38merge_sort_block_merge_config_selectorIiNS0_10empty_typeEEEZZNS1_27merge_sort_block_merge_implIS3_N6thrust23THRUST_200600_302600_NS6detail15normal_iteratorINS9_10device_ptrIiEEEEPS5_jNS1_19radix_merge_compareILb0ELb0EiNS0_19identity_decomposerEEEEE10hipError_tT0_T1_T2_jT3_P12ihipStream_tbPNSt15iterator_traitsISK_E10value_typeEPNSQ_ISL_E10value_typeEPSM_NS1_7vsmem_tEENKUlT_SK_SL_SM_E_clISE_PiSF_SF_EESJ_SZ_SK_SL_SM_EUlSZ_E1_NS1_11comp_targetILNS1_3genE3ELNS1_11target_archE908ELNS1_3gpuE7ELNS1_3repE0EEENS1_36merge_oddeven_config_static_selectorELNS0_4arch9wavefront6targetE1EEEvSL_
    .private_segment_fixed_size: 0
    .sgpr_count:     6
    .sgpr_spill_count: 0
    .symbol:         _ZN7rocprim17ROCPRIM_400000_NS6detail17trampoline_kernelINS0_14default_configENS1_38merge_sort_block_merge_config_selectorIiNS0_10empty_typeEEEZZNS1_27merge_sort_block_merge_implIS3_N6thrust23THRUST_200600_302600_NS6detail15normal_iteratorINS9_10device_ptrIiEEEEPS5_jNS1_19radix_merge_compareILb0ELb0EiNS0_19identity_decomposerEEEEE10hipError_tT0_T1_T2_jT3_P12ihipStream_tbPNSt15iterator_traitsISK_E10value_typeEPNSQ_ISL_E10value_typeEPSM_NS1_7vsmem_tEENKUlT_SK_SL_SM_E_clISE_PiSF_SF_EESJ_SZ_SK_SL_SM_EUlSZ_E1_NS1_11comp_targetILNS1_3genE3ELNS1_11target_archE908ELNS1_3gpuE7ELNS1_3repE0EEENS1_36merge_oddeven_config_static_selectorELNS0_4arch9wavefront6targetE1EEEvSL_.kd
    .uniform_work_group_size: 1
    .uses_dynamic_stack: false
    .vgpr_count:     0
    .vgpr_spill_count: 0
    .wavefront_size: 64
  - .agpr_count:     0
    .args:
      - .offset:         0
        .size:           48
        .value_kind:     by_value
    .group_segment_fixed_size: 0
    .kernarg_segment_align: 8
    .kernarg_segment_size: 48
    .language:       OpenCL C
    .language_version:
      - 2
      - 0
    .max_flat_workgroup_size: 256
    .name:           _ZN7rocprim17ROCPRIM_400000_NS6detail17trampoline_kernelINS0_14default_configENS1_38merge_sort_block_merge_config_selectorIiNS0_10empty_typeEEEZZNS1_27merge_sort_block_merge_implIS3_N6thrust23THRUST_200600_302600_NS6detail15normal_iteratorINS9_10device_ptrIiEEEEPS5_jNS1_19radix_merge_compareILb0ELb0EiNS0_19identity_decomposerEEEEE10hipError_tT0_T1_T2_jT3_P12ihipStream_tbPNSt15iterator_traitsISK_E10value_typeEPNSQ_ISL_E10value_typeEPSM_NS1_7vsmem_tEENKUlT_SK_SL_SM_E_clISE_PiSF_SF_EESJ_SZ_SK_SL_SM_EUlSZ_E1_NS1_11comp_targetILNS1_3genE2ELNS1_11target_archE906ELNS1_3gpuE6ELNS1_3repE0EEENS1_36merge_oddeven_config_static_selectorELNS0_4arch9wavefront6targetE1EEEvSL_
    .private_segment_fixed_size: 0
    .sgpr_count:     6
    .sgpr_spill_count: 0
    .symbol:         _ZN7rocprim17ROCPRIM_400000_NS6detail17trampoline_kernelINS0_14default_configENS1_38merge_sort_block_merge_config_selectorIiNS0_10empty_typeEEEZZNS1_27merge_sort_block_merge_implIS3_N6thrust23THRUST_200600_302600_NS6detail15normal_iteratorINS9_10device_ptrIiEEEEPS5_jNS1_19radix_merge_compareILb0ELb0EiNS0_19identity_decomposerEEEEE10hipError_tT0_T1_T2_jT3_P12ihipStream_tbPNSt15iterator_traitsISK_E10value_typeEPNSQ_ISL_E10value_typeEPSM_NS1_7vsmem_tEENKUlT_SK_SL_SM_E_clISE_PiSF_SF_EESJ_SZ_SK_SL_SM_EUlSZ_E1_NS1_11comp_targetILNS1_3genE2ELNS1_11target_archE906ELNS1_3gpuE6ELNS1_3repE0EEENS1_36merge_oddeven_config_static_selectorELNS0_4arch9wavefront6targetE1EEEvSL_.kd
    .uniform_work_group_size: 1
    .uses_dynamic_stack: false
    .vgpr_count:     0
    .vgpr_spill_count: 0
    .wavefront_size: 64
  - .agpr_count:     0
    .args:
      - .offset:         0
        .size:           48
        .value_kind:     by_value
    .group_segment_fixed_size: 0
    .kernarg_segment_align: 8
    .kernarg_segment_size: 48
    .language:       OpenCL C
    .language_version:
      - 2
      - 0
    .max_flat_workgroup_size: 256
    .name:           _ZN7rocprim17ROCPRIM_400000_NS6detail17trampoline_kernelINS0_14default_configENS1_38merge_sort_block_merge_config_selectorIiNS0_10empty_typeEEEZZNS1_27merge_sort_block_merge_implIS3_N6thrust23THRUST_200600_302600_NS6detail15normal_iteratorINS9_10device_ptrIiEEEEPS5_jNS1_19radix_merge_compareILb0ELb0EiNS0_19identity_decomposerEEEEE10hipError_tT0_T1_T2_jT3_P12ihipStream_tbPNSt15iterator_traitsISK_E10value_typeEPNSQ_ISL_E10value_typeEPSM_NS1_7vsmem_tEENKUlT_SK_SL_SM_E_clISE_PiSF_SF_EESJ_SZ_SK_SL_SM_EUlSZ_E1_NS1_11comp_targetILNS1_3genE9ELNS1_11target_archE1100ELNS1_3gpuE3ELNS1_3repE0EEENS1_36merge_oddeven_config_static_selectorELNS0_4arch9wavefront6targetE1EEEvSL_
    .private_segment_fixed_size: 0
    .sgpr_count:     6
    .sgpr_spill_count: 0
    .symbol:         _ZN7rocprim17ROCPRIM_400000_NS6detail17trampoline_kernelINS0_14default_configENS1_38merge_sort_block_merge_config_selectorIiNS0_10empty_typeEEEZZNS1_27merge_sort_block_merge_implIS3_N6thrust23THRUST_200600_302600_NS6detail15normal_iteratorINS9_10device_ptrIiEEEEPS5_jNS1_19radix_merge_compareILb0ELb0EiNS0_19identity_decomposerEEEEE10hipError_tT0_T1_T2_jT3_P12ihipStream_tbPNSt15iterator_traitsISK_E10value_typeEPNSQ_ISL_E10value_typeEPSM_NS1_7vsmem_tEENKUlT_SK_SL_SM_E_clISE_PiSF_SF_EESJ_SZ_SK_SL_SM_EUlSZ_E1_NS1_11comp_targetILNS1_3genE9ELNS1_11target_archE1100ELNS1_3gpuE3ELNS1_3repE0EEENS1_36merge_oddeven_config_static_selectorELNS0_4arch9wavefront6targetE1EEEvSL_.kd
    .uniform_work_group_size: 1
    .uses_dynamic_stack: false
    .vgpr_count:     0
    .vgpr_spill_count: 0
    .wavefront_size: 64
  - .agpr_count:     0
    .args:
      - .offset:         0
        .size:           48
        .value_kind:     by_value
    .group_segment_fixed_size: 0
    .kernarg_segment_align: 8
    .kernarg_segment_size: 48
    .language:       OpenCL C
    .language_version:
      - 2
      - 0
    .max_flat_workgroup_size: 256
    .name:           _ZN7rocprim17ROCPRIM_400000_NS6detail17trampoline_kernelINS0_14default_configENS1_38merge_sort_block_merge_config_selectorIiNS0_10empty_typeEEEZZNS1_27merge_sort_block_merge_implIS3_N6thrust23THRUST_200600_302600_NS6detail15normal_iteratorINS9_10device_ptrIiEEEEPS5_jNS1_19radix_merge_compareILb0ELb0EiNS0_19identity_decomposerEEEEE10hipError_tT0_T1_T2_jT3_P12ihipStream_tbPNSt15iterator_traitsISK_E10value_typeEPNSQ_ISL_E10value_typeEPSM_NS1_7vsmem_tEENKUlT_SK_SL_SM_E_clISE_PiSF_SF_EESJ_SZ_SK_SL_SM_EUlSZ_E1_NS1_11comp_targetILNS1_3genE8ELNS1_11target_archE1030ELNS1_3gpuE2ELNS1_3repE0EEENS1_36merge_oddeven_config_static_selectorELNS0_4arch9wavefront6targetE1EEEvSL_
    .private_segment_fixed_size: 0
    .sgpr_count:     6
    .sgpr_spill_count: 0
    .symbol:         _ZN7rocprim17ROCPRIM_400000_NS6detail17trampoline_kernelINS0_14default_configENS1_38merge_sort_block_merge_config_selectorIiNS0_10empty_typeEEEZZNS1_27merge_sort_block_merge_implIS3_N6thrust23THRUST_200600_302600_NS6detail15normal_iteratorINS9_10device_ptrIiEEEEPS5_jNS1_19radix_merge_compareILb0ELb0EiNS0_19identity_decomposerEEEEE10hipError_tT0_T1_T2_jT3_P12ihipStream_tbPNSt15iterator_traitsISK_E10value_typeEPNSQ_ISL_E10value_typeEPSM_NS1_7vsmem_tEENKUlT_SK_SL_SM_E_clISE_PiSF_SF_EESJ_SZ_SK_SL_SM_EUlSZ_E1_NS1_11comp_targetILNS1_3genE8ELNS1_11target_archE1030ELNS1_3gpuE2ELNS1_3repE0EEENS1_36merge_oddeven_config_static_selectorELNS0_4arch9wavefront6targetE1EEEvSL_.kd
    .uniform_work_group_size: 1
    .uses_dynamic_stack: false
    .vgpr_count:     0
    .vgpr_spill_count: 0
    .wavefront_size: 64
  - .agpr_count:     0
    .args:
      - .offset:         0
        .size:           40
        .value_kind:     by_value
      - .offset:         40
        .size:           4
        .value_kind:     hidden_block_count_x
      - .offset:         44
        .size:           4
        .value_kind:     hidden_block_count_y
      - .offset:         48
        .size:           4
        .value_kind:     hidden_block_count_z
      - .offset:         52
        .size:           2
        .value_kind:     hidden_group_size_x
      - .offset:         54
        .size:           2
        .value_kind:     hidden_group_size_y
      - .offset:         56
        .size:           2
        .value_kind:     hidden_group_size_z
      - .offset:         58
        .size:           2
        .value_kind:     hidden_remainder_x
      - .offset:         60
        .size:           2
        .value_kind:     hidden_remainder_y
      - .offset:         62
        .size:           2
        .value_kind:     hidden_remainder_z
      - .offset:         80
        .size:           8
        .value_kind:     hidden_global_offset_x
      - .offset:         88
        .size:           8
        .value_kind:     hidden_global_offset_y
      - .offset:         96
        .size:           8
        .value_kind:     hidden_global_offset_z
      - .offset:         104
        .size:           2
        .value_kind:     hidden_grid_dims
    .group_segment_fixed_size: 0
    .kernarg_segment_align: 8
    .kernarg_segment_size: 296
    .language:       OpenCL C
    .language_version:
      - 2
      - 0
    .max_flat_workgroup_size: 128
    .name:           _ZN7rocprim17ROCPRIM_400000_NS6detail17trampoline_kernelINS0_14default_configENS1_25transform_config_selectorIiLb0EEEZNS1_14transform_implILb0ES3_S5_PiN6thrust23THRUST_200600_302600_NS6detail15normal_iteratorINS9_10device_ptrIiEEEENS0_8identityIiEEEE10hipError_tT2_T3_mT4_P12ihipStream_tbEUlT_E_NS1_11comp_targetILNS1_3genE0ELNS1_11target_archE4294967295ELNS1_3gpuE0ELNS1_3repE0EEENS1_30default_config_static_selectorELNS0_4arch9wavefront6targetE1EEEvT1_
    .private_segment_fixed_size: 0
    .sgpr_count:     22
    .sgpr_spill_count: 0
    .symbol:         _ZN7rocprim17ROCPRIM_400000_NS6detail17trampoline_kernelINS0_14default_configENS1_25transform_config_selectorIiLb0EEEZNS1_14transform_implILb0ES3_S5_PiN6thrust23THRUST_200600_302600_NS6detail15normal_iteratorINS9_10device_ptrIiEEEENS0_8identityIiEEEE10hipError_tT2_T3_mT4_P12ihipStream_tbEUlT_E_NS1_11comp_targetILNS1_3genE0ELNS1_11target_archE4294967295ELNS1_3gpuE0ELNS1_3repE0EEENS1_30default_config_static_selectorELNS0_4arch9wavefront6targetE1EEEvT1_.kd
    .uniform_work_group_size: 1
    .uses_dynamic_stack: false
    .vgpr_count:     7
    .vgpr_spill_count: 0
    .wavefront_size: 64
  - .agpr_count:     0
    .args:
      - .offset:         0
        .size:           40
        .value_kind:     by_value
    .group_segment_fixed_size: 0
    .kernarg_segment_align: 8
    .kernarg_segment_size: 40
    .language:       OpenCL C
    .language_version:
      - 2
      - 0
    .max_flat_workgroup_size: 512
    .name:           _ZN7rocprim17ROCPRIM_400000_NS6detail17trampoline_kernelINS0_14default_configENS1_25transform_config_selectorIiLb0EEEZNS1_14transform_implILb0ES3_S5_PiN6thrust23THRUST_200600_302600_NS6detail15normal_iteratorINS9_10device_ptrIiEEEENS0_8identityIiEEEE10hipError_tT2_T3_mT4_P12ihipStream_tbEUlT_E_NS1_11comp_targetILNS1_3genE5ELNS1_11target_archE942ELNS1_3gpuE9ELNS1_3repE0EEENS1_30default_config_static_selectorELNS0_4arch9wavefront6targetE1EEEvT1_
    .private_segment_fixed_size: 0
    .sgpr_count:     6
    .sgpr_spill_count: 0
    .symbol:         _ZN7rocprim17ROCPRIM_400000_NS6detail17trampoline_kernelINS0_14default_configENS1_25transform_config_selectorIiLb0EEEZNS1_14transform_implILb0ES3_S5_PiN6thrust23THRUST_200600_302600_NS6detail15normal_iteratorINS9_10device_ptrIiEEEENS0_8identityIiEEEE10hipError_tT2_T3_mT4_P12ihipStream_tbEUlT_E_NS1_11comp_targetILNS1_3genE5ELNS1_11target_archE942ELNS1_3gpuE9ELNS1_3repE0EEENS1_30default_config_static_selectorELNS0_4arch9wavefront6targetE1EEEvT1_.kd
    .uniform_work_group_size: 1
    .uses_dynamic_stack: false
    .vgpr_count:     0
    .vgpr_spill_count: 0
    .wavefront_size: 64
  - .agpr_count:     0
    .args:
      - .offset:         0
        .size:           40
        .value_kind:     by_value
    .group_segment_fixed_size: 0
    .kernarg_segment_align: 8
    .kernarg_segment_size: 40
    .language:       OpenCL C
    .language_version:
      - 2
      - 0
    .max_flat_workgroup_size: 1024
    .name:           _ZN7rocprim17ROCPRIM_400000_NS6detail17trampoline_kernelINS0_14default_configENS1_25transform_config_selectorIiLb0EEEZNS1_14transform_implILb0ES3_S5_PiN6thrust23THRUST_200600_302600_NS6detail15normal_iteratorINS9_10device_ptrIiEEEENS0_8identityIiEEEE10hipError_tT2_T3_mT4_P12ihipStream_tbEUlT_E_NS1_11comp_targetILNS1_3genE4ELNS1_11target_archE910ELNS1_3gpuE8ELNS1_3repE0EEENS1_30default_config_static_selectorELNS0_4arch9wavefront6targetE1EEEvT1_
    .private_segment_fixed_size: 0
    .sgpr_count:     6
    .sgpr_spill_count: 0
    .symbol:         _ZN7rocprim17ROCPRIM_400000_NS6detail17trampoline_kernelINS0_14default_configENS1_25transform_config_selectorIiLb0EEEZNS1_14transform_implILb0ES3_S5_PiN6thrust23THRUST_200600_302600_NS6detail15normal_iteratorINS9_10device_ptrIiEEEENS0_8identityIiEEEE10hipError_tT2_T3_mT4_P12ihipStream_tbEUlT_E_NS1_11comp_targetILNS1_3genE4ELNS1_11target_archE910ELNS1_3gpuE8ELNS1_3repE0EEENS1_30default_config_static_selectorELNS0_4arch9wavefront6targetE1EEEvT1_.kd
    .uniform_work_group_size: 1
    .uses_dynamic_stack: false
    .vgpr_count:     0
    .vgpr_spill_count: 0
    .wavefront_size: 64
  - .agpr_count:     0
    .args:
      - .offset:         0
        .size:           40
        .value_kind:     by_value
    .group_segment_fixed_size: 0
    .kernarg_segment_align: 8
    .kernarg_segment_size: 40
    .language:       OpenCL C
    .language_version:
      - 2
      - 0
    .max_flat_workgroup_size: 128
    .name:           _ZN7rocprim17ROCPRIM_400000_NS6detail17trampoline_kernelINS0_14default_configENS1_25transform_config_selectorIiLb0EEEZNS1_14transform_implILb0ES3_S5_PiN6thrust23THRUST_200600_302600_NS6detail15normal_iteratorINS9_10device_ptrIiEEEENS0_8identityIiEEEE10hipError_tT2_T3_mT4_P12ihipStream_tbEUlT_E_NS1_11comp_targetILNS1_3genE3ELNS1_11target_archE908ELNS1_3gpuE7ELNS1_3repE0EEENS1_30default_config_static_selectorELNS0_4arch9wavefront6targetE1EEEvT1_
    .private_segment_fixed_size: 0
    .sgpr_count:     6
    .sgpr_spill_count: 0
    .symbol:         _ZN7rocprim17ROCPRIM_400000_NS6detail17trampoline_kernelINS0_14default_configENS1_25transform_config_selectorIiLb0EEEZNS1_14transform_implILb0ES3_S5_PiN6thrust23THRUST_200600_302600_NS6detail15normal_iteratorINS9_10device_ptrIiEEEENS0_8identityIiEEEE10hipError_tT2_T3_mT4_P12ihipStream_tbEUlT_E_NS1_11comp_targetILNS1_3genE3ELNS1_11target_archE908ELNS1_3gpuE7ELNS1_3repE0EEENS1_30default_config_static_selectorELNS0_4arch9wavefront6targetE1EEEvT1_.kd
    .uniform_work_group_size: 1
    .uses_dynamic_stack: false
    .vgpr_count:     0
    .vgpr_spill_count: 0
    .wavefront_size: 64
  - .agpr_count:     0
    .args:
      - .offset:         0
        .size:           40
        .value_kind:     by_value
    .group_segment_fixed_size: 0
    .kernarg_segment_align: 8
    .kernarg_segment_size: 40
    .language:       OpenCL C
    .language_version:
      - 2
      - 0
    .max_flat_workgroup_size: 1024
    .name:           _ZN7rocprim17ROCPRIM_400000_NS6detail17trampoline_kernelINS0_14default_configENS1_25transform_config_selectorIiLb0EEEZNS1_14transform_implILb0ES3_S5_PiN6thrust23THRUST_200600_302600_NS6detail15normal_iteratorINS9_10device_ptrIiEEEENS0_8identityIiEEEE10hipError_tT2_T3_mT4_P12ihipStream_tbEUlT_E_NS1_11comp_targetILNS1_3genE2ELNS1_11target_archE906ELNS1_3gpuE6ELNS1_3repE0EEENS1_30default_config_static_selectorELNS0_4arch9wavefront6targetE1EEEvT1_
    .private_segment_fixed_size: 0
    .sgpr_count:     6
    .sgpr_spill_count: 0
    .symbol:         _ZN7rocprim17ROCPRIM_400000_NS6detail17trampoline_kernelINS0_14default_configENS1_25transform_config_selectorIiLb0EEEZNS1_14transform_implILb0ES3_S5_PiN6thrust23THRUST_200600_302600_NS6detail15normal_iteratorINS9_10device_ptrIiEEEENS0_8identityIiEEEE10hipError_tT2_T3_mT4_P12ihipStream_tbEUlT_E_NS1_11comp_targetILNS1_3genE2ELNS1_11target_archE906ELNS1_3gpuE6ELNS1_3repE0EEENS1_30default_config_static_selectorELNS0_4arch9wavefront6targetE1EEEvT1_.kd
    .uniform_work_group_size: 1
    .uses_dynamic_stack: false
    .vgpr_count:     0
    .vgpr_spill_count: 0
    .wavefront_size: 64
  - .agpr_count:     0
    .args:
      - .offset:         0
        .size:           40
        .value_kind:     by_value
    .group_segment_fixed_size: 0
    .kernarg_segment_align: 8
    .kernarg_segment_size: 40
    .language:       OpenCL C
    .language_version:
      - 2
      - 0
    .max_flat_workgroup_size: 1024
    .name:           _ZN7rocprim17ROCPRIM_400000_NS6detail17trampoline_kernelINS0_14default_configENS1_25transform_config_selectorIiLb0EEEZNS1_14transform_implILb0ES3_S5_PiN6thrust23THRUST_200600_302600_NS6detail15normal_iteratorINS9_10device_ptrIiEEEENS0_8identityIiEEEE10hipError_tT2_T3_mT4_P12ihipStream_tbEUlT_E_NS1_11comp_targetILNS1_3genE10ELNS1_11target_archE1201ELNS1_3gpuE5ELNS1_3repE0EEENS1_30default_config_static_selectorELNS0_4arch9wavefront6targetE1EEEvT1_
    .private_segment_fixed_size: 0
    .sgpr_count:     6
    .sgpr_spill_count: 0
    .symbol:         _ZN7rocprim17ROCPRIM_400000_NS6detail17trampoline_kernelINS0_14default_configENS1_25transform_config_selectorIiLb0EEEZNS1_14transform_implILb0ES3_S5_PiN6thrust23THRUST_200600_302600_NS6detail15normal_iteratorINS9_10device_ptrIiEEEENS0_8identityIiEEEE10hipError_tT2_T3_mT4_P12ihipStream_tbEUlT_E_NS1_11comp_targetILNS1_3genE10ELNS1_11target_archE1201ELNS1_3gpuE5ELNS1_3repE0EEENS1_30default_config_static_selectorELNS0_4arch9wavefront6targetE1EEEvT1_.kd
    .uniform_work_group_size: 1
    .uses_dynamic_stack: false
    .vgpr_count:     0
    .vgpr_spill_count: 0
    .wavefront_size: 64
  - .agpr_count:     0
    .args:
      - .offset:         0
        .size:           40
        .value_kind:     by_value
    .group_segment_fixed_size: 0
    .kernarg_segment_align: 8
    .kernarg_segment_size: 40
    .language:       OpenCL C
    .language_version:
      - 2
      - 0
    .max_flat_workgroup_size: 512
    .name:           _ZN7rocprim17ROCPRIM_400000_NS6detail17trampoline_kernelINS0_14default_configENS1_25transform_config_selectorIiLb0EEEZNS1_14transform_implILb0ES3_S5_PiN6thrust23THRUST_200600_302600_NS6detail15normal_iteratorINS9_10device_ptrIiEEEENS0_8identityIiEEEE10hipError_tT2_T3_mT4_P12ihipStream_tbEUlT_E_NS1_11comp_targetILNS1_3genE10ELNS1_11target_archE1200ELNS1_3gpuE4ELNS1_3repE0EEENS1_30default_config_static_selectorELNS0_4arch9wavefront6targetE1EEEvT1_
    .private_segment_fixed_size: 0
    .sgpr_count:     6
    .sgpr_spill_count: 0
    .symbol:         _ZN7rocprim17ROCPRIM_400000_NS6detail17trampoline_kernelINS0_14default_configENS1_25transform_config_selectorIiLb0EEEZNS1_14transform_implILb0ES3_S5_PiN6thrust23THRUST_200600_302600_NS6detail15normal_iteratorINS9_10device_ptrIiEEEENS0_8identityIiEEEE10hipError_tT2_T3_mT4_P12ihipStream_tbEUlT_E_NS1_11comp_targetILNS1_3genE10ELNS1_11target_archE1200ELNS1_3gpuE4ELNS1_3repE0EEENS1_30default_config_static_selectorELNS0_4arch9wavefront6targetE1EEEvT1_.kd
    .uniform_work_group_size: 1
    .uses_dynamic_stack: false
    .vgpr_count:     0
    .vgpr_spill_count: 0
    .wavefront_size: 64
  - .agpr_count:     0
    .args:
      - .offset:         0
        .size:           40
        .value_kind:     by_value
    .group_segment_fixed_size: 0
    .kernarg_segment_align: 8
    .kernarg_segment_size: 40
    .language:       OpenCL C
    .language_version:
      - 2
      - 0
    .max_flat_workgroup_size: 64
    .name:           _ZN7rocprim17ROCPRIM_400000_NS6detail17trampoline_kernelINS0_14default_configENS1_25transform_config_selectorIiLb0EEEZNS1_14transform_implILb0ES3_S5_PiN6thrust23THRUST_200600_302600_NS6detail15normal_iteratorINS9_10device_ptrIiEEEENS0_8identityIiEEEE10hipError_tT2_T3_mT4_P12ihipStream_tbEUlT_E_NS1_11comp_targetILNS1_3genE9ELNS1_11target_archE1100ELNS1_3gpuE3ELNS1_3repE0EEENS1_30default_config_static_selectorELNS0_4arch9wavefront6targetE1EEEvT1_
    .private_segment_fixed_size: 0
    .sgpr_count:     6
    .sgpr_spill_count: 0
    .symbol:         _ZN7rocprim17ROCPRIM_400000_NS6detail17trampoline_kernelINS0_14default_configENS1_25transform_config_selectorIiLb0EEEZNS1_14transform_implILb0ES3_S5_PiN6thrust23THRUST_200600_302600_NS6detail15normal_iteratorINS9_10device_ptrIiEEEENS0_8identityIiEEEE10hipError_tT2_T3_mT4_P12ihipStream_tbEUlT_E_NS1_11comp_targetILNS1_3genE9ELNS1_11target_archE1100ELNS1_3gpuE3ELNS1_3repE0EEENS1_30default_config_static_selectorELNS0_4arch9wavefront6targetE1EEEvT1_.kd
    .uniform_work_group_size: 1
    .uses_dynamic_stack: false
    .vgpr_count:     0
    .vgpr_spill_count: 0
    .wavefront_size: 64
  - .agpr_count:     0
    .args:
      - .offset:         0
        .size:           40
        .value_kind:     by_value
    .group_segment_fixed_size: 0
    .kernarg_segment_align: 8
    .kernarg_segment_size: 40
    .language:       OpenCL C
    .language_version:
      - 2
      - 0
    .max_flat_workgroup_size: 256
    .name:           _ZN7rocprim17ROCPRIM_400000_NS6detail17trampoline_kernelINS0_14default_configENS1_25transform_config_selectorIiLb0EEEZNS1_14transform_implILb0ES3_S5_PiN6thrust23THRUST_200600_302600_NS6detail15normal_iteratorINS9_10device_ptrIiEEEENS0_8identityIiEEEE10hipError_tT2_T3_mT4_P12ihipStream_tbEUlT_E_NS1_11comp_targetILNS1_3genE8ELNS1_11target_archE1030ELNS1_3gpuE2ELNS1_3repE0EEENS1_30default_config_static_selectorELNS0_4arch9wavefront6targetE1EEEvT1_
    .private_segment_fixed_size: 0
    .sgpr_count:     6
    .sgpr_spill_count: 0
    .symbol:         _ZN7rocprim17ROCPRIM_400000_NS6detail17trampoline_kernelINS0_14default_configENS1_25transform_config_selectorIiLb0EEEZNS1_14transform_implILb0ES3_S5_PiN6thrust23THRUST_200600_302600_NS6detail15normal_iteratorINS9_10device_ptrIiEEEENS0_8identityIiEEEE10hipError_tT2_T3_mT4_P12ihipStream_tbEUlT_E_NS1_11comp_targetILNS1_3genE8ELNS1_11target_archE1030ELNS1_3gpuE2ELNS1_3repE0EEENS1_30default_config_static_selectorELNS0_4arch9wavefront6targetE1EEEvT1_.kd
    .uniform_work_group_size: 1
    .uses_dynamic_stack: false
    .vgpr_count:     0
    .vgpr_spill_count: 0
    .wavefront_size: 64
  - .agpr_count:     0
    .args:
      - .offset:         0
        .size:           40
        .value_kind:     by_value
    .group_segment_fixed_size: 0
    .kernarg_segment_align: 8
    .kernarg_segment_size: 40
    .language:       OpenCL C
    .language_version:
      - 2
      - 0
    .max_flat_workgroup_size: 128
    .name:           _ZN7rocprim17ROCPRIM_400000_NS6detail17trampoline_kernelINS0_14default_configENS1_25transform_config_selectorINS0_10empty_typeELb1EEEZNS1_14transform_implILb1ES3_S6_PS5_S8_NS0_8identityIS5_EEEE10hipError_tT2_T3_mT4_P12ihipStream_tbEUlT_E_NS1_11comp_targetILNS1_3genE0ELNS1_11target_archE4294967295ELNS1_3gpuE0ELNS1_3repE0EEENS1_30default_config_static_selectorELNS0_4arch9wavefront6targetE1EEEvT1_
    .private_segment_fixed_size: 0
    .sgpr_count:     6
    .sgpr_spill_count: 0
    .symbol:         _ZN7rocprim17ROCPRIM_400000_NS6detail17trampoline_kernelINS0_14default_configENS1_25transform_config_selectorINS0_10empty_typeELb1EEEZNS1_14transform_implILb1ES3_S6_PS5_S8_NS0_8identityIS5_EEEE10hipError_tT2_T3_mT4_P12ihipStream_tbEUlT_E_NS1_11comp_targetILNS1_3genE0ELNS1_11target_archE4294967295ELNS1_3gpuE0ELNS1_3repE0EEENS1_30default_config_static_selectorELNS0_4arch9wavefront6targetE1EEEvT1_.kd
    .uniform_work_group_size: 1
    .uses_dynamic_stack: false
    .vgpr_count:     0
    .vgpr_spill_count: 0
    .wavefront_size: 64
  - .agpr_count:     0
    .args:
      - .offset:         0
        .size:           40
        .value_kind:     by_value
    .group_segment_fixed_size: 0
    .kernarg_segment_align: 8
    .kernarg_segment_size: 40
    .language:       OpenCL C
    .language_version:
      - 2
      - 0
    .max_flat_workgroup_size: 1024
    .name:           _ZN7rocprim17ROCPRIM_400000_NS6detail17trampoline_kernelINS0_14default_configENS1_25transform_config_selectorINS0_10empty_typeELb1EEEZNS1_14transform_implILb1ES3_S6_PS5_S8_NS0_8identityIS5_EEEE10hipError_tT2_T3_mT4_P12ihipStream_tbEUlT_E_NS1_11comp_targetILNS1_3genE10ELNS1_11target_archE1201ELNS1_3gpuE5ELNS1_3repE0EEENS1_30default_config_static_selectorELNS0_4arch9wavefront6targetE1EEEvT1_
    .private_segment_fixed_size: 0
    .sgpr_count:     6
    .sgpr_spill_count: 0
    .symbol:         _ZN7rocprim17ROCPRIM_400000_NS6detail17trampoline_kernelINS0_14default_configENS1_25transform_config_selectorINS0_10empty_typeELb1EEEZNS1_14transform_implILb1ES3_S6_PS5_S8_NS0_8identityIS5_EEEE10hipError_tT2_T3_mT4_P12ihipStream_tbEUlT_E_NS1_11comp_targetILNS1_3genE10ELNS1_11target_archE1201ELNS1_3gpuE5ELNS1_3repE0EEENS1_30default_config_static_selectorELNS0_4arch9wavefront6targetE1EEEvT1_.kd
    .uniform_work_group_size: 1
    .uses_dynamic_stack: false
    .vgpr_count:     0
    .vgpr_spill_count: 0
    .wavefront_size: 64
  - .agpr_count:     0
    .args:
      - .offset:         0
        .size:           40
        .value_kind:     by_value
    .group_segment_fixed_size: 0
    .kernarg_segment_align: 8
    .kernarg_segment_size: 40
    .language:       OpenCL C
    .language_version:
      - 2
      - 0
    .max_flat_workgroup_size: 256
    .name:           _ZN7rocprim17ROCPRIM_400000_NS6detail17trampoline_kernelINS0_14default_configENS1_25transform_config_selectorINS0_10empty_typeELb1EEEZNS1_14transform_implILb1ES3_S6_PS5_S8_NS0_8identityIS5_EEEE10hipError_tT2_T3_mT4_P12ihipStream_tbEUlT_E_NS1_11comp_targetILNS1_3genE5ELNS1_11target_archE942ELNS1_3gpuE9ELNS1_3repE0EEENS1_30default_config_static_selectorELNS0_4arch9wavefront6targetE1EEEvT1_
    .private_segment_fixed_size: 0
    .sgpr_count:     6
    .sgpr_spill_count: 0
    .symbol:         _ZN7rocprim17ROCPRIM_400000_NS6detail17trampoline_kernelINS0_14default_configENS1_25transform_config_selectorINS0_10empty_typeELb1EEEZNS1_14transform_implILb1ES3_S6_PS5_S8_NS0_8identityIS5_EEEE10hipError_tT2_T3_mT4_P12ihipStream_tbEUlT_E_NS1_11comp_targetILNS1_3genE5ELNS1_11target_archE942ELNS1_3gpuE9ELNS1_3repE0EEENS1_30default_config_static_selectorELNS0_4arch9wavefront6targetE1EEEvT1_.kd
    .uniform_work_group_size: 1
    .uses_dynamic_stack: false
    .vgpr_count:     0
    .vgpr_spill_count: 0
    .wavefront_size: 64
  - .agpr_count:     0
    .args:
      - .offset:         0
        .size:           40
        .value_kind:     by_value
    .group_segment_fixed_size: 0
    .kernarg_segment_align: 8
    .kernarg_segment_size: 40
    .language:       OpenCL C
    .language_version:
      - 2
      - 0
    .max_flat_workgroup_size: 1024
    .name:           _ZN7rocprim17ROCPRIM_400000_NS6detail17trampoline_kernelINS0_14default_configENS1_25transform_config_selectorINS0_10empty_typeELb1EEEZNS1_14transform_implILb1ES3_S6_PS5_S8_NS0_8identityIS5_EEEE10hipError_tT2_T3_mT4_P12ihipStream_tbEUlT_E_NS1_11comp_targetILNS1_3genE4ELNS1_11target_archE910ELNS1_3gpuE8ELNS1_3repE0EEENS1_30default_config_static_selectorELNS0_4arch9wavefront6targetE1EEEvT1_
    .private_segment_fixed_size: 0
    .sgpr_count:     6
    .sgpr_spill_count: 0
    .symbol:         _ZN7rocprim17ROCPRIM_400000_NS6detail17trampoline_kernelINS0_14default_configENS1_25transform_config_selectorINS0_10empty_typeELb1EEEZNS1_14transform_implILb1ES3_S6_PS5_S8_NS0_8identityIS5_EEEE10hipError_tT2_T3_mT4_P12ihipStream_tbEUlT_E_NS1_11comp_targetILNS1_3genE4ELNS1_11target_archE910ELNS1_3gpuE8ELNS1_3repE0EEENS1_30default_config_static_selectorELNS0_4arch9wavefront6targetE1EEEvT1_.kd
    .uniform_work_group_size: 1
    .uses_dynamic_stack: false
    .vgpr_count:     0
    .vgpr_spill_count: 0
    .wavefront_size: 64
  - .agpr_count:     0
    .args:
      - .offset:         0
        .size:           40
        .value_kind:     by_value
    .group_segment_fixed_size: 0
    .kernarg_segment_align: 8
    .kernarg_segment_size: 40
    .language:       OpenCL C
    .language_version:
      - 2
      - 0
    .max_flat_workgroup_size: 128
    .name:           _ZN7rocprim17ROCPRIM_400000_NS6detail17trampoline_kernelINS0_14default_configENS1_25transform_config_selectorINS0_10empty_typeELb1EEEZNS1_14transform_implILb1ES3_S6_PS5_S8_NS0_8identityIS5_EEEE10hipError_tT2_T3_mT4_P12ihipStream_tbEUlT_E_NS1_11comp_targetILNS1_3genE3ELNS1_11target_archE908ELNS1_3gpuE7ELNS1_3repE0EEENS1_30default_config_static_selectorELNS0_4arch9wavefront6targetE1EEEvT1_
    .private_segment_fixed_size: 0
    .sgpr_count:     6
    .sgpr_spill_count: 0
    .symbol:         _ZN7rocprim17ROCPRIM_400000_NS6detail17trampoline_kernelINS0_14default_configENS1_25transform_config_selectorINS0_10empty_typeELb1EEEZNS1_14transform_implILb1ES3_S6_PS5_S8_NS0_8identityIS5_EEEE10hipError_tT2_T3_mT4_P12ihipStream_tbEUlT_E_NS1_11comp_targetILNS1_3genE3ELNS1_11target_archE908ELNS1_3gpuE7ELNS1_3repE0EEENS1_30default_config_static_selectorELNS0_4arch9wavefront6targetE1EEEvT1_.kd
    .uniform_work_group_size: 1
    .uses_dynamic_stack: false
    .vgpr_count:     0
    .vgpr_spill_count: 0
    .wavefront_size: 64
  - .agpr_count:     0
    .args:
      - .offset:         0
        .size:           40
        .value_kind:     by_value
    .group_segment_fixed_size: 0
    .kernarg_segment_align: 8
    .kernarg_segment_size: 40
    .language:       OpenCL C
    .language_version:
      - 2
      - 0
    .max_flat_workgroup_size: 512
    .name:           _ZN7rocprim17ROCPRIM_400000_NS6detail17trampoline_kernelINS0_14default_configENS1_25transform_config_selectorINS0_10empty_typeELb1EEEZNS1_14transform_implILb1ES3_S6_PS5_S8_NS0_8identityIS5_EEEE10hipError_tT2_T3_mT4_P12ihipStream_tbEUlT_E_NS1_11comp_targetILNS1_3genE2ELNS1_11target_archE906ELNS1_3gpuE6ELNS1_3repE0EEENS1_30default_config_static_selectorELNS0_4arch9wavefront6targetE1EEEvT1_
    .private_segment_fixed_size: 0
    .sgpr_count:     6
    .sgpr_spill_count: 0
    .symbol:         _ZN7rocprim17ROCPRIM_400000_NS6detail17trampoline_kernelINS0_14default_configENS1_25transform_config_selectorINS0_10empty_typeELb1EEEZNS1_14transform_implILb1ES3_S6_PS5_S8_NS0_8identityIS5_EEEE10hipError_tT2_T3_mT4_P12ihipStream_tbEUlT_E_NS1_11comp_targetILNS1_3genE2ELNS1_11target_archE906ELNS1_3gpuE6ELNS1_3repE0EEENS1_30default_config_static_selectorELNS0_4arch9wavefront6targetE1EEEvT1_.kd
    .uniform_work_group_size: 1
    .uses_dynamic_stack: false
    .vgpr_count:     0
    .vgpr_spill_count: 0
    .wavefront_size: 64
  - .agpr_count:     0
    .args:
      - .offset:         0
        .size:           40
        .value_kind:     by_value
    .group_segment_fixed_size: 0
    .kernarg_segment_align: 8
    .kernarg_segment_size: 40
    .language:       OpenCL C
    .language_version:
      - 2
      - 0
    .max_flat_workgroup_size: 1024
    .name:           _ZN7rocprim17ROCPRIM_400000_NS6detail17trampoline_kernelINS0_14default_configENS1_25transform_config_selectorINS0_10empty_typeELb1EEEZNS1_14transform_implILb1ES3_S6_PS5_S8_NS0_8identityIS5_EEEE10hipError_tT2_T3_mT4_P12ihipStream_tbEUlT_E_NS1_11comp_targetILNS1_3genE9ELNS1_11target_archE1100ELNS1_3gpuE3ELNS1_3repE0EEENS1_30default_config_static_selectorELNS0_4arch9wavefront6targetE1EEEvT1_
    .private_segment_fixed_size: 0
    .sgpr_count:     6
    .sgpr_spill_count: 0
    .symbol:         _ZN7rocprim17ROCPRIM_400000_NS6detail17trampoline_kernelINS0_14default_configENS1_25transform_config_selectorINS0_10empty_typeELb1EEEZNS1_14transform_implILb1ES3_S6_PS5_S8_NS0_8identityIS5_EEEE10hipError_tT2_T3_mT4_P12ihipStream_tbEUlT_E_NS1_11comp_targetILNS1_3genE9ELNS1_11target_archE1100ELNS1_3gpuE3ELNS1_3repE0EEENS1_30default_config_static_selectorELNS0_4arch9wavefront6targetE1EEEvT1_.kd
    .uniform_work_group_size: 1
    .uses_dynamic_stack: false
    .vgpr_count:     0
    .vgpr_spill_count: 0
    .wavefront_size: 64
  - .agpr_count:     0
    .args:
      - .offset:         0
        .size:           40
        .value_kind:     by_value
    .group_segment_fixed_size: 0
    .kernarg_segment_align: 8
    .kernarg_segment_size: 40
    .language:       OpenCL C
    .language_version:
      - 2
      - 0
    .max_flat_workgroup_size: 1024
    .name:           _ZN7rocprim17ROCPRIM_400000_NS6detail17trampoline_kernelINS0_14default_configENS1_25transform_config_selectorINS0_10empty_typeELb1EEEZNS1_14transform_implILb1ES3_S6_PS5_S8_NS0_8identityIS5_EEEE10hipError_tT2_T3_mT4_P12ihipStream_tbEUlT_E_NS1_11comp_targetILNS1_3genE8ELNS1_11target_archE1030ELNS1_3gpuE2ELNS1_3repE0EEENS1_30default_config_static_selectorELNS0_4arch9wavefront6targetE1EEEvT1_
    .private_segment_fixed_size: 0
    .sgpr_count:     6
    .sgpr_spill_count: 0
    .symbol:         _ZN7rocprim17ROCPRIM_400000_NS6detail17trampoline_kernelINS0_14default_configENS1_25transform_config_selectorINS0_10empty_typeELb1EEEZNS1_14transform_implILb1ES3_S6_PS5_S8_NS0_8identityIS5_EEEE10hipError_tT2_T3_mT4_P12ihipStream_tbEUlT_E_NS1_11comp_targetILNS1_3genE8ELNS1_11target_archE1030ELNS1_3gpuE2ELNS1_3repE0EEENS1_30default_config_static_selectorELNS0_4arch9wavefront6targetE1EEEvT1_.kd
    .uniform_work_group_size: 1
    .uses_dynamic_stack: false
    .vgpr_count:     0
    .vgpr_spill_count: 0
    .wavefront_size: 64
  - .agpr_count:     0
    .args:
      - .offset:         0
        .size:           40
        .value_kind:     by_value
    .group_segment_fixed_size: 0
    .kernarg_segment_align: 8
    .kernarg_segment_size: 40
    .language:       OpenCL C
    .language_version:
      - 2
      - 0
    .max_flat_workgroup_size: 128
    .name:           _ZN7rocprim17ROCPRIM_400000_NS6detail17trampoline_kernelINS0_14default_configENS1_38merge_sort_block_merge_config_selectorIiNS0_10empty_typeEEEZZNS1_27merge_sort_block_merge_implIS3_N6thrust23THRUST_200600_302600_NS6detail15normal_iteratorINS9_10device_ptrIiEEEEPS5_jNS1_19radix_merge_compareILb0ELb1EiNS0_19identity_decomposerEEEEE10hipError_tT0_T1_T2_jT3_P12ihipStream_tbPNSt15iterator_traitsISK_E10value_typeEPNSQ_ISL_E10value_typeEPSM_NS1_7vsmem_tEENKUlT_SK_SL_SM_E_clIPiSE_SF_SF_EESJ_SZ_SK_SL_SM_EUlSZ_E_NS1_11comp_targetILNS1_3genE0ELNS1_11target_archE4294967295ELNS1_3gpuE0ELNS1_3repE0EEENS1_48merge_mergepath_partition_config_static_selectorELNS0_4arch9wavefront6targetE1EEEvSL_
    .private_segment_fixed_size: 0
    .sgpr_count:     16
    .sgpr_spill_count: 0
    .symbol:         _ZN7rocprim17ROCPRIM_400000_NS6detail17trampoline_kernelINS0_14default_configENS1_38merge_sort_block_merge_config_selectorIiNS0_10empty_typeEEEZZNS1_27merge_sort_block_merge_implIS3_N6thrust23THRUST_200600_302600_NS6detail15normal_iteratorINS9_10device_ptrIiEEEEPS5_jNS1_19radix_merge_compareILb0ELb1EiNS0_19identity_decomposerEEEEE10hipError_tT0_T1_T2_jT3_P12ihipStream_tbPNSt15iterator_traitsISK_E10value_typeEPNSQ_ISL_E10value_typeEPSM_NS1_7vsmem_tEENKUlT_SK_SL_SM_E_clIPiSE_SF_SF_EESJ_SZ_SK_SL_SM_EUlSZ_E_NS1_11comp_targetILNS1_3genE0ELNS1_11target_archE4294967295ELNS1_3gpuE0ELNS1_3repE0EEENS1_48merge_mergepath_partition_config_static_selectorELNS0_4arch9wavefront6targetE1EEEvSL_.kd
    .uniform_work_group_size: 1
    .uses_dynamic_stack: false
    .vgpr_count:     17
    .vgpr_spill_count: 0
    .wavefront_size: 64
  - .agpr_count:     0
    .args:
      - .offset:         0
        .size:           40
        .value_kind:     by_value
    .group_segment_fixed_size: 0
    .kernarg_segment_align: 8
    .kernarg_segment_size: 40
    .language:       OpenCL C
    .language_version:
      - 2
      - 0
    .max_flat_workgroup_size: 128
    .name:           _ZN7rocprim17ROCPRIM_400000_NS6detail17trampoline_kernelINS0_14default_configENS1_38merge_sort_block_merge_config_selectorIiNS0_10empty_typeEEEZZNS1_27merge_sort_block_merge_implIS3_N6thrust23THRUST_200600_302600_NS6detail15normal_iteratorINS9_10device_ptrIiEEEEPS5_jNS1_19radix_merge_compareILb0ELb1EiNS0_19identity_decomposerEEEEE10hipError_tT0_T1_T2_jT3_P12ihipStream_tbPNSt15iterator_traitsISK_E10value_typeEPNSQ_ISL_E10value_typeEPSM_NS1_7vsmem_tEENKUlT_SK_SL_SM_E_clIPiSE_SF_SF_EESJ_SZ_SK_SL_SM_EUlSZ_E_NS1_11comp_targetILNS1_3genE10ELNS1_11target_archE1201ELNS1_3gpuE5ELNS1_3repE0EEENS1_48merge_mergepath_partition_config_static_selectorELNS0_4arch9wavefront6targetE1EEEvSL_
    .private_segment_fixed_size: 0
    .sgpr_count:     6
    .sgpr_spill_count: 0
    .symbol:         _ZN7rocprim17ROCPRIM_400000_NS6detail17trampoline_kernelINS0_14default_configENS1_38merge_sort_block_merge_config_selectorIiNS0_10empty_typeEEEZZNS1_27merge_sort_block_merge_implIS3_N6thrust23THRUST_200600_302600_NS6detail15normal_iteratorINS9_10device_ptrIiEEEEPS5_jNS1_19radix_merge_compareILb0ELb1EiNS0_19identity_decomposerEEEEE10hipError_tT0_T1_T2_jT3_P12ihipStream_tbPNSt15iterator_traitsISK_E10value_typeEPNSQ_ISL_E10value_typeEPSM_NS1_7vsmem_tEENKUlT_SK_SL_SM_E_clIPiSE_SF_SF_EESJ_SZ_SK_SL_SM_EUlSZ_E_NS1_11comp_targetILNS1_3genE10ELNS1_11target_archE1201ELNS1_3gpuE5ELNS1_3repE0EEENS1_48merge_mergepath_partition_config_static_selectorELNS0_4arch9wavefront6targetE1EEEvSL_.kd
    .uniform_work_group_size: 1
    .uses_dynamic_stack: false
    .vgpr_count:     0
    .vgpr_spill_count: 0
    .wavefront_size: 64
  - .agpr_count:     0
    .args:
      - .offset:         0
        .size:           40
        .value_kind:     by_value
    .group_segment_fixed_size: 0
    .kernarg_segment_align: 8
    .kernarg_segment_size: 40
    .language:       OpenCL C
    .language_version:
      - 2
      - 0
    .max_flat_workgroup_size: 128
    .name:           _ZN7rocprim17ROCPRIM_400000_NS6detail17trampoline_kernelINS0_14default_configENS1_38merge_sort_block_merge_config_selectorIiNS0_10empty_typeEEEZZNS1_27merge_sort_block_merge_implIS3_N6thrust23THRUST_200600_302600_NS6detail15normal_iteratorINS9_10device_ptrIiEEEEPS5_jNS1_19radix_merge_compareILb0ELb1EiNS0_19identity_decomposerEEEEE10hipError_tT0_T1_T2_jT3_P12ihipStream_tbPNSt15iterator_traitsISK_E10value_typeEPNSQ_ISL_E10value_typeEPSM_NS1_7vsmem_tEENKUlT_SK_SL_SM_E_clIPiSE_SF_SF_EESJ_SZ_SK_SL_SM_EUlSZ_E_NS1_11comp_targetILNS1_3genE5ELNS1_11target_archE942ELNS1_3gpuE9ELNS1_3repE0EEENS1_48merge_mergepath_partition_config_static_selectorELNS0_4arch9wavefront6targetE1EEEvSL_
    .private_segment_fixed_size: 0
    .sgpr_count:     6
    .sgpr_spill_count: 0
    .symbol:         _ZN7rocprim17ROCPRIM_400000_NS6detail17trampoline_kernelINS0_14default_configENS1_38merge_sort_block_merge_config_selectorIiNS0_10empty_typeEEEZZNS1_27merge_sort_block_merge_implIS3_N6thrust23THRUST_200600_302600_NS6detail15normal_iteratorINS9_10device_ptrIiEEEEPS5_jNS1_19radix_merge_compareILb0ELb1EiNS0_19identity_decomposerEEEEE10hipError_tT0_T1_T2_jT3_P12ihipStream_tbPNSt15iterator_traitsISK_E10value_typeEPNSQ_ISL_E10value_typeEPSM_NS1_7vsmem_tEENKUlT_SK_SL_SM_E_clIPiSE_SF_SF_EESJ_SZ_SK_SL_SM_EUlSZ_E_NS1_11comp_targetILNS1_3genE5ELNS1_11target_archE942ELNS1_3gpuE9ELNS1_3repE0EEENS1_48merge_mergepath_partition_config_static_selectorELNS0_4arch9wavefront6targetE1EEEvSL_.kd
    .uniform_work_group_size: 1
    .uses_dynamic_stack: false
    .vgpr_count:     0
    .vgpr_spill_count: 0
    .wavefront_size: 64
  - .agpr_count:     0
    .args:
      - .offset:         0
        .size:           40
        .value_kind:     by_value
    .group_segment_fixed_size: 0
    .kernarg_segment_align: 8
    .kernarg_segment_size: 40
    .language:       OpenCL C
    .language_version:
      - 2
      - 0
    .max_flat_workgroup_size: 128
    .name:           _ZN7rocprim17ROCPRIM_400000_NS6detail17trampoline_kernelINS0_14default_configENS1_38merge_sort_block_merge_config_selectorIiNS0_10empty_typeEEEZZNS1_27merge_sort_block_merge_implIS3_N6thrust23THRUST_200600_302600_NS6detail15normal_iteratorINS9_10device_ptrIiEEEEPS5_jNS1_19radix_merge_compareILb0ELb1EiNS0_19identity_decomposerEEEEE10hipError_tT0_T1_T2_jT3_P12ihipStream_tbPNSt15iterator_traitsISK_E10value_typeEPNSQ_ISL_E10value_typeEPSM_NS1_7vsmem_tEENKUlT_SK_SL_SM_E_clIPiSE_SF_SF_EESJ_SZ_SK_SL_SM_EUlSZ_E_NS1_11comp_targetILNS1_3genE4ELNS1_11target_archE910ELNS1_3gpuE8ELNS1_3repE0EEENS1_48merge_mergepath_partition_config_static_selectorELNS0_4arch9wavefront6targetE1EEEvSL_
    .private_segment_fixed_size: 0
    .sgpr_count:     6
    .sgpr_spill_count: 0
    .symbol:         _ZN7rocprim17ROCPRIM_400000_NS6detail17trampoline_kernelINS0_14default_configENS1_38merge_sort_block_merge_config_selectorIiNS0_10empty_typeEEEZZNS1_27merge_sort_block_merge_implIS3_N6thrust23THRUST_200600_302600_NS6detail15normal_iteratorINS9_10device_ptrIiEEEEPS5_jNS1_19radix_merge_compareILb0ELb1EiNS0_19identity_decomposerEEEEE10hipError_tT0_T1_T2_jT3_P12ihipStream_tbPNSt15iterator_traitsISK_E10value_typeEPNSQ_ISL_E10value_typeEPSM_NS1_7vsmem_tEENKUlT_SK_SL_SM_E_clIPiSE_SF_SF_EESJ_SZ_SK_SL_SM_EUlSZ_E_NS1_11comp_targetILNS1_3genE4ELNS1_11target_archE910ELNS1_3gpuE8ELNS1_3repE0EEENS1_48merge_mergepath_partition_config_static_selectorELNS0_4arch9wavefront6targetE1EEEvSL_.kd
    .uniform_work_group_size: 1
    .uses_dynamic_stack: false
    .vgpr_count:     0
    .vgpr_spill_count: 0
    .wavefront_size: 64
  - .agpr_count:     0
    .args:
      - .offset:         0
        .size:           40
        .value_kind:     by_value
    .group_segment_fixed_size: 0
    .kernarg_segment_align: 8
    .kernarg_segment_size: 40
    .language:       OpenCL C
    .language_version:
      - 2
      - 0
    .max_flat_workgroup_size: 128
    .name:           _ZN7rocprim17ROCPRIM_400000_NS6detail17trampoline_kernelINS0_14default_configENS1_38merge_sort_block_merge_config_selectorIiNS0_10empty_typeEEEZZNS1_27merge_sort_block_merge_implIS3_N6thrust23THRUST_200600_302600_NS6detail15normal_iteratorINS9_10device_ptrIiEEEEPS5_jNS1_19radix_merge_compareILb0ELb1EiNS0_19identity_decomposerEEEEE10hipError_tT0_T1_T2_jT3_P12ihipStream_tbPNSt15iterator_traitsISK_E10value_typeEPNSQ_ISL_E10value_typeEPSM_NS1_7vsmem_tEENKUlT_SK_SL_SM_E_clIPiSE_SF_SF_EESJ_SZ_SK_SL_SM_EUlSZ_E_NS1_11comp_targetILNS1_3genE3ELNS1_11target_archE908ELNS1_3gpuE7ELNS1_3repE0EEENS1_48merge_mergepath_partition_config_static_selectorELNS0_4arch9wavefront6targetE1EEEvSL_
    .private_segment_fixed_size: 0
    .sgpr_count:     6
    .sgpr_spill_count: 0
    .symbol:         _ZN7rocprim17ROCPRIM_400000_NS6detail17trampoline_kernelINS0_14default_configENS1_38merge_sort_block_merge_config_selectorIiNS0_10empty_typeEEEZZNS1_27merge_sort_block_merge_implIS3_N6thrust23THRUST_200600_302600_NS6detail15normal_iteratorINS9_10device_ptrIiEEEEPS5_jNS1_19radix_merge_compareILb0ELb1EiNS0_19identity_decomposerEEEEE10hipError_tT0_T1_T2_jT3_P12ihipStream_tbPNSt15iterator_traitsISK_E10value_typeEPNSQ_ISL_E10value_typeEPSM_NS1_7vsmem_tEENKUlT_SK_SL_SM_E_clIPiSE_SF_SF_EESJ_SZ_SK_SL_SM_EUlSZ_E_NS1_11comp_targetILNS1_3genE3ELNS1_11target_archE908ELNS1_3gpuE7ELNS1_3repE0EEENS1_48merge_mergepath_partition_config_static_selectorELNS0_4arch9wavefront6targetE1EEEvSL_.kd
    .uniform_work_group_size: 1
    .uses_dynamic_stack: false
    .vgpr_count:     0
    .vgpr_spill_count: 0
    .wavefront_size: 64
  - .agpr_count:     0
    .args:
      - .offset:         0
        .size:           40
        .value_kind:     by_value
    .group_segment_fixed_size: 0
    .kernarg_segment_align: 8
    .kernarg_segment_size: 40
    .language:       OpenCL C
    .language_version:
      - 2
      - 0
    .max_flat_workgroup_size: 128
    .name:           _ZN7rocprim17ROCPRIM_400000_NS6detail17trampoline_kernelINS0_14default_configENS1_38merge_sort_block_merge_config_selectorIiNS0_10empty_typeEEEZZNS1_27merge_sort_block_merge_implIS3_N6thrust23THRUST_200600_302600_NS6detail15normal_iteratorINS9_10device_ptrIiEEEEPS5_jNS1_19radix_merge_compareILb0ELb1EiNS0_19identity_decomposerEEEEE10hipError_tT0_T1_T2_jT3_P12ihipStream_tbPNSt15iterator_traitsISK_E10value_typeEPNSQ_ISL_E10value_typeEPSM_NS1_7vsmem_tEENKUlT_SK_SL_SM_E_clIPiSE_SF_SF_EESJ_SZ_SK_SL_SM_EUlSZ_E_NS1_11comp_targetILNS1_3genE2ELNS1_11target_archE906ELNS1_3gpuE6ELNS1_3repE0EEENS1_48merge_mergepath_partition_config_static_selectorELNS0_4arch9wavefront6targetE1EEEvSL_
    .private_segment_fixed_size: 0
    .sgpr_count:     6
    .sgpr_spill_count: 0
    .symbol:         _ZN7rocprim17ROCPRIM_400000_NS6detail17trampoline_kernelINS0_14default_configENS1_38merge_sort_block_merge_config_selectorIiNS0_10empty_typeEEEZZNS1_27merge_sort_block_merge_implIS3_N6thrust23THRUST_200600_302600_NS6detail15normal_iteratorINS9_10device_ptrIiEEEEPS5_jNS1_19radix_merge_compareILb0ELb1EiNS0_19identity_decomposerEEEEE10hipError_tT0_T1_T2_jT3_P12ihipStream_tbPNSt15iterator_traitsISK_E10value_typeEPNSQ_ISL_E10value_typeEPSM_NS1_7vsmem_tEENKUlT_SK_SL_SM_E_clIPiSE_SF_SF_EESJ_SZ_SK_SL_SM_EUlSZ_E_NS1_11comp_targetILNS1_3genE2ELNS1_11target_archE906ELNS1_3gpuE6ELNS1_3repE0EEENS1_48merge_mergepath_partition_config_static_selectorELNS0_4arch9wavefront6targetE1EEEvSL_.kd
    .uniform_work_group_size: 1
    .uses_dynamic_stack: false
    .vgpr_count:     0
    .vgpr_spill_count: 0
    .wavefront_size: 64
  - .agpr_count:     0
    .args:
      - .offset:         0
        .size:           40
        .value_kind:     by_value
    .group_segment_fixed_size: 0
    .kernarg_segment_align: 8
    .kernarg_segment_size: 40
    .language:       OpenCL C
    .language_version:
      - 2
      - 0
    .max_flat_workgroup_size: 128
    .name:           _ZN7rocprim17ROCPRIM_400000_NS6detail17trampoline_kernelINS0_14default_configENS1_38merge_sort_block_merge_config_selectorIiNS0_10empty_typeEEEZZNS1_27merge_sort_block_merge_implIS3_N6thrust23THRUST_200600_302600_NS6detail15normal_iteratorINS9_10device_ptrIiEEEEPS5_jNS1_19radix_merge_compareILb0ELb1EiNS0_19identity_decomposerEEEEE10hipError_tT0_T1_T2_jT3_P12ihipStream_tbPNSt15iterator_traitsISK_E10value_typeEPNSQ_ISL_E10value_typeEPSM_NS1_7vsmem_tEENKUlT_SK_SL_SM_E_clIPiSE_SF_SF_EESJ_SZ_SK_SL_SM_EUlSZ_E_NS1_11comp_targetILNS1_3genE9ELNS1_11target_archE1100ELNS1_3gpuE3ELNS1_3repE0EEENS1_48merge_mergepath_partition_config_static_selectorELNS0_4arch9wavefront6targetE1EEEvSL_
    .private_segment_fixed_size: 0
    .sgpr_count:     6
    .sgpr_spill_count: 0
    .symbol:         _ZN7rocprim17ROCPRIM_400000_NS6detail17trampoline_kernelINS0_14default_configENS1_38merge_sort_block_merge_config_selectorIiNS0_10empty_typeEEEZZNS1_27merge_sort_block_merge_implIS3_N6thrust23THRUST_200600_302600_NS6detail15normal_iteratorINS9_10device_ptrIiEEEEPS5_jNS1_19radix_merge_compareILb0ELb1EiNS0_19identity_decomposerEEEEE10hipError_tT0_T1_T2_jT3_P12ihipStream_tbPNSt15iterator_traitsISK_E10value_typeEPNSQ_ISL_E10value_typeEPSM_NS1_7vsmem_tEENKUlT_SK_SL_SM_E_clIPiSE_SF_SF_EESJ_SZ_SK_SL_SM_EUlSZ_E_NS1_11comp_targetILNS1_3genE9ELNS1_11target_archE1100ELNS1_3gpuE3ELNS1_3repE0EEENS1_48merge_mergepath_partition_config_static_selectorELNS0_4arch9wavefront6targetE1EEEvSL_.kd
    .uniform_work_group_size: 1
    .uses_dynamic_stack: false
    .vgpr_count:     0
    .vgpr_spill_count: 0
    .wavefront_size: 64
  - .agpr_count:     0
    .args:
      - .offset:         0
        .size:           40
        .value_kind:     by_value
    .group_segment_fixed_size: 0
    .kernarg_segment_align: 8
    .kernarg_segment_size: 40
    .language:       OpenCL C
    .language_version:
      - 2
      - 0
    .max_flat_workgroup_size: 128
    .name:           _ZN7rocprim17ROCPRIM_400000_NS6detail17trampoline_kernelINS0_14default_configENS1_38merge_sort_block_merge_config_selectorIiNS0_10empty_typeEEEZZNS1_27merge_sort_block_merge_implIS3_N6thrust23THRUST_200600_302600_NS6detail15normal_iteratorINS9_10device_ptrIiEEEEPS5_jNS1_19radix_merge_compareILb0ELb1EiNS0_19identity_decomposerEEEEE10hipError_tT0_T1_T2_jT3_P12ihipStream_tbPNSt15iterator_traitsISK_E10value_typeEPNSQ_ISL_E10value_typeEPSM_NS1_7vsmem_tEENKUlT_SK_SL_SM_E_clIPiSE_SF_SF_EESJ_SZ_SK_SL_SM_EUlSZ_E_NS1_11comp_targetILNS1_3genE8ELNS1_11target_archE1030ELNS1_3gpuE2ELNS1_3repE0EEENS1_48merge_mergepath_partition_config_static_selectorELNS0_4arch9wavefront6targetE1EEEvSL_
    .private_segment_fixed_size: 0
    .sgpr_count:     6
    .sgpr_spill_count: 0
    .symbol:         _ZN7rocprim17ROCPRIM_400000_NS6detail17trampoline_kernelINS0_14default_configENS1_38merge_sort_block_merge_config_selectorIiNS0_10empty_typeEEEZZNS1_27merge_sort_block_merge_implIS3_N6thrust23THRUST_200600_302600_NS6detail15normal_iteratorINS9_10device_ptrIiEEEEPS5_jNS1_19radix_merge_compareILb0ELb1EiNS0_19identity_decomposerEEEEE10hipError_tT0_T1_T2_jT3_P12ihipStream_tbPNSt15iterator_traitsISK_E10value_typeEPNSQ_ISL_E10value_typeEPSM_NS1_7vsmem_tEENKUlT_SK_SL_SM_E_clIPiSE_SF_SF_EESJ_SZ_SK_SL_SM_EUlSZ_E_NS1_11comp_targetILNS1_3genE8ELNS1_11target_archE1030ELNS1_3gpuE2ELNS1_3repE0EEENS1_48merge_mergepath_partition_config_static_selectorELNS0_4arch9wavefront6targetE1EEEvSL_.kd
    .uniform_work_group_size: 1
    .uses_dynamic_stack: false
    .vgpr_count:     0
    .vgpr_spill_count: 0
    .wavefront_size: 64
  - .agpr_count:     0
    .args:
      - .offset:         0
        .size:           64
        .value_kind:     by_value
      - .offset:         64
        .size:           4
        .value_kind:     hidden_block_count_x
      - .offset:         68
        .size:           4
        .value_kind:     hidden_block_count_y
      - .offset:         72
        .size:           4
        .value_kind:     hidden_block_count_z
      - .offset:         76
        .size:           2
        .value_kind:     hidden_group_size_x
      - .offset:         78
        .size:           2
        .value_kind:     hidden_group_size_y
      - .offset:         80
        .size:           2
        .value_kind:     hidden_group_size_z
      - .offset:         82
        .size:           2
        .value_kind:     hidden_remainder_x
      - .offset:         84
        .size:           2
        .value_kind:     hidden_remainder_y
      - .offset:         86
        .size:           2
        .value_kind:     hidden_remainder_z
      - .offset:         104
        .size:           8
        .value_kind:     hidden_global_offset_x
      - .offset:         112
        .size:           8
        .value_kind:     hidden_global_offset_y
      - .offset:         120
        .size:           8
        .value_kind:     hidden_global_offset_z
      - .offset:         128
        .size:           2
        .value_kind:     hidden_grid_dims
    .group_segment_fixed_size: 4224
    .kernarg_segment_align: 8
    .kernarg_segment_size: 320
    .language:       OpenCL C
    .language_version:
      - 2
      - 0
    .max_flat_workgroup_size: 128
    .name:           _ZN7rocprim17ROCPRIM_400000_NS6detail17trampoline_kernelINS0_14default_configENS1_38merge_sort_block_merge_config_selectorIiNS0_10empty_typeEEEZZNS1_27merge_sort_block_merge_implIS3_N6thrust23THRUST_200600_302600_NS6detail15normal_iteratorINS9_10device_ptrIiEEEEPS5_jNS1_19radix_merge_compareILb0ELb1EiNS0_19identity_decomposerEEEEE10hipError_tT0_T1_T2_jT3_P12ihipStream_tbPNSt15iterator_traitsISK_E10value_typeEPNSQ_ISL_E10value_typeEPSM_NS1_7vsmem_tEENKUlT_SK_SL_SM_E_clIPiSE_SF_SF_EESJ_SZ_SK_SL_SM_EUlSZ_E0_NS1_11comp_targetILNS1_3genE0ELNS1_11target_archE4294967295ELNS1_3gpuE0ELNS1_3repE0EEENS1_38merge_mergepath_config_static_selectorELNS0_4arch9wavefront6targetE1EEEvSL_
    .private_segment_fixed_size: 0
    .sgpr_count:     31
    .sgpr_spill_count: 0
    .symbol:         _ZN7rocprim17ROCPRIM_400000_NS6detail17trampoline_kernelINS0_14default_configENS1_38merge_sort_block_merge_config_selectorIiNS0_10empty_typeEEEZZNS1_27merge_sort_block_merge_implIS3_N6thrust23THRUST_200600_302600_NS6detail15normal_iteratorINS9_10device_ptrIiEEEEPS5_jNS1_19radix_merge_compareILb0ELb1EiNS0_19identity_decomposerEEEEE10hipError_tT0_T1_T2_jT3_P12ihipStream_tbPNSt15iterator_traitsISK_E10value_typeEPNSQ_ISL_E10value_typeEPSM_NS1_7vsmem_tEENKUlT_SK_SL_SM_E_clIPiSE_SF_SF_EESJ_SZ_SK_SL_SM_EUlSZ_E0_NS1_11comp_targetILNS1_3genE0ELNS1_11target_archE4294967295ELNS1_3gpuE0ELNS1_3repE0EEENS1_38merge_mergepath_config_static_selectorELNS0_4arch9wavefront6targetE1EEEvSL_.kd
    .uniform_work_group_size: 1
    .uses_dynamic_stack: false
    .vgpr_count:     26
    .vgpr_spill_count: 0
    .wavefront_size: 64
  - .agpr_count:     0
    .args:
      - .offset:         0
        .size:           64
        .value_kind:     by_value
    .group_segment_fixed_size: 0
    .kernarg_segment_align: 8
    .kernarg_segment_size: 64
    .language:       OpenCL C
    .language_version:
      - 2
      - 0
    .max_flat_workgroup_size: 256
    .name:           _ZN7rocprim17ROCPRIM_400000_NS6detail17trampoline_kernelINS0_14default_configENS1_38merge_sort_block_merge_config_selectorIiNS0_10empty_typeEEEZZNS1_27merge_sort_block_merge_implIS3_N6thrust23THRUST_200600_302600_NS6detail15normal_iteratorINS9_10device_ptrIiEEEEPS5_jNS1_19radix_merge_compareILb0ELb1EiNS0_19identity_decomposerEEEEE10hipError_tT0_T1_T2_jT3_P12ihipStream_tbPNSt15iterator_traitsISK_E10value_typeEPNSQ_ISL_E10value_typeEPSM_NS1_7vsmem_tEENKUlT_SK_SL_SM_E_clIPiSE_SF_SF_EESJ_SZ_SK_SL_SM_EUlSZ_E0_NS1_11comp_targetILNS1_3genE10ELNS1_11target_archE1201ELNS1_3gpuE5ELNS1_3repE0EEENS1_38merge_mergepath_config_static_selectorELNS0_4arch9wavefront6targetE1EEEvSL_
    .private_segment_fixed_size: 0
    .sgpr_count:     6
    .sgpr_spill_count: 0
    .symbol:         _ZN7rocprim17ROCPRIM_400000_NS6detail17trampoline_kernelINS0_14default_configENS1_38merge_sort_block_merge_config_selectorIiNS0_10empty_typeEEEZZNS1_27merge_sort_block_merge_implIS3_N6thrust23THRUST_200600_302600_NS6detail15normal_iteratorINS9_10device_ptrIiEEEEPS5_jNS1_19radix_merge_compareILb0ELb1EiNS0_19identity_decomposerEEEEE10hipError_tT0_T1_T2_jT3_P12ihipStream_tbPNSt15iterator_traitsISK_E10value_typeEPNSQ_ISL_E10value_typeEPSM_NS1_7vsmem_tEENKUlT_SK_SL_SM_E_clIPiSE_SF_SF_EESJ_SZ_SK_SL_SM_EUlSZ_E0_NS1_11comp_targetILNS1_3genE10ELNS1_11target_archE1201ELNS1_3gpuE5ELNS1_3repE0EEENS1_38merge_mergepath_config_static_selectorELNS0_4arch9wavefront6targetE1EEEvSL_.kd
    .uniform_work_group_size: 1
    .uses_dynamic_stack: false
    .vgpr_count:     0
    .vgpr_spill_count: 0
    .wavefront_size: 64
  - .agpr_count:     0
    .args:
      - .offset:         0
        .size:           64
        .value_kind:     by_value
    .group_segment_fixed_size: 0
    .kernarg_segment_align: 8
    .kernarg_segment_size: 64
    .language:       OpenCL C
    .language_version:
      - 2
      - 0
    .max_flat_workgroup_size: 128
    .name:           _ZN7rocprim17ROCPRIM_400000_NS6detail17trampoline_kernelINS0_14default_configENS1_38merge_sort_block_merge_config_selectorIiNS0_10empty_typeEEEZZNS1_27merge_sort_block_merge_implIS3_N6thrust23THRUST_200600_302600_NS6detail15normal_iteratorINS9_10device_ptrIiEEEEPS5_jNS1_19radix_merge_compareILb0ELb1EiNS0_19identity_decomposerEEEEE10hipError_tT0_T1_T2_jT3_P12ihipStream_tbPNSt15iterator_traitsISK_E10value_typeEPNSQ_ISL_E10value_typeEPSM_NS1_7vsmem_tEENKUlT_SK_SL_SM_E_clIPiSE_SF_SF_EESJ_SZ_SK_SL_SM_EUlSZ_E0_NS1_11comp_targetILNS1_3genE5ELNS1_11target_archE942ELNS1_3gpuE9ELNS1_3repE0EEENS1_38merge_mergepath_config_static_selectorELNS0_4arch9wavefront6targetE1EEEvSL_
    .private_segment_fixed_size: 0
    .sgpr_count:     6
    .sgpr_spill_count: 0
    .symbol:         _ZN7rocprim17ROCPRIM_400000_NS6detail17trampoline_kernelINS0_14default_configENS1_38merge_sort_block_merge_config_selectorIiNS0_10empty_typeEEEZZNS1_27merge_sort_block_merge_implIS3_N6thrust23THRUST_200600_302600_NS6detail15normal_iteratorINS9_10device_ptrIiEEEEPS5_jNS1_19radix_merge_compareILb0ELb1EiNS0_19identity_decomposerEEEEE10hipError_tT0_T1_T2_jT3_P12ihipStream_tbPNSt15iterator_traitsISK_E10value_typeEPNSQ_ISL_E10value_typeEPSM_NS1_7vsmem_tEENKUlT_SK_SL_SM_E_clIPiSE_SF_SF_EESJ_SZ_SK_SL_SM_EUlSZ_E0_NS1_11comp_targetILNS1_3genE5ELNS1_11target_archE942ELNS1_3gpuE9ELNS1_3repE0EEENS1_38merge_mergepath_config_static_selectorELNS0_4arch9wavefront6targetE1EEEvSL_.kd
    .uniform_work_group_size: 1
    .uses_dynamic_stack: false
    .vgpr_count:     0
    .vgpr_spill_count: 0
    .wavefront_size: 64
  - .agpr_count:     0
    .args:
      - .offset:         0
        .size:           64
        .value_kind:     by_value
    .group_segment_fixed_size: 0
    .kernarg_segment_align: 8
    .kernarg_segment_size: 64
    .language:       OpenCL C
    .language_version:
      - 2
      - 0
    .max_flat_workgroup_size: 128
    .name:           _ZN7rocprim17ROCPRIM_400000_NS6detail17trampoline_kernelINS0_14default_configENS1_38merge_sort_block_merge_config_selectorIiNS0_10empty_typeEEEZZNS1_27merge_sort_block_merge_implIS3_N6thrust23THRUST_200600_302600_NS6detail15normal_iteratorINS9_10device_ptrIiEEEEPS5_jNS1_19radix_merge_compareILb0ELb1EiNS0_19identity_decomposerEEEEE10hipError_tT0_T1_T2_jT3_P12ihipStream_tbPNSt15iterator_traitsISK_E10value_typeEPNSQ_ISL_E10value_typeEPSM_NS1_7vsmem_tEENKUlT_SK_SL_SM_E_clIPiSE_SF_SF_EESJ_SZ_SK_SL_SM_EUlSZ_E0_NS1_11comp_targetILNS1_3genE4ELNS1_11target_archE910ELNS1_3gpuE8ELNS1_3repE0EEENS1_38merge_mergepath_config_static_selectorELNS0_4arch9wavefront6targetE1EEEvSL_
    .private_segment_fixed_size: 0
    .sgpr_count:     6
    .sgpr_spill_count: 0
    .symbol:         _ZN7rocprim17ROCPRIM_400000_NS6detail17trampoline_kernelINS0_14default_configENS1_38merge_sort_block_merge_config_selectorIiNS0_10empty_typeEEEZZNS1_27merge_sort_block_merge_implIS3_N6thrust23THRUST_200600_302600_NS6detail15normal_iteratorINS9_10device_ptrIiEEEEPS5_jNS1_19radix_merge_compareILb0ELb1EiNS0_19identity_decomposerEEEEE10hipError_tT0_T1_T2_jT3_P12ihipStream_tbPNSt15iterator_traitsISK_E10value_typeEPNSQ_ISL_E10value_typeEPSM_NS1_7vsmem_tEENKUlT_SK_SL_SM_E_clIPiSE_SF_SF_EESJ_SZ_SK_SL_SM_EUlSZ_E0_NS1_11comp_targetILNS1_3genE4ELNS1_11target_archE910ELNS1_3gpuE8ELNS1_3repE0EEENS1_38merge_mergepath_config_static_selectorELNS0_4arch9wavefront6targetE1EEEvSL_.kd
    .uniform_work_group_size: 1
    .uses_dynamic_stack: false
    .vgpr_count:     0
    .vgpr_spill_count: 0
    .wavefront_size: 64
  - .agpr_count:     0
    .args:
      - .offset:         0
        .size:           64
        .value_kind:     by_value
    .group_segment_fixed_size: 0
    .kernarg_segment_align: 8
    .kernarg_segment_size: 64
    .language:       OpenCL C
    .language_version:
      - 2
      - 0
    .max_flat_workgroup_size: 128
    .name:           _ZN7rocprim17ROCPRIM_400000_NS6detail17trampoline_kernelINS0_14default_configENS1_38merge_sort_block_merge_config_selectorIiNS0_10empty_typeEEEZZNS1_27merge_sort_block_merge_implIS3_N6thrust23THRUST_200600_302600_NS6detail15normal_iteratorINS9_10device_ptrIiEEEEPS5_jNS1_19radix_merge_compareILb0ELb1EiNS0_19identity_decomposerEEEEE10hipError_tT0_T1_T2_jT3_P12ihipStream_tbPNSt15iterator_traitsISK_E10value_typeEPNSQ_ISL_E10value_typeEPSM_NS1_7vsmem_tEENKUlT_SK_SL_SM_E_clIPiSE_SF_SF_EESJ_SZ_SK_SL_SM_EUlSZ_E0_NS1_11comp_targetILNS1_3genE3ELNS1_11target_archE908ELNS1_3gpuE7ELNS1_3repE0EEENS1_38merge_mergepath_config_static_selectorELNS0_4arch9wavefront6targetE1EEEvSL_
    .private_segment_fixed_size: 0
    .sgpr_count:     6
    .sgpr_spill_count: 0
    .symbol:         _ZN7rocprim17ROCPRIM_400000_NS6detail17trampoline_kernelINS0_14default_configENS1_38merge_sort_block_merge_config_selectorIiNS0_10empty_typeEEEZZNS1_27merge_sort_block_merge_implIS3_N6thrust23THRUST_200600_302600_NS6detail15normal_iteratorINS9_10device_ptrIiEEEEPS5_jNS1_19radix_merge_compareILb0ELb1EiNS0_19identity_decomposerEEEEE10hipError_tT0_T1_T2_jT3_P12ihipStream_tbPNSt15iterator_traitsISK_E10value_typeEPNSQ_ISL_E10value_typeEPSM_NS1_7vsmem_tEENKUlT_SK_SL_SM_E_clIPiSE_SF_SF_EESJ_SZ_SK_SL_SM_EUlSZ_E0_NS1_11comp_targetILNS1_3genE3ELNS1_11target_archE908ELNS1_3gpuE7ELNS1_3repE0EEENS1_38merge_mergepath_config_static_selectorELNS0_4arch9wavefront6targetE1EEEvSL_.kd
    .uniform_work_group_size: 1
    .uses_dynamic_stack: false
    .vgpr_count:     0
    .vgpr_spill_count: 0
    .wavefront_size: 64
  - .agpr_count:     0
    .args:
      - .offset:         0
        .size:           64
        .value_kind:     by_value
    .group_segment_fixed_size: 0
    .kernarg_segment_align: 8
    .kernarg_segment_size: 64
    .language:       OpenCL C
    .language_version:
      - 2
      - 0
    .max_flat_workgroup_size: 128
    .name:           _ZN7rocprim17ROCPRIM_400000_NS6detail17trampoline_kernelINS0_14default_configENS1_38merge_sort_block_merge_config_selectorIiNS0_10empty_typeEEEZZNS1_27merge_sort_block_merge_implIS3_N6thrust23THRUST_200600_302600_NS6detail15normal_iteratorINS9_10device_ptrIiEEEEPS5_jNS1_19radix_merge_compareILb0ELb1EiNS0_19identity_decomposerEEEEE10hipError_tT0_T1_T2_jT3_P12ihipStream_tbPNSt15iterator_traitsISK_E10value_typeEPNSQ_ISL_E10value_typeEPSM_NS1_7vsmem_tEENKUlT_SK_SL_SM_E_clIPiSE_SF_SF_EESJ_SZ_SK_SL_SM_EUlSZ_E0_NS1_11comp_targetILNS1_3genE2ELNS1_11target_archE906ELNS1_3gpuE6ELNS1_3repE0EEENS1_38merge_mergepath_config_static_selectorELNS0_4arch9wavefront6targetE1EEEvSL_
    .private_segment_fixed_size: 0
    .sgpr_count:     6
    .sgpr_spill_count: 0
    .symbol:         _ZN7rocprim17ROCPRIM_400000_NS6detail17trampoline_kernelINS0_14default_configENS1_38merge_sort_block_merge_config_selectorIiNS0_10empty_typeEEEZZNS1_27merge_sort_block_merge_implIS3_N6thrust23THRUST_200600_302600_NS6detail15normal_iteratorINS9_10device_ptrIiEEEEPS5_jNS1_19radix_merge_compareILb0ELb1EiNS0_19identity_decomposerEEEEE10hipError_tT0_T1_T2_jT3_P12ihipStream_tbPNSt15iterator_traitsISK_E10value_typeEPNSQ_ISL_E10value_typeEPSM_NS1_7vsmem_tEENKUlT_SK_SL_SM_E_clIPiSE_SF_SF_EESJ_SZ_SK_SL_SM_EUlSZ_E0_NS1_11comp_targetILNS1_3genE2ELNS1_11target_archE906ELNS1_3gpuE6ELNS1_3repE0EEENS1_38merge_mergepath_config_static_selectorELNS0_4arch9wavefront6targetE1EEEvSL_.kd
    .uniform_work_group_size: 1
    .uses_dynamic_stack: false
    .vgpr_count:     0
    .vgpr_spill_count: 0
    .wavefront_size: 64
  - .agpr_count:     0
    .args:
      - .offset:         0
        .size:           64
        .value_kind:     by_value
    .group_segment_fixed_size: 0
    .kernarg_segment_align: 8
    .kernarg_segment_size: 64
    .language:       OpenCL C
    .language_version:
      - 2
      - 0
    .max_flat_workgroup_size: 256
    .name:           _ZN7rocprim17ROCPRIM_400000_NS6detail17trampoline_kernelINS0_14default_configENS1_38merge_sort_block_merge_config_selectorIiNS0_10empty_typeEEEZZNS1_27merge_sort_block_merge_implIS3_N6thrust23THRUST_200600_302600_NS6detail15normal_iteratorINS9_10device_ptrIiEEEEPS5_jNS1_19radix_merge_compareILb0ELb1EiNS0_19identity_decomposerEEEEE10hipError_tT0_T1_T2_jT3_P12ihipStream_tbPNSt15iterator_traitsISK_E10value_typeEPNSQ_ISL_E10value_typeEPSM_NS1_7vsmem_tEENKUlT_SK_SL_SM_E_clIPiSE_SF_SF_EESJ_SZ_SK_SL_SM_EUlSZ_E0_NS1_11comp_targetILNS1_3genE9ELNS1_11target_archE1100ELNS1_3gpuE3ELNS1_3repE0EEENS1_38merge_mergepath_config_static_selectorELNS0_4arch9wavefront6targetE1EEEvSL_
    .private_segment_fixed_size: 0
    .sgpr_count:     6
    .sgpr_spill_count: 0
    .symbol:         _ZN7rocprim17ROCPRIM_400000_NS6detail17trampoline_kernelINS0_14default_configENS1_38merge_sort_block_merge_config_selectorIiNS0_10empty_typeEEEZZNS1_27merge_sort_block_merge_implIS3_N6thrust23THRUST_200600_302600_NS6detail15normal_iteratorINS9_10device_ptrIiEEEEPS5_jNS1_19radix_merge_compareILb0ELb1EiNS0_19identity_decomposerEEEEE10hipError_tT0_T1_T2_jT3_P12ihipStream_tbPNSt15iterator_traitsISK_E10value_typeEPNSQ_ISL_E10value_typeEPSM_NS1_7vsmem_tEENKUlT_SK_SL_SM_E_clIPiSE_SF_SF_EESJ_SZ_SK_SL_SM_EUlSZ_E0_NS1_11comp_targetILNS1_3genE9ELNS1_11target_archE1100ELNS1_3gpuE3ELNS1_3repE0EEENS1_38merge_mergepath_config_static_selectorELNS0_4arch9wavefront6targetE1EEEvSL_.kd
    .uniform_work_group_size: 1
    .uses_dynamic_stack: false
    .vgpr_count:     0
    .vgpr_spill_count: 0
    .wavefront_size: 64
  - .agpr_count:     0
    .args:
      - .offset:         0
        .size:           64
        .value_kind:     by_value
    .group_segment_fixed_size: 0
    .kernarg_segment_align: 8
    .kernarg_segment_size: 64
    .language:       OpenCL C
    .language_version:
      - 2
      - 0
    .max_flat_workgroup_size: 512
    .name:           _ZN7rocprim17ROCPRIM_400000_NS6detail17trampoline_kernelINS0_14default_configENS1_38merge_sort_block_merge_config_selectorIiNS0_10empty_typeEEEZZNS1_27merge_sort_block_merge_implIS3_N6thrust23THRUST_200600_302600_NS6detail15normal_iteratorINS9_10device_ptrIiEEEEPS5_jNS1_19radix_merge_compareILb0ELb1EiNS0_19identity_decomposerEEEEE10hipError_tT0_T1_T2_jT3_P12ihipStream_tbPNSt15iterator_traitsISK_E10value_typeEPNSQ_ISL_E10value_typeEPSM_NS1_7vsmem_tEENKUlT_SK_SL_SM_E_clIPiSE_SF_SF_EESJ_SZ_SK_SL_SM_EUlSZ_E0_NS1_11comp_targetILNS1_3genE8ELNS1_11target_archE1030ELNS1_3gpuE2ELNS1_3repE0EEENS1_38merge_mergepath_config_static_selectorELNS0_4arch9wavefront6targetE1EEEvSL_
    .private_segment_fixed_size: 0
    .sgpr_count:     6
    .sgpr_spill_count: 0
    .symbol:         _ZN7rocprim17ROCPRIM_400000_NS6detail17trampoline_kernelINS0_14default_configENS1_38merge_sort_block_merge_config_selectorIiNS0_10empty_typeEEEZZNS1_27merge_sort_block_merge_implIS3_N6thrust23THRUST_200600_302600_NS6detail15normal_iteratorINS9_10device_ptrIiEEEEPS5_jNS1_19radix_merge_compareILb0ELb1EiNS0_19identity_decomposerEEEEE10hipError_tT0_T1_T2_jT3_P12ihipStream_tbPNSt15iterator_traitsISK_E10value_typeEPNSQ_ISL_E10value_typeEPSM_NS1_7vsmem_tEENKUlT_SK_SL_SM_E_clIPiSE_SF_SF_EESJ_SZ_SK_SL_SM_EUlSZ_E0_NS1_11comp_targetILNS1_3genE8ELNS1_11target_archE1030ELNS1_3gpuE2ELNS1_3repE0EEENS1_38merge_mergepath_config_static_selectorELNS0_4arch9wavefront6targetE1EEEvSL_.kd
    .uniform_work_group_size: 1
    .uses_dynamic_stack: false
    .vgpr_count:     0
    .vgpr_spill_count: 0
    .wavefront_size: 64
  - .agpr_count:     0
    .args:
      - .offset:         0
        .size:           48
        .value_kind:     by_value
    .group_segment_fixed_size: 0
    .kernarg_segment_align: 8
    .kernarg_segment_size: 48
    .language:       OpenCL C
    .language_version:
      - 2
      - 0
    .max_flat_workgroup_size: 256
    .name:           _ZN7rocprim17ROCPRIM_400000_NS6detail17trampoline_kernelINS0_14default_configENS1_38merge_sort_block_merge_config_selectorIiNS0_10empty_typeEEEZZNS1_27merge_sort_block_merge_implIS3_N6thrust23THRUST_200600_302600_NS6detail15normal_iteratorINS9_10device_ptrIiEEEEPS5_jNS1_19radix_merge_compareILb0ELb1EiNS0_19identity_decomposerEEEEE10hipError_tT0_T1_T2_jT3_P12ihipStream_tbPNSt15iterator_traitsISK_E10value_typeEPNSQ_ISL_E10value_typeEPSM_NS1_7vsmem_tEENKUlT_SK_SL_SM_E_clIPiSE_SF_SF_EESJ_SZ_SK_SL_SM_EUlSZ_E1_NS1_11comp_targetILNS1_3genE0ELNS1_11target_archE4294967295ELNS1_3gpuE0ELNS1_3repE0EEENS1_36merge_oddeven_config_static_selectorELNS0_4arch9wavefront6targetE1EEEvSL_
    .private_segment_fixed_size: 0
    .sgpr_count:     27
    .sgpr_spill_count: 0
    .symbol:         _ZN7rocprim17ROCPRIM_400000_NS6detail17trampoline_kernelINS0_14default_configENS1_38merge_sort_block_merge_config_selectorIiNS0_10empty_typeEEEZZNS1_27merge_sort_block_merge_implIS3_N6thrust23THRUST_200600_302600_NS6detail15normal_iteratorINS9_10device_ptrIiEEEEPS5_jNS1_19radix_merge_compareILb0ELb1EiNS0_19identity_decomposerEEEEE10hipError_tT0_T1_T2_jT3_P12ihipStream_tbPNSt15iterator_traitsISK_E10value_typeEPNSQ_ISL_E10value_typeEPSM_NS1_7vsmem_tEENKUlT_SK_SL_SM_E_clIPiSE_SF_SF_EESJ_SZ_SK_SL_SM_EUlSZ_E1_NS1_11comp_targetILNS1_3genE0ELNS1_11target_archE4294967295ELNS1_3gpuE0ELNS1_3repE0EEENS1_36merge_oddeven_config_static_selectorELNS0_4arch9wavefront6targetE1EEEvSL_.kd
    .uniform_work_group_size: 1
    .uses_dynamic_stack: false
    .vgpr_count:     10
    .vgpr_spill_count: 0
    .wavefront_size: 64
  - .agpr_count:     0
    .args:
      - .offset:         0
        .size:           48
        .value_kind:     by_value
    .group_segment_fixed_size: 0
    .kernarg_segment_align: 8
    .kernarg_segment_size: 48
    .language:       OpenCL C
    .language_version:
      - 2
      - 0
    .max_flat_workgroup_size: 256
    .name:           _ZN7rocprim17ROCPRIM_400000_NS6detail17trampoline_kernelINS0_14default_configENS1_38merge_sort_block_merge_config_selectorIiNS0_10empty_typeEEEZZNS1_27merge_sort_block_merge_implIS3_N6thrust23THRUST_200600_302600_NS6detail15normal_iteratorINS9_10device_ptrIiEEEEPS5_jNS1_19radix_merge_compareILb0ELb1EiNS0_19identity_decomposerEEEEE10hipError_tT0_T1_T2_jT3_P12ihipStream_tbPNSt15iterator_traitsISK_E10value_typeEPNSQ_ISL_E10value_typeEPSM_NS1_7vsmem_tEENKUlT_SK_SL_SM_E_clIPiSE_SF_SF_EESJ_SZ_SK_SL_SM_EUlSZ_E1_NS1_11comp_targetILNS1_3genE10ELNS1_11target_archE1201ELNS1_3gpuE5ELNS1_3repE0EEENS1_36merge_oddeven_config_static_selectorELNS0_4arch9wavefront6targetE1EEEvSL_
    .private_segment_fixed_size: 0
    .sgpr_count:     6
    .sgpr_spill_count: 0
    .symbol:         _ZN7rocprim17ROCPRIM_400000_NS6detail17trampoline_kernelINS0_14default_configENS1_38merge_sort_block_merge_config_selectorIiNS0_10empty_typeEEEZZNS1_27merge_sort_block_merge_implIS3_N6thrust23THRUST_200600_302600_NS6detail15normal_iteratorINS9_10device_ptrIiEEEEPS5_jNS1_19radix_merge_compareILb0ELb1EiNS0_19identity_decomposerEEEEE10hipError_tT0_T1_T2_jT3_P12ihipStream_tbPNSt15iterator_traitsISK_E10value_typeEPNSQ_ISL_E10value_typeEPSM_NS1_7vsmem_tEENKUlT_SK_SL_SM_E_clIPiSE_SF_SF_EESJ_SZ_SK_SL_SM_EUlSZ_E1_NS1_11comp_targetILNS1_3genE10ELNS1_11target_archE1201ELNS1_3gpuE5ELNS1_3repE0EEENS1_36merge_oddeven_config_static_selectorELNS0_4arch9wavefront6targetE1EEEvSL_.kd
    .uniform_work_group_size: 1
    .uses_dynamic_stack: false
    .vgpr_count:     0
    .vgpr_spill_count: 0
    .wavefront_size: 64
  - .agpr_count:     0
    .args:
      - .offset:         0
        .size:           48
        .value_kind:     by_value
    .group_segment_fixed_size: 0
    .kernarg_segment_align: 8
    .kernarg_segment_size: 48
    .language:       OpenCL C
    .language_version:
      - 2
      - 0
    .max_flat_workgroup_size: 256
    .name:           _ZN7rocprim17ROCPRIM_400000_NS6detail17trampoline_kernelINS0_14default_configENS1_38merge_sort_block_merge_config_selectorIiNS0_10empty_typeEEEZZNS1_27merge_sort_block_merge_implIS3_N6thrust23THRUST_200600_302600_NS6detail15normal_iteratorINS9_10device_ptrIiEEEEPS5_jNS1_19radix_merge_compareILb0ELb1EiNS0_19identity_decomposerEEEEE10hipError_tT0_T1_T2_jT3_P12ihipStream_tbPNSt15iterator_traitsISK_E10value_typeEPNSQ_ISL_E10value_typeEPSM_NS1_7vsmem_tEENKUlT_SK_SL_SM_E_clIPiSE_SF_SF_EESJ_SZ_SK_SL_SM_EUlSZ_E1_NS1_11comp_targetILNS1_3genE5ELNS1_11target_archE942ELNS1_3gpuE9ELNS1_3repE0EEENS1_36merge_oddeven_config_static_selectorELNS0_4arch9wavefront6targetE1EEEvSL_
    .private_segment_fixed_size: 0
    .sgpr_count:     6
    .sgpr_spill_count: 0
    .symbol:         _ZN7rocprim17ROCPRIM_400000_NS6detail17trampoline_kernelINS0_14default_configENS1_38merge_sort_block_merge_config_selectorIiNS0_10empty_typeEEEZZNS1_27merge_sort_block_merge_implIS3_N6thrust23THRUST_200600_302600_NS6detail15normal_iteratorINS9_10device_ptrIiEEEEPS5_jNS1_19radix_merge_compareILb0ELb1EiNS0_19identity_decomposerEEEEE10hipError_tT0_T1_T2_jT3_P12ihipStream_tbPNSt15iterator_traitsISK_E10value_typeEPNSQ_ISL_E10value_typeEPSM_NS1_7vsmem_tEENKUlT_SK_SL_SM_E_clIPiSE_SF_SF_EESJ_SZ_SK_SL_SM_EUlSZ_E1_NS1_11comp_targetILNS1_3genE5ELNS1_11target_archE942ELNS1_3gpuE9ELNS1_3repE0EEENS1_36merge_oddeven_config_static_selectorELNS0_4arch9wavefront6targetE1EEEvSL_.kd
    .uniform_work_group_size: 1
    .uses_dynamic_stack: false
    .vgpr_count:     0
    .vgpr_spill_count: 0
    .wavefront_size: 64
  - .agpr_count:     0
    .args:
      - .offset:         0
        .size:           48
        .value_kind:     by_value
    .group_segment_fixed_size: 0
    .kernarg_segment_align: 8
    .kernarg_segment_size: 48
    .language:       OpenCL C
    .language_version:
      - 2
      - 0
    .max_flat_workgroup_size: 256
    .name:           _ZN7rocprim17ROCPRIM_400000_NS6detail17trampoline_kernelINS0_14default_configENS1_38merge_sort_block_merge_config_selectorIiNS0_10empty_typeEEEZZNS1_27merge_sort_block_merge_implIS3_N6thrust23THRUST_200600_302600_NS6detail15normal_iteratorINS9_10device_ptrIiEEEEPS5_jNS1_19radix_merge_compareILb0ELb1EiNS0_19identity_decomposerEEEEE10hipError_tT0_T1_T2_jT3_P12ihipStream_tbPNSt15iterator_traitsISK_E10value_typeEPNSQ_ISL_E10value_typeEPSM_NS1_7vsmem_tEENKUlT_SK_SL_SM_E_clIPiSE_SF_SF_EESJ_SZ_SK_SL_SM_EUlSZ_E1_NS1_11comp_targetILNS1_3genE4ELNS1_11target_archE910ELNS1_3gpuE8ELNS1_3repE0EEENS1_36merge_oddeven_config_static_selectorELNS0_4arch9wavefront6targetE1EEEvSL_
    .private_segment_fixed_size: 0
    .sgpr_count:     6
    .sgpr_spill_count: 0
    .symbol:         _ZN7rocprim17ROCPRIM_400000_NS6detail17trampoline_kernelINS0_14default_configENS1_38merge_sort_block_merge_config_selectorIiNS0_10empty_typeEEEZZNS1_27merge_sort_block_merge_implIS3_N6thrust23THRUST_200600_302600_NS6detail15normal_iteratorINS9_10device_ptrIiEEEEPS5_jNS1_19radix_merge_compareILb0ELb1EiNS0_19identity_decomposerEEEEE10hipError_tT0_T1_T2_jT3_P12ihipStream_tbPNSt15iterator_traitsISK_E10value_typeEPNSQ_ISL_E10value_typeEPSM_NS1_7vsmem_tEENKUlT_SK_SL_SM_E_clIPiSE_SF_SF_EESJ_SZ_SK_SL_SM_EUlSZ_E1_NS1_11comp_targetILNS1_3genE4ELNS1_11target_archE910ELNS1_3gpuE8ELNS1_3repE0EEENS1_36merge_oddeven_config_static_selectorELNS0_4arch9wavefront6targetE1EEEvSL_.kd
    .uniform_work_group_size: 1
    .uses_dynamic_stack: false
    .vgpr_count:     0
    .vgpr_spill_count: 0
    .wavefront_size: 64
  - .agpr_count:     0
    .args:
      - .offset:         0
        .size:           48
        .value_kind:     by_value
    .group_segment_fixed_size: 0
    .kernarg_segment_align: 8
    .kernarg_segment_size: 48
    .language:       OpenCL C
    .language_version:
      - 2
      - 0
    .max_flat_workgroup_size: 256
    .name:           _ZN7rocprim17ROCPRIM_400000_NS6detail17trampoline_kernelINS0_14default_configENS1_38merge_sort_block_merge_config_selectorIiNS0_10empty_typeEEEZZNS1_27merge_sort_block_merge_implIS3_N6thrust23THRUST_200600_302600_NS6detail15normal_iteratorINS9_10device_ptrIiEEEEPS5_jNS1_19radix_merge_compareILb0ELb1EiNS0_19identity_decomposerEEEEE10hipError_tT0_T1_T2_jT3_P12ihipStream_tbPNSt15iterator_traitsISK_E10value_typeEPNSQ_ISL_E10value_typeEPSM_NS1_7vsmem_tEENKUlT_SK_SL_SM_E_clIPiSE_SF_SF_EESJ_SZ_SK_SL_SM_EUlSZ_E1_NS1_11comp_targetILNS1_3genE3ELNS1_11target_archE908ELNS1_3gpuE7ELNS1_3repE0EEENS1_36merge_oddeven_config_static_selectorELNS0_4arch9wavefront6targetE1EEEvSL_
    .private_segment_fixed_size: 0
    .sgpr_count:     6
    .sgpr_spill_count: 0
    .symbol:         _ZN7rocprim17ROCPRIM_400000_NS6detail17trampoline_kernelINS0_14default_configENS1_38merge_sort_block_merge_config_selectorIiNS0_10empty_typeEEEZZNS1_27merge_sort_block_merge_implIS3_N6thrust23THRUST_200600_302600_NS6detail15normal_iteratorINS9_10device_ptrIiEEEEPS5_jNS1_19radix_merge_compareILb0ELb1EiNS0_19identity_decomposerEEEEE10hipError_tT0_T1_T2_jT3_P12ihipStream_tbPNSt15iterator_traitsISK_E10value_typeEPNSQ_ISL_E10value_typeEPSM_NS1_7vsmem_tEENKUlT_SK_SL_SM_E_clIPiSE_SF_SF_EESJ_SZ_SK_SL_SM_EUlSZ_E1_NS1_11comp_targetILNS1_3genE3ELNS1_11target_archE908ELNS1_3gpuE7ELNS1_3repE0EEENS1_36merge_oddeven_config_static_selectorELNS0_4arch9wavefront6targetE1EEEvSL_.kd
    .uniform_work_group_size: 1
    .uses_dynamic_stack: false
    .vgpr_count:     0
    .vgpr_spill_count: 0
    .wavefront_size: 64
  - .agpr_count:     0
    .args:
      - .offset:         0
        .size:           48
        .value_kind:     by_value
    .group_segment_fixed_size: 0
    .kernarg_segment_align: 8
    .kernarg_segment_size: 48
    .language:       OpenCL C
    .language_version:
      - 2
      - 0
    .max_flat_workgroup_size: 256
    .name:           _ZN7rocprim17ROCPRIM_400000_NS6detail17trampoline_kernelINS0_14default_configENS1_38merge_sort_block_merge_config_selectorIiNS0_10empty_typeEEEZZNS1_27merge_sort_block_merge_implIS3_N6thrust23THRUST_200600_302600_NS6detail15normal_iteratorINS9_10device_ptrIiEEEEPS5_jNS1_19radix_merge_compareILb0ELb1EiNS0_19identity_decomposerEEEEE10hipError_tT0_T1_T2_jT3_P12ihipStream_tbPNSt15iterator_traitsISK_E10value_typeEPNSQ_ISL_E10value_typeEPSM_NS1_7vsmem_tEENKUlT_SK_SL_SM_E_clIPiSE_SF_SF_EESJ_SZ_SK_SL_SM_EUlSZ_E1_NS1_11comp_targetILNS1_3genE2ELNS1_11target_archE906ELNS1_3gpuE6ELNS1_3repE0EEENS1_36merge_oddeven_config_static_selectorELNS0_4arch9wavefront6targetE1EEEvSL_
    .private_segment_fixed_size: 0
    .sgpr_count:     6
    .sgpr_spill_count: 0
    .symbol:         _ZN7rocprim17ROCPRIM_400000_NS6detail17trampoline_kernelINS0_14default_configENS1_38merge_sort_block_merge_config_selectorIiNS0_10empty_typeEEEZZNS1_27merge_sort_block_merge_implIS3_N6thrust23THRUST_200600_302600_NS6detail15normal_iteratorINS9_10device_ptrIiEEEEPS5_jNS1_19radix_merge_compareILb0ELb1EiNS0_19identity_decomposerEEEEE10hipError_tT0_T1_T2_jT3_P12ihipStream_tbPNSt15iterator_traitsISK_E10value_typeEPNSQ_ISL_E10value_typeEPSM_NS1_7vsmem_tEENKUlT_SK_SL_SM_E_clIPiSE_SF_SF_EESJ_SZ_SK_SL_SM_EUlSZ_E1_NS1_11comp_targetILNS1_3genE2ELNS1_11target_archE906ELNS1_3gpuE6ELNS1_3repE0EEENS1_36merge_oddeven_config_static_selectorELNS0_4arch9wavefront6targetE1EEEvSL_.kd
    .uniform_work_group_size: 1
    .uses_dynamic_stack: false
    .vgpr_count:     0
    .vgpr_spill_count: 0
    .wavefront_size: 64
  - .agpr_count:     0
    .args:
      - .offset:         0
        .size:           48
        .value_kind:     by_value
    .group_segment_fixed_size: 0
    .kernarg_segment_align: 8
    .kernarg_segment_size: 48
    .language:       OpenCL C
    .language_version:
      - 2
      - 0
    .max_flat_workgroup_size: 256
    .name:           _ZN7rocprim17ROCPRIM_400000_NS6detail17trampoline_kernelINS0_14default_configENS1_38merge_sort_block_merge_config_selectorIiNS0_10empty_typeEEEZZNS1_27merge_sort_block_merge_implIS3_N6thrust23THRUST_200600_302600_NS6detail15normal_iteratorINS9_10device_ptrIiEEEEPS5_jNS1_19radix_merge_compareILb0ELb1EiNS0_19identity_decomposerEEEEE10hipError_tT0_T1_T2_jT3_P12ihipStream_tbPNSt15iterator_traitsISK_E10value_typeEPNSQ_ISL_E10value_typeEPSM_NS1_7vsmem_tEENKUlT_SK_SL_SM_E_clIPiSE_SF_SF_EESJ_SZ_SK_SL_SM_EUlSZ_E1_NS1_11comp_targetILNS1_3genE9ELNS1_11target_archE1100ELNS1_3gpuE3ELNS1_3repE0EEENS1_36merge_oddeven_config_static_selectorELNS0_4arch9wavefront6targetE1EEEvSL_
    .private_segment_fixed_size: 0
    .sgpr_count:     6
    .sgpr_spill_count: 0
    .symbol:         _ZN7rocprim17ROCPRIM_400000_NS6detail17trampoline_kernelINS0_14default_configENS1_38merge_sort_block_merge_config_selectorIiNS0_10empty_typeEEEZZNS1_27merge_sort_block_merge_implIS3_N6thrust23THRUST_200600_302600_NS6detail15normal_iteratorINS9_10device_ptrIiEEEEPS5_jNS1_19radix_merge_compareILb0ELb1EiNS0_19identity_decomposerEEEEE10hipError_tT0_T1_T2_jT3_P12ihipStream_tbPNSt15iterator_traitsISK_E10value_typeEPNSQ_ISL_E10value_typeEPSM_NS1_7vsmem_tEENKUlT_SK_SL_SM_E_clIPiSE_SF_SF_EESJ_SZ_SK_SL_SM_EUlSZ_E1_NS1_11comp_targetILNS1_3genE9ELNS1_11target_archE1100ELNS1_3gpuE3ELNS1_3repE0EEENS1_36merge_oddeven_config_static_selectorELNS0_4arch9wavefront6targetE1EEEvSL_.kd
    .uniform_work_group_size: 1
    .uses_dynamic_stack: false
    .vgpr_count:     0
    .vgpr_spill_count: 0
    .wavefront_size: 64
  - .agpr_count:     0
    .args:
      - .offset:         0
        .size:           48
        .value_kind:     by_value
    .group_segment_fixed_size: 0
    .kernarg_segment_align: 8
    .kernarg_segment_size: 48
    .language:       OpenCL C
    .language_version:
      - 2
      - 0
    .max_flat_workgroup_size: 256
    .name:           _ZN7rocprim17ROCPRIM_400000_NS6detail17trampoline_kernelINS0_14default_configENS1_38merge_sort_block_merge_config_selectorIiNS0_10empty_typeEEEZZNS1_27merge_sort_block_merge_implIS3_N6thrust23THRUST_200600_302600_NS6detail15normal_iteratorINS9_10device_ptrIiEEEEPS5_jNS1_19radix_merge_compareILb0ELb1EiNS0_19identity_decomposerEEEEE10hipError_tT0_T1_T2_jT3_P12ihipStream_tbPNSt15iterator_traitsISK_E10value_typeEPNSQ_ISL_E10value_typeEPSM_NS1_7vsmem_tEENKUlT_SK_SL_SM_E_clIPiSE_SF_SF_EESJ_SZ_SK_SL_SM_EUlSZ_E1_NS1_11comp_targetILNS1_3genE8ELNS1_11target_archE1030ELNS1_3gpuE2ELNS1_3repE0EEENS1_36merge_oddeven_config_static_selectorELNS0_4arch9wavefront6targetE1EEEvSL_
    .private_segment_fixed_size: 0
    .sgpr_count:     6
    .sgpr_spill_count: 0
    .symbol:         _ZN7rocprim17ROCPRIM_400000_NS6detail17trampoline_kernelINS0_14default_configENS1_38merge_sort_block_merge_config_selectorIiNS0_10empty_typeEEEZZNS1_27merge_sort_block_merge_implIS3_N6thrust23THRUST_200600_302600_NS6detail15normal_iteratorINS9_10device_ptrIiEEEEPS5_jNS1_19radix_merge_compareILb0ELb1EiNS0_19identity_decomposerEEEEE10hipError_tT0_T1_T2_jT3_P12ihipStream_tbPNSt15iterator_traitsISK_E10value_typeEPNSQ_ISL_E10value_typeEPSM_NS1_7vsmem_tEENKUlT_SK_SL_SM_E_clIPiSE_SF_SF_EESJ_SZ_SK_SL_SM_EUlSZ_E1_NS1_11comp_targetILNS1_3genE8ELNS1_11target_archE1030ELNS1_3gpuE2ELNS1_3repE0EEENS1_36merge_oddeven_config_static_selectorELNS0_4arch9wavefront6targetE1EEEvSL_.kd
    .uniform_work_group_size: 1
    .uses_dynamic_stack: false
    .vgpr_count:     0
    .vgpr_spill_count: 0
    .wavefront_size: 64
  - .agpr_count:     0
    .args:
      - .offset:         0
        .size:           40
        .value_kind:     by_value
    .group_segment_fixed_size: 0
    .kernarg_segment_align: 8
    .kernarg_segment_size: 40
    .language:       OpenCL C
    .language_version:
      - 2
      - 0
    .max_flat_workgroup_size: 128
    .name:           _ZN7rocprim17ROCPRIM_400000_NS6detail17trampoline_kernelINS0_14default_configENS1_38merge_sort_block_merge_config_selectorIiNS0_10empty_typeEEEZZNS1_27merge_sort_block_merge_implIS3_N6thrust23THRUST_200600_302600_NS6detail15normal_iteratorINS9_10device_ptrIiEEEEPS5_jNS1_19radix_merge_compareILb0ELb1EiNS0_19identity_decomposerEEEEE10hipError_tT0_T1_T2_jT3_P12ihipStream_tbPNSt15iterator_traitsISK_E10value_typeEPNSQ_ISL_E10value_typeEPSM_NS1_7vsmem_tEENKUlT_SK_SL_SM_E_clISE_PiSF_SF_EESJ_SZ_SK_SL_SM_EUlSZ_E_NS1_11comp_targetILNS1_3genE0ELNS1_11target_archE4294967295ELNS1_3gpuE0ELNS1_3repE0EEENS1_48merge_mergepath_partition_config_static_selectorELNS0_4arch9wavefront6targetE1EEEvSL_
    .private_segment_fixed_size: 0
    .sgpr_count:     16
    .sgpr_spill_count: 0
    .symbol:         _ZN7rocprim17ROCPRIM_400000_NS6detail17trampoline_kernelINS0_14default_configENS1_38merge_sort_block_merge_config_selectorIiNS0_10empty_typeEEEZZNS1_27merge_sort_block_merge_implIS3_N6thrust23THRUST_200600_302600_NS6detail15normal_iteratorINS9_10device_ptrIiEEEEPS5_jNS1_19radix_merge_compareILb0ELb1EiNS0_19identity_decomposerEEEEE10hipError_tT0_T1_T2_jT3_P12ihipStream_tbPNSt15iterator_traitsISK_E10value_typeEPNSQ_ISL_E10value_typeEPSM_NS1_7vsmem_tEENKUlT_SK_SL_SM_E_clISE_PiSF_SF_EESJ_SZ_SK_SL_SM_EUlSZ_E_NS1_11comp_targetILNS1_3genE0ELNS1_11target_archE4294967295ELNS1_3gpuE0ELNS1_3repE0EEENS1_48merge_mergepath_partition_config_static_selectorELNS0_4arch9wavefront6targetE1EEEvSL_.kd
    .uniform_work_group_size: 1
    .uses_dynamic_stack: false
    .vgpr_count:     17
    .vgpr_spill_count: 0
    .wavefront_size: 64
  - .agpr_count:     0
    .args:
      - .offset:         0
        .size:           40
        .value_kind:     by_value
    .group_segment_fixed_size: 0
    .kernarg_segment_align: 8
    .kernarg_segment_size: 40
    .language:       OpenCL C
    .language_version:
      - 2
      - 0
    .max_flat_workgroup_size: 128
    .name:           _ZN7rocprim17ROCPRIM_400000_NS6detail17trampoline_kernelINS0_14default_configENS1_38merge_sort_block_merge_config_selectorIiNS0_10empty_typeEEEZZNS1_27merge_sort_block_merge_implIS3_N6thrust23THRUST_200600_302600_NS6detail15normal_iteratorINS9_10device_ptrIiEEEEPS5_jNS1_19radix_merge_compareILb0ELb1EiNS0_19identity_decomposerEEEEE10hipError_tT0_T1_T2_jT3_P12ihipStream_tbPNSt15iterator_traitsISK_E10value_typeEPNSQ_ISL_E10value_typeEPSM_NS1_7vsmem_tEENKUlT_SK_SL_SM_E_clISE_PiSF_SF_EESJ_SZ_SK_SL_SM_EUlSZ_E_NS1_11comp_targetILNS1_3genE10ELNS1_11target_archE1201ELNS1_3gpuE5ELNS1_3repE0EEENS1_48merge_mergepath_partition_config_static_selectorELNS0_4arch9wavefront6targetE1EEEvSL_
    .private_segment_fixed_size: 0
    .sgpr_count:     6
    .sgpr_spill_count: 0
    .symbol:         _ZN7rocprim17ROCPRIM_400000_NS6detail17trampoline_kernelINS0_14default_configENS1_38merge_sort_block_merge_config_selectorIiNS0_10empty_typeEEEZZNS1_27merge_sort_block_merge_implIS3_N6thrust23THRUST_200600_302600_NS6detail15normal_iteratorINS9_10device_ptrIiEEEEPS5_jNS1_19radix_merge_compareILb0ELb1EiNS0_19identity_decomposerEEEEE10hipError_tT0_T1_T2_jT3_P12ihipStream_tbPNSt15iterator_traitsISK_E10value_typeEPNSQ_ISL_E10value_typeEPSM_NS1_7vsmem_tEENKUlT_SK_SL_SM_E_clISE_PiSF_SF_EESJ_SZ_SK_SL_SM_EUlSZ_E_NS1_11comp_targetILNS1_3genE10ELNS1_11target_archE1201ELNS1_3gpuE5ELNS1_3repE0EEENS1_48merge_mergepath_partition_config_static_selectorELNS0_4arch9wavefront6targetE1EEEvSL_.kd
    .uniform_work_group_size: 1
    .uses_dynamic_stack: false
    .vgpr_count:     0
    .vgpr_spill_count: 0
    .wavefront_size: 64
  - .agpr_count:     0
    .args:
      - .offset:         0
        .size:           40
        .value_kind:     by_value
    .group_segment_fixed_size: 0
    .kernarg_segment_align: 8
    .kernarg_segment_size: 40
    .language:       OpenCL C
    .language_version:
      - 2
      - 0
    .max_flat_workgroup_size: 128
    .name:           _ZN7rocprim17ROCPRIM_400000_NS6detail17trampoline_kernelINS0_14default_configENS1_38merge_sort_block_merge_config_selectorIiNS0_10empty_typeEEEZZNS1_27merge_sort_block_merge_implIS3_N6thrust23THRUST_200600_302600_NS6detail15normal_iteratorINS9_10device_ptrIiEEEEPS5_jNS1_19radix_merge_compareILb0ELb1EiNS0_19identity_decomposerEEEEE10hipError_tT0_T1_T2_jT3_P12ihipStream_tbPNSt15iterator_traitsISK_E10value_typeEPNSQ_ISL_E10value_typeEPSM_NS1_7vsmem_tEENKUlT_SK_SL_SM_E_clISE_PiSF_SF_EESJ_SZ_SK_SL_SM_EUlSZ_E_NS1_11comp_targetILNS1_3genE5ELNS1_11target_archE942ELNS1_3gpuE9ELNS1_3repE0EEENS1_48merge_mergepath_partition_config_static_selectorELNS0_4arch9wavefront6targetE1EEEvSL_
    .private_segment_fixed_size: 0
    .sgpr_count:     6
    .sgpr_spill_count: 0
    .symbol:         _ZN7rocprim17ROCPRIM_400000_NS6detail17trampoline_kernelINS0_14default_configENS1_38merge_sort_block_merge_config_selectorIiNS0_10empty_typeEEEZZNS1_27merge_sort_block_merge_implIS3_N6thrust23THRUST_200600_302600_NS6detail15normal_iteratorINS9_10device_ptrIiEEEEPS5_jNS1_19radix_merge_compareILb0ELb1EiNS0_19identity_decomposerEEEEE10hipError_tT0_T1_T2_jT3_P12ihipStream_tbPNSt15iterator_traitsISK_E10value_typeEPNSQ_ISL_E10value_typeEPSM_NS1_7vsmem_tEENKUlT_SK_SL_SM_E_clISE_PiSF_SF_EESJ_SZ_SK_SL_SM_EUlSZ_E_NS1_11comp_targetILNS1_3genE5ELNS1_11target_archE942ELNS1_3gpuE9ELNS1_3repE0EEENS1_48merge_mergepath_partition_config_static_selectorELNS0_4arch9wavefront6targetE1EEEvSL_.kd
    .uniform_work_group_size: 1
    .uses_dynamic_stack: false
    .vgpr_count:     0
    .vgpr_spill_count: 0
    .wavefront_size: 64
  - .agpr_count:     0
    .args:
      - .offset:         0
        .size:           40
        .value_kind:     by_value
    .group_segment_fixed_size: 0
    .kernarg_segment_align: 8
    .kernarg_segment_size: 40
    .language:       OpenCL C
    .language_version:
      - 2
      - 0
    .max_flat_workgroup_size: 128
    .name:           _ZN7rocprim17ROCPRIM_400000_NS6detail17trampoline_kernelINS0_14default_configENS1_38merge_sort_block_merge_config_selectorIiNS0_10empty_typeEEEZZNS1_27merge_sort_block_merge_implIS3_N6thrust23THRUST_200600_302600_NS6detail15normal_iteratorINS9_10device_ptrIiEEEEPS5_jNS1_19radix_merge_compareILb0ELb1EiNS0_19identity_decomposerEEEEE10hipError_tT0_T1_T2_jT3_P12ihipStream_tbPNSt15iterator_traitsISK_E10value_typeEPNSQ_ISL_E10value_typeEPSM_NS1_7vsmem_tEENKUlT_SK_SL_SM_E_clISE_PiSF_SF_EESJ_SZ_SK_SL_SM_EUlSZ_E_NS1_11comp_targetILNS1_3genE4ELNS1_11target_archE910ELNS1_3gpuE8ELNS1_3repE0EEENS1_48merge_mergepath_partition_config_static_selectorELNS0_4arch9wavefront6targetE1EEEvSL_
    .private_segment_fixed_size: 0
    .sgpr_count:     6
    .sgpr_spill_count: 0
    .symbol:         _ZN7rocprim17ROCPRIM_400000_NS6detail17trampoline_kernelINS0_14default_configENS1_38merge_sort_block_merge_config_selectorIiNS0_10empty_typeEEEZZNS1_27merge_sort_block_merge_implIS3_N6thrust23THRUST_200600_302600_NS6detail15normal_iteratorINS9_10device_ptrIiEEEEPS5_jNS1_19radix_merge_compareILb0ELb1EiNS0_19identity_decomposerEEEEE10hipError_tT0_T1_T2_jT3_P12ihipStream_tbPNSt15iterator_traitsISK_E10value_typeEPNSQ_ISL_E10value_typeEPSM_NS1_7vsmem_tEENKUlT_SK_SL_SM_E_clISE_PiSF_SF_EESJ_SZ_SK_SL_SM_EUlSZ_E_NS1_11comp_targetILNS1_3genE4ELNS1_11target_archE910ELNS1_3gpuE8ELNS1_3repE0EEENS1_48merge_mergepath_partition_config_static_selectorELNS0_4arch9wavefront6targetE1EEEvSL_.kd
    .uniform_work_group_size: 1
    .uses_dynamic_stack: false
    .vgpr_count:     0
    .vgpr_spill_count: 0
    .wavefront_size: 64
  - .agpr_count:     0
    .args:
      - .offset:         0
        .size:           40
        .value_kind:     by_value
    .group_segment_fixed_size: 0
    .kernarg_segment_align: 8
    .kernarg_segment_size: 40
    .language:       OpenCL C
    .language_version:
      - 2
      - 0
    .max_flat_workgroup_size: 128
    .name:           _ZN7rocprim17ROCPRIM_400000_NS6detail17trampoline_kernelINS0_14default_configENS1_38merge_sort_block_merge_config_selectorIiNS0_10empty_typeEEEZZNS1_27merge_sort_block_merge_implIS3_N6thrust23THRUST_200600_302600_NS6detail15normal_iteratorINS9_10device_ptrIiEEEEPS5_jNS1_19radix_merge_compareILb0ELb1EiNS0_19identity_decomposerEEEEE10hipError_tT0_T1_T2_jT3_P12ihipStream_tbPNSt15iterator_traitsISK_E10value_typeEPNSQ_ISL_E10value_typeEPSM_NS1_7vsmem_tEENKUlT_SK_SL_SM_E_clISE_PiSF_SF_EESJ_SZ_SK_SL_SM_EUlSZ_E_NS1_11comp_targetILNS1_3genE3ELNS1_11target_archE908ELNS1_3gpuE7ELNS1_3repE0EEENS1_48merge_mergepath_partition_config_static_selectorELNS0_4arch9wavefront6targetE1EEEvSL_
    .private_segment_fixed_size: 0
    .sgpr_count:     6
    .sgpr_spill_count: 0
    .symbol:         _ZN7rocprim17ROCPRIM_400000_NS6detail17trampoline_kernelINS0_14default_configENS1_38merge_sort_block_merge_config_selectorIiNS0_10empty_typeEEEZZNS1_27merge_sort_block_merge_implIS3_N6thrust23THRUST_200600_302600_NS6detail15normal_iteratorINS9_10device_ptrIiEEEEPS5_jNS1_19radix_merge_compareILb0ELb1EiNS0_19identity_decomposerEEEEE10hipError_tT0_T1_T2_jT3_P12ihipStream_tbPNSt15iterator_traitsISK_E10value_typeEPNSQ_ISL_E10value_typeEPSM_NS1_7vsmem_tEENKUlT_SK_SL_SM_E_clISE_PiSF_SF_EESJ_SZ_SK_SL_SM_EUlSZ_E_NS1_11comp_targetILNS1_3genE3ELNS1_11target_archE908ELNS1_3gpuE7ELNS1_3repE0EEENS1_48merge_mergepath_partition_config_static_selectorELNS0_4arch9wavefront6targetE1EEEvSL_.kd
    .uniform_work_group_size: 1
    .uses_dynamic_stack: false
    .vgpr_count:     0
    .vgpr_spill_count: 0
    .wavefront_size: 64
  - .agpr_count:     0
    .args:
      - .offset:         0
        .size:           40
        .value_kind:     by_value
    .group_segment_fixed_size: 0
    .kernarg_segment_align: 8
    .kernarg_segment_size: 40
    .language:       OpenCL C
    .language_version:
      - 2
      - 0
    .max_flat_workgroup_size: 128
    .name:           _ZN7rocprim17ROCPRIM_400000_NS6detail17trampoline_kernelINS0_14default_configENS1_38merge_sort_block_merge_config_selectorIiNS0_10empty_typeEEEZZNS1_27merge_sort_block_merge_implIS3_N6thrust23THRUST_200600_302600_NS6detail15normal_iteratorINS9_10device_ptrIiEEEEPS5_jNS1_19radix_merge_compareILb0ELb1EiNS0_19identity_decomposerEEEEE10hipError_tT0_T1_T2_jT3_P12ihipStream_tbPNSt15iterator_traitsISK_E10value_typeEPNSQ_ISL_E10value_typeEPSM_NS1_7vsmem_tEENKUlT_SK_SL_SM_E_clISE_PiSF_SF_EESJ_SZ_SK_SL_SM_EUlSZ_E_NS1_11comp_targetILNS1_3genE2ELNS1_11target_archE906ELNS1_3gpuE6ELNS1_3repE0EEENS1_48merge_mergepath_partition_config_static_selectorELNS0_4arch9wavefront6targetE1EEEvSL_
    .private_segment_fixed_size: 0
    .sgpr_count:     6
    .sgpr_spill_count: 0
    .symbol:         _ZN7rocprim17ROCPRIM_400000_NS6detail17trampoline_kernelINS0_14default_configENS1_38merge_sort_block_merge_config_selectorIiNS0_10empty_typeEEEZZNS1_27merge_sort_block_merge_implIS3_N6thrust23THRUST_200600_302600_NS6detail15normal_iteratorINS9_10device_ptrIiEEEEPS5_jNS1_19radix_merge_compareILb0ELb1EiNS0_19identity_decomposerEEEEE10hipError_tT0_T1_T2_jT3_P12ihipStream_tbPNSt15iterator_traitsISK_E10value_typeEPNSQ_ISL_E10value_typeEPSM_NS1_7vsmem_tEENKUlT_SK_SL_SM_E_clISE_PiSF_SF_EESJ_SZ_SK_SL_SM_EUlSZ_E_NS1_11comp_targetILNS1_3genE2ELNS1_11target_archE906ELNS1_3gpuE6ELNS1_3repE0EEENS1_48merge_mergepath_partition_config_static_selectorELNS0_4arch9wavefront6targetE1EEEvSL_.kd
    .uniform_work_group_size: 1
    .uses_dynamic_stack: false
    .vgpr_count:     0
    .vgpr_spill_count: 0
    .wavefront_size: 64
  - .agpr_count:     0
    .args:
      - .offset:         0
        .size:           40
        .value_kind:     by_value
    .group_segment_fixed_size: 0
    .kernarg_segment_align: 8
    .kernarg_segment_size: 40
    .language:       OpenCL C
    .language_version:
      - 2
      - 0
    .max_flat_workgroup_size: 128
    .name:           _ZN7rocprim17ROCPRIM_400000_NS6detail17trampoline_kernelINS0_14default_configENS1_38merge_sort_block_merge_config_selectorIiNS0_10empty_typeEEEZZNS1_27merge_sort_block_merge_implIS3_N6thrust23THRUST_200600_302600_NS6detail15normal_iteratorINS9_10device_ptrIiEEEEPS5_jNS1_19radix_merge_compareILb0ELb1EiNS0_19identity_decomposerEEEEE10hipError_tT0_T1_T2_jT3_P12ihipStream_tbPNSt15iterator_traitsISK_E10value_typeEPNSQ_ISL_E10value_typeEPSM_NS1_7vsmem_tEENKUlT_SK_SL_SM_E_clISE_PiSF_SF_EESJ_SZ_SK_SL_SM_EUlSZ_E_NS1_11comp_targetILNS1_3genE9ELNS1_11target_archE1100ELNS1_3gpuE3ELNS1_3repE0EEENS1_48merge_mergepath_partition_config_static_selectorELNS0_4arch9wavefront6targetE1EEEvSL_
    .private_segment_fixed_size: 0
    .sgpr_count:     6
    .sgpr_spill_count: 0
    .symbol:         _ZN7rocprim17ROCPRIM_400000_NS6detail17trampoline_kernelINS0_14default_configENS1_38merge_sort_block_merge_config_selectorIiNS0_10empty_typeEEEZZNS1_27merge_sort_block_merge_implIS3_N6thrust23THRUST_200600_302600_NS6detail15normal_iteratorINS9_10device_ptrIiEEEEPS5_jNS1_19radix_merge_compareILb0ELb1EiNS0_19identity_decomposerEEEEE10hipError_tT0_T1_T2_jT3_P12ihipStream_tbPNSt15iterator_traitsISK_E10value_typeEPNSQ_ISL_E10value_typeEPSM_NS1_7vsmem_tEENKUlT_SK_SL_SM_E_clISE_PiSF_SF_EESJ_SZ_SK_SL_SM_EUlSZ_E_NS1_11comp_targetILNS1_3genE9ELNS1_11target_archE1100ELNS1_3gpuE3ELNS1_3repE0EEENS1_48merge_mergepath_partition_config_static_selectorELNS0_4arch9wavefront6targetE1EEEvSL_.kd
    .uniform_work_group_size: 1
    .uses_dynamic_stack: false
    .vgpr_count:     0
    .vgpr_spill_count: 0
    .wavefront_size: 64
  - .agpr_count:     0
    .args:
      - .offset:         0
        .size:           40
        .value_kind:     by_value
    .group_segment_fixed_size: 0
    .kernarg_segment_align: 8
    .kernarg_segment_size: 40
    .language:       OpenCL C
    .language_version:
      - 2
      - 0
    .max_flat_workgroup_size: 128
    .name:           _ZN7rocprim17ROCPRIM_400000_NS6detail17trampoline_kernelINS0_14default_configENS1_38merge_sort_block_merge_config_selectorIiNS0_10empty_typeEEEZZNS1_27merge_sort_block_merge_implIS3_N6thrust23THRUST_200600_302600_NS6detail15normal_iteratorINS9_10device_ptrIiEEEEPS5_jNS1_19radix_merge_compareILb0ELb1EiNS0_19identity_decomposerEEEEE10hipError_tT0_T1_T2_jT3_P12ihipStream_tbPNSt15iterator_traitsISK_E10value_typeEPNSQ_ISL_E10value_typeEPSM_NS1_7vsmem_tEENKUlT_SK_SL_SM_E_clISE_PiSF_SF_EESJ_SZ_SK_SL_SM_EUlSZ_E_NS1_11comp_targetILNS1_3genE8ELNS1_11target_archE1030ELNS1_3gpuE2ELNS1_3repE0EEENS1_48merge_mergepath_partition_config_static_selectorELNS0_4arch9wavefront6targetE1EEEvSL_
    .private_segment_fixed_size: 0
    .sgpr_count:     6
    .sgpr_spill_count: 0
    .symbol:         _ZN7rocprim17ROCPRIM_400000_NS6detail17trampoline_kernelINS0_14default_configENS1_38merge_sort_block_merge_config_selectorIiNS0_10empty_typeEEEZZNS1_27merge_sort_block_merge_implIS3_N6thrust23THRUST_200600_302600_NS6detail15normal_iteratorINS9_10device_ptrIiEEEEPS5_jNS1_19radix_merge_compareILb0ELb1EiNS0_19identity_decomposerEEEEE10hipError_tT0_T1_T2_jT3_P12ihipStream_tbPNSt15iterator_traitsISK_E10value_typeEPNSQ_ISL_E10value_typeEPSM_NS1_7vsmem_tEENKUlT_SK_SL_SM_E_clISE_PiSF_SF_EESJ_SZ_SK_SL_SM_EUlSZ_E_NS1_11comp_targetILNS1_3genE8ELNS1_11target_archE1030ELNS1_3gpuE2ELNS1_3repE0EEENS1_48merge_mergepath_partition_config_static_selectorELNS0_4arch9wavefront6targetE1EEEvSL_.kd
    .uniform_work_group_size: 1
    .uses_dynamic_stack: false
    .vgpr_count:     0
    .vgpr_spill_count: 0
    .wavefront_size: 64
  - .agpr_count:     0
    .args:
      - .offset:         0
        .size:           64
        .value_kind:     by_value
      - .offset:         64
        .size:           4
        .value_kind:     hidden_block_count_x
      - .offset:         68
        .size:           4
        .value_kind:     hidden_block_count_y
      - .offset:         72
        .size:           4
        .value_kind:     hidden_block_count_z
      - .offset:         76
        .size:           2
        .value_kind:     hidden_group_size_x
      - .offset:         78
        .size:           2
        .value_kind:     hidden_group_size_y
      - .offset:         80
        .size:           2
        .value_kind:     hidden_group_size_z
      - .offset:         82
        .size:           2
        .value_kind:     hidden_remainder_x
      - .offset:         84
        .size:           2
        .value_kind:     hidden_remainder_y
      - .offset:         86
        .size:           2
        .value_kind:     hidden_remainder_z
      - .offset:         104
        .size:           8
        .value_kind:     hidden_global_offset_x
      - .offset:         112
        .size:           8
        .value_kind:     hidden_global_offset_y
      - .offset:         120
        .size:           8
        .value_kind:     hidden_global_offset_z
      - .offset:         128
        .size:           2
        .value_kind:     hidden_grid_dims
    .group_segment_fixed_size: 4224
    .kernarg_segment_align: 8
    .kernarg_segment_size: 320
    .language:       OpenCL C
    .language_version:
      - 2
      - 0
    .max_flat_workgroup_size: 128
    .name:           _ZN7rocprim17ROCPRIM_400000_NS6detail17trampoline_kernelINS0_14default_configENS1_38merge_sort_block_merge_config_selectorIiNS0_10empty_typeEEEZZNS1_27merge_sort_block_merge_implIS3_N6thrust23THRUST_200600_302600_NS6detail15normal_iteratorINS9_10device_ptrIiEEEEPS5_jNS1_19radix_merge_compareILb0ELb1EiNS0_19identity_decomposerEEEEE10hipError_tT0_T1_T2_jT3_P12ihipStream_tbPNSt15iterator_traitsISK_E10value_typeEPNSQ_ISL_E10value_typeEPSM_NS1_7vsmem_tEENKUlT_SK_SL_SM_E_clISE_PiSF_SF_EESJ_SZ_SK_SL_SM_EUlSZ_E0_NS1_11comp_targetILNS1_3genE0ELNS1_11target_archE4294967295ELNS1_3gpuE0ELNS1_3repE0EEENS1_38merge_mergepath_config_static_selectorELNS0_4arch9wavefront6targetE1EEEvSL_
    .private_segment_fixed_size: 0
    .sgpr_count:     31
    .sgpr_spill_count: 0
    .symbol:         _ZN7rocprim17ROCPRIM_400000_NS6detail17trampoline_kernelINS0_14default_configENS1_38merge_sort_block_merge_config_selectorIiNS0_10empty_typeEEEZZNS1_27merge_sort_block_merge_implIS3_N6thrust23THRUST_200600_302600_NS6detail15normal_iteratorINS9_10device_ptrIiEEEEPS5_jNS1_19radix_merge_compareILb0ELb1EiNS0_19identity_decomposerEEEEE10hipError_tT0_T1_T2_jT3_P12ihipStream_tbPNSt15iterator_traitsISK_E10value_typeEPNSQ_ISL_E10value_typeEPSM_NS1_7vsmem_tEENKUlT_SK_SL_SM_E_clISE_PiSF_SF_EESJ_SZ_SK_SL_SM_EUlSZ_E0_NS1_11comp_targetILNS1_3genE0ELNS1_11target_archE4294967295ELNS1_3gpuE0ELNS1_3repE0EEENS1_38merge_mergepath_config_static_selectorELNS0_4arch9wavefront6targetE1EEEvSL_.kd
    .uniform_work_group_size: 1
    .uses_dynamic_stack: false
    .vgpr_count:     26
    .vgpr_spill_count: 0
    .wavefront_size: 64
  - .agpr_count:     0
    .args:
      - .offset:         0
        .size:           64
        .value_kind:     by_value
    .group_segment_fixed_size: 0
    .kernarg_segment_align: 8
    .kernarg_segment_size: 64
    .language:       OpenCL C
    .language_version:
      - 2
      - 0
    .max_flat_workgroup_size: 256
    .name:           _ZN7rocprim17ROCPRIM_400000_NS6detail17trampoline_kernelINS0_14default_configENS1_38merge_sort_block_merge_config_selectorIiNS0_10empty_typeEEEZZNS1_27merge_sort_block_merge_implIS3_N6thrust23THRUST_200600_302600_NS6detail15normal_iteratorINS9_10device_ptrIiEEEEPS5_jNS1_19radix_merge_compareILb0ELb1EiNS0_19identity_decomposerEEEEE10hipError_tT0_T1_T2_jT3_P12ihipStream_tbPNSt15iterator_traitsISK_E10value_typeEPNSQ_ISL_E10value_typeEPSM_NS1_7vsmem_tEENKUlT_SK_SL_SM_E_clISE_PiSF_SF_EESJ_SZ_SK_SL_SM_EUlSZ_E0_NS1_11comp_targetILNS1_3genE10ELNS1_11target_archE1201ELNS1_3gpuE5ELNS1_3repE0EEENS1_38merge_mergepath_config_static_selectorELNS0_4arch9wavefront6targetE1EEEvSL_
    .private_segment_fixed_size: 0
    .sgpr_count:     6
    .sgpr_spill_count: 0
    .symbol:         _ZN7rocprim17ROCPRIM_400000_NS6detail17trampoline_kernelINS0_14default_configENS1_38merge_sort_block_merge_config_selectorIiNS0_10empty_typeEEEZZNS1_27merge_sort_block_merge_implIS3_N6thrust23THRUST_200600_302600_NS6detail15normal_iteratorINS9_10device_ptrIiEEEEPS5_jNS1_19radix_merge_compareILb0ELb1EiNS0_19identity_decomposerEEEEE10hipError_tT0_T1_T2_jT3_P12ihipStream_tbPNSt15iterator_traitsISK_E10value_typeEPNSQ_ISL_E10value_typeEPSM_NS1_7vsmem_tEENKUlT_SK_SL_SM_E_clISE_PiSF_SF_EESJ_SZ_SK_SL_SM_EUlSZ_E0_NS1_11comp_targetILNS1_3genE10ELNS1_11target_archE1201ELNS1_3gpuE5ELNS1_3repE0EEENS1_38merge_mergepath_config_static_selectorELNS0_4arch9wavefront6targetE1EEEvSL_.kd
    .uniform_work_group_size: 1
    .uses_dynamic_stack: false
    .vgpr_count:     0
    .vgpr_spill_count: 0
    .wavefront_size: 64
  - .agpr_count:     0
    .args:
      - .offset:         0
        .size:           64
        .value_kind:     by_value
    .group_segment_fixed_size: 0
    .kernarg_segment_align: 8
    .kernarg_segment_size: 64
    .language:       OpenCL C
    .language_version:
      - 2
      - 0
    .max_flat_workgroup_size: 128
    .name:           _ZN7rocprim17ROCPRIM_400000_NS6detail17trampoline_kernelINS0_14default_configENS1_38merge_sort_block_merge_config_selectorIiNS0_10empty_typeEEEZZNS1_27merge_sort_block_merge_implIS3_N6thrust23THRUST_200600_302600_NS6detail15normal_iteratorINS9_10device_ptrIiEEEEPS5_jNS1_19radix_merge_compareILb0ELb1EiNS0_19identity_decomposerEEEEE10hipError_tT0_T1_T2_jT3_P12ihipStream_tbPNSt15iterator_traitsISK_E10value_typeEPNSQ_ISL_E10value_typeEPSM_NS1_7vsmem_tEENKUlT_SK_SL_SM_E_clISE_PiSF_SF_EESJ_SZ_SK_SL_SM_EUlSZ_E0_NS1_11comp_targetILNS1_3genE5ELNS1_11target_archE942ELNS1_3gpuE9ELNS1_3repE0EEENS1_38merge_mergepath_config_static_selectorELNS0_4arch9wavefront6targetE1EEEvSL_
    .private_segment_fixed_size: 0
    .sgpr_count:     6
    .sgpr_spill_count: 0
    .symbol:         _ZN7rocprim17ROCPRIM_400000_NS6detail17trampoline_kernelINS0_14default_configENS1_38merge_sort_block_merge_config_selectorIiNS0_10empty_typeEEEZZNS1_27merge_sort_block_merge_implIS3_N6thrust23THRUST_200600_302600_NS6detail15normal_iteratorINS9_10device_ptrIiEEEEPS5_jNS1_19radix_merge_compareILb0ELb1EiNS0_19identity_decomposerEEEEE10hipError_tT0_T1_T2_jT3_P12ihipStream_tbPNSt15iterator_traitsISK_E10value_typeEPNSQ_ISL_E10value_typeEPSM_NS1_7vsmem_tEENKUlT_SK_SL_SM_E_clISE_PiSF_SF_EESJ_SZ_SK_SL_SM_EUlSZ_E0_NS1_11comp_targetILNS1_3genE5ELNS1_11target_archE942ELNS1_3gpuE9ELNS1_3repE0EEENS1_38merge_mergepath_config_static_selectorELNS0_4arch9wavefront6targetE1EEEvSL_.kd
    .uniform_work_group_size: 1
    .uses_dynamic_stack: false
    .vgpr_count:     0
    .vgpr_spill_count: 0
    .wavefront_size: 64
  - .agpr_count:     0
    .args:
      - .offset:         0
        .size:           64
        .value_kind:     by_value
    .group_segment_fixed_size: 0
    .kernarg_segment_align: 8
    .kernarg_segment_size: 64
    .language:       OpenCL C
    .language_version:
      - 2
      - 0
    .max_flat_workgroup_size: 128
    .name:           _ZN7rocprim17ROCPRIM_400000_NS6detail17trampoline_kernelINS0_14default_configENS1_38merge_sort_block_merge_config_selectorIiNS0_10empty_typeEEEZZNS1_27merge_sort_block_merge_implIS3_N6thrust23THRUST_200600_302600_NS6detail15normal_iteratorINS9_10device_ptrIiEEEEPS5_jNS1_19radix_merge_compareILb0ELb1EiNS0_19identity_decomposerEEEEE10hipError_tT0_T1_T2_jT3_P12ihipStream_tbPNSt15iterator_traitsISK_E10value_typeEPNSQ_ISL_E10value_typeEPSM_NS1_7vsmem_tEENKUlT_SK_SL_SM_E_clISE_PiSF_SF_EESJ_SZ_SK_SL_SM_EUlSZ_E0_NS1_11comp_targetILNS1_3genE4ELNS1_11target_archE910ELNS1_3gpuE8ELNS1_3repE0EEENS1_38merge_mergepath_config_static_selectorELNS0_4arch9wavefront6targetE1EEEvSL_
    .private_segment_fixed_size: 0
    .sgpr_count:     6
    .sgpr_spill_count: 0
    .symbol:         _ZN7rocprim17ROCPRIM_400000_NS6detail17trampoline_kernelINS0_14default_configENS1_38merge_sort_block_merge_config_selectorIiNS0_10empty_typeEEEZZNS1_27merge_sort_block_merge_implIS3_N6thrust23THRUST_200600_302600_NS6detail15normal_iteratorINS9_10device_ptrIiEEEEPS5_jNS1_19radix_merge_compareILb0ELb1EiNS0_19identity_decomposerEEEEE10hipError_tT0_T1_T2_jT3_P12ihipStream_tbPNSt15iterator_traitsISK_E10value_typeEPNSQ_ISL_E10value_typeEPSM_NS1_7vsmem_tEENKUlT_SK_SL_SM_E_clISE_PiSF_SF_EESJ_SZ_SK_SL_SM_EUlSZ_E0_NS1_11comp_targetILNS1_3genE4ELNS1_11target_archE910ELNS1_3gpuE8ELNS1_3repE0EEENS1_38merge_mergepath_config_static_selectorELNS0_4arch9wavefront6targetE1EEEvSL_.kd
    .uniform_work_group_size: 1
    .uses_dynamic_stack: false
    .vgpr_count:     0
    .vgpr_spill_count: 0
    .wavefront_size: 64
  - .agpr_count:     0
    .args:
      - .offset:         0
        .size:           64
        .value_kind:     by_value
    .group_segment_fixed_size: 0
    .kernarg_segment_align: 8
    .kernarg_segment_size: 64
    .language:       OpenCL C
    .language_version:
      - 2
      - 0
    .max_flat_workgroup_size: 128
    .name:           _ZN7rocprim17ROCPRIM_400000_NS6detail17trampoline_kernelINS0_14default_configENS1_38merge_sort_block_merge_config_selectorIiNS0_10empty_typeEEEZZNS1_27merge_sort_block_merge_implIS3_N6thrust23THRUST_200600_302600_NS6detail15normal_iteratorINS9_10device_ptrIiEEEEPS5_jNS1_19radix_merge_compareILb0ELb1EiNS0_19identity_decomposerEEEEE10hipError_tT0_T1_T2_jT3_P12ihipStream_tbPNSt15iterator_traitsISK_E10value_typeEPNSQ_ISL_E10value_typeEPSM_NS1_7vsmem_tEENKUlT_SK_SL_SM_E_clISE_PiSF_SF_EESJ_SZ_SK_SL_SM_EUlSZ_E0_NS1_11comp_targetILNS1_3genE3ELNS1_11target_archE908ELNS1_3gpuE7ELNS1_3repE0EEENS1_38merge_mergepath_config_static_selectorELNS0_4arch9wavefront6targetE1EEEvSL_
    .private_segment_fixed_size: 0
    .sgpr_count:     6
    .sgpr_spill_count: 0
    .symbol:         _ZN7rocprim17ROCPRIM_400000_NS6detail17trampoline_kernelINS0_14default_configENS1_38merge_sort_block_merge_config_selectorIiNS0_10empty_typeEEEZZNS1_27merge_sort_block_merge_implIS3_N6thrust23THRUST_200600_302600_NS6detail15normal_iteratorINS9_10device_ptrIiEEEEPS5_jNS1_19radix_merge_compareILb0ELb1EiNS0_19identity_decomposerEEEEE10hipError_tT0_T1_T2_jT3_P12ihipStream_tbPNSt15iterator_traitsISK_E10value_typeEPNSQ_ISL_E10value_typeEPSM_NS1_7vsmem_tEENKUlT_SK_SL_SM_E_clISE_PiSF_SF_EESJ_SZ_SK_SL_SM_EUlSZ_E0_NS1_11comp_targetILNS1_3genE3ELNS1_11target_archE908ELNS1_3gpuE7ELNS1_3repE0EEENS1_38merge_mergepath_config_static_selectorELNS0_4arch9wavefront6targetE1EEEvSL_.kd
    .uniform_work_group_size: 1
    .uses_dynamic_stack: false
    .vgpr_count:     0
    .vgpr_spill_count: 0
    .wavefront_size: 64
  - .agpr_count:     0
    .args:
      - .offset:         0
        .size:           64
        .value_kind:     by_value
    .group_segment_fixed_size: 0
    .kernarg_segment_align: 8
    .kernarg_segment_size: 64
    .language:       OpenCL C
    .language_version:
      - 2
      - 0
    .max_flat_workgroup_size: 128
    .name:           _ZN7rocprim17ROCPRIM_400000_NS6detail17trampoline_kernelINS0_14default_configENS1_38merge_sort_block_merge_config_selectorIiNS0_10empty_typeEEEZZNS1_27merge_sort_block_merge_implIS3_N6thrust23THRUST_200600_302600_NS6detail15normal_iteratorINS9_10device_ptrIiEEEEPS5_jNS1_19radix_merge_compareILb0ELb1EiNS0_19identity_decomposerEEEEE10hipError_tT0_T1_T2_jT3_P12ihipStream_tbPNSt15iterator_traitsISK_E10value_typeEPNSQ_ISL_E10value_typeEPSM_NS1_7vsmem_tEENKUlT_SK_SL_SM_E_clISE_PiSF_SF_EESJ_SZ_SK_SL_SM_EUlSZ_E0_NS1_11comp_targetILNS1_3genE2ELNS1_11target_archE906ELNS1_3gpuE6ELNS1_3repE0EEENS1_38merge_mergepath_config_static_selectorELNS0_4arch9wavefront6targetE1EEEvSL_
    .private_segment_fixed_size: 0
    .sgpr_count:     6
    .sgpr_spill_count: 0
    .symbol:         _ZN7rocprim17ROCPRIM_400000_NS6detail17trampoline_kernelINS0_14default_configENS1_38merge_sort_block_merge_config_selectorIiNS0_10empty_typeEEEZZNS1_27merge_sort_block_merge_implIS3_N6thrust23THRUST_200600_302600_NS6detail15normal_iteratorINS9_10device_ptrIiEEEEPS5_jNS1_19radix_merge_compareILb0ELb1EiNS0_19identity_decomposerEEEEE10hipError_tT0_T1_T2_jT3_P12ihipStream_tbPNSt15iterator_traitsISK_E10value_typeEPNSQ_ISL_E10value_typeEPSM_NS1_7vsmem_tEENKUlT_SK_SL_SM_E_clISE_PiSF_SF_EESJ_SZ_SK_SL_SM_EUlSZ_E0_NS1_11comp_targetILNS1_3genE2ELNS1_11target_archE906ELNS1_3gpuE6ELNS1_3repE0EEENS1_38merge_mergepath_config_static_selectorELNS0_4arch9wavefront6targetE1EEEvSL_.kd
    .uniform_work_group_size: 1
    .uses_dynamic_stack: false
    .vgpr_count:     0
    .vgpr_spill_count: 0
    .wavefront_size: 64
  - .agpr_count:     0
    .args:
      - .offset:         0
        .size:           64
        .value_kind:     by_value
    .group_segment_fixed_size: 0
    .kernarg_segment_align: 8
    .kernarg_segment_size: 64
    .language:       OpenCL C
    .language_version:
      - 2
      - 0
    .max_flat_workgroup_size: 256
    .name:           _ZN7rocprim17ROCPRIM_400000_NS6detail17trampoline_kernelINS0_14default_configENS1_38merge_sort_block_merge_config_selectorIiNS0_10empty_typeEEEZZNS1_27merge_sort_block_merge_implIS3_N6thrust23THRUST_200600_302600_NS6detail15normal_iteratorINS9_10device_ptrIiEEEEPS5_jNS1_19radix_merge_compareILb0ELb1EiNS0_19identity_decomposerEEEEE10hipError_tT0_T1_T2_jT3_P12ihipStream_tbPNSt15iterator_traitsISK_E10value_typeEPNSQ_ISL_E10value_typeEPSM_NS1_7vsmem_tEENKUlT_SK_SL_SM_E_clISE_PiSF_SF_EESJ_SZ_SK_SL_SM_EUlSZ_E0_NS1_11comp_targetILNS1_3genE9ELNS1_11target_archE1100ELNS1_3gpuE3ELNS1_3repE0EEENS1_38merge_mergepath_config_static_selectorELNS0_4arch9wavefront6targetE1EEEvSL_
    .private_segment_fixed_size: 0
    .sgpr_count:     6
    .sgpr_spill_count: 0
    .symbol:         _ZN7rocprim17ROCPRIM_400000_NS6detail17trampoline_kernelINS0_14default_configENS1_38merge_sort_block_merge_config_selectorIiNS0_10empty_typeEEEZZNS1_27merge_sort_block_merge_implIS3_N6thrust23THRUST_200600_302600_NS6detail15normal_iteratorINS9_10device_ptrIiEEEEPS5_jNS1_19radix_merge_compareILb0ELb1EiNS0_19identity_decomposerEEEEE10hipError_tT0_T1_T2_jT3_P12ihipStream_tbPNSt15iterator_traitsISK_E10value_typeEPNSQ_ISL_E10value_typeEPSM_NS1_7vsmem_tEENKUlT_SK_SL_SM_E_clISE_PiSF_SF_EESJ_SZ_SK_SL_SM_EUlSZ_E0_NS1_11comp_targetILNS1_3genE9ELNS1_11target_archE1100ELNS1_3gpuE3ELNS1_3repE0EEENS1_38merge_mergepath_config_static_selectorELNS0_4arch9wavefront6targetE1EEEvSL_.kd
    .uniform_work_group_size: 1
    .uses_dynamic_stack: false
    .vgpr_count:     0
    .vgpr_spill_count: 0
    .wavefront_size: 64
  - .agpr_count:     0
    .args:
      - .offset:         0
        .size:           64
        .value_kind:     by_value
    .group_segment_fixed_size: 0
    .kernarg_segment_align: 8
    .kernarg_segment_size: 64
    .language:       OpenCL C
    .language_version:
      - 2
      - 0
    .max_flat_workgroup_size: 512
    .name:           _ZN7rocprim17ROCPRIM_400000_NS6detail17trampoline_kernelINS0_14default_configENS1_38merge_sort_block_merge_config_selectorIiNS0_10empty_typeEEEZZNS1_27merge_sort_block_merge_implIS3_N6thrust23THRUST_200600_302600_NS6detail15normal_iteratorINS9_10device_ptrIiEEEEPS5_jNS1_19radix_merge_compareILb0ELb1EiNS0_19identity_decomposerEEEEE10hipError_tT0_T1_T2_jT3_P12ihipStream_tbPNSt15iterator_traitsISK_E10value_typeEPNSQ_ISL_E10value_typeEPSM_NS1_7vsmem_tEENKUlT_SK_SL_SM_E_clISE_PiSF_SF_EESJ_SZ_SK_SL_SM_EUlSZ_E0_NS1_11comp_targetILNS1_3genE8ELNS1_11target_archE1030ELNS1_3gpuE2ELNS1_3repE0EEENS1_38merge_mergepath_config_static_selectorELNS0_4arch9wavefront6targetE1EEEvSL_
    .private_segment_fixed_size: 0
    .sgpr_count:     6
    .sgpr_spill_count: 0
    .symbol:         _ZN7rocprim17ROCPRIM_400000_NS6detail17trampoline_kernelINS0_14default_configENS1_38merge_sort_block_merge_config_selectorIiNS0_10empty_typeEEEZZNS1_27merge_sort_block_merge_implIS3_N6thrust23THRUST_200600_302600_NS6detail15normal_iteratorINS9_10device_ptrIiEEEEPS5_jNS1_19radix_merge_compareILb0ELb1EiNS0_19identity_decomposerEEEEE10hipError_tT0_T1_T2_jT3_P12ihipStream_tbPNSt15iterator_traitsISK_E10value_typeEPNSQ_ISL_E10value_typeEPSM_NS1_7vsmem_tEENKUlT_SK_SL_SM_E_clISE_PiSF_SF_EESJ_SZ_SK_SL_SM_EUlSZ_E0_NS1_11comp_targetILNS1_3genE8ELNS1_11target_archE1030ELNS1_3gpuE2ELNS1_3repE0EEENS1_38merge_mergepath_config_static_selectorELNS0_4arch9wavefront6targetE1EEEvSL_.kd
    .uniform_work_group_size: 1
    .uses_dynamic_stack: false
    .vgpr_count:     0
    .vgpr_spill_count: 0
    .wavefront_size: 64
  - .agpr_count:     0
    .args:
      - .offset:         0
        .size:           48
        .value_kind:     by_value
    .group_segment_fixed_size: 0
    .kernarg_segment_align: 8
    .kernarg_segment_size: 48
    .language:       OpenCL C
    .language_version:
      - 2
      - 0
    .max_flat_workgroup_size: 256
    .name:           _ZN7rocprim17ROCPRIM_400000_NS6detail17trampoline_kernelINS0_14default_configENS1_38merge_sort_block_merge_config_selectorIiNS0_10empty_typeEEEZZNS1_27merge_sort_block_merge_implIS3_N6thrust23THRUST_200600_302600_NS6detail15normal_iteratorINS9_10device_ptrIiEEEEPS5_jNS1_19radix_merge_compareILb0ELb1EiNS0_19identity_decomposerEEEEE10hipError_tT0_T1_T2_jT3_P12ihipStream_tbPNSt15iterator_traitsISK_E10value_typeEPNSQ_ISL_E10value_typeEPSM_NS1_7vsmem_tEENKUlT_SK_SL_SM_E_clISE_PiSF_SF_EESJ_SZ_SK_SL_SM_EUlSZ_E1_NS1_11comp_targetILNS1_3genE0ELNS1_11target_archE4294967295ELNS1_3gpuE0ELNS1_3repE0EEENS1_36merge_oddeven_config_static_selectorELNS0_4arch9wavefront6targetE1EEEvSL_
    .private_segment_fixed_size: 0
    .sgpr_count:     27
    .sgpr_spill_count: 0
    .symbol:         _ZN7rocprim17ROCPRIM_400000_NS6detail17trampoline_kernelINS0_14default_configENS1_38merge_sort_block_merge_config_selectorIiNS0_10empty_typeEEEZZNS1_27merge_sort_block_merge_implIS3_N6thrust23THRUST_200600_302600_NS6detail15normal_iteratorINS9_10device_ptrIiEEEEPS5_jNS1_19radix_merge_compareILb0ELb1EiNS0_19identity_decomposerEEEEE10hipError_tT0_T1_T2_jT3_P12ihipStream_tbPNSt15iterator_traitsISK_E10value_typeEPNSQ_ISL_E10value_typeEPSM_NS1_7vsmem_tEENKUlT_SK_SL_SM_E_clISE_PiSF_SF_EESJ_SZ_SK_SL_SM_EUlSZ_E1_NS1_11comp_targetILNS1_3genE0ELNS1_11target_archE4294967295ELNS1_3gpuE0ELNS1_3repE0EEENS1_36merge_oddeven_config_static_selectorELNS0_4arch9wavefront6targetE1EEEvSL_.kd
    .uniform_work_group_size: 1
    .uses_dynamic_stack: false
    .vgpr_count:     10
    .vgpr_spill_count: 0
    .wavefront_size: 64
  - .agpr_count:     0
    .args:
      - .offset:         0
        .size:           48
        .value_kind:     by_value
    .group_segment_fixed_size: 0
    .kernarg_segment_align: 8
    .kernarg_segment_size: 48
    .language:       OpenCL C
    .language_version:
      - 2
      - 0
    .max_flat_workgroup_size: 256
    .name:           _ZN7rocprim17ROCPRIM_400000_NS6detail17trampoline_kernelINS0_14default_configENS1_38merge_sort_block_merge_config_selectorIiNS0_10empty_typeEEEZZNS1_27merge_sort_block_merge_implIS3_N6thrust23THRUST_200600_302600_NS6detail15normal_iteratorINS9_10device_ptrIiEEEEPS5_jNS1_19radix_merge_compareILb0ELb1EiNS0_19identity_decomposerEEEEE10hipError_tT0_T1_T2_jT3_P12ihipStream_tbPNSt15iterator_traitsISK_E10value_typeEPNSQ_ISL_E10value_typeEPSM_NS1_7vsmem_tEENKUlT_SK_SL_SM_E_clISE_PiSF_SF_EESJ_SZ_SK_SL_SM_EUlSZ_E1_NS1_11comp_targetILNS1_3genE10ELNS1_11target_archE1201ELNS1_3gpuE5ELNS1_3repE0EEENS1_36merge_oddeven_config_static_selectorELNS0_4arch9wavefront6targetE1EEEvSL_
    .private_segment_fixed_size: 0
    .sgpr_count:     6
    .sgpr_spill_count: 0
    .symbol:         _ZN7rocprim17ROCPRIM_400000_NS6detail17trampoline_kernelINS0_14default_configENS1_38merge_sort_block_merge_config_selectorIiNS0_10empty_typeEEEZZNS1_27merge_sort_block_merge_implIS3_N6thrust23THRUST_200600_302600_NS6detail15normal_iteratorINS9_10device_ptrIiEEEEPS5_jNS1_19radix_merge_compareILb0ELb1EiNS0_19identity_decomposerEEEEE10hipError_tT0_T1_T2_jT3_P12ihipStream_tbPNSt15iterator_traitsISK_E10value_typeEPNSQ_ISL_E10value_typeEPSM_NS1_7vsmem_tEENKUlT_SK_SL_SM_E_clISE_PiSF_SF_EESJ_SZ_SK_SL_SM_EUlSZ_E1_NS1_11comp_targetILNS1_3genE10ELNS1_11target_archE1201ELNS1_3gpuE5ELNS1_3repE0EEENS1_36merge_oddeven_config_static_selectorELNS0_4arch9wavefront6targetE1EEEvSL_.kd
    .uniform_work_group_size: 1
    .uses_dynamic_stack: false
    .vgpr_count:     0
    .vgpr_spill_count: 0
    .wavefront_size: 64
  - .agpr_count:     0
    .args:
      - .offset:         0
        .size:           48
        .value_kind:     by_value
    .group_segment_fixed_size: 0
    .kernarg_segment_align: 8
    .kernarg_segment_size: 48
    .language:       OpenCL C
    .language_version:
      - 2
      - 0
    .max_flat_workgroup_size: 256
    .name:           _ZN7rocprim17ROCPRIM_400000_NS6detail17trampoline_kernelINS0_14default_configENS1_38merge_sort_block_merge_config_selectorIiNS0_10empty_typeEEEZZNS1_27merge_sort_block_merge_implIS3_N6thrust23THRUST_200600_302600_NS6detail15normal_iteratorINS9_10device_ptrIiEEEEPS5_jNS1_19radix_merge_compareILb0ELb1EiNS0_19identity_decomposerEEEEE10hipError_tT0_T1_T2_jT3_P12ihipStream_tbPNSt15iterator_traitsISK_E10value_typeEPNSQ_ISL_E10value_typeEPSM_NS1_7vsmem_tEENKUlT_SK_SL_SM_E_clISE_PiSF_SF_EESJ_SZ_SK_SL_SM_EUlSZ_E1_NS1_11comp_targetILNS1_3genE5ELNS1_11target_archE942ELNS1_3gpuE9ELNS1_3repE0EEENS1_36merge_oddeven_config_static_selectorELNS0_4arch9wavefront6targetE1EEEvSL_
    .private_segment_fixed_size: 0
    .sgpr_count:     6
    .sgpr_spill_count: 0
    .symbol:         _ZN7rocprim17ROCPRIM_400000_NS6detail17trampoline_kernelINS0_14default_configENS1_38merge_sort_block_merge_config_selectorIiNS0_10empty_typeEEEZZNS1_27merge_sort_block_merge_implIS3_N6thrust23THRUST_200600_302600_NS6detail15normal_iteratorINS9_10device_ptrIiEEEEPS5_jNS1_19radix_merge_compareILb0ELb1EiNS0_19identity_decomposerEEEEE10hipError_tT0_T1_T2_jT3_P12ihipStream_tbPNSt15iterator_traitsISK_E10value_typeEPNSQ_ISL_E10value_typeEPSM_NS1_7vsmem_tEENKUlT_SK_SL_SM_E_clISE_PiSF_SF_EESJ_SZ_SK_SL_SM_EUlSZ_E1_NS1_11comp_targetILNS1_3genE5ELNS1_11target_archE942ELNS1_3gpuE9ELNS1_3repE0EEENS1_36merge_oddeven_config_static_selectorELNS0_4arch9wavefront6targetE1EEEvSL_.kd
    .uniform_work_group_size: 1
    .uses_dynamic_stack: false
    .vgpr_count:     0
    .vgpr_spill_count: 0
    .wavefront_size: 64
  - .agpr_count:     0
    .args:
      - .offset:         0
        .size:           48
        .value_kind:     by_value
    .group_segment_fixed_size: 0
    .kernarg_segment_align: 8
    .kernarg_segment_size: 48
    .language:       OpenCL C
    .language_version:
      - 2
      - 0
    .max_flat_workgroup_size: 256
    .name:           _ZN7rocprim17ROCPRIM_400000_NS6detail17trampoline_kernelINS0_14default_configENS1_38merge_sort_block_merge_config_selectorIiNS0_10empty_typeEEEZZNS1_27merge_sort_block_merge_implIS3_N6thrust23THRUST_200600_302600_NS6detail15normal_iteratorINS9_10device_ptrIiEEEEPS5_jNS1_19radix_merge_compareILb0ELb1EiNS0_19identity_decomposerEEEEE10hipError_tT0_T1_T2_jT3_P12ihipStream_tbPNSt15iterator_traitsISK_E10value_typeEPNSQ_ISL_E10value_typeEPSM_NS1_7vsmem_tEENKUlT_SK_SL_SM_E_clISE_PiSF_SF_EESJ_SZ_SK_SL_SM_EUlSZ_E1_NS1_11comp_targetILNS1_3genE4ELNS1_11target_archE910ELNS1_3gpuE8ELNS1_3repE0EEENS1_36merge_oddeven_config_static_selectorELNS0_4arch9wavefront6targetE1EEEvSL_
    .private_segment_fixed_size: 0
    .sgpr_count:     6
    .sgpr_spill_count: 0
    .symbol:         _ZN7rocprim17ROCPRIM_400000_NS6detail17trampoline_kernelINS0_14default_configENS1_38merge_sort_block_merge_config_selectorIiNS0_10empty_typeEEEZZNS1_27merge_sort_block_merge_implIS3_N6thrust23THRUST_200600_302600_NS6detail15normal_iteratorINS9_10device_ptrIiEEEEPS5_jNS1_19radix_merge_compareILb0ELb1EiNS0_19identity_decomposerEEEEE10hipError_tT0_T1_T2_jT3_P12ihipStream_tbPNSt15iterator_traitsISK_E10value_typeEPNSQ_ISL_E10value_typeEPSM_NS1_7vsmem_tEENKUlT_SK_SL_SM_E_clISE_PiSF_SF_EESJ_SZ_SK_SL_SM_EUlSZ_E1_NS1_11comp_targetILNS1_3genE4ELNS1_11target_archE910ELNS1_3gpuE8ELNS1_3repE0EEENS1_36merge_oddeven_config_static_selectorELNS0_4arch9wavefront6targetE1EEEvSL_.kd
    .uniform_work_group_size: 1
    .uses_dynamic_stack: false
    .vgpr_count:     0
    .vgpr_spill_count: 0
    .wavefront_size: 64
  - .agpr_count:     0
    .args:
      - .offset:         0
        .size:           48
        .value_kind:     by_value
    .group_segment_fixed_size: 0
    .kernarg_segment_align: 8
    .kernarg_segment_size: 48
    .language:       OpenCL C
    .language_version:
      - 2
      - 0
    .max_flat_workgroup_size: 256
    .name:           _ZN7rocprim17ROCPRIM_400000_NS6detail17trampoline_kernelINS0_14default_configENS1_38merge_sort_block_merge_config_selectorIiNS0_10empty_typeEEEZZNS1_27merge_sort_block_merge_implIS3_N6thrust23THRUST_200600_302600_NS6detail15normal_iteratorINS9_10device_ptrIiEEEEPS5_jNS1_19radix_merge_compareILb0ELb1EiNS0_19identity_decomposerEEEEE10hipError_tT0_T1_T2_jT3_P12ihipStream_tbPNSt15iterator_traitsISK_E10value_typeEPNSQ_ISL_E10value_typeEPSM_NS1_7vsmem_tEENKUlT_SK_SL_SM_E_clISE_PiSF_SF_EESJ_SZ_SK_SL_SM_EUlSZ_E1_NS1_11comp_targetILNS1_3genE3ELNS1_11target_archE908ELNS1_3gpuE7ELNS1_3repE0EEENS1_36merge_oddeven_config_static_selectorELNS0_4arch9wavefront6targetE1EEEvSL_
    .private_segment_fixed_size: 0
    .sgpr_count:     6
    .sgpr_spill_count: 0
    .symbol:         _ZN7rocprim17ROCPRIM_400000_NS6detail17trampoline_kernelINS0_14default_configENS1_38merge_sort_block_merge_config_selectorIiNS0_10empty_typeEEEZZNS1_27merge_sort_block_merge_implIS3_N6thrust23THRUST_200600_302600_NS6detail15normal_iteratorINS9_10device_ptrIiEEEEPS5_jNS1_19radix_merge_compareILb0ELb1EiNS0_19identity_decomposerEEEEE10hipError_tT0_T1_T2_jT3_P12ihipStream_tbPNSt15iterator_traitsISK_E10value_typeEPNSQ_ISL_E10value_typeEPSM_NS1_7vsmem_tEENKUlT_SK_SL_SM_E_clISE_PiSF_SF_EESJ_SZ_SK_SL_SM_EUlSZ_E1_NS1_11comp_targetILNS1_3genE3ELNS1_11target_archE908ELNS1_3gpuE7ELNS1_3repE0EEENS1_36merge_oddeven_config_static_selectorELNS0_4arch9wavefront6targetE1EEEvSL_.kd
    .uniform_work_group_size: 1
    .uses_dynamic_stack: false
    .vgpr_count:     0
    .vgpr_spill_count: 0
    .wavefront_size: 64
  - .agpr_count:     0
    .args:
      - .offset:         0
        .size:           48
        .value_kind:     by_value
    .group_segment_fixed_size: 0
    .kernarg_segment_align: 8
    .kernarg_segment_size: 48
    .language:       OpenCL C
    .language_version:
      - 2
      - 0
    .max_flat_workgroup_size: 256
    .name:           _ZN7rocprim17ROCPRIM_400000_NS6detail17trampoline_kernelINS0_14default_configENS1_38merge_sort_block_merge_config_selectorIiNS0_10empty_typeEEEZZNS1_27merge_sort_block_merge_implIS3_N6thrust23THRUST_200600_302600_NS6detail15normal_iteratorINS9_10device_ptrIiEEEEPS5_jNS1_19radix_merge_compareILb0ELb1EiNS0_19identity_decomposerEEEEE10hipError_tT0_T1_T2_jT3_P12ihipStream_tbPNSt15iterator_traitsISK_E10value_typeEPNSQ_ISL_E10value_typeEPSM_NS1_7vsmem_tEENKUlT_SK_SL_SM_E_clISE_PiSF_SF_EESJ_SZ_SK_SL_SM_EUlSZ_E1_NS1_11comp_targetILNS1_3genE2ELNS1_11target_archE906ELNS1_3gpuE6ELNS1_3repE0EEENS1_36merge_oddeven_config_static_selectorELNS0_4arch9wavefront6targetE1EEEvSL_
    .private_segment_fixed_size: 0
    .sgpr_count:     6
    .sgpr_spill_count: 0
    .symbol:         _ZN7rocprim17ROCPRIM_400000_NS6detail17trampoline_kernelINS0_14default_configENS1_38merge_sort_block_merge_config_selectorIiNS0_10empty_typeEEEZZNS1_27merge_sort_block_merge_implIS3_N6thrust23THRUST_200600_302600_NS6detail15normal_iteratorINS9_10device_ptrIiEEEEPS5_jNS1_19radix_merge_compareILb0ELb1EiNS0_19identity_decomposerEEEEE10hipError_tT0_T1_T2_jT3_P12ihipStream_tbPNSt15iterator_traitsISK_E10value_typeEPNSQ_ISL_E10value_typeEPSM_NS1_7vsmem_tEENKUlT_SK_SL_SM_E_clISE_PiSF_SF_EESJ_SZ_SK_SL_SM_EUlSZ_E1_NS1_11comp_targetILNS1_3genE2ELNS1_11target_archE906ELNS1_3gpuE6ELNS1_3repE0EEENS1_36merge_oddeven_config_static_selectorELNS0_4arch9wavefront6targetE1EEEvSL_.kd
    .uniform_work_group_size: 1
    .uses_dynamic_stack: false
    .vgpr_count:     0
    .vgpr_spill_count: 0
    .wavefront_size: 64
  - .agpr_count:     0
    .args:
      - .offset:         0
        .size:           48
        .value_kind:     by_value
    .group_segment_fixed_size: 0
    .kernarg_segment_align: 8
    .kernarg_segment_size: 48
    .language:       OpenCL C
    .language_version:
      - 2
      - 0
    .max_flat_workgroup_size: 256
    .name:           _ZN7rocprim17ROCPRIM_400000_NS6detail17trampoline_kernelINS0_14default_configENS1_38merge_sort_block_merge_config_selectorIiNS0_10empty_typeEEEZZNS1_27merge_sort_block_merge_implIS3_N6thrust23THRUST_200600_302600_NS6detail15normal_iteratorINS9_10device_ptrIiEEEEPS5_jNS1_19radix_merge_compareILb0ELb1EiNS0_19identity_decomposerEEEEE10hipError_tT0_T1_T2_jT3_P12ihipStream_tbPNSt15iterator_traitsISK_E10value_typeEPNSQ_ISL_E10value_typeEPSM_NS1_7vsmem_tEENKUlT_SK_SL_SM_E_clISE_PiSF_SF_EESJ_SZ_SK_SL_SM_EUlSZ_E1_NS1_11comp_targetILNS1_3genE9ELNS1_11target_archE1100ELNS1_3gpuE3ELNS1_3repE0EEENS1_36merge_oddeven_config_static_selectorELNS0_4arch9wavefront6targetE1EEEvSL_
    .private_segment_fixed_size: 0
    .sgpr_count:     6
    .sgpr_spill_count: 0
    .symbol:         _ZN7rocprim17ROCPRIM_400000_NS6detail17trampoline_kernelINS0_14default_configENS1_38merge_sort_block_merge_config_selectorIiNS0_10empty_typeEEEZZNS1_27merge_sort_block_merge_implIS3_N6thrust23THRUST_200600_302600_NS6detail15normal_iteratorINS9_10device_ptrIiEEEEPS5_jNS1_19radix_merge_compareILb0ELb1EiNS0_19identity_decomposerEEEEE10hipError_tT0_T1_T2_jT3_P12ihipStream_tbPNSt15iterator_traitsISK_E10value_typeEPNSQ_ISL_E10value_typeEPSM_NS1_7vsmem_tEENKUlT_SK_SL_SM_E_clISE_PiSF_SF_EESJ_SZ_SK_SL_SM_EUlSZ_E1_NS1_11comp_targetILNS1_3genE9ELNS1_11target_archE1100ELNS1_3gpuE3ELNS1_3repE0EEENS1_36merge_oddeven_config_static_selectorELNS0_4arch9wavefront6targetE1EEEvSL_.kd
    .uniform_work_group_size: 1
    .uses_dynamic_stack: false
    .vgpr_count:     0
    .vgpr_spill_count: 0
    .wavefront_size: 64
  - .agpr_count:     0
    .args:
      - .offset:         0
        .size:           48
        .value_kind:     by_value
    .group_segment_fixed_size: 0
    .kernarg_segment_align: 8
    .kernarg_segment_size: 48
    .language:       OpenCL C
    .language_version:
      - 2
      - 0
    .max_flat_workgroup_size: 256
    .name:           _ZN7rocprim17ROCPRIM_400000_NS6detail17trampoline_kernelINS0_14default_configENS1_38merge_sort_block_merge_config_selectorIiNS0_10empty_typeEEEZZNS1_27merge_sort_block_merge_implIS3_N6thrust23THRUST_200600_302600_NS6detail15normal_iteratorINS9_10device_ptrIiEEEEPS5_jNS1_19radix_merge_compareILb0ELb1EiNS0_19identity_decomposerEEEEE10hipError_tT0_T1_T2_jT3_P12ihipStream_tbPNSt15iterator_traitsISK_E10value_typeEPNSQ_ISL_E10value_typeEPSM_NS1_7vsmem_tEENKUlT_SK_SL_SM_E_clISE_PiSF_SF_EESJ_SZ_SK_SL_SM_EUlSZ_E1_NS1_11comp_targetILNS1_3genE8ELNS1_11target_archE1030ELNS1_3gpuE2ELNS1_3repE0EEENS1_36merge_oddeven_config_static_selectorELNS0_4arch9wavefront6targetE1EEEvSL_
    .private_segment_fixed_size: 0
    .sgpr_count:     6
    .sgpr_spill_count: 0
    .symbol:         _ZN7rocprim17ROCPRIM_400000_NS6detail17trampoline_kernelINS0_14default_configENS1_38merge_sort_block_merge_config_selectorIiNS0_10empty_typeEEEZZNS1_27merge_sort_block_merge_implIS3_N6thrust23THRUST_200600_302600_NS6detail15normal_iteratorINS9_10device_ptrIiEEEEPS5_jNS1_19radix_merge_compareILb0ELb1EiNS0_19identity_decomposerEEEEE10hipError_tT0_T1_T2_jT3_P12ihipStream_tbPNSt15iterator_traitsISK_E10value_typeEPNSQ_ISL_E10value_typeEPSM_NS1_7vsmem_tEENKUlT_SK_SL_SM_E_clISE_PiSF_SF_EESJ_SZ_SK_SL_SM_EUlSZ_E1_NS1_11comp_targetILNS1_3genE8ELNS1_11target_archE1030ELNS1_3gpuE2ELNS1_3repE0EEENS1_36merge_oddeven_config_static_selectorELNS0_4arch9wavefront6targetE1EEEvSL_.kd
    .uniform_work_group_size: 1
    .uses_dynamic_stack: false
    .vgpr_count:     0
    .vgpr_spill_count: 0
    .wavefront_size: 64
  - .agpr_count:     0
    .args:
      - .offset:         0
        .size:           40
        .value_kind:     by_value
    .group_segment_fixed_size: 0
    .kernarg_segment_align: 8
    .kernarg_segment_size: 40
    .language:       OpenCL C
    .language_version:
      - 2
      - 0
    .max_flat_workgroup_size: 512
    .name:           _ZN7rocprim17ROCPRIM_400000_NS6detail17trampoline_kernelINS0_14default_configENS1_35radix_sort_onesweep_config_selectorIiNS0_10empty_typeEEEZNS1_34radix_sort_onesweep_global_offsetsIS3_Lb0EN6thrust23THRUST_200600_302600_NS6detail15normal_iteratorINS9_10device_ptrIiEEEEPS5_jNS0_19identity_decomposerEEE10hipError_tT1_T2_PT3_SK_jT4_jjP12ihipStream_tbEUlT_E_NS1_11comp_targetILNS1_3genE0ELNS1_11target_archE4294967295ELNS1_3gpuE0ELNS1_3repE0EEENS1_52radix_sort_onesweep_histogram_config_static_selectorELNS0_4arch9wavefront6targetE1EEEvSI_
    .private_segment_fixed_size: 0
    .sgpr_count:     6
    .sgpr_spill_count: 0
    .symbol:         _ZN7rocprim17ROCPRIM_400000_NS6detail17trampoline_kernelINS0_14default_configENS1_35radix_sort_onesweep_config_selectorIiNS0_10empty_typeEEEZNS1_34radix_sort_onesweep_global_offsetsIS3_Lb0EN6thrust23THRUST_200600_302600_NS6detail15normal_iteratorINS9_10device_ptrIiEEEEPS5_jNS0_19identity_decomposerEEE10hipError_tT1_T2_PT3_SK_jT4_jjP12ihipStream_tbEUlT_E_NS1_11comp_targetILNS1_3genE0ELNS1_11target_archE4294967295ELNS1_3gpuE0ELNS1_3repE0EEENS1_52radix_sort_onesweep_histogram_config_static_selectorELNS0_4arch9wavefront6targetE1EEEvSI_.kd
    .uniform_work_group_size: 1
    .uses_dynamic_stack: false
    .vgpr_count:     0
    .vgpr_spill_count: 0
    .wavefront_size: 64
  - .agpr_count:     0
    .args:
      - .offset:         0
        .size:           40
        .value_kind:     by_value
    .group_segment_fixed_size: 16384
    .kernarg_segment_align: 8
    .kernarg_segment_size: 40
    .language:       OpenCL C
    .language_version:
      - 2
      - 0
    .max_flat_workgroup_size: 1024
    .name:           _ZN7rocprim17ROCPRIM_400000_NS6detail17trampoline_kernelINS0_14default_configENS1_35radix_sort_onesweep_config_selectorIiNS0_10empty_typeEEEZNS1_34radix_sort_onesweep_global_offsetsIS3_Lb0EN6thrust23THRUST_200600_302600_NS6detail15normal_iteratorINS9_10device_ptrIiEEEEPS5_jNS0_19identity_decomposerEEE10hipError_tT1_T2_PT3_SK_jT4_jjP12ihipStream_tbEUlT_E_NS1_11comp_targetILNS1_3genE6ELNS1_11target_archE950ELNS1_3gpuE13ELNS1_3repE0EEENS1_52radix_sort_onesweep_histogram_config_static_selectorELNS0_4arch9wavefront6targetE1EEEvSI_
    .private_segment_fixed_size: 0
    .sgpr_count:     25
    .sgpr_spill_count: 0
    .symbol:         _ZN7rocprim17ROCPRIM_400000_NS6detail17trampoline_kernelINS0_14default_configENS1_35radix_sort_onesweep_config_selectorIiNS0_10empty_typeEEEZNS1_34radix_sort_onesweep_global_offsetsIS3_Lb0EN6thrust23THRUST_200600_302600_NS6detail15normal_iteratorINS9_10device_ptrIiEEEEPS5_jNS0_19identity_decomposerEEE10hipError_tT1_T2_PT3_SK_jT4_jjP12ihipStream_tbEUlT_E_NS1_11comp_targetILNS1_3genE6ELNS1_11target_archE950ELNS1_3gpuE13ELNS1_3repE0EEENS1_52radix_sort_onesweep_histogram_config_static_selectorELNS0_4arch9wavefront6targetE1EEEvSI_.kd
    .uniform_work_group_size: 1
    .uses_dynamic_stack: false
    .vgpr_count:     22
    .vgpr_spill_count: 0
    .wavefront_size: 64
  - .agpr_count:     0
    .args:
      - .offset:         0
        .size:           40
        .value_kind:     by_value
    .group_segment_fixed_size: 0
    .kernarg_segment_align: 8
    .kernarg_segment_size: 40
    .language:       OpenCL C
    .language_version:
      - 2
      - 0
    .max_flat_workgroup_size: 1024
    .name:           _ZN7rocprim17ROCPRIM_400000_NS6detail17trampoline_kernelINS0_14default_configENS1_35radix_sort_onesweep_config_selectorIiNS0_10empty_typeEEEZNS1_34radix_sort_onesweep_global_offsetsIS3_Lb0EN6thrust23THRUST_200600_302600_NS6detail15normal_iteratorINS9_10device_ptrIiEEEEPS5_jNS0_19identity_decomposerEEE10hipError_tT1_T2_PT3_SK_jT4_jjP12ihipStream_tbEUlT_E_NS1_11comp_targetILNS1_3genE5ELNS1_11target_archE942ELNS1_3gpuE9ELNS1_3repE0EEENS1_52radix_sort_onesweep_histogram_config_static_selectorELNS0_4arch9wavefront6targetE1EEEvSI_
    .private_segment_fixed_size: 0
    .sgpr_count:     6
    .sgpr_spill_count: 0
    .symbol:         _ZN7rocprim17ROCPRIM_400000_NS6detail17trampoline_kernelINS0_14default_configENS1_35radix_sort_onesweep_config_selectorIiNS0_10empty_typeEEEZNS1_34radix_sort_onesweep_global_offsetsIS3_Lb0EN6thrust23THRUST_200600_302600_NS6detail15normal_iteratorINS9_10device_ptrIiEEEEPS5_jNS0_19identity_decomposerEEE10hipError_tT1_T2_PT3_SK_jT4_jjP12ihipStream_tbEUlT_E_NS1_11comp_targetILNS1_3genE5ELNS1_11target_archE942ELNS1_3gpuE9ELNS1_3repE0EEENS1_52radix_sort_onesweep_histogram_config_static_selectorELNS0_4arch9wavefront6targetE1EEEvSI_.kd
    .uniform_work_group_size: 1
    .uses_dynamic_stack: false
    .vgpr_count:     0
    .vgpr_spill_count: 0
    .wavefront_size: 64
  - .agpr_count:     0
    .args:
      - .offset:         0
        .size:           40
        .value_kind:     by_value
    .group_segment_fixed_size: 0
    .kernarg_segment_align: 8
    .kernarg_segment_size: 40
    .language:       OpenCL C
    .language_version:
      - 2
      - 0
    .max_flat_workgroup_size: 1024
    .name:           _ZN7rocprim17ROCPRIM_400000_NS6detail17trampoline_kernelINS0_14default_configENS1_35radix_sort_onesweep_config_selectorIiNS0_10empty_typeEEEZNS1_34radix_sort_onesweep_global_offsetsIS3_Lb0EN6thrust23THRUST_200600_302600_NS6detail15normal_iteratorINS9_10device_ptrIiEEEEPS5_jNS0_19identity_decomposerEEE10hipError_tT1_T2_PT3_SK_jT4_jjP12ihipStream_tbEUlT_E_NS1_11comp_targetILNS1_3genE2ELNS1_11target_archE906ELNS1_3gpuE6ELNS1_3repE0EEENS1_52radix_sort_onesweep_histogram_config_static_selectorELNS0_4arch9wavefront6targetE1EEEvSI_
    .private_segment_fixed_size: 0
    .sgpr_count:     6
    .sgpr_spill_count: 0
    .symbol:         _ZN7rocprim17ROCPRIM_400000_NS6detail17trampoline_kernelINS0_14default_configENS1_35radix_sort_onesweep_config_selectorIiNS0_10empty_typeEEEZNS1_34radix_sort_onesweep_global_offsetsIS3_Lb0EN6thrust23THRUST_200600_302600_NS6detail15normal_iteratorINS9_10device_ptrIiEEEEPS5_jNS0_19identity_decomposerEEE10hipError_tT1_T2_PT3_SK_jT4_jjP12ihipStream_tbEUlT_E_NS1_11comp_targetILNS1_3genE2ELNS1_11target_archE906ELNS1_3gpuE6ELNS1_3repE0EEENS1_52radix_sort_onesweep_histogram_config_static_selectorELNS0_4arch9wavefront6targetE1EEEvSI_.kd
    .uniform_work_group_size: 1
    .uses_dynamic_stack: false
    .vgpr_count:     0
    .vgpr_spill_count: 0
    .wavefront_size: 64
  - .agpr_count:     0
    .args:
      - .offset:         0
        .size:           40
        .value_kind:     by_value
    .group_segment_fixed_size: 0
    .kernarg_segment_align: 8
    .kernarg_segment_size: 40
    .language:       OpenCL C
    .language_version:
      - 2
      - 0
    .max_flat_workgroup_size: 1024
    .name:           _ZN7rocprim17ROCPRIM_400000_NS6detail17trampoline_kernelINS0_14default_configENS1_35radix_sort_onesweep_config_selectorIiNS0_10empty_typeEEEZNS1_34radix_sort_onesweep_global_offsetsIS3_Lb0EN6thrust23THRUST_200600_302600_NS6detail15normal_iteratorINS9_10device_ptrIiEEEEPS5_jNS0_19identity_decomposerEEE10hipError_tT1_T2_PT3_SK_jT4_jjP12ihipStream_tbEUlT_E_NS1_11comp_targetILNS1_3genE4ELNS1_11target_archE910ELNS1_3gpuE8ELNS1_3repE0EEENS1_52radix_sort_onesweep_histogram_config_static_selectorELNS0_4arch9wavefront6targetE1EEEvSI_
    .private_segment_fixed_size: 0
    .sgpr_count:     6
    .sgpr_spill_count: 0
    .symbol:         _ZN7rocprim17ROCPRIM_400000_NS6detail17trampoline_kernelINS0_14default_configENS1_35radix_sort_onesweep_config_selectorIiNS0_10empty_typeEEEZNS1_34radix_sort_onesweep_global_offsetsIS3_Lb0EN6thrust23THRUST_200600_302600_NS6detail15normal_iteratorINS9_10device_ptrIiEEEEPS5_jNS0_19identity_decomposerEEE10hipError_tT1_T2_PT3_SK_jT4_jjP12ihipStream_tbEUlT_E_NS1_11comp_targetILNS1_3genE4ELNS1_11target_archE910ELNS1_3gpuE8ELNS1_3repE0EEENS1_52radix_sort_onesweep_histogram_config_static_selectorELNS0_4arch9wavefront6targetE1EEEvSI_.kd
    .uniform_work_group_size: 1
    .uses_dynamic_stack: false
    .vgpr_count:     0
    .vgpr_spill_count: 0
    .wavefront_size: 64
  - .agpr_count:     0
    .args:
      - .offset:         0
        .size:           40
        .value_kind:     by_value
    .group_segment_fixed_size: 0
    .kernarg_segment_align: 8
    .kernarg_segment_size: 40
    .language:       OpenCL C
    .language_version:
      - 2
      - 0
    .max_flat_workgroup_size: 512
    .name:           _ZN7rocprim17ROCPRIM_400000_NS6detail17trampoline_kernelINS0_14default_configENS1_35radix_sort_onesweep_config_selectorIiNS0_10empty_typeEEEZNS1_34radix_sort_onesweep_global_offsetsIS3_Lb0EN6thrust23THRUST_200600_302600_NS6detail15normal_iteratorINS9_10device_ptrIiEEEEPS5_jNS0_19identity_decomposerEEE10hipError_tT1_T2_PT3_SK_jT4_jjP12ihipStream_tbEUlT_E_NS1_11comp_targetILNS1_3genE3ELNS1_11target_archE908ELNS1_3gpuE7ELNS1_3repE0EEENS1_52radix_sort_onesweep_histogram_config_static_selectorELNS0_4arch9wavefront6targetE1EEEvSI_
    .private_segment_fixed_size: 0
    .sgpr_count:     6
    .sgpr_spill_count: 0
    .symbol:         _ZN7rocprim17ROCPRIM_400000_NS6detail17trampoline_kernelINS0_14default_configENS1_35radix_sort_onesweep_config_selectorIiNS0_10empty_typeEEEZNS1_34radix_sort_onesweep_global_offsetsIS3_Lb0EN6thrust23THRUST_200600_302600_NS6detail15normal_iteratorINS9_10device_ptrIiEEEEPS5_jNS0_19identity_decomposerEEE10hipError_tT1_T2_PT3_SK_jT4_jjP12ihipStream_tbEUlT_E_NS1_11comp_targetILNS1_3genE3ELNS1_11target_archE908ELNS1_3gpuE7ELNS1_3repE0EEENS1_52radix_sort_onesweep_histogram_config_static_selectorELNS0_4arch9wavefront6targetE1EEEvSI_.kd
    .uniform_work_group_size: 1
    .uses_dynamic_stack: false
    .vgpr_count:     0
    .vgpr_spill_count: 0
    .wavefront_size: 64
  - .agpr_count:     0
    .args:
      - .offset:         0
        .size:           40
        .value_kind:     by_value
    .group_segment_fixed_size: 0
    .kernarg_segment_align: 8
    .kernarg_segment_size: 40
    .language:       OpenCL C
    .language_version:
      - 2
      - 0
    .max_flat_workgroup_size: 1024
    .name:           _ZN7rocprim17ROCPRIM_400000_NS6detail17trampoline_kernelINS0_14default_configENS1_35radix_sort_onesweep_config_selectorIiNS0_10empty_typeEEEZNS1_34radix_sort_onesweep_global_offsetsIS3_Lb0EN6thrust23THRUST_200600_302600_NS6detail15normal_iteratorINS9_10device_ptrIiEEEEPS5_jNS0_19identity_decomposerEEE10hipError_tT1_T2_PT3_SK_jT4_jjP12ihipStream_tbEUlT_E_NS1_11comp_targetILNS1_3genE10ELNS1_11target_archE1201ELNS1_3gpuE5ELNS1_3repE0EEENS1_52radix_sort_onesweep_histogram_config_static_selectorELNS0_4arch9wavefront6targetE1EEEvSI_
    .private_segment_fixed_size: 0
    .sgpr_count:     6
    .sgpr_spill_count: 0
    .symbol:         _ZN7rocprim17ROCPRIM_400000_NS6detail17trampoline_kernelINS0_14default_configENS1_35radix_sort_onesweep_config_selectorIiNS0_10empty_typeEEEZNS1_34radix_sort_onesweep_global_offsetsIS3_Lb0EN6thrust23THRUST_200600_302600_NS6detail15normal_iteratorINS9_10device_ptrIiEEEEPS5_jNS0_19identity_decomposerEEE10hipError_tT1_T2_PT3_SK_jT4_jjP12ihipStream_tbEUlT_E_NS1_11comp_targetILNS1_3genE10ELNS1_11target_archE1201ELNS1_3gpuE5ELNS1_3repE0EEENS1_52radix_sort_onesweep_histogram_config_static_selectorELNS0_4arch9wavefront6targetE1EEEvSI_.kd
    .uniform_work_group_size: 1
    .uses_dynamic_stack: false
    .vgpr_count:     0
    .vgpr_spill_count: 0
    .wavefront_size: 64
  - .agpr_count:     0
    .args:
      - .offset:         0
        .size:           40
        .value_kind:     by_value
    .group_segment_fixed_size: 0
    .kernarg_segment_align: 8
    .kernarg_segment_size: 40
    .language:       OpenCL C
    .language_version:
      - 2
      - 0
    .max_flat_workgroup_size: 1024
    .name:           _ZN7rocprim17ROCPRIM_400000_NS6detail17trampoline_kernelINS0_14default_configENS1_35radix_sort_onesweep_config_selectorIiNS0_10empty_typeEEEZNS1_34radix_sort_onesweep_global_offsetsIS3_Lb0EN6thrust23THRUST_200600_302600_NS6detail15normal_iteratorINS9_10device_ptrIiEEEEPS5_jNS0_19identity_decomposerEEE10hipError_tT1_T2_PT3_SK_jT4_jjP12ihipStream_tbEUlT_E_NS1_11comp_targetILNS1_3genE9ELNS1_11target_archE1100ELNS1_3gpuE3ELNS1_3repE0EEENS1_52radix_sort_onesweep_histogram_config_static_selectorELNS0_4arch9wavefront6targetE1EEEvSI_
    .private_segment_fixed_size: 0
    .sgpr_count:     6
    .sgpr_spill_count: 0
    .symbol:         _ZN7rocprim17ROCPRIM_400000_NS6detail17trampoline_kernelINS0_14default_configENS1_35radix_sort_onesweep_config_selectorIiNS0_10empty_typeEEEZNS1_34radix_sort_onesweep_global_offsetsIS3_Lb0EN6thrust23THRUST_200600_302600_NS6detail15normal_iteratorINS9_10device_ptrIiEEEEPS5_jNS0_19identity_decomposerEEE10hipError_tT1_T2_PT3_SK_jT4_jjP12ihipStream_tbEUlT_E_NS1_11comp_targetILNS1_3genE9ELNS1_11target_archE1100ELNS1_3gpuE3ELNS1_3repE0EEENS1_52radix_sort_onesweep_histogram_config_static_selectorELNS0_4arch9wavefront6targetE1EEEvSI_.kd
    .uniform_work_group_size: 1
    .uses_dynamic_stack: false
    .vgpr_count:     0
    .vgpr_spill_count: 0
    .wavefront_size: 64
  - .agpr_count:     0
    .args:
      - .offset:         0
        .size:           40
        .value_kind:     by_value
    .group_segment_fixed_size: 0
    .kernarg_segment_align: 8
    .kernarg_segment_size: 40
    .language:       OpenCL C
    .language_version:
      - 2
      - 0
    .max_flat_workgroup_size: 1024
    .name:           _ZN7rocprim17ROCPRIM_400000_NS6detail17trampoline_kernelINS0_14default_configENS1_35radix_sort_onesweep_config_selectorIiNS0_10empty_typeEEEZNS1_34radix_sort_onesweep_global_offsetsIS3_Lb0EN6thrust23THRUST_200600_302600_NS6detail15normal_iteratorINS9_10device_ptrIiEEEEPS5_jNS0_19identity_decomposerEEE10hipError_tT1_T2_PT3_SK_jT4_jjP12ihipStream_tbEUlT_E_NS1_11comp_targetILNS1_3genE8ELNS1_11target_archE1030ELNS1_3gpuE2ELNS1_3repE0EEENS1_52radix_sort_onesweep_histogram_config_static_selectorELNS0_4arch9wavefront6targetE1EEEvSI_
    .private_segment_fixed_size: 0
    .sgpr_count:     6
    .sgpr_spill_count: 0
    .symbol:         _ZN7rocprim17ROCPRIM_400000_NS6detail17trampoline_kernelINS0_14default_configENS1_35radix_sort_onesweep_config_selectorIiNS0_10empty_typeEEEZNS1_34radix_sort_onesweep_global_offsetsIS3_Lb0EN6thrust23THRUST_200600_302600_NS6detail15normal_iteratorINS9_10device_ptrIiEEEEPS5_jNS0_19identity_decomposerEEE10hipError_tT1_T2_PT3_SK_jT4_jjP12ihipStream_tbEUlT_E_NS1_11comp_targetILNS1_3genE8ELNS1_11target_archE1030ELNS1_3gpuE2ELNS1_3repE0EEENS1_52radix_sort_onesweep_histogram_config_static_selectorELNS0_4arch9wavefront6targetE1EEEvSI_.kd
    .uniform_work_group_size: 1
    .uses_dynamic_stack: false
    .vgpr_count:     0
    .vgpr_spill_count: 0
    .wavefront_size: 64
  - .agpr_count:     0
    .args:
      - .address_space:  global
        .offset:         0
        .size:           8
        .value_kind:     global_buffer
    .group_segment_fixed_size: 0
    .kernarg_segment_align: 8
    .kernarg_segment_size: 8
    .language:       OpenCL C
    .language_version:
      - 2
      - 0
    .max_flat_workgroup_size: 512
    .name:           _ZN7rocprim17ROCPRIM_400000_NS6detail17trampoline_kernelINS0_14default_configENS1_35radix_sort_onesweep_config_selectorIiNS0_10empty_typeEEEZNS1_34radix_sort_onesweep_global_offsetsIS3_Lb0EN6thrust23THRUST_200600_302600_NS6detail15normal_iteratorINS9_10device_ptrIiEEEEPS5_jNS0_19identity_decomposerEEE10hipError_tT1_T2_PT3_SK_jT4_jjP12ihipStream_tbEUlT_E0_NS1_11comp_targetILNS1_3genE0ELNS1_11target_archE4294967295ELNS1_3gpuE0ELNS1_3repE0EEENS1_52radix_sort_onesweep_histogram_config_static_selectorELNS0_4arch9wavefront6targetE1EEEvSI_
    .private_segment_fixed_size: 0
    .sgpr_count:     6
    .sgpr_spill_count: 0
    .symbol:         _ZN7rocprim17ROCPRIM_400000_NS6detail17trampoline_kernelINS0_14default_configENS1_35radix_sort_onesweep_config_selectorIiNS0_10empty_typeEEEZNS1_34radix_sort_onesweep_global_offsetsIS3_Lb0EN6thrust23THRUST_200600_302600_NS6detail15normal_iteratorINS9_10device_ptrIiEEEEPS5_jNS0_19identity_decomposerEEE10hipError_tT1_T2_PT3_SK_jT4_jjP12ihipStream_tbEUlT_E0_NS1_11comp_targetILNS1_3genE0ELNS1_11target_archE4294967295ELNS1_3gpuE0ELNS1_3repE0EEENS1_52radix_sort_onesweep_histogram_config_static_selectorELNS0_4arch9wavefront6targetE1EEEvSI_.kd
    .uniform_work_group_size: 1
    .uses_dynamic_stack: false
    .vgpr_count:     0
    .vgpr_spill_count: 0
    .wavefront_size: 64
  - .agpr_count:     0
    .args:
      - .address_space:  global
        .offset:         0
        .size:           8
        .value_kind:     global_buffer
    .group_segment_fixed_size: 64
    .kernarg_segment_align: 8
    .kernarg_segment_size: 8
    .language:       OpenCL C
    .language_version:
      - 2
      - 0
    .max_flat_workgroup_size: 1024
    .name:           _ZN7rocprim17ROCPRIM_400000_NS6detail17trampoline_kernelINS0_14default_configENS1_35radix_sort_onesweep_config_selectorIiNS0_10empty_typeEEEZNS1_34radix_sort_onesweep_global_offsetsIS3_Lb0EN6thrust23THRUST_200600_302600_NS6detail15normal_iteratorINS9_10device_ptrIiEEEEPS5_jNS0_19identity_decomposerEEE10hipError_tT1_T2_PT3_SK_jT4_jjP12ihipStream_tbEUlT_E0_NS1_11comp_targetILNS1_3genE6ELNS1_11target_archE950ELNS1_3gpuE13ELNS1_3repE0EEENS1_52radix_sort_onesweep_histogram_config_static_selectorELNS0_4arch9wavefront6targetE1EEEvSI_
    .private_segment_fixed_size: 0
    .sgpr_count:     20
    .sgpr_spill_count: 0
    .symbol:         _ZN7rocprim17ROCPRIM_400000_NS6detail17trampoline_kernelINS0_14default_configENS1_35radix_sort_onesweep_config_selectorIiNS0_10empty_typeEEEZNS1_34radix_sort_onesweep_global_offsetsIS3_Lb0EN6thrust23THRUST_200600_302600_NS6detail15normal_iteratorINS9_10device_ptrIiEEEEPS5_jNS0_19identity_decomposerEEE10hipError_tT1_T2_PT3_SK_jT4_jjP12ihipStream_tbEUlT_E0_NS1_11comp_targetILNS1_3genE6ELNS1_11target_archE950ELNS1_3gpuE13ELNS1_3repE0EEENS1_52radix_sort_onesweep_histogram_config_static_selectorELNS0_4arch9wavefront6targetE1EEEvSI_.kd
    .uniform_work_group_size: 1
    .uses_dynamic_stack: false
    .vgpr_count:     7
    .vgpr_spill_count: 0
    .wavefront_size: 64
  - .agpr_count:     0
    .args:
      - .address_space:  global
        .offset:         0
        .size:           8
        .value_kind:     global_buffer
    .group_segment_fixed_size: 0
    .kernarg_segment_align: 8
    .kernarg_segment_size: 8
    .language:       OpenCL C
    .language_version:
      - 2
      - 0
    .max_flat_workgroup_size: 1024
    .name:           _ZN7rocprim17ROCPRIM_400000_NS6detail17trampoline_kernelINS0_14default_configENS1_35radix_sort_onesweep_config_selectorIiNS0_10empty_typeEEEZNS1_34radix_sort_onesweep_global_offsetsIS3_Lb0EN6thrust23THRUST_200600_302600_NS6detail15normal_iteratorINS9_10device_ptrIiEEEEPS5_jNS0_19identity_decomposerEEE10hipError_tT1_T2_PT3_SK_jT4_jjP12ihipStream_tbEUlT_E0_NS1_11comp_targetILNS1_3genE5ELNS1_11target_archE942ELNS1_3gpuE9ELNS1_3repE0EEENS1_52radix_sort_onesweep_histogram_config_static_selectorELNS0_4arch9wavefront6targetE1EEEvSI_
    .private_segment_fixed_size: 0
    .sgpr_count:     6
    .sgpr_spill_count: 0
    .symbol:         _ZN7rocprim17ROCPRIM_400000_NS6detail17trampoline_kernelINS0_14default_configENS1_35radix_sort_onesweep_config_selectorIiNS0_10empty_typeEEEZNS1_34radix_sort_onesweep_global_offsetsIS3_Lb0EN6thrust23THRUST_200600_302600_NS6detail15normal_iteratorINS9_10device_ptrIiEEEEPS5_jNS0_19identity_decomposerEEE10hipError_tT1_T2_PT3_SK_jT4_jjP12ihipStream_tbEUlT_E0_NS1_11comp_targetILNS1_3genE5ELNS1_11target_archE942ELNS1_3gpuE9ELNS1_3repE0EEENS1_52radix_sort_onesweep_histogram_config_static_selectorELNS0_4arch9wavefront6targetE1EEEvSI_.kd
    .uniform_work_group_size: 1
    .uses_dynamic_stack: false
    .vgpr_count:     0
    .vgpr_spill_count: 0
    .wavefront_size: 64
  - .agpr_count:     0
    .args:
      - .address_space:  global
        .offset:         0
        .size:           8
        .value_kind:     global_buffer
    .group_segment_fixed_size: 0
    .kernarg_segment_align: 8
    .kernarg_segment_size: 8
    .language:       OpenCL C
    .language_version:
      - 2
      - 0
    .max_flat_workgroup_size: 1024
    .name:           _ZN7rocprim17ROCPRIM_400000_NS6detail17trampoline_kernelINS0_14default_configENS1_35radix_sort_onesweep_config_selectorIiNS0_10empty_typeEEEZNS1_34radix_sort_onesweep_global_offsetsIS3_Lb0EN6thrust23THRUST_200600_302600_NS6detail15normal_iteratorINS9_10device_ptrIiEEEEPS5_jNS0_19identity_decomposerEEE10hipError_tT1_T2_PT3_SK_jT4_jjP12ihipStream_tbEUlT_E0_NS1_11comp_targetILNS1_3genE2ELNS1_11target_archE906ELNS1_3gpuE6ELNS1_3repE0EEENS1_52radix_sort_onesweep_histogram_config_static_selectorELNS0_4arch9wavefront6targetE1EEEvSI_
    .private_segment_fixed_size: 0
    .sgpr_count:     6
    .sgpr_spill_count: 0
    .symbol:         _ZN7rocprim17ROCPRIM_400000_NS6detail17trampoline_kernelINS0_14default_configENS1_35radix_sort_onesweep_config_selectorIiNS0_10empty_typeEEEZNS1_34radix_sort_onesweep_global_offsetsIS3_Lb0EN6thrust23THRUST_200600_302600_NS6detail15normal_iteratorINS9_10device_ptrIiEEEEPS5_jNS0_19identity_decomposerEEE10hipError_tT1_T2_PT3_SK_jT4_jjP12ihipStream_tbEUlT_E0_NS1_11comp_targetILNS1_3genE2ELNS1_11target_archE906ELNS1_3gpuE6ELNS1_3repE0EEENS1_52radix_sort_onesweep_histogram_config_static_selectorELNS0_4arch9wavefront6targetE1EEEvSI_.kd
    .uniform_work_group_size: 1
    .uses_dynamic_stack: false
    .vgpr_count:     0
    .vgpr_spill_count: 0
    .wavefront_size: 64
  - .agpr_count:     0
    .args:
      - .address_space:  global
        .offset:         0
        .size:           8
        .value_kind:     global_buffer
    .group_segment_fixed_size: 0
    .kernarg_segment_align: 8
    .kernarg_segment_size: 8
    .language:       OpenCL C
    .language_version:
      - 2
      - 0
    .max_flat_workgroup_size: 1024
    .name:           _ZN7rocprim17ROCPRIM_400000_NS6detail17trampoline_kernelINS0_14default_configENS1_35radix_sort_onesweep_config_selectorIiNS0_10empty_typeEEEZNS1_34radix_sort_onesweep_global_offsetsIS3_Lb0EN6thrust23THRUST_200600_302600_NS6detail15normal_iteratorINS9_10device_ptrIiEEEEPS5_jNS0_19identity_decomposerEEE10hipError_tT1_T2_PT3_SK_jT4_jjP12ihipStream_tbEUlT_E0_NS1_11comp_targetILNS1_3genE4ELNS1_11target_archE910ELNS1_3gpuE8ELNS1_3repE0EEENS1_52radix_sort_onesweep_histogram_config_static_selectorELNS0_4arch9wavefront6targetE1EEEvSI_
    .private_segment_fixed_size: 0
    .sgpr_count:     6
    .sgpr_spill_count: 0
    .symbol:         _ZN7rocprim17ROCPRIM_400000_NS6detail17trampoline_kernelINS0_14default_configENS1_35radix_sort_onesweep_config_selectorIiNS0_10empty_typeEEEZNS1_34radix_sort_onesweep_global_offsetsIS3_Lb0EN6thrust23THRUST_200600_302600_NS6detail15normal_iteratorINS9_10device_ptrIiEEEEPS5_jNS0_19identity_decomposerEEE10hipError_tT1_T2_PT3_SK_jT4_jjP12ihipStream_tbEUlT_E0_NS1_11comp_targetILNS1_3genE4ELNS1_11target_archE910ELNS1_3gpuE8ELNS1_3repE0EEENS1_52radix_sort_onesweep_histogram_config_static_selectorELNS0_4arch9wavefront6targetE1EEEvSI_.kd
    .uniform_work_group_size: 1
    .uses_dynamic_stack: false
    .vgpr_count:     0
    .vgpr_spill_count: 0
    .wavefront_size: 64
  - .agpr_count:     0
    .args:
      - .address_space:  global
        .offset:         0
        .size:           8
        .value_kind:     global_buffer
    .group_segment_fixed_size: 0
    .kernarg_segment_align: 8
    .kernarg_segment_size: 8
    .language:       OpenCL C
    .language_version:
      - 2
      - 0
    .max_flat_workgroup_size: 512
    .name:           _ZN7rocprim17ROCPRIM_400000_NS6detail17trampoline_kernelINS0_14default_configENS1_35radix_sort_onesweep_config_selectorIiNS0_10empty_typeEEEZNS1_34radix_sort_onesweep_global_offsetsIS3_Lb0EN6thrust23THRUST_200600_302600_NS6detail15normal_iteratorINS9_10device_ptrIiEEEEPS5_jNS0_19identity_decomposerEEE10hipError_tT1_T2_PT3_SK_jT4_jjP12ihipStream_tbEUlT_E0_NS1_11comp_targetILNS1_3genE3ELNS1_11target_archE908ELNS1_3gpuE7ELNS1_3repE0EEENS1_52radix_sort_onesweep_histogram_config_static_selectorELNS0_4arch9wavefront6targetE1EEEvSI_
    .private_segment_fixed_size: 0
    .sgpr_count:     6
    .sgpr_spill_count: 0
    .symbol:         _ZN7rocprim17ROCPRIM_400000_NS6detail17trampoline_kernelINS0_14default_configENS1_35radix_sort_onesweep_config_selectorIiNS0_10empty_typeEEEZNS1_34radix_sort_onesweep_global_offsetsIS3_Lb0EN6thrust23THRUST_200600_302600_NS6detail15normal_iteratorINS9_10device_ptrIiEEEEPS5_jNS0_19identity_decomposerEEE10hipError_tT1_T2_PT3_SK_jT4_jjP12ihipStream_tbEUlT_E0_NS1_11comp_targetILNS1_3genE3ELNS1_11target_archE908ELNS1_3gpuE7ELNS1_3repE0EEENS1_52radix_sort_onesweep_histogram_config_static_selectorELNS0_4arch9wavefront6targetE1EEEvSI_.kd
    .uniform_work_group_size: 1
    .uses_dynamic_stack: false
    .vgpr_count:     0
    .vgpr_spill_count: 0
    .wavefront_size: 64
  - .agpr_count:     0
    .args:
      - .address_space:  global
        .offset:         0
        .size:           8
        .value_kind:     global_buffer
    .group_segment_fixed_size: 0
    .kernarg_segment_align: 8
    .kernarg_segment_size: 8
    .language:       OpenCL C
    .language_version:
      - 2
      - 0
    .max_flat_workgroup_size: 1024
    .name:           _ZN7rocprim17ROCPRIM_400000_NS6detail17trampoline_kernelINS0_14default_configENS1_35radix_sort_onesweep_config_selectorIiNS0_10empty_typeEEEZNS1_34radix_sort_onesweep_global_offsetsIS3_Lb0EN6thrust23THRUST_200600_302600_NS6detail15normal_iteratorINS9_10device_ptrIiEEEEPS5_jNS0_19identity_decomposerEEE10hipError_tT1_T2_PT3_SK_jT4_jjP12ihipStream_tbEUlT_E0_NS1_11comp_targetILNS1_3genE10ELNS1_11target_archE1201ELNS1_3gpuE5ELNS1_3repE0EEENS1_52radix_sort_onesweep_histogram_config_static_selectorELNS0_4arch9wavefront6targetE1EEEvSI_
    .private_segment_fixed_size: 0
    .sgpr_count:     6
    .sgpr_spill_count: 0
    .symbol:         _ZN7rocprim17ROCPRIM_400000_NS6detail17trampoline_kernelINS0_14default_configENS1_35radix_sort_onesweep_config_selectorIiNS0_10empty_typeEEEZNS1_34radix_sort_onesweep_global_offsetsIS3_Lb0EN6thrust23THRUST_200600_302600_NS6detail15normal_iteratorINS9_10device_ptrIiEEEEPS5_jNS0_19identity_decomposerEEE10hipError_tT1_T2_PT3_SK_jT4_jjP12ihipStream_tbEUlT_E0_NS1_11comp_targetILNS1_3genE10ELNS1_11target_archE1201ELNS1_3gpuE5ELNS1_3repE0EEENS1_52radix_sort_onesweep_histogram_config_static_selectorELNS0_4arch9wavefront6targetE1EEEvSI_.kd
    .uniform_work_group_size: 1
    .uses_dynamic_stack: false
    .vgpr_count:     0
    .vgpr_spill_count: 0
    .wavefront_size: 64
  - .agpr_count:     0
    .args:
      - .address_space:  global
        .offset:         0
        .size:           8
        .value_kind:     global_buffer
    .group_segment_fixed_size: 0
    .kernarg_segment_align: 8
    .kernarg_segment_size: 8
    .language:       OpenCL C
    .language_version:
      - 2
      - 0
    .max_flat_workgroup_size: 1024
    .name:           _ZN7rocprim17ROCPRIM_400000_NS6detail17trampoline_kernelINS0_14default_configENS1_35radix_sort_onesweep_config_selectorIiNS0_10empty_typeEEEZNS1_34radix_sort_onesweep_global_offsetsIS3_Lb0EN6thrust23THRUST_200600_302600_NS6detail15normal_iteratorINS9_10device_ptrIiEEEEPS5_jNS0_19identity_decomposerEEE10hipError_tT1_T2_PT3_SK_jT4_jjP12ihipStream_tbEUlT_E0_NS1_11comp_targetILNS1_3genE9ELNS1_11target_archE1100ELNS1_3gpuE3ELNS1_3repE0EEENS1_52radix_sort_onesweep_histogram_config_static_selectorELNS0_4arch9wavefront6targetE1EEEvSI_
    .private_segment_fixed_size: 0
    .sgpr_count:     6
    .sgpr_spill_count: 0
    .symbol:         _ZN7rocprim17ROCPRIM_400000_NS6detail17trampoline_kernelINS0_14default_configENS1_35radix_sort_onesweep_config_selectorIiNS0_10empty_typeEEEZNS1_34radix_sort_onesweep_global_offsetsIS3_Lb0EN6thrust23THRUST_200600_302600_NS6detail15normal_iteratorINS9_10device_ptrIiEEEEPS5_jNS0_19identity_decomposerEEE10hipError_tT1_T2_PT3_SK_jT4_jjP12ihipStream_tbEUlT_E0_NS1_11comp_targetILNS1_3genE9ELNS1_11target_archE1100ELNS1_3gpuE3ELNS1_3repE0EEENS1_52radix_sort_onesweep_histogram_config_static_selectorELNS0_4arch9wavefront6targetE1EEEvSI_.kd
    .uniform_work_group_size: 1
    .uses_dynamic_stack: false
    .vgpr_count:     0
    .vgpr_spill_count: 0
    .wavefront_size: 64
  - .agpr_count:     0
    .args:
      - .address_space:  global
        .offset:         0
        .size:           8
        .value_kind:     global_buffer
    .group_segment_fixed_size: 0
    .kernarg_segment_align: 8
    .kernarg_segment_size: 8
    .language:       OpenCL C
    .language_version:
      - 2
      - 0
    .max_flat_workgroup_size: 1024
    .name:           _ZN7rocprim17ROCPRIM_400000_NS6detail17trampoline_kernelINS0_14default_configENS1_35radix_sort_onesweep_config_selectorIiNS0_10empty_typeEEEZNS1_34radix_sort_onesweep_global_offsetsIS3_Lb0EN6thrust23THRUST_200600_302600_NS6detail15normal_iteratorINS9_10device_ptrIiEEEEPS5_jNS0_19identity_decomposerEEE10hipError_tT1_T2_PT3_SK_jT4_jjP12ihipStream_tbEUlT_E0_NS1_11comp_targetILNS1_3genE8ELNS1_11target_archE1030ELNS1_3gpuE2ELNS1_3repE0EEENS1_52radix_sort_onesweep_histogram_config_static_selectorELNS0_4arch9wavefront6targetE1EEEvSI_
    .private_segment_fixed_size: 0
    .sgpr_count:     6
    .sgpr_spill_count: 0
    .symbol:         _ZN7rocprim17ROCPRIM_400000_NS6detail17trampoline_kernelINS0_14default_configENS1_35radix_sort_onesweep_config_selectorIiNS0_10empty_typeEEEZNS1_34radix_sort_onesweep_global_offsetsIS3_Lb0EN6thrust23THRUST_200600_302600_NS6detail15normal_iteratorINS9_10device_ptrIiEEEEPS5_jNS0_19identity_decomposerEEE10hipError_tT1_T2_PT3_SK_jT4_jjP12ihipStream_tbEUlT_E0_NS1_11comp_targetILNS1_3genE8ELNS1_11target_archE1030ELNS1_3gpuE2ELNS1_3repE0EEENS1_52radix_sort_onesweep_histogram_config_static_selectorELNS0_4arch9wavefront6targetE1EEEvSI_.kd
    .uniform_work_group_size: 1
    .uses_dynamic_stack: false
    .vgpr_count:     0
    .vgpr_spill_count: 0
    .wavefront_size: 64
  - .agpr_count:     0
    .args:
      - .offset:         0
        .size:           40
        .value_kind:     by_value
      - .offset:         40
        .size:           4
        .value_kind:     hidden_block_count_x
      - .offset:         44
        .size:           4
        .value_kind:     hidden_block_count_y
      - .offset:         48
        .size:           4
        .value_kind:     hidden_block_count_z
      - .offset:         52
        .size:           2
        .value_kind:     hidden_group_size_x
      - .offset:         54
        .size:           2
        .value_kind:     hidden_group_size_y
      - .offset:         56
        .size:           2
        .value_kind:     hidden_group_size_z
      - .offset:         58
        .size:           2
        .value_kind:     hidden_remainder_x
      - .offset:         60
        .size:           2
        .value_kind:     hidden_remainder_y
      - .offset:         62
        .size:           2
        .value_kind:     hidden_remainder_z
      - .offset:         80
        .size:           8
        .value_kind:     hidden_global_offset_x
      - .offset:         88
        .size:           8
        .value_kind:     hidden_global_offset_y
      - .offset:         96
        .size:           8
        .value_kind:     hidden_global_offset_z
      - .offset:         104
        .size:           2
        .value_kind:     hidden_grid_dims
    .group_segment_fixed_size: 0
    .kernarg_segment_align: 8
    .kernarg_segment_size: 296
    .language:       OpenCL C
    .language_version:
      - 2
      - 0
    .max_flat_workgroup_size: 128
    .name:           _ZN7rocprim17ROCPRIM_400000_NS6detail17trampoline_kernelINS0_14default_configENS1_25transform_config_selectorIiLb0EEEZNS1_14transform_implILb0ES3_S5_N6thrust23THRUST_200600_302600_NS6detail15normal_iteratorINS8_10device_ptrIiEEEEPiNS0_8identityIiEEEE10hipError_tT2_T3_mT4_P12ihipStream_tbEUlT_E_NS1_11comp_targetILNS1_3genE0ELNS1_11target_archE4294967295ELNS1_3gpuE0ELNS1_3repE0EEENS1_30default_config_static_selectorELNS0_4arch9wavefront6targetE1EEEvT1_
    .private_segment_fixed_size: 0
    .sgpr_count:     22
    .sgpr_spill_count: 0
    .symbol:         _ZN7rocprim17ROCPRIM_400000_NS6detail17trampoline_kernelINS0_14default_configENS1_25transform_config_selectorIiLb0EEEZNS1_14transform_implILb0ES3_S5_N6thrust23THRUST_200600_302600_NS6detail15normal_iteratorINS8_10device_ptrIiEEEEPiNS0_8identityIiEEEE10hipError_tT2_T3_mT4_P12ihipStream_tbEUlT_E_NS1_11comp_targetILNS1_3genE0ELNS1_11target_archE4294967295ELNS1_3gpuE0ELNS1_3repE0EEENS1_30default_config_static_selectorELNS0_4arch9wavefront6targetE1EEEvT1_.kd
    .uniform_work_group_size: 1
    .uses_dynamic_stack: false
    .vgpr_count:     7
    .vgpr_spill_count: 0
    .wavefront_size: 64
  - .agpr_count:     0
    .args:
      - .offset:         0
        .size:           40
        .value_kind:     by_value
    .group_segment_fixed_size: 0
    .kernarg_segment_align: 8
    .kernarg_segment_size: 40
    .language:       OpenCL C
    .language_version:
      - 2
      - 0
    .max_flat_workgroup_size: 512
    .name:           _ZN7rocprim17ROCPRIM_400000_NS6detail17trampoline_kernelINS0_14default_configENS1_25transform_config_selectorIiLb0EEEZNS1_14transform_implILb0ES3_S5_N6thrust23THRUST_200600_302600_NS6detail15normal_iteratorINS8_10device_ptrIiEEEEPiNS0_8identityIiEEEE10hipError_tT2_T3_mT4_P12ihipStream_tbEUlT_E_NS1_11comp_targetILNS1_3genE5ELNS1_11target_archE942ELNS1_3gpuE9ELNS1_3repE0EEENS1_30default_config_static_selectorELNS0_4arch9wavefront6targetE1EEEvT1_
    .private_segment_fixed_size: 0
    .sgpr_count:     6
    .sgpr_spill_count: 0
    .symbol:         _ZN7rocprim17ROCPRIM_400000_NS6detail17trampoline_kernelINS0_14default_configENS1_25transform_config_selectorIiLb0EEEZNS1_14transform_implILb0ES3_S5_N6thrust23THRUST_200600_302600_NS6detail15normal_iteratorINS8_10device_ptrIiEEEEPiNS0_8identityIiEEEE10hipError_tT2_T3_mT4_P12ihipStream_tbEUlT_E_NS1_11comp_targetILNS1_3genE5ELNS1_11target_archE942ELNS1_3gpuE9ELNS1_3repE0EEENS1_30default_config_static_selectorELNS0_4arch9wavefront6targetE1EEEvT1_.kd
    .uniform_work_group_size: 1
    .uses_dynamic_stack: false
    .vgpr_count:     0
    .vgpr_spill_count: 0
    .wavefront_size: 64
  - .agpr_count:     0
    .args:
      - .offset:         0
        .size:           40
        .value_kind:     by_value
    .group_segment_fixed_size: 0
    .kernarg_segment_align: 8
    .kernarg_segment_size: 40
    .language:       OpenCL C
    .language_version:
      - 2
      - 0
    .max_flat_workgroup_size: 1024
    .name:           _ZN7rocprim17ROCPRIM_400000_NS6detail17trampoline_kernelINS0_14default_configENS1_25transform_config_selectorIiLb0EEEZNS1_14transform_implILb0ES3_S5_N6thrust23THRUST_200600_302600_NS6detail15normal_iteratorINS8_10device_ptrIiEEEEPiNS0_8identityIiEEEE10hipError_tT2_T3_mT4_P12ihipStream_tbEUlT_E_NS1_11comp_targetILNS1_3genE4ELNS1_11target_archE910ELNS1_3gpuE8ELNS1_3repE0EEENS1_30default_config_static_selectorELNS0_4arch9wavefront6targetE1EEEvT1_
    .private_segment_fixed_size: 0
    .sgpr_count:     6
    .sgpr_spill_count: 0
    .symbol:         _ZN7rocprim17ROCPRIM_400000_NS6detail17trampoline_kernelINS0_14default_configENS1_25transform_config_selectorIiLb0EEEZNS1_14transform_implILb0ES3_S5_N6thrust23THRUST_200600_302600_NS6detail15normal_iteratorINS8_10device_ptrIiEEEEPiNS0_8identityIiEEEE10hipError_tT2_T3_mT4_P12ihipStream_tbEUlT_E_NS1_11comp_targetILNS1_3genE4ELNS1_11target_archE910ELNS1_3gpuE8ELNS1_3repE0EEENS1_30default_config_static_selectorELNS0_4arch9wavefront6targetE1EEEvT1_.kd
    .uniform_work_group_size: 1
    .uses_dynamic_stack: false
    .vgpr_count:     0
    .vgpr_spill_count: 0
    .wavefront_size: 64
  - .agpr_count:     0
    .args:
      - .offset:         0
        .size:           40
        .value_kind:     by_value
    .group_segment_fixed_size: 0
    .kernarg_segment_align: 8
    .kernarg_segment_size: 40
    .language:       OpenCL C
    .language_version:
      - 2
      - 0
    .max_flat_workgroup_size: 128
    .name:           _ZN7rocprim17ROCPRIM_400000_NS6detail17trampoline_kernelINS0_14default_configENS1_25transform_config_selectorIiLb0EEEZNS1_14transform_implILb0ES3_S5_N6thrust23THRUST_200600_302600_NS6detail15normal_iteratorINS8_10device_ptrIiEEEEPiNS0_8identityIiEEEE10hipError_tT2_T3_mT4_P12ihipStream_tbEUlT_E_NS1_11comp_targetILNS1_3genE3ELNS1_11target_archE908ELNS1_3gpuE7ELNS1_3repE0EEENS1_30default_config_static_selectorELNS0_4arch9wavefront6targetE1EEEvT1_
    .private_segment_fixed_size: 0
    .sgpr_count:     6
    .sgpr_spill_count: 0
    .symbol:         _ZN7rocprim17ROCPRIM_400000_NS6detail17trampoline_kernelINS0_14default_configENS1_25transform_config_selectorIiLb0EEEZNS1_14transform_implILb0ES3_S5_N6thrust23THRUST_200600_302600_NS6detail15normal_iteratorINS8_10device_ptrIiEEEEPiNS0_8identityIiEEEE10hipError_tT2_T3_mT4_P12ihipStream_tbEUlT_E_NS1_11comp_targetILNS1_3genE3ELNS1_11target_archE908ELNS1_3gpuE7ELNS1_3repE0EEENS1_30default_config_static_selectorELNS0_4arch9wavefront6targetE1EEEvT1_.kd
    .uniform_work_group_size: 1
    .uses_dynamic_stack: false
    .vgpr_count:     0
    .vgpr_spill_count: 0
    .wavefront_size: 64
  - .agpr_count:     0
    .args:
      - .offset:         0
        .size:           40
        .value_kind:     by_value
    .group_segment_fixed_size: 0
    .kernarg_segment_align: 8
    .kernarg_segment_size: 40
    .language:       OpenCL C
    .language_version:
      - 2
      - 0
    .max_flat_workgroup_size: 1024
    .name:           _ZN7rocprim17ROCPRIM_400000_NS6detail17trampoline_kernelINS0_14default_configENS1_25transform_config_selectorIiLb0EEEZNS1_14transform_implILb0ES3_S5_N6thrust23THRUST_200600_302600_NS6detail15normal_iteratorINS8_10device_ptrIiEEEEPiNS0_8identityIiEEEE10hipError_tT2_T3_mT4_P12ihipStream_tbEUlT_E_NS1_11comp_targetILNS1_3genE2ELNS1_11target_archE906ELNS1_3gpuE6ELNS1_3repE0EEENS1_30default_config_static_selectorELNS0_4arch9wavefront6targetE1EEEvT1_
    .private_segment_fixed_size: 0
    .sgpr_count:     6
    .sgpr_spill_count: 0
    .symbol:         _ZN7rocprim17ROCPRIM_400000_NS6detail17trampoline_kernelINS0_14default_configENS1_25transform_config_selectorIiLb0EEEZNS1_14transform_implILb0ES3_S5_N6thrust23THRUST_200600_302600_NS6detail15normal_iteratorINS8_10device_ptrIiEEEEPiNS0_8identityIiEEEE10hipError_tT2_T3_mT4_P12ihipStream_tbEUlT_E_NS1_11comp_targetILNS1_3genE2ELNS1_11target_archE906ELNS1_3gpuE6ELNS1_3repE0EEENS1_30default_config_static_selectorELNS0_4arch9wavefront6targetE1EEEvT1_.kd
    .uniform_work_group_size: 1
    .uses_dynamic_stack: false
    .vgpr_count:     0
    .vgpr_spill_count: 0
    .wavefront_size: 64
  - .agpr_count:     0
    .args:
      - .offset:         0
        .size:           40
        .value_kind:     by_value
    .group_segment_fixed_size: 0
    .kernarg_segment_align: 8
    .kernarg_segment_size: 40
    .language:       OpenCL C
    .language_version:
      - 2
      - 0
    .max_flat_workgroup_size: 1024
    .name:           _ZN7rocprim17ROCPRIM_400000_NS6detail17trampoline_kernelINS0_14default_configENS1_25transform_config_selectorIiLb0EEEZNS1_14transform_implILb0ES3_S5_N6thrust23THRUST_200600_302600_NS6detail15normal_iteratorINS8_10device_ptrIiEEEEPiNS0_8identityIiEEEE10hipError_tT2_T3_mT4_P12ihipStream_tbEUlT_E_NS1_11comp_targetILNS1_3genE10ELNS1_11target_archE1201ELNS1_3gpuE5ELNS1_3repE0EEENS1_30default_config_static_selectorELNS0_4arch9wavefront6targetE1EEEvT1_
    .private_segment_fixed_size: 0
    .sgpr_count:     6
    .sgpr_spill_count: 0
    .symbol:         _ZN7rocprim17ROCPRIM_400000_NS6detail17trampoline_kernelINS0_14default_configENS1_25transform_config_selectorIiLb0EEEZNS1_14transform_implILb0ES3_S5_N6thrust23THRUST_200600_302600_NS6detail15normal_iteratorINS8_10device_ptrIiEEEEPiNS0_8identityIiEEEE10hipError_tT2_T3_mT4_P12ihipStream_tbEUlT_E_NS1_11comp_targetILNS1_3genE10ELNS1_11target_archE1201ELNS1_3gpuE5ELNS1_3repE0EEENS1_30default_config_static_selectorELNS0_4arch9wavefront6targetE1EEEvT1_.kd
    .uniform_work_group_size: 1
    .uses_dynamic_stack: false
    .vgpr_count:     0
    .vgpr_spill_count: 0
    .wavefront_size: 64
  - .agpr_count:     0
    .args:
      - .offset:         0
        .size:           40
        .value_kind:     by_value
    .group_segment_fixed_size: 0
    .kernarg_segment_align: 8
    .kernarg_segment_size: 40
    .language:       OpenCL C
    .language_version:
      - 2
      - 0
    .max_flat_workgroup_size: 512
    .name:           _ZN7rocprim17ROCPRIM_400000_NS6detail17trampoline_kernelINS0_14default_configENS1_25transform_config_selectorIiLb0EEEZNS1_14transform_implILb0ES3_S5_N6thrust23THRUST_200600_302600_NS6detail15normal_iteratorINS8_10device_ptrIiEEEEPiNS0_8identityIiEEEE10hipError_tT2_T3_mT4_P12ihipStream_tbEUlT_E_NS1_11comp_targetILNS1_3genE10ELNS1_11target_archE1200ELNS1_3gpuE4ELNS1_3repE0EEENS1_30default_config_static_selectorELNS0_4arch9wavefront6targetE1EEEvT1_
    .private_segment_fixed_size: 0
    .sgpr_count:     6
    .sgpr_spill_count: 0
    .symbol:         _ZN7rocprim17ROCPRIM_400000_NS6detail17trampoline_kernelINS0_14default_configENS1_25transform_config_selectorIiLb0EEEZNS1_14transform_implILb0ES3_S5_N6thrust23THRUST_200600_302600_NS6detail15normal_iteratorINS8_10device_ptrIiEEEEPiNS0_8identityIiEEEE10hipError_tT2_T3_mT4_P12ihipStream_tbEUlT_E_NS1_11comp_targetILNS1_3genE10ELNS1_11target_archE1200ELNS1_3gpuE4ELNS1_3repE0EEENS1_30default_config_static_selectorELNS0_4arch9wavefront6targetE1EEEvT1_.kd
    .uniform_work_group_size: 1
    .uses_dynamic_stack: false
    .vgpr_count:     0
    .vgpr_spill_count: 0
    .wavefront_size: 64
  - .agpr_count:     0
    .args:
      - .offset:         0
        .size:           40
        .value_kind:     by_value
    .group_segment_fixed_size: 0
    .kernarg_segment_align: 8
    .kernarg_segment_size: 40
    .language:       OpenCL C
    .language_version:
      - 2
      - 0
    .max_flat_workgroup_size: 64
    .name:           _ZN7rocprim17ROCPRIM_400000_NS6detail17trampoline_kernelINS0_14default_configENS1_25transform_config_selectorIiLb0EEEZNS1_14transform_implILb0ES3_S5_N6thrust23THRUST_200600_302600_NS6detail15normal_iteratorINS8_10device_ptrIiEEEEPiNS0_8identityIiEEEE10hipError_tT2_T3_mT4_P12ihipStream_tbEUlT_E_NS1_11comp_targetILNS1_3genE9ELNS1_11target_archE1100ELNS1_3gpuE3ELNS1_3repE0EEENS1_30default_config_static_selectorELNS0_4arch9wavefront6targetE1EEEvT1_
    .private_segment_fixed_size: 0
    .sgpr_count:     6
    .sgpr_spill_count: 0
    .symbol:         _ZN7rocprim17ROCPRIM_400000_NS6detail17trampoline_kernelINS0_14default_configENS1_25transform_config_selectorIiLb0EEEZNS1_14transform_implILb0ES3_S5_N6thrust23THRUST_200600_302600_NS6detail15normal_iteratorINS8_10device_ptrIiEEEEPiNS0_8identityIiEEEE10hipError_tT2_T3_mT4_P12ihipStream_tbEUlT_E_NS1_11comp_targetILNS1_3genE9ELNS1_11target_archE1100ELNS1_3gpuE3ELNS1_3repE0EEENS1_30default_config_static_selectorELNS0_4arch9wavefront6targetE1EEEvT1_.kd
    .uniform_work_group_size: 1
    .uses_dynamic_stack: false
    .vgpr_count:     0
    .vgpr_spill_count: 0
    .wavefront_size: 64
  - .agpr_count:     0
    .args:
      - .offset:         0
        .size:           40
        .value_kind:     by_value
    .group_segment_fixed_size: 0
    .kernarg_segment_align: 8
    .kernarg_segment_size: 40
    .language:       OpenCL C
    .language_version:
      - 2
      - 0
    .max_flat_workgroup_size: 256
    .name:           _ZN7rocprim17ROCPRIM_400000_NS6detail17trampoline_kernelINS0_14default_configENS1_25transform_config_selectorIiLb0EEEZNS1_14transform_implILb0ES3_S5_N6thrust23THRUST_200600_302600_NS6detail15normal_iteratorINS8_10device_ptrIiEEEEPiNS0_8identityIiEEEE10hipError_tT2_T3_mT4_P12ihipStream_tbEUlT_E_NS1_11comp_targetILNS1_3genE8ELNS1_11target_archE1030ELNS1_3gpuE2ELNS1_3repE0EEENS1_30default_config_static_selectorELNS0_4arch9wavefront6targetE1EEEvT1_
    .private_segment_fixed_size: 0
    .sgpr_count:     6
    .sgpr_spill_count: 0
    .symbol:         _ZN7rocprim17ROCPRIM_400000_NS6detail17trampoline_kernelINS0_14default_configENS1_25transform_config_selectorIiLb0EEEZNS1_14transform_implILb0ES3_S5_N6thrust23THRUST_200600_302600_NS6detail15normal_iteratorINS8_10device_ptrIiEEEEPiNS0_8identityIiEEEE10hipError_tT2_T3_mT4_P12ihipStream_tbEUlT_E_NS1_11comp_targetILNS1_3genE8ELNS1_11target_archE1030ELNS1_3gpuE2ELNS1_3repE0EEENS1_30default_config_static_selectorELNS0_4arch9wavefront6targetE1EEEvT1_.kd
    .uniform_work_group_size: 1
    .uses_dynamic_stack: false
    .vgpr_count:     0
    .vgpr_spill_count: 0
    .wavefront_size: 64
  - .agpr_count:     0
    .args:
      - .offset:         0
        .size:           88
        .value_kind:     by_value
    .group_segment_fixed_size: 0
    .kernarg_segment_align: 8
    .kernarg_segment_size: 88
    .language:       OpenCL C
    .language_version:
      - 2
      - 0
    .max_flat_workgroup_size: 512
    .name:           _ZN7rocprim17ROCPRIM_400000_NS6detail17trampoline_kernelINS0_14default_configENS1_35radix_sort_onesweep_config_selectorIiNS0_10empty_typeEEEZZNS1_29radix_sort_onesweep_iterationIS3_Lb0EN6thrust23THRUST_200600_302600_NS6detail15normal_iteratorINS9_10device_ptrIiEEEESE_PS5_SF_jNS0_19identity_decomposerENS1_16block_id_wrapperIjLb1EEEEE10hipError_tT1_PNSt15iterator_traitsISK_E10value_typeET2_T3_PNSL_ISQ_E10value_typeET4_T5_PSV_SW_PNS1_23onesweep_lookback_stateEbbT6_jjT7_P12ihipStream_tbENKUlT_T0_SK_SP_E_clISE_SE_SF_SF_EEDaS13_S14_SK_SP_EUlS13_E_NS1_11comp_targetILNS1_3genE0ELNS1_11target_archE4294967295ELNS1_3gpuE0ELNS1_3repE0EEENS1_47radix_sort_onesweep_sort_config_static_selectorELNS0_4arch9wavefront6targetE1EEEvSK_
    .private_segment_fixed_size: 0
    .sgpr_count:     6
    .sgpr_spill_count: 0
    .symbol:         _ZN7rocprim17ROCPRIM_400000_NS6detail17trampoline_kernelINS0_14default_configENS1_35radix_sort_onesweep_config_selectorIiNS0_10empty_typeEEEZZNS1_29radix_sort_onesweep_iterationIS3_Lb0EN6thrust23THRUST_200600_302600_NS6detail15normal_iteratorINS9_10device_ptrIiEEEESE_PS5_SF_jNS0_19identity_decomposerENS1_16block_id_wrapperIjLb1EEEEE10hipError_tT1_PNSt15iterator_traitsISK_E10value_typeET2_T3_PNSL_ISQ_E10value_typeET4_T5_PSV_SW_PNS1_23onesweep_lookback_stateEbbT6_jjT7_P12ihipStream_tbENKUlT_T0_SK_SP_E_clISE_SE_SF_SF_EEDaS13_S14_SK_SP_EUlS13_E_NS1_11comp_targetILNS1_3genE0ELNS1_11target_archE4294967295ELNS1_3gpuE0ELNS1_3repE0EEENS1_47radix_sort_onesweep_sort_config_static_selectorELNS0_4arch9wavefront6targetE1EEEvSK_.kd
    .uniform_work_group_size: 1
    .uses_dynamic_stack: false
    .vgpr_count:     0
    .vgpr_spill_count: 0
    .wavefront_size: 64
  - .agpr_count:     0
    .args:
      - .offset:         0
        .size:           88
        .value_kind:     by_value
      - .offset:         88
        .size:           4
        .value_kind:     hidden_block_count_x
      - .offset:         92
        .size:           4
        .value_kind:     hidden_block_count_y
      - .offset:         96
        .size:           4
        .value_kind:     hidden_block_count_z
      - .offset:         100
        .size:           2
        .value_kind:     hidden_group_size_x
      - .offset:         102
        .size:           2
        .value_kind:     hidden_group_size_y
      - .offset:         104
        .size:           2
        .value_kind:     hidden_group_size_z
      - .offset:         106
        .size:           2
        .value_kind:     hidden_remainder_x
      - .offset:         108
        .size:           2
        .value_kind:     hidden_remainder_y
      - .offset:         110
        .size:           2
        .value_kind:     hidden_remainder_z
      - .offset:         128
        .size:           8
        .value_kind:     hidden_global_offset_x
      - .offset:         136
        .size:           8
        .value_kind:     hidden_global_offset_y
      - .offset:         144
        .size:           8
        .value_kind:     hidden_global_offset_z
      - .offset:         152
        .size:           2
        .value_kind:     hidden_grid_dims
    .group_segment_fixed_size: 20552
    .kernarg_segment_align: 8
    .kernarg_segment_size: 344
    .language:       OpenCL C
    .language_version:
      - 2
      - 0
    .max_flat_workgroup_size: 1024
    .name:           _ZN7rocprim17ROCPRIM_400000_NS6detail17trampoline_kernelINS0_14default_configENS1_35radix_sort_onesweep_config_selectorIiNS0_10empty_typeEEEZZNS1_29radix_sort_onesweep_iterationIS3_Lb0EN6thrust23THRUST_200600_302600_NS6detail15normal_iteratorINS9_10device_ptrIiEEEESE_PS5_SF_jNS0_19identity_decomposerENS1_16block_id_wrapperIjLb1EEEEE10hipError_tT1_PNSt15iterator_traitsISK_E10value_typeET2_T3_PNSL_ISQ_E10value_typeET4_T5_PSV_SW_PNS1_23onesweep_lookback_stateEbbT6_jjT7_P12ihipStream_tbENKUlT_T0_SK_SP_E_clISE_SE_SF_SF_EEDaS13_S14_SK_SP_EUlS13_E_NS1_11comp_targetILNS1_3genE6ELNS1_11target_archE950ELNS1_3gpuE13ELNS1_3repE0EEENS1_47radix_sort_onesweep_sort_config_static_selectorELNS0_4arch9wavefront6targetE1EEEvSK_
    .private_segment_fixed_size: 0
    .sgpr_count:     41
    .sgpr_spill_count: 0
    .symbol:         _ZN7rocprim17ROCPRIM_400000_NS6detail17trampoline_kernelINS0_14default_configENS1_35radix_sort_onesweep_config_selectorIiNS0_10empty_typeEEEZZNS1_29radix_sort_onesweep_iterationIS3_Lb0EN6thrust23THRUST_200600_302600_NS6detail15normal_iteratorINS9_10device_ptrIiEEEESE_PS5_SF_jNS0_19identity_decomposerENS1_16block_id_wrapperIjLb1EEEEE10hipError_tT1_PNSt15iterator_traitsISK_E10value_typeET2_T3_PNSL_ISQ_E10value_typeET4_T5_PSV_SW_PNS1_23onesweep_lookback_stateEbbT6_jjT7_P12ihipStream_tbENKUlT_T0_SK_SP_E_clISE_SE_SF_SF_EEDaS13_S14_SK_SP_EUlS13_E_NS1_11comp_targetILNS1_3genE6ELNS1_11target_archE950ELNS1_3gpuE13ELNS1_3repE0EEENS1_47radix_sort_onesweep_sort_config_static_selectorELNS0_4arch9wavefront6targetE1EEEvSK_.kd
    .uniform_work_group_size: 1
    .uses_dynamic_stack: false
    .vgpr_count:     46
    .vgpr_spill_count: 0
    .wavefront_size: 64
  - .agpr_count:     0
    .args:
      - .offset:         0
        .size:           88
        .value_kind:     by_value
    .group_segment_fixed_size: 0
    .kernarg_segment_align: 8
    .kernarg_segment_size: 88
    .language:       OpenCL C
    .language_version:
      - 2
      - 0
    .max_flat_workgroup_size: 1024
    .name:           _ZN7rocprim17ROCPRIM_400000_NS6detail17trampoline_kernelINS0_14default_configENS1_35radix_sort_onesweep_config_selectorIiNS0_10empty_typeEEEZZNS1_29radix_sort_onesweep_iterationIS3_Lb0EN6thrust23THRUST_200600_302600_NS6detail15normal_iteratorINS9_10device_ptrIiEEEESE_PS5_SF_jNS0_19identity_decomposerENS1_16block_id_wrapperIjLb1EEEEE10hipError_tT1_PNSt15iterator_traitsISK_E10value_typeET2_T3_PNSL_ISQ_E10value_typeET4_T5_PSV_SW_PNS1_23onesweep_lookback_stateEbbT6_jjT7_P12ihipStream_tbENKUlT_T0_SK_SP_E_clISE_SE_SF_SF_EEDaS13_S14_SK_SP_EUlS13_E_NS1_11comp_targetILNS1_3genE5ELNS1_11target_archE942ELNS1_3gpuE9ELNS1_3repE0EEENS1_47radix_sort_onesweep_sort_config_static_selectorELNS0_4arch9wavefront6targetE1EEEvSK_
    .private_segment_fixed_size: 0
    .sgpr_count:     6
    .sgpr_spill_count: 0
    .symbol:         _ZN7rocprim17ROCPRIM_400000_NS6detail17trampoline_kernelINS0_14default_configENS1_35radix_sort_onesweep_config_selectorIiNS0_10empty_typeEEEZZNS1_29radix_sort_onesweep_iterationIS3_Lb0EN6thrust23THRUST_200600_302600_NS6detail15normal_iteratorINS9_10device_ptrIiEEEESE_PS5_SF_jNS0_19identity_decomposerENS1_16block_id_wrapperIjLb1EEEEE10hipError_tT1_PNSt15iterator_traitsISK_E10value_typeET2_T3_PNSL_ISQ_E10value_typeET4_T5_PSV_SW_PNS1_23onesweep_lookback_stateEbbT6_jjT7_P12ihipStream_tbENKUlT_T0_SK_SP_E_clISE_SE_SF_SF_EEDaS13_S14_SK_SP_EUlS13_E_NS1_11comp_targetILNS1_3genE5ELNS1_11target_archE942ELNS1_3gpuE9ELNS1_3repE0EEENS1_47radix_sort_onesweep_sort_config_static_selectorELNS0_4arch9wavefront6targetE1EEEvSK_.kd
    .uniform_work_group_size: 1
    .uses_dynamic_stack: false
    .vgpr_count:     0
    .vgpr_spill_count: 0
    .wavefront_size: 64
  - .agpr_count:     0
    .args:
      - .offset:         0
        .size:           88
        .value_kind:     by_value
    .group_segment_fixed_size: 0
    .kernarg_segment_align: 8
    .kernarg_segment_size: 88
    .language:       OpenCL C
    .language_version:
      - 2
      - 0
    .max_flat_workgroup_size: 1024
    .name:           _ZN7rocprim17ROCPRIM_400000_NS6detail17trampoline_kernelINS0_14default_configENS1_35radix_sort_onesweep_config_selectorIiNS0_10empty_typeEEEZZNS1_29radix_sort_onesweep_iterationIS3_Lb0EN6thrust23THRUST_200600_302600_NS6detail15normal_iteratorINS9_10device_ptrIiEEEESE_PS5_SF_jNS0_19identity_decomposerENS1_16block_id_wrapperIjLb1EEEEE10hipError_tT1_PNSt15iterator_traitsISK_E10value_typeET2_T3_PNSL_ISQ_E10value_typeET4_T5_PSV_SW_PNS1_23onesweep_lookback_stateEbbT6_jjT7_P12ihipStream_tbENKUlT_T0_SK_SP_E_clISE_SE_SF_SF_EEDaS13_S14_SK_SP_EUlS13_E_NS1_11comp_targetILNS1_3genE2ELNS1_11target_archE906ELNS1_3gpuE6ELNS1_3repE0EEENS1_47radix_sort_onesweep_sort_config_static_selectorELNS0_4arch9wavefront6targetE1EEEvSK_
    .private_segment_fixed_size: 0
    .sgpr_count:     6
    .sgpr_spill_count: 0
    .symbol:         _ZN7rocprim17ROCPRIM_400000_NS6detail17trampoline_kernelINS0_14default_configENS1_35radix_sort_onesweep_config_selectorIiNS0_10empty_typeEEEZZNS1_29radix_sort_onesweep_iterationIS3_Lb0EN6thrust23THRUST_200600_302600_NS6detail15normal_iteratorINS9_10device_ptrIiEEEESE_PS5_SF_jNS0_19identity_decomposerENS1_16block_id_wrapperIjLb1EEEEE10hipError_tT1_PNSt15iterator_traitsISK_E10value_typeET2_T3_PNSL_ISQ_E10value_typeET4_T5_PSV_SW_PNS1_23onesweep_lookback_stateEbbT6_jjT7_P12ihipStream_tbENKUlT_T0_SK_SP_E_clISE_SE_SF_SF_EEDaS13_S14_SK_SP_EUlS13_E_NS1_11comp_targetILNS1_3genE2ELNS1_11target_archE906ELNS1_3gpuE6ELNS1_3repE0EEENS1_47radix_sort_onesweep_sort_config_static_selectorELNS0_4arch9wavefront6targetE1EEEvSK_.kd
    .uniform_work_group_size: 1
    .uses_dynamic_stack: false
    .vgpr_count:     0
    .vgpr_spill_count: 0
    .wavefront_size: 64
  - .agpr_count:     0
    .args:
      - .offset:         0
        .size:           88
        .value_kind:     by_value
    .group_segment_fixed_size: 0
    .kernarg_segment_align: 8
    .kernarg_segment_size: 88
    .language:       OpenCL C
    .language_version:
      - 2
      - 0
    .max_flat_workgroup_size: 1024
    .name:           _ZN7rocprim17ROCPRIM_400000_NS6detail17trampoline_kernelINS0_14default_configENS1_35radix_sort_onesweep_config_selectorIiNS0_10empty_typeEEEZZNS1_29radix_sort_onesweep_iterationIS3_Lb0EN6thrust23THRUST_200600_302600_NS6detail15normal_iteratorINS9_10device_ptrIiEEEESE_PS5_SF_jNS0_19identity_decomposerENS1_16block_id_wrapperIjLb1EEEEE10hipError_tT1_PNSt15iterator_traitsISK_E10value_typeET2_T3_PNSL_ISQ_E10value_typeET4_T5_PSV_SW_PNS1_23onesweep_lookback_stateEbbT6_jjT7_P12ihipStream_tbENKUlT_T0_SK_SP_E_clISE_SE_SF_SF_EEDaS13_S14_SK_SP_EUlS13_E_NS1_11comp_targetILNS1_3genE4ELNS1_11target_archE910ELNS1_3gpuE8ELNS1_3repE0EEENS1_47radix_sort_onesweep_sort_config_static_selectorELNS0_4arch9wavefront6targetE1EEEvSK_
    .private_segment_fixed_size: 0
    .sgpr_count:     6
    .sgpr_spill_count: 0
    .symbol:         _ZN7rocprim17ROCPRIM_400000_NS6detail17trampoline_kernelINS0_14default_configENS1_35radix_sort_onesweep_config_selectorIiNS0_10empty_typeEEEZZNS1_29radix_sort_onesweep_iterationIS3_Lb0EN6thrust23THRUST_200600_302600_NS6detail15normal_iteratorINS9_10device_ptrIiEEEESE_PS5_SF_jNS0_19identity_decomposerENS1_16block_id_wrapperIjLb1EEEEE10hipError_tT1_PNSt15iterator_traitsISK_E10value_typeET2_T3_PNSL_ISQ_E10value_typeET4_T5_PSV_SW_PNS1_23onesweep_lookback_stateEbbT6_jjT7_P12ihipStream_tbENKUlT_T0_SK_SP_E_clISE_SE_SF_SF_EEDaS13_S14_SK_SP_EUlS13_E_NS1_11comp_targetILNS1_3genE4ELNS1_11target_archE910ELNS1_3gpuE8ELNS1_3repE0EEENS1_47radix_sort_onesweep_sort_config_static_selectorELNS0_4arch9wavefront6targetE1EEEvSK_.kd
    .uniform_work_group_size: 1
    .uses_dynamic_stack: false
    .vgpr_count:     0
    .vgpr_spill_count: 0
    .wavefront_size: 64
  - .agpr_count:     0
    .args:
      - .offset:         0
        .size:           88
        .value_kind:     by_value
    .group_segment_fixed_size: 0
    .kernarg_segment_align: 8
    .kernarg_segment_size: 88
    .language:       OpenCL C
    .language_version:
      - 2
      - 0
    .max_flat_workgroup_size: 512
    .name:           _ZN7rocprim17ROCPRIM_400000_NS6detail17trampoline_kernelINS0_14default_configENS1_35radix_sort_onesweep_config_selectorIiNS0_10empty_typeEEEZZNS1_29radix_sort_onesweep_iterationIS3_Lb0EN6thrust23THRUST_200600_302600_NS6detail15normal_iteratorINS9_10device_ptrIiEEEESE_PS5_SF_jNS0_19identity_decomposerENS1_16block_id_wrapperIjLb1EEEEE10hipError_tT1_PNSt15iterator_traitsISK_E10value_typeET2_T3_PNSL_ISQ_E10value_typeET4_T5_PSV_SW_PNS1_23onesweep_lookback_stateEbbT6_jjT7_P12ihipStream_tbENKUlT_T0_SK_SP_E_clISE_SE_SF_SF_EEDaS13_S14_SK_SP_EUlS13_E_NS1_11comp_targetILNS1_3genE3ELNS1_11target_archE908ELNS1_3gpuE7ELNS1_3repE0EEENS1_47radix_sort_onesweep_sort_config_static_selectorELNS0_4arch9wavefront6targetE1EEEvSK_
    .private_segment_fixed_size: 0
    .sgpr_count:     6
    .sgpr_spill_count: 0
    .symbol:         _ZN7rocprim17ROCPRIM_400000_NS6detail17trampoline_kernelINS0_14default_configENS1_35radix_sort_onesweep_config_selectorIiNS0_10empty_typeEEEZZNS1_29radix_sort_onesweep_iterationIS3_Lb0EN6thrust23THRUST_200600_302600_NS6detail15normal_iteratorINS9_10device_ptrIiEEEESE_PS5_SF_jNS0_19identity_decomposerENS1_16block_id_wrapperIjLb1EEEEE10hipError_tT1_PNSt15iterator_traitsISK_E10value_typeET2_T3_PNSL_ISQ_E10value_typeET4_T5_PSV_SW_PNS1_23onesweep_lookback_stateEbbT6_jjT7_P12ihipStream_tbENKUlT_T0_SK_SP_E_clISE_SE_SF_SF_EEDaS13_S14_SK_SP_EUlS13_E_NS1_11comp_targetILNS1_3genE3ELNS1_11target_archE908ELNS1_3gpuE7ELNS1_3repE0EEENS1_47radix_sort_onesweep_sort_config_static_selectorELNS0_4arch9wavefront6targetE1EEEvSK_.kd
    .uniform_work_group_size: 1
    .uses_dynamic_stack: false
    .vgpr_count:     0
    .vgpr_spill_count: 0
    .wavefront_size: 64
  - .agpr_count:     0
    .args:
      - .offset:         0
        .size:           88
        .value_kind:     by_value
    .group_segment_fixed_size: 0
    .kernarg_segment_align: 8
    .kernarg_segment_size: 88
    .language:       OpenCL C
    .language_version:
      - 2
      - 0
    .max_flat_workgroup_size: 1024
    .name:           _ZN7rocprim17ROCPRIM_400000_NS6detail17trampoline_kernelINS0_14default_configENS1_35radix_sort_onesweep_config_selectorIiNS0_10empty_typeEEEZZNS1_29radix_sort_onesweep_iterationIS3_Lb0EN6thrust23THRUST_200600_302600_NS6detail15normal_iteratorINS9_10device_ptrIiEEEESE_PS5_SF_jNS0_19identity_decomposerENS1_16block_id_wrapperIjLb1EEEEE10hipError_tT1_PNSt15iterator_traitsISK_E10value_typeET2_T3_PNSL_ISQ_E10value_typeET4_T5_PSV_SW_PNS1_23onesweep_lookback_stateEbbT6_jjT7_P12ihipStream_tbENKUlT_T0_SK_SP_E_clISE_SE_SF_SF_EEDaS13_S14_SK_SP_EUlS13_E_NS1_11comp_targetILNS1_3genE10ELNS1_11target_archE1201ELNS1_3gpuE5ELNS1_3repE0EEENS1_47radix_sort_onesweep_sort_config_static_selectorELNS0_4arch9wavefront6targetE1EEEvSK_
    .private_segment_fixed_size: 0
    .sgpr_count:     6
    .sgpr_spill_count: 0
    .symbol:         _ZN7rocprim17ROCPRIM_400000_NS6detail17trampoline_kernelINS0_14default_configENS1_35radix_sort_onesweep_config_selectorIiNS0_10empty_typeEEEZZNS1_29radix_sort_onesweep_iterationIS3_Lb0EN6thrust23THRUST_200600_302600_NS6detail15normal_iteratorINS9_10device_ptrIiEEEESE_PS5_SF_jNS0_19identity_decomposerENS1_16block_id_wrapperIjLb1EEEEE10hipError_tT1_PNSt15iterator_traitsISK_E10value_typeET2_T3_PNSL_ISQ_E10value_typeET4_T5_PSV_SW_PNS1_23onesweep_lookback_stateEbbT6_jjT7_P12ihipStream_tbENKUlT_T0_SK_SP_E_clISE_SE_SF_SF_EEDaS13_S14_SK_SP_EUlS13_E_NS1_11comp_targetILNS1_3genE10ELNS1_11target_archE1201ELNS1_3gpuE5ELNS1_3repE0EEENS1_47radix_sort_onesweep_sort_config_static_selectorELNS0_4arch9wavefront6targetE1EEEvSK_.kd
    .uniform_work_group_size: 1
    .uses_dynamic_stack: false
    .vgpr_count:     0
    .vgpr_spill_count: 0
    .wavefront_size: 64
  - .agpr_count:     0
    .args:
      - .offset:         0
        .size:           88
        .value_kind:     by_value
    .group_segment_fixed_size: 0
    .kernarg_segment_align: 8
    .kernarg_segment_size: 88
    .language:       OpenCL C
    .language_version:
      - 2
      - 0
    .max_flat_workgroup_size: 1024
    .name:           _ZN7rocprim17ROCPRIM_400000_NS6detail17trampoline_kernelINS0_14default_configENS1_35radix_sort_onesweep_config_selectorIiNS0_10empty_typeEEEZZNS1_29radix_sort_onesweep_iterationIS3_Lb0EN6thrust23THRUST_200600_302600_NS6detail15normal_iteratorINS9_10device_ptrIiEEEESE_PS5_SF_jNS0_19identity_decomposerENS1_16block_id_wrapperIjLb1EEEEE10hipError_tT1_PNSt15iterator_traitsISK_E10value_typeET2_T3_PNSL_ISQ_E10value_typeET4_T5_PSV_SW_PNS1_23onesweep_lookback_stateEbbT6_jjT7_P12ihipStream_tbENKUlT_T0_SK_SP_E_clISE_SE_SF_SF_EEDaS13_S14_SK_SP_EUlS13_E_NS1_11comp_targetILNS1_3genE9ELNS1_11target_archE1100ELNS1_3gpuE3ELNS1_3repE0EEENS1_47radix_sort_onesweep_sort_config_static_selectorELNS0_4arch9wavefront6targetE1EEEvSK_
    .private_segment_fixed_size: 0
    .sgpr_count:     6
    .sgpr_spill_count: 0
    .symbol:         _ZN7rocprim17ROCPRIM_400000_NS6detail17trampoline_kernelINS0_14default_configENS1_35radix_sort_onesweep_config_selectorIiNS0_10empty_typeEEEZZNS1_29radix_sort_onesweep_iterationIS3_Lb0EN6thrust23THRUST_200600_302600_NS6detail15normal_iteratorINS9_10device_ptrIiEEEESE_PS5_SF_jNS0_19identity_decomposerENS1_16block_id_wrapperIjLb1EEEEE10hipError_tT1_PNSt15iterator_traitsISK_E10value_typeET2_T3_PNSL_ISQ_E10value_typeET4_T5_PSV_SW_PNS1_23onesweep_lookback_stateEbbT6_jjT7_P12ihipStream_tbENKUlT_T0_SK_SP_E_clISE_SE_SF_SF_EEDaS13_S14_SK_SP_EUlS13_E_NS1_11comp_targetILNS1_3genE9ELNS1_11target_archE1100ELNS1_3gpuE3ELNS1_3repE0EEENS1_47radix_sort_onesweep_sort_config_static_selectorELNS0_4arch9wavefront6targetE1EEEvSK_.kd
    .uniform_work_group_size: 1
    .uses_dynamic_stack: false
    .vgpr_count:     0
    .vgpr_spill_count: 0
    .wavefront_size: 64
  - .agpr_count:     0
    .args:
      - .offset:         0
        .size:           88
        .value_kind:     by_value
    .group_segment_fixed_size: 0
    .kernarg_segment_align: 8
    .kernarg_segment_size: 88
    .language:       OpenCL C
    .language_version:
      - 2
      - 0
    .max_flat_workgroup_size: 1024
    .name:           _ZN7rocprim17ROCPRIM_400000_NS6detail17trampoline_kernelINS0_14default_configENS1_35radix_sort_onesweep_config_selectorIiNS0_10empty_typeEEEZZNS1_29radix_sort_onesweep_iterationIS3_Lb0EN6thrust23THRUST_200600_302600_NS6detail15normal_iteratorINS9_10device_ptrIiEEEESE_PS5_SF_jNS0_19identity_decomposerENS1_16block_id_wrapperIjLb1EEEEE10hipError_tT1_PNSt15iterator_traitsISK_E10value_typeET2_T3_PNSL_ISQ_E10value_typeET4_T5_PSV_SW_PNS1_23onesweep_lookback_stateEbbT6_jjT7_P12ihipStream_tbENKUlT_T0_SK_SP_E_clISE_SE_SF_SF_EEDaS13_S14_SK_SP_EUlS13_E_NS1_11comp_targetILNS1_3genE8ELNS1_11target_archE1030ELNS1_3gpuE2ELNS1_3repE0EEENS1_47radix_sort_onesweep_sort_config_static_selectorELNS0_4arch9wavefront6targetE1EEEvSK_
    .private_segment_fixed_size: 0
    .sgpr_count:     6
    .sgpr_spill_count: 0
    .symbol:         _ZN7rocprim17ROCPRIM_400000_NS6detail17trampoline_kernelINS0_14default_configENS1_35radix_sort_onesweep_config_selectorIiNS0_10empty_typeEEEZZNS1_29radix_sort_onesweep_iterationIS3_Lb0EN6thrust23THRUST_200600_302600_NS6detail15normal_iteratorINS9_10device_ptrIiEEEESE_PS5_SF_jNS0_19identity_decomposerENS1_16block_id_wrapperIjLb1EEEEE10hipError_tT1_PNSt15iterator_traitsISK_E10value_typeET2_T3_PNSL_ISQ_E10value_typeET4_T5_PSV_SW_PNS1_23onesweep_lookback_stateEbbT6_jjT7_P12ihipStream_tbENKUlT_T0_SK_SP_E_clISE_SE_SF_SF_EEDaS13_S14_SK_SP_EUlS13_E_NS1_11comp_targetILNS1_3genE8ELNS1_11target_archE1030ELNS1_3gpuE2ELNS1_3repE0EEENS1_47radix_sort_onesweep_sort_config_static_selectorELNS0_4arch9wavefront6targetE1EEEvSK_.kd
    .uniform_work_group_size: 1
    .uses_dynamic_stack: false
    .vgpr_count:     0
    .vgpr_spill_count: 0
    .wavefront_size: 64
  - .agpr_count:     0
    .args:
      - .offset:         0
        .size:           88
        .value_kind:     by_value
    .group_segment_fixed_size: 0
    .kernarg_segment_align: 8
    .kernarg_segment_size: 88
    .language:       OpenCL C
    .language_version:
      - 2
      - 0
    .max_flat_workgroup_size: 512
    .name:           _ZN7rocprim17ROCPRIM_400000_NS6detail17trampoline_kernelINS0_14default_configENS1_35radix_sort_onesweep_config_selectorIiNS0_10empty_typeEEEZZNS1_29radix_sort_onesweep_iterationIS3_Lb0EN6thrust23THRUST_200600_302600_NS6detail15normal_iteratorINS9_10device_ptrIiEEEESE_PS5_SF_jNS0_19identity_decomposerENS1_16block_id_wrapperIjLb1EEEEE10hipError_tT1_PNSt15iterator_traitsISK_E10value_typeET2_T3_PNSL_ISQ_E10value_typeET4_T5_PSV_SW_PNS1_23onesweep_lookback_stateEbbT6_jjT7_P12ihipStream_tbENKUlT_T0_SK_SP_E_clISE_PiSF_SF_EEDaS13_S14_SK_SP_EUlS13_E_NS1_11comp_targetILNS1_3genE0ELNS1_11target_archE4294967295ELNS1_3gpuE0ELNS1_3repE0EEENS1_47radix_sort_onesweep_sort_config_static_selectorELNS0_4arch9wavefront6targetE1EEEvSK_
    .private_segment_fixed_size: 0
    .sgpr_count:     6
    .sgpr_spill_count: 0
    .symbol:         _ZN7rocprim17ROCPRIM_400000_NS6detail17trampoline_kernelINS0_14default_configENS1_35radix_sort_onesweep_config_selectorIiNS0_10empty_typeEEEZZNS1_29radix_sort_onesweep_iterationIS3_Lb0EN6thrust23THRUST_200600_302600_NS6detail15normal_iteratorINS9_10device_ptrIiEEEESE_PS5_SF_jNS0_19identity_decomposerENS1_16block_id_wrapperIjLb1EEEEE10hipError_tT1_PNSt15iterator_traitsISK_E10value_typeET2_T3_PNSL_ISQ_E10value_typeET4_T5_PSV_SW_PNS1_23onesweep_lookback_stateEbbT6_jjT7_P12ihipStream_tbENKUlT_T0_SK_SP_E_clISE_PiSF_SF_EEDaS13_S14_SK_SP_EUlS13_E_NS1_11comp_targetILNS1_3genE0ELNS1_11target_archE4294967295ELNS1_3gpuE0ELNS1_3repE0EEENS1_47radix_sort_onesweep_sort_config_static_selectorELNS0_4arch9wavefront6targetE1EEEvSK_.kd
    .uniform_work_group_size: 1
    .uses_dynamic_stack: false
    .vgpr_count:     0
    .vgpr_spill_count: 0
    .wavefront_size: 64
  - .agpr_count:     0
    .args:
      - .offset:         0
        .size:           88
        .value_kind:     by_value
      - .offset:         88
        .size:           4
        .value_kind:     hidden_block_count_x
      - .offset:         92
        .size:           4
        .value_kind:     hidden_block_count_y
      - .offset:         96
        .size:           4
        .value_kind:     hidden_block_count_z
      - .offset:         100
        .size:           2
        .value_kind:     hidden_group_size_x
      - .offset:         102
        .size:           2
        .value_kind:     hidden_group_size_y
      - .offset:         104
        .size:           2
        .value_kind:     hidden_group_size_z
      - .offset:         106
        .size:           2
        .value_kind:     hidden_remainder_x
      - .offset:         108
        .size:           2
        .value_kind:     hidden_remainder_y
      - .offset:         110
        .size:           2
        .value_kind:     hidden_remainder_z
      - .offset:         128
        .size:           8
        .value_kind:     hidden_global_offset_x
      - .offset:         136
        .size:           8
        .value_kind:     hidden_global_offset_y
      - .offset:         144
        .size:           8
        .value_kind:     hidden_global_offset_z
      - .offset:         152
        .size:           2
        .value_kind:     hidden_grid_dims
    .group_segment_fixed_size: 20552
    .kernarg_segment_align: 8
    .kernarg_segment_size: 344
    .language:       OpenCL C
    .language_version:
      - 2
      - 0
    .max_flat_workgroup_size: 1024
    .name:           _ZN7rocprim17ROCPRIM_400000_NS6detail17trampoline_kernelINS0_14default_configENS1_35radix_sort_onesweep_config_selectorIiNS0_10empty_typeEEEZZNS1_29radix_sort_onesweep_iterationIS3_Lb0EN6thrust23THRUST_200600_302600_NS6detail15normal_iteratorINS9_10device_ptrIiEEEESE_PS5_SF_jNS0_19identity_decomposerENS1_16block_id_wrapperIjLb1EEEEE10hipError_tT1_PNSt15iterator_traitsISK_E10value_typeET2_T3_PNSL_ISQ_E10value_typeET4_T5_PSV_SW_PNS1_23onesweep_lookback_stateEbbT6_jjT7_P12ihipStream_tbENKUlT_T0_SK_SP_E_clISE_PiSF_SF_EEDaS13_S14_SK_SP_EUlS13_E_NS1_11comp_targetILNS1_3genE6ELNS1_11target_archE950ELNS1_3gpuE13ELNS1_3repE0EEENS1_47radix_sort_onesweep_sort_config_static_selectorELNS0_4arch9wavefront6targetE1EEEvSK_
    .private_segment_fixed_size: 0
    .sgpr_count:     41
    .sgpr_spill_count: 0
    .symbol:         _ZN7rocprim17ROCPRIM_400000_NS6detail17trampoline_kernelINS0_14default_configENS1_35radix_sort_onesweep_config_selectorIiNS0_10empty_typeEEEZZNS1_29radix_sort_onesweep_iterationIS3_Lb0EN6thrust23THRUST_200600_302600_NS6detail15normal_iteratorINS9_10device_ptrIiEEEESE_PS5_SF_jNS0_19identity_decomposerENS1_16block_id_wrapperIjLb1EEEEE10hipError_tT1_PNSt15iterator_traitsISK_E10value_typeET2_T3_PNSL_ISQ_E10value_typeET4_T5_PSV_SW_PNS1_23onesweep_lookback_stateEbbT6_jjT7_P12ihipStream_tbENKUlT_T0_SK_SP_E_clISE_PiSF_SF_EEDaS13_S14_SK_SP_EUlS13_E_NS1_11comp_targetILNS1_3genE6ELNS1_11target_archE950ELNS1_3gpuE13ELNS1_3repE0EEENS1_47radix_sort_onesweep_sort_config_static_selectorELNS0_4arch9wavefront6targetE1EEEvSK_.kd
    .uniform_work_group_size: 1
    .uses_dynamic_stack: false
    .vgpr_count:     46
    .vgpr_spill_count: 0
    .wavefront_size: 64
  - .agpr_count:     0
    .args:
      - .offset:         0
        .size:           88
        .value_kind:     by_value
    .group_segment_fixed_size: 0
    .kernarg_segment_align: 8
    .kernarg_segment_size: 88
    .language:       OpenCL C
    .language_version:
      - 2
      - 0
    .max_flat_workgroup_size: 1024
    .name:           _ZN7rocprim17ROCPRIM_400000_NS6detail17trampoline_kernelINS0_14default_configENS1_35radix_sort_onesweep_config_selectorIiNS0_10empty_typeEEEZZNS1_29radix_sort_onesweep_iterationIS3_Lb0EN6thrust23THRUST_200600_302600_NS6detail15normal_iteratorINS9_10device_ptrIiEEEESE_PS5_SF_jNS0_19identity_decomposerENS1_16block_id_wrapperIjLb1EEEEE10hipError_tT1_PNSt15iterator_traitsISK_E10value_typeET2_T3_PNSL_ISQ_E10value_typeET4_T5_PSV_SW_PNS1_23onesweep_lookback_stateEbbT6_jjT7_P12ihipStream_tbENKUlT_T0_SK_SP_E_clISE_PiSF_SF_EEDaS13_S14_SK_SP_EUlS13_E_NS1_11comp_targetILNS1_3genE5ELNS1_11target_archE942ELNS1_3gpuE9ELNS1_3repE0EEENS1_47radix_sort_onesweep_sort_config_static_selectorELNS0_4arch9wavefront6targetE1EEEvSK_
    .private_segment_fixed_size: 0
    .sgpr_count:     6
    .sgpr_spill_count: 0
    .symbol:         _ZN7rocprim17ROCPRIM_400000_NS6detail17trampoline_kernelINS0_14default_configENS1_35radix_sort_onesweep_config_selectorIiNS0_10empty_typeEEEZZNS1_29radix_sort_onesweep_iterationIS3_Lb0EN6thrust23THRUST_200600_302600_NS6detail15normal_iteratorINS9_10device_ptrIiEEEESE_PS5_SF_jNS0_19identity_decomposerENS1_16block_id_wrapperIjLb1EEEEE10hipError_tT1_PNSt15iterator_traitsISK_E10value_typeET2_T3_PNSL_ISQ_E10value_typeET4_T5_PSV_SW_PNS1_23onesweep_lookback_stateEbbT6_jjT7_P12ihipStream_tbENKUlT_T0_SK_SP_E_clISE_PiSF_SF_EEDaS13_S14_SK_SP_EUlS13_E_NS1_11comp_targetILNS1_3genE5ELNS1_11target_archE942ELNS1_3gpuE9ELNS1_3repE0EEENS1_47radix_sort_onesweep_sort_config_static_selectorELNS0_4arch9wavefront6targetE1EEEvSK_.kd
    .uniform_work_group_size: 1
    .uses_dynamic_stack: false
    .vgpr_count:     0
    .vgpr_spill_count: 0
    .wavefront_size: 64
  - .agpr_count:     0
    .args:
      - .offset:         0
        .size:           88
        .value_kind:     by_value
    .group_segment_fixed_size: 0
    .kernarg_segment_align: 8
    .kernarg_segment_size: 88
    .language:       OpenCL C
    .language_version:
      - 2
      - 0
    .max_flat_workgroup_size: 1024
    .name:           _ZN7rocprim17ROCPRIM_400000_NS6detail17trampoline_kernelINS0_14default_configENS1_35radix_sort_onesweep_config_selectorIiNS0_10empty_typeEEEZZNS1_29radix_sort_onesweep_iterationIS3_Lb0EN6thrust23THRUST_200600_302600_NS6detail15normal_iteratorINS9_10device_ptrIiEEEESE_PS5_SF_jNS0_19identity_decomposerENS1_16block_id_wrapperIjLb1EEEEE10hipError_tT1_PNSt15iterator_traitsISK_E10value_typeET2_T3_PNSL_ISQ_E10value_typeET4_T5_PSV_SW_PNS1_23onesweep_lookback_stateEbbT6_jjT7_P12ihipStream_tbENKUlT_T0_SK_SP_E_clISE_PiSF_SF_EEDaS13_S14_SK_SP_EUlS13_E_NS1_11comp_targetILNS1_3genE2ELNS1_11target_archE906ELNS1_3gpuE6ELNS1_3repE0EEENS1_47radix_sort_onesweep_sort_config_static_selectorELNS0_4arch9wavefront6targetE1EEEvSK_
    .private_segment_fixed_size: 0
    .sgpr_count:     6
    .sgpr_spill_count: 0
    .symbol:         _ZN7rocprim17ROCPRIM_400000_NS6detail17trampoline_kernelINS0_14default_configENS1_35radix_sort_onesweep_config_selectorIiNS0_10empty_typeEEEZZNS1_29radix_sort_onesweep_iterationIS3_Lb0EN6thrust23THRUST_200600_302600_NS6detail15normal_iteratorINS9_10device_ptrIiEEEESE_PS5_SF_jNS0_19identity_decomposerENS1_16block_id_wrapperIjLb1EEEEE10hipError_tT1_PNSt15iterator_traitsISK_E10value_typeET2_T3_PNSL_ISQ_E10value_typeET4_T5_PSV_SW_PNS1_23onesweep_lookback_stateEbbT6_jjT7_P12ihipStream_tbENKUlT_T0_SK_SP_E_clISE_PiSF_SF_EEDaS13_S14_SK_SP_EUlS13_E_NS1_11comp_targetILNS1_3genE2ELNS1_11target_archE906ELNS1_3gpuE6ELNS1_3repE0EEENS1_47radix_sort_onesweep_sort_config_static_selectorELNS0_4arch9wavefront6targetE1EEEvSK_.kd
    .uniform_work_group_size: 1
    .uses_dynamic_stack: false
    .vgpr_count:     0
    .vgpr_spill_count: 0
    .wavefront_size: 64
  - .agpr_count:     0
    .args:
      - .offset:         0
        .size:           88
        .value_kind:     by_value
    .group_segment_fixed_size: 0
    .kernarg_segment_align: 8
    .kernarg_segment_size: 88
    .language:       OpenCL C
    .language_version:
      - 2
      - 0
    .max_flat_workgroup_size: 1024
    .name:           _ZN7rocprim17ROCPRIM_400000_NS6detail17trampoline_kernelINS0_14default_configENS1_35radix_sort_onesweep_config_selectorIiNS0_10empty_typeEEEZZNS1_29radix_sort_onesweep_iterationIS3_Lb0EN6thrust23THRUST_200600_302600_NS6detail15normal_iteratorINS9_10device_ptrIiEEEESE_PS5_SF_jNS0_19identity_decomposerENS1_16block_id_wrapperIjLb1EEEEE10hipError_tT1_PNSt15iterator_traitsISK_E10value_typeET2_T3_PNSL_ISQ_E10value_typeET4_T5_PSV_SW_PNS1_23onesweep_lookback_stateEbbT6_jjT7_P12ihipStream_tbENKUlT_T0_SK_SP_E_clISE_PiSF_SF_EEDaS13_S14_SK_SP_EUlS13_E_NS1_11comp_targetILNS1_3genE4ELNS1_11target_archE910ELNS1_3gpuE8ELNS1_3repE0EEENS1_47radix_sort_onesweep_sort_config_static_selectorELNS0_4arch9wavefront6targetE1EEEvSK_
    .private_segment_fixed_size: 0
    .sgpr_count:     6
    .sgpr_spill_count: 0
    .symbol:         _ZN7rocprim17ROCPRIM_400000_NS6detail17trampoline_kernelINS0_14default_configENS1_35radix_sort_onesweep_config_selectorIiNS0_10empty_typeEEEZZNS1_29radix_sort_onesweep_iterationIS3_Lb0EN6thrust23THRUST_200600_302600_NS6detail15normal_iteratorINS9_10device_ptrIiEEEESE_PS5_SF_jNS0_19identity_decomposerENS1_16block_id_wrapperIjLb1EEEEE10hipError_tT1_PNSt15iterator_traitsISK_E10value_typeET2_T3_PNSL_ISQ_E10value_typeET4_T5_PSV_SW_PNS1_23onesweep_lookback_stateEbbT6_jjT7_P12ihipStream_tbENKUlT_T0_SK_SP_E_clISE_PiSF_SF_EEDaS13_S14_SK_SP_EUlS13_E_NS1_11comp_targetILNS1_3genE4ELNS1_11target_archE910ELNS1_3gpuE8ELNS1_3repE0EEENS1_47radix_sort_onesweep_sort_config_static_selectorELNS0_4arch9wavefront6targetE1EEEvSK_.kd
    .uniform_work_group_size: 1
    .uses_dynamic_stack: false
    .vgpr_count:     0
    .vgpr_spill_count: 0
    .wavefront_size: 64
  - .agpr_count:     0
    .args:
      - .offset:         0
        .size:           88
        .value_kind:     by_value
    .group_segment_fixed_size: 0
    .kernarg_segment_align: 8
    .kernarg_segment_size: 88
    .language:       OpenCL C
    .language_version:
      - 2
      - 0
    .max_flat_workgroup_size: 512
    .name:           _ZN7rocprim17ROCPRIM_400000_NS6detail17trampoline_kernelINS0_14default_configENS1_35radix_sort_onesweep_config_selectorIiNS0_10empty_typeEEEZZNS1_29radix_sort_onesweep_iterationIS3_Lb0EN6thrust23THRUST_200600_302600_NS6detail15normal_iteratorINS9_10device_ptrIiEEEESE_PS5_SF_jNS0_19identity_decomposerENS1_16block_id_wrapperIjLb1EEEEE10hipError_tT1_PNSt15iterator_traitsISK_E10value_typeET2_T3_PNSL_ISQ_E10value_typeET4_T5_PSV_SW_PNS1_23onesweep_lookback_stateEbbT6_jjT7_P12ihipStream_tbENKUlT_T0_SK_SP_E_clISE_PiSF_SF_EEDaS13_S14_SK_SP_EUlS13_E_NS1_11comp_targetILNS1_3genE3ELNS1_11target_archE908ELNS1_3gpuE7ELNS1_3repE0EEENS1_47radix_sort_onesweep_sort_config_static_selectorELNS0_4arch9wavefront6targetE1EEEvSK_
    .private_segment_fixed_size: 0
    .sgpr_count:     6
    .sgpr_spill_count: 0
    .symbol:         _ZN7rocprim17ROCPRIM_400000_NS6detail17trampoline_kernelINS0_14default_configENS1_35radix_sort_onesweep_config_selectorIiNS0_10empty_typeEEEZZNS1_29radix_sort_onesweep_iterationIS3_Lb0EN6thrust23THRUST_200600_302600_NS6detail15normal_iteratorINS9_10device_ptrIiEEEESE_PS5_SF_jNS0_19identity_decomposerENS1_16block_id_wrapperIjLb1EEEEE10hipError_tT1_PNSt15iterator_traitsISK_E10value_typeET2_T3_PNSL_ISQ_E10value_typeET4_T5_PSV_SW_PNS1_23onesweep_lookback_stateEbbT6_jjT7_P12ihipStream_tbENKUlT_T0_SK_SP_E_clISE_PiSF_SF_EEDaS13_S14_SK_SP_EUlS13_E_NS1_11comp_targetILNS1_3genE3ELNS1_11target_archE908ELNS1_3gpuE7ELNS1_3repE0EEENS1_47radix_sort_onesweep_sort_config_static_selectorELNS0_4arch9wavefront6targetE1EEEvSK_.kd
    .uniform_work_group_size: 1
    .uses_dynamic_stack: false
    .vgpr_count:     0
    .vgpr_spill_count: 0
    .wavefront_size: 64
  - .agpr_count:     0
    .args:
      - .offset:         0
        .size:           88
        .value_kind:     by_value
    .group_segment_fixed_size: 0
    .kernarg_segment_align: 8
    .kernarg_segment_size: 88
    .language:       OpenCL C
    .language_version:
      - 2
      - 0
    .max_flat_workgroup_size: 1024
    .name:           _ZN7rocprim17ROCPRIM_400000_NS6detail17trampoline_kernelINS0_14default_configENS1_35radix_sort_onesweep_config_selectorIiNS0_10empty_typeEEEZZNS1_29radix_sort_onesweep_iterationIS3_Lb0EN6thrust23THRUST_200600_302600_NS6detail15normal_iteratorINS9_10device_ptrIiEEEESE_PS5_SF_jNS0_19identity_decomposerENS1_16block_id_wrapperIjLb1EEEEE10hipError_tT1_PNSt15iterator_traitsISK_E10value_typeET2_T3_PNSL_ISQ_E10value_typeET4_T5_PSV_SW_PNS1_23onesweep_lookback_stateEbbT6_jjT7_P12ihipStream_tbENKUlT_T0_SK_SP_E_clISE_PiSF_SF_EEDaS13_S14_SK_SP_EUlS13_E_NS1_11comp_targetILNS1_3genE10ELNS1_11target_archE1201ELNS1_3gpuE5ELNS1_3repE0EEENS1_47radix_sort_onesweep_sort_config_static_selectorELNS0_4arch9wavefront6targetE1EEEvSK_
    .private_segment_fixed_size: 0
    .sgpr_count:     6
    .sgpr_spill_count: 0
    .symbol:         _ZN7rocprim17ROCPRIM_400000_NS6detail17trampoline_kernelINS0_14default_configENS1_35radix_sort_onesweep_config_selectorIiNS0_10empty_typeEEEZZNS1_29radix_sort_onesweep_iterationIS3_Lb0EN6thrust23THRUST_200600_302600_NS6detail15normal_iteratorINS9_10device_ptrIiEEEESE_PS5_SF_jNS0_19identity_decomposerENS1_16block_id_wrapperIjLb1EEEEE10hipError_tT1_PNSt15iterator_traitsISK_E10value_typeET2_T3_PNSL_ISQ_E10value_typeET4_T5_PSV_SW_PNS1_23onesweep_lookback_stateEbbT6_jjT7_P12ihipStream_tbENKUlT_T0_SK_SP_E_clISE_PiSF_SF_EEDaS13_S14_SK_SP_EUlS13_E_NS1_11comp_targetILNS1_3genE10ELNS1_11target_archE1201ELNS1_3gpuE5ELNS1_3repE0EEENS1_47radix_sort_onesweep_sort_config_static_selectorELNS0_4arch9wavefront6targetE1EEEvSK_.kd
    .uniform_work_group_size: 1
    .uses_dynamic_stack: false
    .vgpr_count:     0
    .vgpr_spill_count: 0
    .wavefront_size: 64
  - .agpr_count:     0
    .args:
      - .offset:         0
        .size:           88
        .value_kind:     by_value
    .group_segment_fixed_size: 0
    .kernarg_segment_align: 8
    .kernarg_segment_size: 88
    .language:       OpenCL C
    .language_version:
      - 2
      - 0
    .max_flat_workgroup_size: 1024
    .name:           _ZN7rocprim17ROCPRIM_400000_NS6detail17trampoline_kernelINS0_14default_configENS1_35radix_sort_onesweep_config_selectorIiNS0_10empty_typeEEEZZNS1_29radix_sort_onesweep_iterationIS3_Lb0EN6thrust23THRUST_200600_302600_NS6detail15normal_iteratorINS9_10device_ptrIiEEEESE_PS5_SF_jNS0_19identity_decomposerENS1_16block_id_wrapperIjLb1EEEEE10hipError_tT1_PNSt15iterator_traitsISK_E10value_typeET2_T3_PNSL_ISQ_E10value_typeET4_T5_PSV_SW_PNS1_23onesweep_lookback_stateEbbT6_jjT7_P12ihipStream_tbENKUlT_T0_SK_SP_E_clISE_PiSF_SF_EEDaS13_S14_SK_SP_EUlS13_E_NS1_11comp_targetILNS1_3genE9ELNS1_11target_archE1100ELNS1_3gpuE3ELNS1_3repE0EEENS1_47radix_sort_onesweep_sort_config_static_selectorELNS0_4arch9wavefront6targetE1EEEvSK_
    .private_segment_fixed_size: 0
    .sgpr_count:     6
    .sgpr_spill_count: 0
    .symbol:         _ZN7rocprim17ROCPRIM_400000_NS6detail17trampoline_kernelINS0_14default_configENS1_35radix_sort_onesweep_config_selectorIiNS0_10empty_typeEEEZZNS1_29radix_sort_onesweep_iterationIS3_Lb0EN6thrust23THRUST_200600_302600_NS6detail15normal_iteratorINS9_10device_ptrIiEEEESE_PS5_SF_jNS0_19identity_decomposerENS1_16block_id_wrapperIjLb1EEEEE10hipError_tT1_PNSt15iterator_traitsISK_E10value_typeET2_T3_PNSL_ISQ_E10value_typeET4_T5_PSV_SW_PNS1_23onesweep_lookback_stateEbbT6_jjT7_P12ihipStream_tbENKUlT_T0_SK_SP_E_clISE_PiSF_SF_EEDaS13_S14_SK_SP_EUlS13_E_NS1_11comp_targetILNS1_3genE9ELNS1_11target_archE1100ELNS1_3gpuE3ELNS1_3repE0EEENS1_47radix_sort_onesweep_sort_config_static_selectorELNS0_4arch9wavefront6targetE1EEEvSK_.kd
    .uniform_work_group_size: 1
    .uses_dynamic_stack: false
    .vgpr_count:     0
    .vgpr_spill_count: 0
    .wavefront_size: 64
  - .agpr_count:     0
    .args:
      - .offset:         0
        .size:           88
        .value_kind:     by_value
    .group_segment_fixed_size: 0
    .kernarg_segment_align: 8
    .kernarg_segment_size: 88
    .language:       OpenCL C
    .language_version:
      - 2
      - 0
    .max_flat_workgroup_size: 1024
    .name:           _ZN7rocprim17ROCPRIM_400000_NS6detail17trampoline_kernelINS0_14default_configENS1_35radix_sort_onesweep_config_selectorIiNS0_10empty_typeEEEZZNS1_29radix_sort_onesweep_iterationIS3_Lb0EN6thrust23THRUST_200600_302600_NS6detail15normal_iteratorINS9_10device_ptrIiEEEESE_PS5_SF_jNS0_19identity_decomposerENS1_16block_id_wrapperIjLb1EEEEE10hipError_tT1_PNSt15iterator_traitsISK_E10value_typeET2_T3_PNSL_ISQ_E10value_typeET4_T5_PSV_SW_PNS1_23onesweep_lookback_stateEbbT6_jjT7_P12ihipStream_tbENKUlT_T0_SK_SP_E_clISE_PiSF_SF_EEDaS13_S14_SK_SP_EUlS13_E_NS1_11comp_targetILNS1_3genE8ELNS1_11target_archE1030ELNS1_3gpuE2ELNS1_3repE0EEENS1_47radix_sort_onesweep_sort_config_static_selectorELNS0_4arch9wavefront6targetE1EEEvSK_
    .private_segment_fixed_size: 0
    .sgpr_count:     6
    .sgpr_spill_count: 0
    .symbol:         _ZN7rocprim17ROCPRIM_400000_NS6detail17trampoline_kernelINS0_14default_configENS1_35radix_sort_onesweep_config_selectorIiNS0_10empty_typeEEEZZNS1_29radix_sort_onesweep_iterationIS3_Lb0EN6thrust23THRUST_200600_302600_NS6detail15normal_iteratorINS9_10device_ptrIiEEEESE_PS5_SF_jNS0_19identity_decomposerENS1_16block_id_wrapperIjLb1EEEEE10hipError_tT1_PNSt15iterator_traitsISK_E10value_typeET2_T3_PNSL_ISQ_E10value_typeET4_T5_PSV_SW_PNS1_23onesweep_lookback_stateEbbT6_jjT7_P12ihipStream_tbENKUlT_T0_SK_SP_E_clISE_PiSF_SF_EEDaS13_S14_SK_SP_EUlS13_E_NS1_11comp_targetILNS1_3genE8ELNS1_11target_archE1030ELNS1_3gpuE2ELNS1_3repE0EEENS1_47radix_sort_onesweep_sort_config_static_selectorELNS0_4arch9wavefront6targetE1EEEvSK_.kd
    .uniform_work_group_size: 1
    .uses_dynamic_stack: false
    .vgpr_count:     0
    .vgpr_spill_count: 0
    .wavefront_size: 64
  - .agpr_count:     0
    .args:
      - .offset:         0
        .size:           88
        .value_kind:     by_value
    .group_segment_fixed_size: 0
    .kernarg_segment_align: 8
    .kernarg_segment_size: 88
    .language:       OpenCL C
    .language_version:
      - 2
      - 0
    .max_flat_workgroup_size: 512
    .name:           _ZN7rocprim17ROCPRIM_400000_NS6detail17trampoline_kernelINS0_14default_configENS1_35radix_sort_onesweep_config_selectorIiNS0_10empty_typeEEEZZNS1_29radix_sort_onesweep_iterationIS3_Lb0EN6thrust23THRUST_200600_302600_NS6detail15normal_iteratorINS9_10device_ptrIiEEEESE_PS5_SF_jNS0_19identity_decomposerENS1_16block_id_wrapperIjLb1EEEEE10hipError_tT1_PNSt15iterator_traitsISK_E10value_typeET2_T3_PNSL_ISQ_E10value_typeET4_T5_PSV_SW_PNS1_23onesweep_lookback_stateEbbT6_jjT7_P12ihipStream_tbENKUlT_T0_SK_SP_E_clIPiSE_SF_SF_EEDaS13_S14_SK_SP_EUlS13_E_NS1_11comp_targetILNS1_3genE0ELNS1_11target_archE4294967295ELNS1_3gpuE0ELNS1_3repE0EEENS1_47radix_sort_onesweep_sort_config_static_selectorELNS0_4arch9wavefront6targetE1EEEvSK_
    .private_segment_fixed_size: 0
    .sgpr_count:     6
    .sgpr_spill_count: 0
    .symbol:         _ZN7rocprim17ROCPRIM_400000_NS6detail17trampoline_kernelINS0_14default_configENS1_35radix_sort_onesweep_config_selectorIiNS0_10empty_typeEEEZZNS1_29radix_sort_onesweep_iterationIS3_Lb0EN6thrust23THRUST_200600_302600_NS6detail15normal_iteratorINS9_10device_ptrIiEEEESE_PS5_SF_jNS0_19identity_decomposerENS1_16block_id_wrapperIjLb1EEEEE10hipError_tT1_PNSt15iterator_traitsISK_E10value_typeET2_T3_PNSL_ISQ_E10value_typeET4_T5_PSV_SW_PNS1_23onesweep_lookback_stateEbbT6_jjT7_P12ihipStream_tbENKUlT_T0_SK_SP_E_clIPiSE_SF_SF_EEDaS13_S14_SK_SP_EUlS13_E_NS1_11comp_targetILNS1_3genE0ELNS1_11target_archE4294967295ELNS1_3gpuE0ELNS1_3repE0EEENS1_47radix_sort_onesweep_sort_config_static_selectorELNS0_4arch9wavefront6targetE1EEEvSK_.kd
    .uniform_work_group_size: 1
    .uses_dynamic_stack: false
    .vgpr_count:     0
    .vgpr_spill_count: 0
    .wavefront_size: 64
  - .agpr_count:     0
    .args:
      - .offset:         0
        .size:           88
        .value_kind:     by_value
      - .offset:         88
        .size:           4
        .value_kind:     hidden_block_count_x
      - .offset:         92
        .size:           4
        .value_kind:     hidden_block_count_y
      - .offset:         96
        .size:           4
        .value_kind:     hidden_block_count_z
      - .offset:         100
        .size:           2
        .value_kind:     hidden_group_size_x
      - .offset:         102
        .size:           2
        .value_kind:     hidden_group_size_y
      - .offset:         104
        .size:           2
        .value_kind:     hidden_group_size_z
      - .offset:         106
        .size:           2
        .value_kind:     hidden_remainder_x
      - .offset:         108
        .size:           2
        .value_kind:     hidden_remainder_y
      - .offset:         110
        .size:           2
        .value_kind:     hidden_remainder_z
      - .offset:         128
        .size:           8
        .value_kind:     hidden_global_offset_x
      - .offset:         136
        .size:           8
        .value_kind:     hidden_global_offset_y
      - .offset:         144
        .size:           8
        .value_kind:     hidden_global_offset_z
      - .offset:         152
        .size:           2
        .value_kind:     hidden_grid_dims
    .group_segment_fixed_size: 20552
    .kernarg_segment_align: 8
    .kernarg_segment_size: 344
    .language:       OpenCL C
    .language_version:
      - 2
      - 0
    .max_flat_workgroup_size: 1024
    .name:           _ZN7rocprim17ROCPRIM_400000_NS6detail17trampoline_kernelINS0_14default_configENS1_35radix_sort_onesweep_config_selectorIiNS0_10empty_typeEEEZZNS1_29radix_sort_onesweep_iterationIS3_Lb0EN6thrust23THRUST_200600_302600_NS6detail15normal_iteratorINS9_10device_ptrIiEEEESE_PS5_SF_jNS0_19identity_decomposerENS1_16block_id_wrapperIjLb1EEEEE10hipError_tT1_PNSt15iterator_traitsISK_E10value_typeET2_T3_PNSL_ISQ_E10value_typeET4_T5_PSV_SW_PNS1_23onesweep_lookback_stateEbbT6_jjT7_P12ihipStream_tbENKUlT_T0_SK_SP_E_clIPiSE_SF_SF_EEDaS13_S14_SK_SP_EUlS13_E_NS1_11comp_targetILNS1_3genE6ELNS1_11target_archE950ELNS1_3gpuE13ELNS1_3repE0EEENS1_47radix_sort_onesweep_sort_config_static_selectorELNS0_4arch9wavefront6targetE1EEEvSK_
    .private_segment_fixed_size: 0
    .sgpr_count:     41
    .sgpr_spill_count: 0
    .symbol:         _ZN7rocprim17ROCPRIM_400000_NS6detail17trampoline_kernelINS0_14default_configENS1_35radix_sort_onesweep_config_selectorIiNS0_10empty_typeEEEZZNS1_29radix_sort_onesweep_iterationIS3_Lb0EN6thrust23THRUST_200600_302600_NS6detail15normal_iteratorINS9_10device_ptrIiEEEESE_PS5_SF_jNS0_19identity_decomposerENS1_16block_id_wrapperIjLb1EEEEE10hipError_tT1_PNSt15iterator_traitsISK_E10value_typeET2_T3_PNSL_ISQ_E10value_typeET4_T5_PSV_SW_PNS1_23onesweep_lookback_stateEbbT6_jjT7_P12ihipStream_tbENKUlT_T0_SK_SP_E_clIPiSE_SF_SF_EEDaS13_S14_SK_SP_EUlS13_E_NS1_11comp_targetILNS1_3genE6ELNS1_11target_archE950ELNS1_3gpuE13ELNS1_3repE0EEENS1_47radix_sort_onesweep_sort_config_static_selectorELNS0_4arch9wavefront6targetE1EEEvSK_.kd
    .uniform_work_group_size: 1
    .uses_dynamic_stack: false
    .vgpr_count:     46
    .vgpr_spill_count: 0
    .wavefront_size: 64
  - .agpr_count:     0
    .args:
      - .offset:         0
        .size:           88
        .value_kind:     by_value
    .group_segment_fixed_size: 0
    .kernarg_segment_align: 8
    .kernarg_segment_size: 88
    .language:       OpenCL C
    .language_version:
      - 2
      - 0
    .max_flat_workgroup_size: 1024
    .name:           _ZN7rocprim17ROCPRIM_400000_NS6detail17trampoline_kernelINS0_14default_configENS1_35radix_sort_onesweep_config_selectorIiNS0_10empty_typeEEEZZNS1_29radix_sort_onesweep_iterationIS3_Lb0EN6thrust23THRUST_200600_302600_NS6detail15normal_iteratorINS9_10device_ptrIiEEEESE_PS5_SF_jNS0_19identity_decomposerENS1_16block_id_wrapperIjLb1EEEEE10hipError_tT1_PNSt15iterator_traitsISK_E10value_typeET2_T3_PNSL_ISQ_E10value_typeET4_T5_PSV_SW_PNS1_23onesweep_lookback_stateEbbT6_jjT7_P12ihipStream_tbENKUlT_T0_SK_SP_E_clIPiSE_SF_SF_EEDaS13_S14_SK_SP_EUlS13_E_NS1_11comp_targetILNS1_3genE5ELNS1_11target_archE942ELNS1_3gpuE9ELNS1_3repE0EEENS1_47radix_sort_onesweep_sort_config_static_selectorELNS0_4arch9wavefront6targetE1EEEvSK_
    .private_segment_fixed_size: 0
    .sgpr_count:     6
    .sgpr_spill_count: 0
    .symbol:         _ZN7rocprim17ROCPRIM_400000_NS6detail17trampoline_kernelINS0_14default_configENS1_35radix_sort_onesweep_config_selectorIiNS0_10empty_typeEEEZZNS1_29radix_sort_onesweep_iterationIS3_Lb0EN6thrust23THRUST_200600_302600_NS6detail15normal_iteratorINS9_10device_ptrIiEEEESE_PS5_SF_jNS0_19identity_decomposerENS1_16block_id_wrapperIjLb1EEEEE10hipError_tT1_PNSt15iterator_traitsISK_E10value_typeET2_T3_PNSL_ISQ_E10value_typeET4_T5_PSV_SW_PNS1_23onesweep_lookback_stateEbbT6_jjT7_P12ihipStream_tbENKUlT_T0_SK_SP_E_clIPiSE_SF_SF_EEDaS13_S14_SK_SP_EUlS13_E_NS1_11comp_targetILNS1_3genE5ELNS1_11target_archE942ELNS1_3gpuE9ELNS1_3repE0EEENS1_47radix_sort_onesweep_sort_config_static_selectorELNS0_4arch9wavefront6targetE1EEEvSK_.kd
    .uniform_work_group_size: 1
    .uses_dynamic_stack: false
    .vgpr_count:     0
    .vgpr_spill_count: 0
    .wavefront_size: 64
  - .agpr_count:     0
    .args:
      - .offset:         0
        .size:           88
        .value_kind:     by_value
    .group_segment_fixed_size: 0
    .kernarg_segment_align: 8
    .kernarg_segment_size: 88
    .language:       OpenCL C
    .language_version:
      - 2
      - 0
    .max_flat_workgroup_size: 1024
    .name:           _ZN7rocprim17ROCPRIM_400000_NS6detail17trampoline_kernelINS0_14default_configENS1_35radix_sort_onesweep_config_selectorIiNS0_10empty_typeEEEZZNS1_29radix_sort_onesweep_iterationIS3_Lb0EN6thrust23THRUST_200600_302600_NS6detail15normal_iteratorINS9_10device_ptrIiEEEESE_PS5_SF_jNS0_19identity_decomposerENS1_16block_id_wrapperIjLb1EEEEE10hipError_tT1_PNSt15iterator_traitsISK_E10value_typeET2_T3_PNSL_ISQ_E10value_typeET4_T5_PSV_SW_PNS1_23onesweep_lookback_stateEbbT6_jjT7_P12ihipStream_tbENKUlT_T0_SK_SP_E_clIPiSE_SF_SF_EEDaS13_S14_SK_SP_EUlS13_E_NS1_11comp_targetILNS1_3genE2ELNS1_11target_archE906ELNS1_3gpuE6ELNS1_3repE0EEENS1_47radix_sort_onesweep_sort_config_static_selectorELNS0_4arch9wavefront6targetE1EEEvSK_
    .private_segment_fixed_size: 0
    .sgpr_count:     6
    .sgpr_spill_count: 0
    .symbol:         _ZN7rocprim17ROCPRIM_400000_NS6detail17trampoline_kernelINS0_14default_configENS1_35radix_sort_onesweep_config_selectorIiNS0_10empty_typeEEEZZNS1_29radix_sort_onesweep_iterationIS3_Lb0EN6thrust23THRUST_200600_302600_NS6detail15normal_iteratorINS9_10device_ptrIiEEEESE_PS5_SF_jNS0_19identity_decomposerENS1_16block_id_wrapperIjLb1EEEEE10hipError_tT1_PNSt15iterator_traitsISK_E10value_typeET2_T3_PNSL_ISQ_E10value_typeET4_T5_PSV_SW_PNS1_23onesweep_lookback_stateEbbT6_jjT7_P12ihipStream_tbENKUlT_T0_SK_SP_E_clIPiSE_SF_SF_EEDaS13_S14_SK_SP_EUlS13_E_NS1_11comp_targetILNS1_3genE2ELNS1_11target_archE906ELNS1_3gpuE6ELNS1_3repE0EEENS1_47radix_sort_onesweep_sort_config_static_selectorELNS0_4arch9wavefront6targetE1EEEvSK_.kd
    .uniform_work_group_size: 1
    .uses_dynamic_stack: false
    .vgpr_count:     0
    .vgpr_spill_count: 0
    .wavefront_size: 64
  - .agpr_count:     0
    .args:
      - .offset:         0
        .size:           88
        .value_kind:     by_value
    .group_segment_fixed_size: 0
    .kernarg_segment_align: 8
    .kernarg_segment_size: 88
    .language:       OpenCL C
    .language_version:
      - 2
      - 0
    .max_flat_workgroup_size: 1024
    .name:           _ZN7rocprim17ROCPRIM_400000_NS6detail17trampoline_kernelINS0_14default_configENS1_35radix_sort_onesweep_config_selectorIiNS0_10empty_typeEEEZZNS1_29radix_sort_onesweep_iterationIS3_Lb0EN6thrust23THRUST_200600_302600_NS6detail15normal_iteratorINS9_10device_ptrIiEEEESE_PS5_SF_jNS0_19identity_decomposerENS1_16block_id_wrapperIjLb1EEEEE10hipError_tT1_PNSt15iterator_traitsISK_E10value_typeET2_T3_PNSL_ISQ_E10value_typeET4_T5_PSV_SW_PNS1_23onesweep_lookback_stateEbbT6_jjT7_P12ihipStream_tbENKUlT_T0_SK_SP_E_clIPiSE_SF_SF_EEDaS13_S14_SK_SP_EUlS13_E_NS1_11comp_targetILNS1_3genE4ELNS1_11target_archE910ELNS1_3gpuE8ELNS1_3repE0EEENS1_47radix_sort_onesweep_sort_config_static_selectorELNS0_4arch9wavefront6targetE1EEEvSK_
    .private_segment_fixed_size: 0
    .sgpr_count:     6
    .sgpr_spill_count: 0
    .symbol:         _ZN7rocprim17ROCPRIM_400000_NS6detail17trampoline_kernelINS0_14default_configENS1_35radix_sort_onesweep_config_selectorIiNS0_10empty_typeEEEZZNS1_29radix_sort_onesweep_iterationIS3_Lb0EN6thrust23THRUST_200600_302600_NS6detail15normal_iteratorINS9_10device_ptrIiEEEESE_PS5_SF_jNS0_19identity_decomposerENS1_16block_id_wrapperIjLb1EEEEE10hipError_tT1_PNSt15iterator_traitsISK_E10value_typeET2_T3_PNSL_ISQ_E10value_typeET4_T5_PSV_SW_PNS1_23onesweep_lookback_stateEbbT6_jjT7_P12ihipStream_tbENKUlT_T0_SK_SP_E_clIPiSE_SF_SF_EEDaS13_S14_SK_SP_EUlS13_E_NS1_11comp_targetILNS1_3genE4ELNS1_11target_archE910ELNS1_3gpuE8ELNS1_3repE0EEENS1_47radix_sort_onesweep_sort_config_static_selectorELNS0_4arch9wavefront6targetE1EEEvSK_.kd
    .uniform_work_group_size: 1
    .uses_dynamic_stack: false
    .vgpr_count:     0
    .vgpr_spill_count: 0
    .wavefront_size: 64
  - .agpr_count:     0
    .args:
      - .offset:         0
        .size:           88
        .value_kind:     by_value
    .group_segment_fixed_size: 0
    .kernarg_segment_align: 8
    .kernarg_segment_size: 88
    .language:       OpenCL C
    .language_version:
      - 2
      - 0
    .max_flat_workgroup_size: 512
    .name:           _ZN7rocprim17ROCPRIM_400000_NS6detail17trampoline_kernelINS0_14default_configENS1_35radix_sort_onesweep_config_selectorIiNS0_10empty_typeEEEZZNS1_29radix_sort_onesweep_iterationIS3_Lb0EN6thrust23THRUST_200600_302600_NS6detail15normal_iteratorINS9_10device_ptrIiEEEESE_PS5_SF_jNS0_19identity_decomposerENS1_16block_id_wrapperIjLb1EEEEE10hipError_tT1_PNSt15iterator_traitsISK_E10value_typeET2_T3_PNSL_ISQ_E10value_typeET4_T5_PSV_SW_PNS1_23onesweep_lookback_stateEbbT6_jjT7_P12ihipStream_tbENKUlT_T0_SK_SP_E_clIPiSE_SF_SF_EEDaS13_S14_SK_SP_EUlS13_E_NS1_11comp_targetILNS1_3genE3ELNS1_11target_archE908ELNS1_3gpuE7ELNS1_3repE0EEENS1_47radix_sort_onesweep_sort_config_static_selectorELNS0_4arch9wavefront6targetE1EEEvSK_
    .private_segment_fixed_size: 0
    .sgpr_count:     6
    .sgpr_spill_count: 0
    .symbol:         _ZN7rocprim17ROCPRIM_400000_NS6detail17trampoline_kernelINS0_14default_configENS1_35radix_sort_onesweep_config_selectorIiNS0_10empty_typeEEEZZNS1_29radix_sort_onesweep_iterationIS3_Lb0EN6thrust23THRUST_200600_302600_NS6detail15normal_iteratorINS9_10device_ptrIiEEEESE_PS5_SF_jNS0_19identity_decomposerENS1_16block_id_wrapperIjLb1EEEEE10hipError_tT1_PNSt15iterator_traitsISK_E10value_typeET2_T3_PNSL_ISQ_E10value_typeET4_T5_PSV_SW_PNS1_23onesweep_lookback_stateEbbT6_jjT7_P12ihipStream_tbENKUlT_T0_SK_SP_E_clIPiSE_SF_SF_EEDaS13_S14_SK_SP_EUlS13_E_NS1_11comp_targetILNS1_3genE3ELNS1_11target_archE908ELNS1_3gpuE7ELNS1_3repE0EEENS1_47radix_sort_onesweep_sort_config_static_selectorELNS0_4arch9wavefront6targetE1EEEvSK_.kd
    .uniform_work_group_size: 1
    .uses_dynamic_stack: false
    .vgpr_count:     0
    .vgpr_spill_count: 0
    .wavefront_size: 64
  - .agpr_count:     0
    .args:
      - .offset:         0
        .size:           88
        .value_kind:     by_value
    .group_segment_fixed_size: 0
    .kernarg_segment_align: 8
    .kernarg_segment_size: 88
    .language:       OpenCL C
    .language_version:
      - 2
      - 0
    .max_flat_workgroup_size: 1024
    .name:           _ZN7rocprim17ROCPRIM_400000_NS6detail17trampoline_kernelINS0_14default_configENS1_35radix_sort_onesweep_config_selectorIiNS0_10empty_typeEEEZZNS1_29radix_sort_onesweep_iterationIS3_Lb0EN6thrust23THRUST_200600_302600_NS6detail15normal_iteratorINS9_10device_ptrIiEEEESE_PS5_SF_jNS0_19identity_decomposerENS1_16block_id_wrapperIjLb1EEEEE10hipError_tT1_PNSt15iterator_traitsISK_E10value_typeET2_T3_PNSL_ISQ_E10value_typeET4_T5_PSV_SW_PNS1_23onesweep_lookback_stateEbbT6_jjT7_P12ihipStream_tbENKUlT_T0_SK_SP_E_clIPiSE_SF_SF_EEDaS13_S14_SK_SP_EUlS13_E_NS1_11comp_targetILNS1_3genE10ELNS1_11target_archE1201ELNS1_3gpuE5ELNS1_3repE0EEENS1_47radix_sort_onesweep_sort_config_static_selectorELNS0_4arch9wavefront6targetE1EEEvSK_
    .private_segment_fixed_size: 0
    .sgpr_count:     6
    .sgpr_spill_count: 0
    .symbol:         _ZN7rocprim17ROCPRIM_400000_NS6detail17trampoline_kernelINS0_14default_configENS1_35radix_sort_onesweep_config_selectorIiNS0_10empty_typeEEEZZNS1_29radix_sort_onesweep_iterationIS3_Lb0EN6thrust23THRUST_200600_302600_NS6detail15normal_iteratorINS9_10device_ptrIiEEEESE_PS5_SF_jNS0_19identity_decomposerENS1_16block_id_wrapperIjLb1EEEEE10hipError_tT1_PNSt15iterator_traitsISK_E10value_typeET2_T3_PNSL_ISQ_E10value_typeET4_T5_PSV_SW_PNS1_23onesweep_lookback_stateEbbT6_jjT7_P12ihipStream_tbENKUlT_T0_SK_SP_E_clIPiSE_SF_SF_EEDaS13_S14_SK_SP_EUlS13_E_NS1_11comp_targetILNS1_3genE10ELNS1_11target_archE1201ELNS1_3gpuE5ELNS1_3repE0EEENS1_47radix_sort_onesweep_sort_config_static_selectorELNS0_4arch9wavefront6targetE1EEEvSK_.kd
    .uniform_work_group_size: 1
    .uses_dynamic_stack: false
    .vgpr_count:     0
    .vgpr_spill_count: 0
    .wavefront_size: 64
  - .agpr_count:     0
    .args:
      - .offset:         0
        .size:           88
        .value_kind:     by_value
    .group_segment_fixed_size: 0
    .kernarg_segment_align: 8
    .kernarg_segment_size: 88
    .language:       OpenCL C
    .language_version:
      - 2
      - 0
    .max_flat_workgroup_size: 1024
    .name:           _ZN7rocprim17ROCPRIM_400000_NS6detail17trampoline_kernelINS0_14default_configENS1_35radix_sort_onesweep_config_selectorIiNS0_10empty_typeEEEZZNS1_29radix_sort_onesweep_iterationIS3_Lb0EN6thrust23THRUST_200600_302600_NS6detail15normal_iteratorINS9_10device_ptrIiEEEESE_PS5_SF_jNS0_19identity_decomposerENS1_16block_id_wrapperIjLb1EEEEE10hipError_tT1_PNSt15iterator_traitsISK_E10value_typeET2_T3_PNSL_ISQ_E10value_typeET4_T5_PSV_SW_PNS1_23onesweep_lookback_stateEbbT6_jjT7_P12ihipStream_tbENKUlT_T0_SK_SP_E_clIPiSE_SF_SF_EEDaS13_S14_SK_SP_EUlS13_E_NS1_11comp_targetILNS1_3genE9ELNS1_11target_archE1100ELNS1_3gpuE3ELNS1_3repE0EEENS1_47radix_sort_onesweep_sort_config_static_selectorELNS0_4arch9wavefront6targetE1EEEvSK_
    .private_segment_fixed_size: 0
    .sgpr_count:     6
    .sgpr_spill_count: 0
    .symbol:         _ZN7rocprim17ROCPRIM_400000_NS6detail17trampoline_kernelINS0_14default_configENS1_35radix_sort_onesweep_config_selectorIiNS0_10empty_typeEEEZZNS1_29radix_sort_onesweep_iterationIS3_Lb0EN6thrust23THRUST_200600_302600_NS6detail15normal_iteratorINS9_10device_ptrIiEEEESE_PS5_SF_jNS0_19identity_decomposerENS1_16block_id_wrapperIjLb1EEEEE10hipError_tT1_PNSt15iterator_traitsISK_E10value_typeET2_T3_PNSL_ISQ_E10value_typeET4_T5_PSV_SW_PNS1_23onesweep_lookback_stateEbbT6_jjT7_P12ihipStream_tbENKUlT_T0_SK_SP_E_clIPiSE_SF_SF_EEDaS13_S14_SK_SP_EUlS13_E_NS1_11comp_targetILNS1_3genE9ELNS1_11target_archE1100ELNS1_3gpuE3ELNS1_3repE0EEENS1_47radix_sort_onesweep_sort_config_static_selectorELNS0_4arch9wavefront6targetE1EEEvSK_.kd
    .uniform_work_group_size: 1
    .uses_dynamic_stack: false
    .vgpr_count:     0
    .vgpr_spill_count: 0
    .wavefront_size: 64
  - .agpr_count:     0
    .args:
      - .offset:         0
        .size:           88
        .value_kind:     by_value
    .group_segment_fixed_size: 0
    .kernarg_segment_align: 8
    .kernarg_segment_size: 88
    .language:       OpenCL C
    .language_version:
      - 2
      - 0
    .max_flat_workgroup_size: 1024
    .name:           _ZN7rocprim17ROCPRIM_400000_NS6detail17trampoline_kernelINS0_14default_configENS1_35radix_sort_onesweep_config_selectorIiNS0_10empty_typeEEEZZNS1_29radix_sort_onesweep_iterationIS3_Lb0EN6thrust23THRUST_200600_302600_NS6detail15normal_iteratorINS9_10device_ptrIiEEEESE_PS5_SF_jNS0_19identity_decomposerENS1_16block_id_wrapperIjLb1EEEEE10hipError_tT1_PNSt15iterator_traitsISK_E10value_typeET2_T3_PNSL_ISQ_E10value_typeET4_T5_PSV_SW_PNS1_23onesweep_lookback_stateEbbT6_jjT7_P12ihipStream_tbENKUlT_T0_SK_SP_E_clIPiSE_SF_SF_EEDaS13_S14_SK_SP_EUlS13_E_NS1_11comp_targetILNS1_3genE8ELNS1_11target_archE1030ELNS1_3gpuE2ELNS1_3repE0EEENS1_47radix_sort_onesweep_sort_config_static_selectorELNS0_4arch9wavefront6targetE1EEEvSK_
    .private_segment_fixed_size: 0
    .sgpr_count:     6
    .sgpr_spill_count: 0
    .symbol:         _ZN7rocprim17ROCPRIM_400000_NS6detail17trampoline_kernelINS0_14default_configENS1_35radix_sort_onesweep_config_selectorIiNS0_10empty_typeEEEZZNS1_29radix_sort_onesweep_iterationIS3_Lb0EN6thrust23THRUST_200600_302600_NS6detail15normal_iteratorINS9_10device_ptrIiEEEESE_PS5_SF_jNS0_19identity_decomposerENS1_16block_id_wrapperIjLb1EEEEE10hipError_tT1_PNSt15iterator_traitsISK_E10value_typeET2_T3_PNSL_ISQ_E10value_typeET4_T5_PSV_SW_PNS1_23onesweep_lookback_stateEbbT6_jjT7_P12ihipStream_tbENKUlT_T0_SK_SP_E_clIPiSE_SF_SF_EEDaS13_S14_SK_SP_EUlS13_E_NS1_11comp_targetILNS1_3genE8ELNS1_11target_archE1030ELNS1_3gpuE2ELNS1_3repE0EEENS1_47radix_sort_onesweep_sort_config_static_selectorELNS0_4arch9wavefront6targetE1EEEvSK_.kd
    .uniform_work_group_size: 1
    .uses_dynamic_stack: false
    .vgpr_count:     0
    .vgpr_spill_count: 0
    .wavefront_size: 64
  - .agpr_count:     0
    .args:
      - .offset:         0
        .size:           88
        .value_kind:     by_value
    .group_segment_fixed_size: 0
    .kernarg_segment_align: 8
    .kernarg_segment_size: 88
    .language:       OpenCL C
    .language_version:
      - 2
      - 0
    .max_flat_workgroup_size: 512
    .name:           _ZN7rocprim17ROCPRIM_400000_NS6detail17trampoline_kernelINS0_14default_configENS1_35radix_sort_onesweep_config_selectorIiNS0_10empty_typeEEEZZNS1_29radix_sort_onesweep_iterationIS3_Lb0EN6thrust23THRUST_200600_302600_NS6detail15normal_iteratorINS9_10device_ptrIiEEEESE_PS5_SF_jNS0_19identity_decomposerENS1_16block_id_wrapperIjLb0EEEEE10hipError_tT1_PNSt15iterator_traitsISK_E10value_typeET2_T3_PNSL_ISQ_E10value_typeET4_T5_PSV_SW_PNS1_23onesweep_lookback_stateEbbT6_jjT7_P12ihipStream_tbENKUlT_T0_SK_SP_E_clISE_SE_SF_SF_EEDaS13_S14_SK_SP_EUlS13_E_NS1_11comp_targetILNS1_3genE0ELNS1_11target_archE4294967295ELNS1_3gpuE0ELNS1_3repE0EEENS1_47radix_sort_onesweep_sort_config_static_selectorELNS0_4arch9wavefront6targetE1EEEvSK_
    .private_segment_fixed_size: 0
    .sgpr_count:     6
    .sgpr_spill_count: 0
    .symbol:         _ZN7rocprim17ROCPRIM_400000_NS6detail17trampoline_kernelINS0_14default_configENS1_35radix_sort_onesweep_config_selectorIiNS0_10empty_typeEEEZZNS1_29radix_sort_onesweep_iterationIS3_Lb0EN6thrust23THRUST_200600_302600_NS6detail15normal_iteratorINS9_10device_ptrIiEEEESE_PS5_SF_jNS0_19identity_decomposerENS1_16block_id_wrapperIjLb0EEEEE10hipError_tT1_PNSt15iterator_traitsISK_E10value_typeET2_T3_PNSL_ISQ_E10value_typeET4_T5_PSV_SW_PNS1_23onesweep_lookback_stateEbbT6_jjT7_P12ihipStream_tbENKUlT_T0_SK_SP_E_clISE_SE_SF_SF_EEDaS13_S14_SK_SP_EUlS13_E_NS1_11comp_targetILNS1_3genE0ELNS1_11target_archE4294967295ELNS1_3gpuE0ELNS1_3repE0EEENS1_47radix_sort_onesweep_sort_config_static_selectorELNS0_4arch9wavefront6targetE1EEEvSK_.kd
    .uniform_work_group_size: 1
    .uses_dynamic_stack: false
    .vgpr_count:     0
    .vgpr_spill_count: 0
    .wavefront_size: 64
  - .agpr_count:     0
    .args:
      - .offset:         0
        .size:           88
        .value_kind:     by_value
      - .offset:         88
        .size:           4
        .value_kind:     hidden_block_count_x
      - .offset:         92
        .size:           4
        .value_kind:     hidden_block_count_y
      - .offset:         96
        .size:           4
        .value_kind:     hidden_block_count_z
      - .offset:         100
        .size:           2
        .value_kind:     hidden_group_size_x
      - .offset:         102
        .size:           2
        .value_kind:     hidden_group_size_y
      - .offset:         104
        .size:           2
        .value_kind:     hidden_group_size_z
      - .offset:         106
        .size:           2
        .value_kind:     hidden_remainder_x
      - .offset:         108
        .size:           2
        .value_kind:     hidden_remainder_y
      - .offset:         110
        .size:           2
        .value_kind:     hidden_remainder_z
      - .offset:         128
        .size:           8
        .value_kind:     hidden_global_offset_x
      - .offset:         136
        .size:           8
        .value_kind:     hidden_global_offset_y
      - .offset:         144
        .size:           8
        .value_kind:     hidden_global_offset_z
      - .offset:         152
        .size:           2
        .value_kind:     hidden_grid_dims
    .group_segment_fixed_size: 20552
    .kernarg_segment_align: 8
    .kernarg_segment_size: 344
    .language:       OpenCL C
    .language_version:
      - 2
      - 0
    .max_flat_workgroup_size: 1024
    .name:           _ZN7rocprim17ROCPRIM_400000_NS6detail17trampoline_kernelINS0_14default_configENS1_35radix_sort_onesweep_config_selectorIiNS0_10empty_typeEEEZZNS1_29radix_sort_onesweep_iterationIS3_Lb0EN6thrust23THRUST_200600_302600_NS6detail15normal_iteratorINS9_10device_ptrIiEEEESE_PS5_SF_jNS0_19identity_decomposerENS1_16block_id_wrapperIjLb0EEEEE10hipError_tT1_PNSt15iterator_traitsISK_E10value_typeET2_T3_PNSL_ISQ_E10value_typeET4_T5_PSV_SW_PNS1_23onesweep_lookback_stateEbbT6_jjT7_P12ihipStream_tbENKUlT_T0_SK_SP_E_clISE_SE_SF_SF_EEDaS13_S14_SK_SP_EUlS13_E_NS1_11comp_targetILNS1_3genE6ELNS1_11target_archE950ELNS1_3gpuE13ELNS1_3repE0EEENS1_47radix_sort_onesweep_sort_config_static_selectorELNS0_4arch9wavefront6targetE1EEEvSK_
    .private_segment_fixed_size: 0
    .sgpr_count:     37
    .sgpr_spill_count: 0
    .symbol:         _ZN7rocprim17ROCPRIM_400000_NS6detail17trampoline_kernelINS0_14default_configENS1_35radix_sort_onesweep_config_selectorIiNS0_10empty_typeEEEZZNS1_29radix_sort_onesweep_iterationIS3_Lb0EN6thrust23THRUST_200600_302600_NS6detail15normal_iteratorINS9_10device_ptrIiEEEESE_PS5_SF_jNS0_19identity_decomposerENS1_16block_id_wrapperIjLb0EEEEE10hipError_tT1_PNSt15iterator_traitsISK_E10value_typeET2_T3_PNSL_ISQ_E10value_typeET4_T5_PSV_SW_PNS1_23onesweep_lookback_stateEbbT6_jjT7_P12ihipStream_tbENKUlT_T0_SK_SP_E_clISE_SE_SF_SF_EEDaS13_S14_SK_SP_EUlS13_E_NS1_11comp_targetILNS1_3genE6ELNS1_11target_archE950ELNS1_3gpuE13ELNS1_3repE0EEENS1_47radix_sort_onesweep_sort_config_static_selectorELNS0_4arch9wavefront6targetE1EEEvSK_.kd
    .uniform_work_group_size: 1
    .uses_dynamic_stack: false
    .vgpr_count:     46
    .vgpr_spill_count: 0
    .wavefront_size: 64
  - .agpr_count:     0
    .args:
      - .offset:         0
        .size:           88
        .value_kind:     by_value
    .group_segment_fixed_size: 0
    .kernarg_segment_align: 8
    .kernarg_segment_size: 88
    .language:       OpenCL C
    .language_version:
      - 2
      - 0
    .max_flat_workgroup_size: 1024
    .name:           _ZN7rocprim17ROCPRIM_400000_NS6detail17trampoline_kernelINS0_14default_configENS1_35radix_sort_onesweep_config_selectorIiNS0_10empty_typeEEEZZNS1_29radix_sort_onesweep_iterationIS3_Lb0EN6thrust23THRUST_200600_302600_NS6detail15normal_iteratorINS9_10device_ptrIiEEEESE_PS5_SF_jNS0_19identity_decomposerENS1_16block_id_wrapperIjLb0EEEEE10hipError_tT1_PNSt15iterator_traitsISK_E10value_typeET2_T3_PNSL_ISQ_E10value_typeET4_T5_PSV_SW_PNS1_23onesweep_lookback_stateEbbT6_jjT7_P12ihipStream_tbENKUlT_T0_SK_SP_E_clISE_SE_SF_SF_EEDaS13_S14_SK_SP_EUlS13_E_NS1_11comp_targetILNS1_3genE5ELNS1_11target_archE942ELNS1_3gpuE9ELNS1_3repE0EEENS1_47radix_sort_onesweep_sort_config_static_selectorELNS0_4arch9wavefront6targetE1EEEvSK_
    .private_segment_fixed_size: 0
    .sgpr_count:     6
    .sgpr_spill_count: 0
    .symbol:         _ZN7rocprim17ROCPRIM_400000_NS6detail17trampoline_kernelINS0_14default_configENS1_35radix_sort_onesweep_config_selectorIiNS0_10empty_typeEEEZZNS1_29radix_sort_onesweep_iterationIS3_Lb0EN6thrust23THRUST_200600_302600_NS6detail15normal_iteratorINS9_10device_ptrIiEEEESE_PS5_SF_jNS0_19identity_decomposerENS1_16block_id_wrapperIjLb0EEEEE10hipError_tT1_PNSt15iterator_traitsISK_E10value_typeET2_T3_PNSL_ISQ_E10value_typeET4_T5_PSV_SW_PNS1_23onesweep_lookback_stateEbbT6_jjT7_P12ihipStream_tbENKUlT_T0_SK_SP_E_clISE_SE_SF_SF_EEDaS13_S14_SK_SP_EUlS13_E_NS1_11comp_targetILNS1_3genE5ELNS1_11target_archE942ELNS1_3gpuE9ELNS1_3repE0EEENS1_47radix_sort_onesweep_sort_config_static_selectorELNS0_4arch9wavefront6targetE1EEEvSK_.kd
    .uniform_work_group_size: 1
    .uses_dynamic_stack: false
    .vgpr_count:     0
    .vgpr_spill_count: 0
    .wavefront_size: 64
  - .agpr_count:     0
    .args:
      - .offset:         0
        .size:           88
        .value_kind:     by_value
    .group_segment_fixed_size: 0
    .kernarg_segment_align: 8
    .kernarg_segment_size: 88
    .language:       OpenCL C
    .language_version:
      - 2
      - 0
    .max_flat_workgroup_size: 1024
    .name:           _ZN7rocprim17ROCPRIM_400000_NS6detail17trampoline_kernelINS0_14default_configENS1_35radix_sort_onesweep_config_selectorIiNS0_10empty_typeEEEZZNS1_29radix_sort_onesweep_iterationIS3_Lb0EN6thrust23THRUST_200600_302600_NS6detail15normal_iteratorINS9_10device_ptrIiEEEESE_PS5_SF_jNS0_19identity_decomposerENS1_16block_id_wrapperIjLb0EEEEE10hipError_tT1_PNSt15iterator_traitsISK_E10value_typeET2_T3_PNSL_ISQ_E10value_typeET4_T5_PSV_SW_PNS1_23onesweep_lookback_stateEbbT6_jjT7_P12ihipStream_tbENKUlT_T0_SK_SP_E_clISE_SE_SF_SF_EEDaS13_S14_SK_SP_EUlS13_E_NS1_11comp_targetILNS1_3genE2ELNS1_11target_archE906ELNS1_3gpuE6ELNS1_3repE0EEENS1_47radix_sort_onesweep_sort_config_static_selectorELNS0_4arch9wavefront6targetE1EEEvSK_
    .private_segment_fixed_size: 0
    .sgpr_count:     6
    .sgpr_spill_count: 0
    .symbol:         _ZN7rocprim17ROCPRIM_400000_NS6detail17trampoline_kernelINS0_14default_configENS1_35radix_sort_onesweep_config_selectorIiNS0_10empty_typeEEEZZNS1_29radix_sort_onesweep_iterationIS3_Lb0EN6thrust23THRUST_200600_302600_NS6detail15normal_iteratorINS9_10device_ptrIiEEEESE_PS5_SF_jNS0_19identity_decomposerENS1_16block_id_wrapperIjLb0EEEEE10hipError_tT1_PNSt15iterator_traitsISK_E10value_typeET2_T3_PNSL_ISQ_E10value_typeET4_T5_PSV_SW_PNS1_23onesweep_lookback_stateEbbT6_jjT7_P12ihipStream_tbENKUlT_T0_SK_SP_E_clISE_SE_SF_SF_EEDaS13_S14_SK_SP_EUlS13_E_NS1_11comp_targetILNS1_3genE2ELNS1_11target_archE906ELNS1_3gpuE6ELNS1_3repE0EEENS1_47radix_sort_onesweep_sort_config_static_selectorELNS0_4arch9wavefront6targetE1EEEvSK_.kd
    .uniform_work_group_size: 1
    .uses_dynamic_stack: false
    .vgpr_count:     0
    .vgpr_spill_count: 0
    .wavefront_size: 64
  - .agpr_count:     0
    .args:
      - .offset:         0
        .size:           88
        .value_kind:     by_value
    .group_segment_fixed_size: 0
    .kernarg_segment_align: 8
    .kernarg_segment_size: 88
    .language:       OpenCL C
    .language_version:
      - 2
      - 0
    .max_flat_workgroup_size: 1024
    .name:           _ZN7rocprim17ROCPRIM_400000_NS6detail17trampoline_kernelINS0_14default_configENS1_35radix_sort_onesweep_config_selectorIiNS0_10empty_typeEEEZZNS1_29radix_sort_onesweep_iterationIS3_Lb0EN6thrust23THRUST_200600_302600_NS6detail15normal_iteratorINS9_10device_ptrIiEEEESE_PS5_SF_jNS0_19identity_decomposerENS1_16block_id_wrapperIjLb0EEEEE10hipError_tT1_PNSt15iterator_traitsISK_E10value_typeET2_T3_PNSL_ISQ_E10value_typeET4_T5_PSV_SW_PNS1_23onesweep_lookback_stateEbbT6_jjT7_P12ihipStream_tbENKUlT_T0_SK_SP_E_clISE_SE_SF_SF_EEDaS13_S14_SK_SP_EUlS13_E_NS1_11comp_targetILNS1_3genE4ELNS1_11target_archE910ELNS1_3gpuE8ELNS1_3repE0EEENS1_47radix_sort_onesweep_sort_config_static_selectorELNS0_4arch9wavefront6targetE1EEEvSK_
    .private_segment_fixed_size: 0
    .sgpr_count:     6
    .sgpr_spill_count: 0
    .symbol:         _ZN7rocprim17ROCPRIM_400000_NS6detail17trampoline_kernelINS0_14default_configENS1_35radix_sort_onesweep_config_selectorIiNS0_10empty_typeEEEZZNS1_29radix_sort_onesweep_iterationIS3_Lb0EN6thrust23THRUST_200600_302600_NS6detail15normal_iteratorINS9_10device_ptrIiEEEESE_PS5_SF_jNS0_19identity_decomposerENS1_16block_id_wrapperIjLb0EEEEE10hipError_tT1_PNSt15iterator_traitsISK_E10value_typeET2_T3_PNSL_ISQ_E10value_typeET4_T5_PSV_SW_PNS1_23onesweep_lookback_stateEbbT6_jjT7_P12ihipStream_tbENKUlT_T0_SK_SP_E_clISE_SE_SF_SF_EEDaS13_S14_SK_SP_EUlS13_E_NS1_11comp_targetILNS1_3genE4ELNS1_11target_archE910ELNS1_3gpuE8ELNS1_3repE0EEENS1_47radix_sort_onesweep_sort_config_static_selectorELNS0_4arch9wavefront6targetE1EEEvSK_.kd
    .uniform_work_group_size: 1
    .uses_dynamic_stack: false
    .vgpr_count:     0
    .vgpr_spill_count: 0
    .wavefront_size: 64
  - .agpr_count:     0
    .args:
      - .offset:         0
        .size:           88
        .value_kind:     by_value
    .group_segment_fixed_size: 0
    .kernarg_segment_align: 8
    .kernarg_segment_size: 88
    .language:       OpenCL C
    .language_version:
      - 2
      - 0
    .max_flat_workgroup_size: 512
    .name:           _ZN7rocprim17ROCPRIM_400000_NS6detail17trampoline_kernelINS0_14default_configENS1_35radix_sort_onesweep_config_selectorIiNS0_10empty_typeEEEZZNS1_29radix_sort_onesweep_iterationIS3_Lb0EN6thrust23THRUST_200600_302600_NS6detail15normal_iteratorINS9_10device_ptrIiEEEESE_PS5_SF_jNS0_19identity_decomposerENS1_16block_id_wrapperIjLb0EEEEE10hipError_tT1_PNSt15iterator_traitsISK_E10value_typeET2_T3_PNSL_ISQ_E10value_typeET4_T5_PSV_SW_PNS1_23onesweep_lookback_stateEbbT6_jjT7_P12ihipStream_tbENKUlT_T0_SK_SP_E_clISE_SE_SF_SF_EEDaS13_S14_SK_SP_EUlS13_E_NS1_11comp_targetILNS1_3genE3ELNS1_11target_archE908ELNS1_3gpuE7ELNS1_3repE0EEENS1_47radix_sort_onesweep_sort_config_static_selectorELNS0_4arch9wavefront6targetE1EEEvSK_
    .private_segment_fixed_size: 0
    .sgpr_count:     6
    .sgpr_spill_count: 0
    .symbol:         _ZN7rocprim17ROCPRIM_400000_NS6detail17trampoline_kernelINS0_14default_configENS1_35radix_sort_onesweep_config_selectorIiNS0_10empty_typeEEEZZNS1_29radix_sort_onesweep_iterationIS3_Lb0EN6thrust23THRUST_200600_302600_NS6detail15normal_iteratorINS9_10device_ptrIiEEEESE_PS5_SF_jNS0_19identity_decomposerENS1_16block_id_wrapperIjLb0EEEEE10hipError_tT1_PNSt15iterator_traitsISK_E10value_typeET2_T3_PNSL_ISQ_E10value_typeET4_T5_PSV_SW_PNS1_23onesweep_lookback_stateEbbT6_jjT7_P12ihipStream_tbENKUlT_T0_SK_SP_E_clISE_SE_SF_SF_EEDaS13_S14_SK_SP_EUlS13_E_NS1_11comp_targetILNS1_3genE3ELNS1_11target_archE908ELNS1_3gpuE7ELNS1_3repE0EEENS1_47radix_sort_onesweep_sort_config_static_selectorELNS0_4arch9wavefront6targetE1EEEvSK_.kd
    .uniform_work_group_size: 1
    .uses_dynamic_stack: false
    .vgpr_count:     0
    .vgpr_spill_count: 0
    .wavefront_size: 64
  - .agpr_count:     0
    .args:
      - .offset:         0
        .size:           88
        .value_kind:     by_value
    .group_segment_fixed_size: 0
    .kernarg_segment_align: 8
    .kernarg_segment_size: 88
    .language:       OpenCL C
    .language_version:
      - 2
      - 0
    .max_flat_workgroup_size: 1024
    .name:           _ZN7rocprim17ROCPRIM_400000_NS6detail17trampoline_kernelINS0_14default_configENS1_35radix_sort_onesweep_config_selectorIiNS0_10empty_typeEEEZZNS1_29radix_sort_onesweep_iterationIS3_Lb0EN6thrust23THRUST_200600_302600_NS6detail15normal_iteratorINS9_10device_ptrIiEEEESE_PS5_SF_jNS0_19identity_decomposerENS1_16block_id_wrapperIjLb0EEEEE10hipError_tT1_PNSt15iterator_traitsISK_E10value_typeET2_T3_PNSL_ISQ_E10value_typeET4_T5_PSV_SW_PNS1_23onesweep_lookback_stateEbbT6_jjT7_P12ihipStream_tbENKUlT_T0_SK_SP_E_clISE_SE_SF_SF_EEDaS13_S14_SK_SP_EUlS13_E_NS1_11comp_targetILNS1_3genE10ELNS1_11target_archE1201ELNS1_3gpuE5ELNS1_3repE0EEENS1_47radix_sort_onesweep_sort_config_static_selectorELNS0_4arch9wavefront6targetE1EEEvSK_
    .private_segment_fixed_size: 0
    .sgpr_count:     6
    .sgpr_spill_count: 0
    .symbol:         _ZN7rocprim17ROCPRIM_400000_NS6detail17trampoline_kernelINS0_14default_configENS1_35radix_sort_onesweep_config_selectorIiNS0_10empty_typeEEEZZNS1_29radix_sort_onesweep_iterationIS3_Lb0EN6thrust23THRUST_200600_302600_NS6detail15normal_iteratorINS9_10device_ptrIiEEEESE_PS5_SF_jNS0_19identity_decomposerENS1_16block_id_wrapperIjLb0EEEEE10hipError_tT1_PNSt15iterator_traitsISK_E10value_typeET2_T3_PNSL_ISQ_E10value_typeET4_T5_PSV_SW_PNS1_23onesweep_lookback_stateEbbT6_jjT7_P12ihipStream_tbENKUlT_T0_SK_SP_E_clISE_SE_SF_SF_EEDaS13_S14_SK_SP_EUlS13_E_NS1_11comp_targetILNS1_3genE10ELNS1_11target_archE1201ELNS1_3gpuE5ELNS1_3repE0EEENS1_47radix_sort_onesweep_sort_config_static_selectorELNS0_4arch9wavefront6targetE1EEEvSK_.kd
    .uniform_work_group_size: 1
    .uses_dynamic_stack: false
    .vgpr_count:     0
    .vgpr_spill_count: 0
    .wavefront_size: 64
  - .agpr_count:     0
    .args:
      - .offset:         0
        .size:           88
        .value_kind:     by_value
    .group_segment_fixed_size: 0
    .kernarg_segment_align: 8
    .kernarg_segment_size: 88
    .language:       OpenCL C
    .language_version:
      - 2
      - 0
    .max_flat_workgroup_size: 1024
    .name:           _ZN7rocprim17ROCPRIM_400000_NS6detail17trampoline_kernelINS0_14default_configENS1_35radix_sort_onesweep_config_selectorIiNS0_10empty_typeEEEZZNS1_29radix_sort_onesweep_iterationIS3_Lb0EN6thrust23THRUST_200600_302600_NS6detail15normal_iteratorINS9_10device_ptrIiEEEESE_PS5_SF_jNS0_19identity_decomposerENS1_16block_id_wrapperIjLb0EEEEE10hipError_tT1_PNSt15iterator_traitsISK_E10value_typeET2_T3_PNSL_ISQ_E10value_typeET4_T5_PSV_SW_PNS1_23onesweep_lookback_stateEbbT6_jjT7_P12ihipStream_tbENKUlT_T0_SK_SP_E_clISE_SE_SF_SF_EEDaS13_S14_SK_SP_EUlS13_E_NS1_11comp_targetILNS1_3genE9ELNS1_11target_archE1100ELNS1_3gpuE3ELNS1_3repE0EEENS1_47radix_sort_onesweep_sort_config_static_selectorELNS0_4arch9wavefront6targetE1EEEvSK_
    .private_segment_fixed_size: 0
    .sgpr_count:     6
    .sgpr_spill_count: 0
    .symbol:         _ZN7rocprim17ROCPRIM_400000_NS6detail17trampoline_kernelINS0_14default_configENS1_35radix_sort_onesweep_config_selectorIiNS0_10empty_typeEEEZZNS1_29radix_sort_onesweep_iterationIS3_Lb0EN6thrust23THRUST_200600_302600_NS6detail15normal_iteratorINS9_10device_ptrIiEEEESE_PS5_SF_jNS0_19identity_decomposerENS1_16block_id_wrapperIjLb0EEEEE10hipError_tT1_PNSt15iterator_traitsISK_E10value_typeET2_T3_PNSL_ISQ_E10value_typeET4_T5_PSV_SW_PNS1_23onesweep_lookback_stateEbbT6_jjT7_P12ihipStream_tbENKUlT_T0_SK_SP_E_clISE_SE_SF_SF_EEDaS13_S14_SK_SP_EUlS13_E_NS1_11comp_targetILNS1_3genE9ELNS1_11target_archE1100ELNS1_3gpuE3ELNS1_3repE0EEENS1_47radix_sort_onesweep_sort_config_static_selectorELNS0_4arch9wavefront6targetE1EEEvSK_.kd
    .uniform_work_group_size: 1
    .uses_dynamic_stack: false
    .vgpr_count:     0
    .vgpr_spill_count: 0
    .wavefront_size: 64
  - .agpr_count:     0
    .args:
      - .offset:         0
        .size:           88
        .value_kind:     by_value
    .group_segment_fixed_size: 0
    .kernarg_segment_align: 8
    .kernarg_segment_size: 88
    .language:       OpenCL C
    .language_version:
      - 2
      - 0
    .max_flat_workgroup_size: 1024
    .name:           _ZN7rocprim17ROCPRIM_400000_NS6detail17trampoline_kernelINS0_14default_configENS1_35radix_sort_onesweep_config_selectorIiNS0_10empty_typeEEEZZNS1_29radix_sort_onesweep_iterationIS3_Lb0EN6thrust23THRUST_200600_302600_NS6detail15normal_iteratorINS9_10device_ptrIiEEEESE_PS5_SF_jNS0_19identity_decomposerENS1_16block_id_wrapperIjLb0EEEEE10hipError_tT1_PNSt15iterator_traitsISK_E10value_typeET2_T3_PNSL_ISQ_E10value_typeET4_T5_PSV_SW_PNS1_23onesweep_lookback_stateEbbT6_jjT7_P12ihipStream_tbENKUlT_T0_SK_SP_E_clISE_SE_SF_SF_EEDaS13_S14_SK_SP_EUlS13_E_NS1_11comp_targetILNS1_3genE8ELNS1_11target_archE1030ELNS1_3gpuE2ELNS1_3repE0EEENS1_47radix_sort_onesweep_sort_config_static_selectorELNS0_4arch9wavefront6targetE1EEEvSK_
    .private_segment_fixed_size: 0
    .sgpr_count:     6
    .sgpr_spill_count: 0
    .symbol:         _ZN7rocprim17ROCPRIM_400000_NS6detail17trampoline_kernelINS0_14default_configENS1_35radix_sort_onesweep_config_selectorIiNS0_10empty_typeEEEZZNS1_29radix_sort_onesweep_iterationIS3_Lb0EN6thrust23THRUST_200600_302600_NS6detail15normal_iteratorINS9_10device_ptrIiEEEESE_PS5_SF_jNS0_19identity_decomposerENS1_16block_id_wrapperIjLb0EEEEE10hipError_tT1_PNSt15iterator_traitsISK_E10value_typeET2_T3_PNSL_ISQ_E10value_typeET4_T5_PSV_SW_PNS1_23onesweep_lookback_stateEbbT6_jjT7_P12ihipStream_tbENKUlT_T0_SK_SP_E_clISE_SE_SF_SF_EEDaS13_S14_SK_SP_EUlS13_E_NS1_11comp_targetILNS1_3genE8ELNS1_11target_archE1030ELNS1_3gpuE2ELNS1_3repE0EEENS1_47radix_sort_onesweep_sort_config_static_selectorELNS0_4arch9wavefront6targetE1EEEvSK_.kd
    .uniform_work_group_size: 1
    .uses_dynamic_stack: false
    .vgpr_count:     0
    .vgpr_spill_count: 0
    .wavefront_size: 64
  - .agpr_count:     0
    .args:
      - .offset:         0
        .size:           88
        .value_kind:     by_value
    .group_segment_fixed_size: 0
    .kernarg_segment_align: 8
    .kernarg_segment_size: 88
    .language:       OpenCL C
    .language_version:
      - 2
      - 0
    .max_flat_workgroup_size: 512
    .name:           _ZN7rocprim17ROCPRIM_400000_NS6detail17trampoline_kernelINS0_14default_configENS1_35radix_sort_onesweep_config_selectorIiNS0_10empty_typeEEEZZNS1_29radix_sort_onesweep_iterationIS3_Lb0EN6thrust23THRUST_200600_302600_NS6detail15normal_iteratorINS9_10device_ptrIiEEEESE_PS5_SF_jNS0_19identity_decomposerENS1_16block_id_wrapperIjLb0EEEEE10hipError_tT1_PNSt15iterator_traitsISK_E10value_typeET2_T3_PNSL_ISQ_E10value_typeET4_T5_PSV_SW_PNS1_23onesweep_lookback_stateEbbT6_jjT7_P12ihipStream_tbENKUlT_T0_SK_SP_E_clISE_PiSF_SF_EEDaS13_S14_SK_SP_EUlS13_E_NS1_11comp_targetILNS1_3genE0ELNS1_11target_archE4294967295ELNS1_3gpuE0ELNS1_3repE0EEENS1_47radix_sort_onesweep_sort_config_static_selectorELNS0_4arch9wavefront6targetE1EEEvSK_
    .private_segment_fixed_size: 0
    .sgpr_count:     6
    .sgpr_spill_count: 0
    .symbol:         _ZN7rocprim17ROCPRIM_400000_NS6detail17trampoline_kernelINS0_14default_configENS1_35radix_sort_onesweep_config_selectorIiNS0_10empty_typeEEEZZNS1_29radix_sort_onesweep_iterationIS3_Lb0EN6thrust23THRUST_200600_302600_NS6detail15normal_iteratorINS9_10device_ptrIiEEEESE_PS5_SF_jNS0_19identity_decomposerENS1_16block_id_wrapperIjLb0EEEEE10hipError_tT1_PNSt15iterator_traitsISK_E10value_typeET2_T3_PNSL_ISQ_E10value_typeET4_T5_PSV_SW_PNS1_23onesweep_lookback_stateEbbT6_jjT7_P12ihipStream_tbENKUlT_T0_SK_SP_E_clISE_PiSF_SF_EEDaS13_S14_SK_SP_EUlS13_E_NS1_11comp_targetILNS1_3genE0ELNS1_11target_archE4294967295ELNS1_3gpuE0ELNS1_3repE0EEENS1_47radix_sort_onesweep_sort_config_static_selectorELNS0_4arch9wavefront6targetE1EEEvSK_.kd
    .uniform_work_group_size: 1
    .uses_dynamic_stack: false
    .vgpr_count:     0
    .vgpr_spill_count: 0
    .wavefront_size: 64
  - .agpr_count:     0
    .args:
      - .offset:         0
        .size:           88
        .value_kind:     by_value
      - .offset:         88
        .size:           4
        .value_kind:     hidden_block_count_x
      - .offset:         92
        .size:           4
        .value_kind:     hidden_block_count_y
      - .offset:         96
        .size:           4
        .value_kind:     hidden_block_count_z
      - .offset:         100
        .size:           2
        .value_kind:     hidden_group_size_x
      - .offset:         102
        .size:           2
        .value_kind:     hidden_group_size_y
      - .offset:         104
        .size:           2
        .value_kind:     hidden_group_size_z
      - .offset:         106
        .size:           2
        .value_kind:     hidden_remainder_x
      - .offset:         108
        .size:           2
        .value_kind:     hidden_remainder_y
      - .offset:         110
        .size:           2
        .value_kind:     hidden_remainder_z
      - .offset:         128
        .size:           8
        .value_kind:     hidden_global_offset_x
      - .offset:         136
        .size:           8
        .value_kind:     hidden_global_offset_y
      - .offset:         144
        .size:           8
        .value_kind:     hidden_global_offset_z
      - .offset:         152
        .size:           2
        .value_kind:     hidden_grid_dims
    .group_segment_fixed_size: 20552
    .kernarg_segment_align: 8
    .kernarg_segment_size: 344
    .language:       OpenCL C
    .language_version:
      - 2
      - 0
    .max_flat_workgroup_size: 1024
    .name:           _ZN7rocprim17ROCPRIM_400000_NS6detail17trampoline_kernelINS0_14default_configENS1_35radix_sort_onesweep_config_selectorIiNS0_10empty_typeEEEZZNS1_29radix_sort_onesweep_iterationIS3_Lb0EN6thrust23THRUST_200600_302600_NS6detail15normal_iteratorINS9_10device_ptrIiEEEESE_PS5_SF_jNS0_19identity_decomposerENS1_16block_id_wrapperIjLb0EEEEE10hipError_tT1_PNSt15iterator_traitsISK_E10value_typeET2_T3_PNSL_ISQ_E10value_typeET4_T5_PSV_SW_PNS1_23onesweep_lookback_stateEbbT6_jjT7_P12ihipStream_tbENKUlT_T0_SK_SP_E_clISE_PiSF_SF_EEDaS13_S14_SK_SP_EUlS13_E_NS1_11comp_targetILNS1_3genE6ELNS1_11target_archE950ELNS1_3gpuE13ELNS1_3repE0EEENS1_47radix_sort_onesweep_sort_config_static_selectorELNS0_4arch9wavefront6targetE1EEEvSK_
    .private_segment_fixed_size: 0
    .sgpr_count:     37
    .sgpr_spill_count: 0
    .symbol:         _ZN7rocprim17ROCPRIM_400000_NS6detail17trampoline_kernelINS0_14default_configENS1_35radix_sort_onesweep_config_selectorIiNS0_10empty_typeEEEZZNS1_29radix_sort_onesweep_iterationIS3_Lb0EN6thrust23THRUST_200600_302600_NS6detail15normal_iteratorINS9_10device_ptrIiEEEESE_PS5_SF_jNS0_19identity_decomposerENS1_16block_id_wrapperIjLb0EEEEE10hipError_tT1_PNSt15iterator_traitsISK_E10value_typeET2_T3_PNSL_ISQ_E10value_typeET4_T5_PSV_SW_PNS1_23onesweep_lookback_stateEbbT6_jjT7_P12ihipStream_tbENKUlT_T0_SK_SP_E_clISE_PiSF_SF_EEDaS13_S14_SK_SP_EUlS13_E_NS1_11comp_targetILNS1_3genE6ELNS1_11target_archE950ELNS1_3gpuE13ELNS1_3repE0EEENS1_47radix_sort_onesweep_sort_config_static_selectorELNS0_4arch9wavefront6targetE1EEEvSK_.kd
    .uniform_work_group_size: 1
    .uses_dynamic_stack: false
    .vgpr_count:     46
    .vgpr_spill_count: 0
    .wavefront_size: 64
  - .agpr_count:     0
    .args:
      - .offset:         0
        .size:           88
        .value_kind:     by_value
    .group_segment_fixed_size: 0
    .kernarg_segment_align: 8
    .kernarg_segment_size: 88
    .language:       OpenCL C
    .language_version:
      - 2
      - 0
    .max_flat_workgroup_size: 1024
    .name:           _ZN7rocprim17ROCPRIM_400000_NS6detail17trampoline_kernelINS0_14default_configENS1_35radix_sort_onesweep_config_selectorIiNS0_10empty_typeEEEZZNS1_29radix_sort_onesweep_iterationIS3_Lb0EN6thrust23THRUST_200600_302600_NS6detail15normal_iteratorINS9_10device_ptrIiEEEESE_PS5_SF_jNS0_19identity_decomposerENS1_16block_id_wrapperIjLb0EEEEE10hipError_tT1_PNSt15iterator_traitsISK_E10value_typeET2_T3_PNSL_ISQ_E10value_typeET4_T5_PSV_SW_PNS1_23onesweep_lookback_stateEbbT6_jjT7_P12ihipStream_tbENKUlT_T0_SK_SP_E_clISE_PiSF_SF_EEDaS13_S14_SK_SP_EUlS13_E_NS1_11comp_targetILNS1_3genE5ELNS1_11target_archE942ELNS1_3gpuE9ELNS1_3repE0EEENS1_47radix_sort_onesweep_sort_config_static_selectorELNS0_4arch9wavefront6targetE1EEEvSK_
    .private_segment_fixed_size: 0
    .sgpr_count:     6
    .sgpr_spill_count: 0
    .symbol:         _ZN7rocprim17ROCPRIM_400000_NS6detail17trampoline_kernelINS0_14default_configENS1_35radix_sort_onesweep_config_selectorIiNS0_10empty_typeEEEZZNS1_29radix_sort_onesweep_iterationIS3_Lb0EN6thrust23THRUST_200600_302600_NS6detail15normal_iteratorINS9_10device_ptrIiEEEESE_PS5_SF_jNS0_19identity_decomposerENS1_16block_id_wrapperIjLb0EEEEE10hipError_tT1_PNSt15iterator_traitsISK_E10value_typeET2_T3_PNSL_ISQ_E10value_typeET4_T5_PSV_SW_PNS1_23onesweep_lookback_stateEbbT6_jjT7_P12ihipStream_tbENKUlT_T0_SK_SP_E_clISE_PiSF_SF_EEDaS13_S14_SK_SP_EUlS13_E_NS1_11comp_targetILNS1_3genE5ELNS1_11target_archE942ELNS1_3gpuE9ELNS1_3repE0EEENS1_47radix_sort_onesweep_sort_config_static_selectorELNS0_4arch9wavefront6targetE1EEEvSK_.kd
    .uniform_work_group_size: 1
    .uses_dynamic_stack: false
    .vgpr_count:     0
    .vgpr_spill_count: 0
    .wavefront_size: 64
  - .agpr_count:     0
    .args:
      - .offset:         0
        .size:           88
        .value_kind:     by_value
    .group_segment_fixed_size: 0
    .kernarg_segment_align: 8
    .kernarg_segment_size: 88
    .language:       OpenCL C
    .language_version:
      - 2
      - 0
    .max_flat_workgroup_size: 1024
    .name:           _ZN7rocprim17ROCPRIM_400000_NS6detail17trampoline_kernelINS0_14default_configENS1_35radix_sort_onesweep_config_selectorIiNS0_10empty_typeEEEZZNS1_29radix_sort_onesweep_iterationIS3_Lb0EN6thrust23THRUST_200600_302600_NS6detail15normal_iteratorINS9_10device_ptrIiEEEESE_PS5_SF_jNS0_19identity_decomposerENS1_16block_id_wrapperIjLb0EEEEE10hipError_tT1_PNSt15iterator_traitsISK_E10value_typeET2_T3_PNSL_ISQ_E10value_typeET4_T5_PSV_SW_PNS1_23onesweep_lookback_stateEbbT6_jjT7_P12ihipStream_tbENKUlT_T0_SK_SP_E_clISE_PiSF_SF_EEDaS13_S14_SK_SP_EUlS13_E_NS1_11comp_targetILNS1_3genE2ELNS1_11target_archE906ELNS1_3gpuE6ELNS1_3repE0EEENS1_47radix_sort_onesweep_sort_config_static_selectorELNS0_4arch9wavefront6targetE1EEEvSK_
    .private_segment_fixed_size: 0
    .sgpr_count:     6
    .sgpr_spill_count: 0
    .symbol:         _ZN7rocprim17ROCPRIM_400000_NS6detail17trampoline_kernelINS0_14default_configENS1_35radix_sort_onesweep_config_selectorIiNS0_10empty_typeEEEZZNS1_29radix_sort_onesweep_iterationIS3_Lb0EN6thrust23THRUST_200600_302600_NS6detail15normal_iteratorINS9_10device_ptrIiEEEESE_PS5_SF_jNS0_19identity_decomposerENS1_16block_id_wrapperIjLb0EEEEE10hipError_tT1_PNSt15iterator_traitsISK_E10value_typeET2_T3_PNSL_ISQ_E10value_typeET4_T5_PSV_SW_PNS1_23onesweep_lookback_stateEbbT6_jjT7_P12ihipStream_tbENKUlT_T0_SK_SP_E_clISE_PiSF_SF_EEDaS13_S14_SK_SP_EUlS13_E_NS1_11comp_targetILNS1_3genE2ELNS1_11target_archE906ELNS1_3gpuE6ELNS1_3repE0EEENS1_47radix_sort_onesweep_sort_config_static_selectorELNS0_4arch9wavefront6targetE1EEEvSK_.kd
    .uniform_work_group_size: 1
    .uses_dynamic_stack: false
    .vgpr_count:     0
    .vgpr_spill_count: 0
    .wavefront_size: 64
  - .agpr_count:     0
    .args:
      - .offset:         0
        .size:           88
        .value_kind:     by_value
    .group_segment_fixed_size: 0
    .kernarg_segment_align: 8
    .kernarg_segment_size: 88
    .language:       OpenCL C
    .language_version:
      - 2
      - 0
    .max_flat_workgroup_size: 1024
    .name:           _ZN7rocprim17ROCPRIM_400000_NS6detail17trampoline_kernelINS0_14default_configENS1_35radix_sort_onesweep_config_selectorIiNS0_10empty_typeEEEZZNS1_29radix_sort_onesweep_iterationIS3_Lb0EN6thrust23THRUST_200600_302600_NS6detail15normal_iteratorINS9_10device_ptrIiEEEESE_PS5_SF_jNS0_19identity_decomposerENS1_16block_id_wrapperIjLb0EEEEE10hipError_tT1_PNSt15iterator_traitsISK_E10value_typeET2_T3_PNSL_ISQ_E10value_typeET4_T5_PSV_SW_PNS1_23onesweep_lookback_stateEbbT6_jjT7_P12ihipStream_tbENKUlT_T0_SK_SP_E_clISE_PiSF_SF_EEDaS13_S14_SK_SP_EUlS13_E_NS1_11comp_targetILNS1_3genE4ELNS1_11target_archE910ELNS1_3gpuE8ELNS1_3repE0EEENS1_47radix_sort_onesweep_sort_config_static_selectorELNS0_4arch9wavefront6targetE1EEEvSK_
    .private_segment_fixed_size: 0
    .sgpr_count:     6
    .sgpr_spill_count: 0
    .symbol:         _ZN7rocprim17ROCPRIM_400000_NS6detail17trampoline_kernelINS0_14default_configENS1_35radix_sort_onesweep_config_selectorIiNS0_10empty_typeEEEZZNS1_29radix_sort_onesweep_iterationIS3_Lb0EN6thrust23THRUST_200600_302600_NS6detail15normal_iteratorINS9_10device_ptrIiEEEESE_PS5_SF_jNS0_19identity_decomposerENS1_16block_id_wrapperIjLb0EEEEE10hipError_tT1_PNSt15iterator_traitsISK_E10value_typeET2_T3_PNSL_ISQ_E10value_typeET4_T5_PSV_SW_PNS1_23onesweep_lookback_stateEbbT6_jjT7_P12ihipStream_tbENKUlT_T0_SK_SP_E_clISE_PiSF_SF_EEDaS13_S14_SK_SP_EUlS13_E_NS1_11comp_targetILNS1_3genE4ELNS1_11target_archE910ELNS1_3gpuE8ELNS1_3repE0EEENS1_47radix_sort_onesweep_sort_config_static_selectorELNS0_4arch9wavefront6targetE1EEEvSK_.kd
    .uniform_work_group_size: 1
    .uses_dynamic_stack: false
    .vgpr_count:     0
    .vgpr_spill_count: 0
    .wavefront_size: 64
  - .agpr_count:     0
    .args:
      - .offset:         0
        .size:           88
        .value_kind:     by_value
    .group_segment_fixed_size: 0
    .kernarg_segment_align: 8
    .kernarg_segment_size: 88
    .language:       OpenCL C
    .language_version:
      - 2
      - 0
    .max_flat_workgroup_size: 512
    .name:           _ZN7rocprim17ROCPRIM_400000_NS6detail17trampoline_kernelINS0_14default_configENS1_35radix_sort_onesweep_config_selectorIiNS0_10empty_typeEEEZZNS1_29radix_sort_onesweep_iterationIS3_Lb0EN6thrust23THRUST_200600_302600_NS6detail15normal_iteratorINS9_10device_ptrIiEEEESE_PS5_SF_jNS0_19identity_decomposerENS1_16block_id_wrapperIjLb0EEEEE10hipError_tT1_PNSt15iterator_traitsISK_E10value_typeET2_T3_PNSL_ISQ_E10value_typeET4_T5_PSV_SW_PNS1_23onesweep_lookback_stateEbbT6_jjT7_P12ihipStream_tbENKUlT_T0_SK_SP_E_clISE_PiSF_SF_EEDaS13_S14_SK_SP_EUlS13_E_NS1_11comp_targetILNS1_3genE3ELNS1_11target_archE908ELNS1_3gpuE7ELNS1_3repE0EEENS1_47radix_sort_onesweep_sort_config_static_selectorELNS0_4arch9wavefront6targetE1EEEvSK_
    .private_segment_fixed_size: 0
    .sgpr_count:     6
    .sgpr_spill_count: 0
    .symbol:         _ZN7rocprim17ROCPRIM_400000_NS6detail17trampoline_kernelINS0_14default_configENS1_35radix_sort_onesweep_config_selectorIiNS0_10empty_typeEEEZZNS1_29radix_sort_onesweep_iterationIS3_Lb0EN6thrust23THRUST_200600_302600_NS6detail15normal_iteratorINS9_10device_ptrIiEEEESE_PS5_SF_jNS0_19identity_decomposerENS1_16block_id_wrapperIjLb0EEEEE10hipError_tT1_PNSt15iterator_traitsISK_E10value_typeET2_T3_PNSL_ISQ_E10value_typeET4_T5_PSV_SW_PNS1_23onesweep_lookback_stateEbbT6_jjT7_P12ihipStream_tbENKUlT_T0_SK_SP_E_clISE_PiSF_SF_EEDaS13_S14_SK_SP_EUlS13_E_NS1_11comp_targetILNS1_3genE3ELNS1_11target_archE908ELNS1_3gpuE7ELNS1_3repE0EEENS1_47radix_sort_onesweep_sort_config_static_selectorELNS0_4arch9wavefront6targetE1EEEvSK_.kd
    .uniform_work_group_size: 1
    .uses_dynamic_stack: false
    .vgpr_count:     0
    .vgpr_spill_count: 0
    .wavefront_size: 64
  - .agpr_count:     0
    .args:
      - .offset:         0
        .size:           88
        .value_kind:     by_value
    .group_segment_fixed_size: 0
    .kernarg_segment_align: 8
    .kernarg_segment_size: 88
    .language:       OpenCL C
    .language_version:
      - 2
      - 0
    .max_flat_workgroup_size: 1024
    .name:           _ZN7rocprim17ROCPRIM_400000_NS6detail17trampoline_kernelINS0_14default_configENS1_35radix_sort_onesweep_config_selectorIiNS0_10empty_typeEEEZZNS1_29radix_sort_onesweep_iterationIS3_Lb0EN6thrust23THRUST_200600_302600_NS6detail15normal_iteratorINS9_10device_ptrIiEEEESE_PS5_SF_jNS0_19identity_decomposerENS1_16block_id_wrapperIjLb0EEEEE10hipError_tT1_PNSt15iterator_traitsISK_E10value_typeET2_T3_PNSL_ISQ_E10value_typeET4_T5_PSV_SW_PNS1_23onesweep_lookback_stateEbbT6_jjT7_P12ihipStream_tbENKUlT_T0_SK_SP_E_clISE_PiSF_SF_EEDaS13_S14_SK_SP_EUlS13_E_NS1_11comp_targetILNS1_3genE10ELNS1_11target_archE1201ELNS1_3gpuE5ELNS1_3repE0EEENS1_47radix_sort_onesweep_sort_config_static_selectorELNS0_4arch9wavefront6targetE1EEEvSK_
    .private_segment_fixed_size: 0
    .sgpr_count:     6
    .sgpr_spill_count: 0
    .symbol:         _ZN7rocprim17ROCPRIM_400000_NS6detail17trampoline_kernelINS0_14default_configENS1_35radix_sort_onesweep_config_selectorIiNS0_10empty_typeEEEZZNS1_29radix_sort_onesweep_iterationIS3_Lb0EN6thrust23THRUST_200600_302600_NS6detail15normal_iteratorINS9_10device_ptrIiEEEESE_PS5_SF_jNS0_19identity_decomposerENS1_16block_id_wrapperIjLb0EEEEE10hipError_tT1_PNSt15iterator_traitsISK_E10value_typeET2_T3_PNSL_ISQ_E10value_typeET4_T5_PSV_SW_PNS1_23onesweep_lookback_stateEbbT6_jjT7_P12ihipStream_tbENKUlT_T0_SK_SP_E_clISE_PiSF_SF_EEDaS13_S14_SK_SP_EUlS13_E_NS1_11comp_targetILNS1_3genE10ELNS1_11target_archE1201ELNS1_3gpuE5ELNS1_3repE0EEENS1_47radix_sort_onesweep_sort_config_static_selectorELNS0_4arch9wavefront6targetE1EEEvSK_.kd
    .uniform_work_group_size: 1
    .uses_dynamic_stack: false
    .vgpr_count:     0
    .vgpr_spill_count: 0
    .wavefront_size: 64
  - .agpr_count:     0
    .args:
      - .offset:         0
        .size:           88
        .value_kind:     by_value
    .group_segment_fixed_size: 0
    .kernarg_segment_align: 8
    .kernarg_segment_size: 88
    .language:       OpenCL C
    .language_version:
      - 2
      - 0
    .max_flat_workgroup_size: 1024
    .name:           _ZN7rocprim17ROCPRIM_400000_NS6detail17trampoline_kernelINS0_14default_configENS1_35radix_sort_onesweep_config_selectorIiNS0_10empty_typeEEEZZNS1_29radix_sort_onesweep_iterationIS3_Lb0EN6thrust23THRUST_200600_302600_NS6detail15normal_iteratorINS9_10device_ptrIiEEEESE_PS5_SF_jNS0_19identity_decomposerENS1_16block_id_wrapperIjLb0EEEEE10hipError_tT1_PNSt15iterator_traitsISK_E10value_typeET2_T3_PNSL_ISQ_E10value_typeET4_T5_PSV_SW_PNS1_23onesweep_lookback_stateEbbT6_jjT7_P12ihipStream_tbENKUlT_T0_SK_SP_E_clISE_PiSF_SF_EEDaS13_S14_SK_SP_EUlS13_E_NS1_11comp_targetILNS1_3genE9ELNS1_11target_archE1100ELNS1_3gpuE3ELNS1_3repE0EEENS1_47radix_sort_onesweep_sort_config_static_selectorELNS0_4arch9wavefront6targetE1EEEvSK_
    .private_segment_fixed_size: 0
    .sgpr_count:     6
    .sgpr_spill_count: 0
    .symbol:         _ZN7rocprim17ROCPRIM_400000_NS6detail17trampoline_kernelINS0_14default_configENS1_35radix_sort_onesweep_config_selectorIiNS0_10empty_typeEEEZZNS1_29radix_sort_onesweep_iterationIS3_Lb0EN6thrust23THRUST_200600_302600_NS6detail15normal_iteratorINS9_10device_ptrIiEEEESE_PS5_SF_jNS0_19identity_decomposerENS1_16block_id_wrapperIjLb0EEEEE10hipError_tT1_PNSt15iterator_traitsISK_E10value_typeET2_T3_PNSL_ISQ_E10value_typeET4_T5_PSV_SW_PNS1_23onesweep_lookback_stateEbbT6_jjT7_P12ihipStream_tbENKUlT_T0_SK_SP_E_clISE_PiSF_SF_EEDaS13_S14_SK_SP_EUlS13_E_NS1_11comp_targetILNS1_3genE9ELNS1_11target_archE1100ELNS1_3gpuE3ELNS1_3repE0EEENS1_47radix_sort_onesweep_sort_config_static_selectorELNS0_4arch9wavefront6targetE1EEEvSK_.kd
    .uniform_work_group_size: 1
    .uses_dynamic_stack: false
    .vgpr_count:     0
    .vgpr_spill_count: 0
    .wavefront_size: 64
  - .agpr_count:     0
    .args:
      - .offset:         0
        .size:           88
        .value_kind:     by_value
    .group_segment_fixed_size: 0
    .kernarg_segment_align: 8
    .kernarg_segment_size: 88
    .language:       OpenCL C
    .language_version:
      - 2
      - 0
    .max_flat_workgroup_size: 1024
    .name:           _ZN7rocprim17ROCPRIM_400000_NS6detail17trampoline_kernelINS0_14default_configENS1_35radix_sort_onesweep_config_selectorIiNS0_10empty_typeEEEZZNS1_29radix_sort_onesweep_iterationIS3_Lb0EN6thrust23THRUST_200600_302600_NS6detail15normal_iteratorINS9_10device_ptrIiEEEESE_PS5_SF_jNS0_19identity_decomposerENS1_16block_id_wrapperIjLb0EEEEE10hipError_tT1_PNSt15iterator_traitsISK_E10value_typeET2_T3_PNSL_ISQ_E10value_typeET4_T5_PSV_SW_PNS1_23onesweep_lookback_stateEbbT6_jjT7_P12ihipStream_tbENKUlT_T0_SK_SP_E_clISE_PiSF_SF_EEDaS13_S14_SK_SP_EUlS13_E_NS1_11comp_targetILNS1_3genE8ELNS1_11target_archE1030ELNS1_3gpuE2ELNS1_3repE0EEENS1_47radix_sort_onesweep_sort_config_static_selectorELNS0_4arch9wavefront6targetE1EEEvSK_
    .private_segment_fixed_size: 0
    .sgpr_count:     6
    .sgpr_spill_count: 0
    .symbol:         _ZN7rocprim17ROCPRIM_400000_NS6detail17trampoline_kernelINS0_14default_configENS1_35radix_sort_onesweep_config_selectorIiNS0_10empty_typeEEEZZNS1_29radix_sort_onesweep_iterationIS3_Lb0EN6thrust23THRUST_200600_302600_NS6detail15normal_iteratorINS9_10device_ptrIiEEEESE_PS5_SF_jNS0_19identity_decomposerENS1_16block_id_wrapperIjLb0EEEEE10hipError_tT1_PNSt15iterator_traitsISK_E10value_typeET2_T3_PNSL_ISQ_E10value_typeET4_T5_PSV_SW_PNS1_23onesweep_lookback_stateEbbT6_jjT7_P12ihipStream_tbENKUlT_T0_SK_SP_E_clISE_PiSF_SF_EEDaS13_S14_SK_SP_EUlS13_E_NS1_11comp_targetILNS1_3genE8ELNS1_11target_archE1030ELNS1_3gpuE2ELNS1_3repE0EEENS1_47radix_sort_onesweep_sort_config_static_selectorELNS0_4arch9wavefront6targetE1EEEvSK_.kd
    .uniform_work_group_size: 1
    .uses_dynamic_stack: false
    .vgpr_count:     0
    .vgpr_spill_count: 0
    .wavefront_size: 64
  - .agpr_count:     0
    .args:
      - .offset:         0
        .size:           88
        .value_kind:     by_value
    .group_segment_fixed_size: 0
    .kernarg_segment_align: 8
    .kernarg_segment_size: 88
    .language:       OpenCL C
    .language_version:
      - 2
      - 0
    .max_flat_workgroup_size: 512
    .name:           _ZN7rocprim17ROCPRIM_400000_NS6detail17trampoline_kernelINS0_14default_configENS1_35radix_sort_onesweep_config_selectorIiNS0_10empty_typeEEEZZNS1_29radix_sort_onesweep_iterationIS3_Lb0EN6thrust23THRUST_200600_302600_NS6detail15normal_iteratorINS9_10device_ptrIiEEEESE_PS5_SF_jNS0_19identity_decomposerENS1_16block_id_wrapperIjLb0EEEEE10hipError_tT1_PNSt15iterator_traitsISK_E10value_typeET2_T3_PNSL_ISQ_E10value_typeET4_T5_PSV_SW_PNS1_23onesweep_lookback_stateEbbT6_jjT7_P12ihipStream_tbENKUlT_T0_SK_SP_E_clIPiSE_SF_SF_EEDaS13_S14_SK_SP_EUlS13_E_NS1_11comp_targetILNS1_3genE0ELNS1_11target_archE4294967295ELNS1_3gpuE0ELNS1_3repE0EEENS1_47radix_sort_onesweep_sort_config_static_selectorELNS0_4arch9wavefront6targetE1EEEvSK_
    .private_segment_fixed_size: 0
    .sgpr_count:     6
    .sgpr_spill_count: 0
    .symbol:         _ZN7rocprim17ROCPRIM_400000_NS6detail17trampoline_kernelINS0_14default_configENS1_35radix_sort_onesweep_config_selectorIiNS0_10empty_typeEEEZZNS1_29radix_sort_onesweep_iterationIS3_Lb0EN6thrust23THRUST_200600_302600_NS6detail15normal_iteratorINS9_10device_ptrIiEEEESE_PS5_SF_jNS0_19identity_decomposerENS1_16block_id_wrapperIjLb0EEEEE10hipError_tT1_PNSt15iterator_traitsISK_E10value_typeET2_T3_PNSL_ISQ_E10value_typeET4_T5_PSV_SW_PNS1_23onesweep_lookback_stateEbbT6_jjT7_P12ihipStream_tbENKUlT_T0_SK_SP_E_clIPiSE_SF_SF_EEDaS13_S14_SK_SP_EUlS13_E_NS1_11comp_targetILNS1_3genE0ELNS1_11target_archE4294967295ELNS1_3gpuE0ELNS1_3repE0EEENS1_47radix_sort_onesweep_sort_config_static_selectorELNS0_4arch9wavefront6targetE1EEEvSK_.kd
    .uniform_work_group_size: 1
    .uses_dynamic_stack: false
    .vgpr_count:     0
    .vgpr_spill_count: 0
    .wavefront_size: 64
  - .agpr_count:     0
    .args:
      - .offset:         0
        .size:           88
        .value_kind:     by_value
      - .offset:         88
        .size:           4
        .value_kind:     hidden_block_count_x
      - .offset:         92
        .size:           4
        .value_kind:     hidden_block_count_y
      - .offset:         96
        .size:           4
        .value_kind:     hidden_block_count_z
      - .offset:         100
        .size:           2
        .value_kind:     hidden_group_size_x
      - .offset:         102
        .size:           2
        .value_kind:     hidden_group_size_y
      - .offset:         104
        .size:           2
        .value_kind:     hidden_group_size_z
      - .offset:         106
        .size:           2
        .value_kind:     hidden_remainder_x
      - .offset:         108
        .size:           2
        .value_kind:     hidden_remainder_y
      - .offset:         110
        .size:           2
        .value_kind:     hidden_remainder_z
      - .offset:         128
        .size:           8
        .value_kind:     hidden_global_offset_x
      - .offset:         136
        .size:           8
        .value_kind:     hidden_global_offset_y
      - .offset:         144
        .size:           8
        .value_kind:     hidden_global_offset_z
      - .offset:         152
        .size:           2
        .value_kind:     hidden_grid_dims
    .group_segment_fixed_size: 20552
    .kernarg_segment_align: 8
    .kernarg_segment_size: 344
    .language:       OpenCL C
    .language_version:
      - 2
      - 0
    .max_flat_workgroup_size: 1024
    .name:           _ZN7rocprim17ROCPRIM_400000_NS6detail17trampoline_kernelINS0_14default_configENS1_35radix_sort_onesweep_config_selectorIiNS0_10empty_typeEEEZZNS1_29radix_sort_onesweep_iterationIS3_Lb0EN6thrust23THRUST_200600_302600_NS6detail15normal_iteratorINS9_10device_ptrIiEEEESE_PS5_SF_jNS0_19identity_decomposerENS1_16block_id_wrapperIjLb0EEEEE10hipError_tT1_PNSt15iterator_traitsISK_E10value_typeET2_T3_PNSL_ISQ_E10value_typeET4_T5_PSV_SW_PNS1_23onesweep_lookback_stateEbbT6_jjT7_P12ihipStream_tbENKUlT_T0_SK_SP_E_clIPiSE_SF_SF_EEDaS13_S14_SK_SP_EUlS13_E_NS1_11comp_targetILNS1_3genE6ELNS1_11target_archE950ELNS1_3gpuE13ELNS1_3repE0EEENS1_47radix_sort_onesweep_sort_config_static_selectorELNS0_4arch9wavefront6targetE1EEEvSK_
    .private_segment_fixed_size: 0
    .sgpr_count:     37
    .sgpr_spill_count: 0
    .symbol:         _ZN7rocprim17ROCPRIM_400000_NS6detail17trampoline_kernelINS0_14default_configENS1_35radix_sort_onesweep_config_selectorIiNS0_10empty_typeEEEZZNS1_29radix_sort_onesweep_iterationIS3_Lb0EN6thrust23THRUST_200600_302600_NS6detail15normal_iteratorINS9_10device_ptrIiEEEESE_PS5_SF_jNS0_19identity_decomposerENS1_16block_id_wrapperIjLb0EEEEE10hipError_tT1_PNSt15iterator_traitsISK_E10value_typeET2_T3_PNSL_ISQ_E10value_typeET4_T5_PSV_SW_PNS1_23onesweep_lookback_stateEbbT6_jjT7_P12ihipStream_tbENKUlT_T0_SK_SP_E_clIPiSE_SF_SF_EEDaS13_S14_SK_SP_EUlS13_E_NS1_11comp_targetILNS1_3genE6ELNS1_11target_archE950ELNS1_3gpuE13ELNS1_3repE0EEENS1_47radix_sort_onesweep_sort_config_static_selectorELNS0_4arch9wavefront6targetE1EEEvSK_.kd
    .uniform_work_group_size: 1
    .uses_dynamic_stack: false
    .vgpr_count:     46
    .vgpr_spill_count: 0
    .wavefront_size: 64
  - .agpr_count:     0
    .args:
      - .offset:         0
        .size:           88
        .value_kind:     by_value
    .group_segment_fixed_size: 0
    .kernarg_segment_align: 8
    .kernarg_segment_size: 88
    .language:       OpenCL C
    .language_version:
      - 2
      - 0
    .max_flat_workgroup_size: 1024
    .name:           _ZN7rocprim17ROCPRIM_400000_NS6detail17trampoline_kernelINS0_14default_configENS1_35radix_sort_onesweep_config_selectorIiNS0_10empty_typeEEEZZNS1_29radix_sort_onesweep_iterationIS3_Lb0EN6thrust23THRUST_200600_302600_NS6detail15normal_iteratorINS9_10device_ptrIiEEEESE_PS5_SF_jNS0_19identity_decomposerENS1_16block_id_wrapperIjLb0EEEEE10hipError_tT1_PNSt15iterator_traitsISK_E10value_typeET2_T3_PNSL_ISQ_E10value_typeET4_T5_PSV_SW_PNS1_23onesweep_lookback_stateEbbT6_jjT7_P12ihipStream_tbENKUlT_T0_SK_SP_E_clIPiSE_SF_SF_EEDaS13_S14_SK_SP_EUlS13_E_NS1_11comp_targetILNS1_3genE5ELNS1_11target_archE942ELNS1_3gpuE9ELNS1_3repE0EEENS1_47radix_sort_onesweep_sort_config_static_selectorELNS0_4arch9wavefront6targetE1EEEvSK_
    .private_segment_fixed_size: 0
    .sgpr_count:     6
    .sgpr_spill_count: 0
    .symbol:         _ZN7rocprim17ROCPRIM_400000_NS6detail17trampoline_kernelINS0_14default_configENS1_35radix_sort_onesweep_config_selectorIiNS0_10empty_typeEEEZZNS1_29radix_sort_onesweep_iterationIS3_Lb0EN6thrust23THRUST_200600_302600_NS6detail15normal_iteratorINS9_10device_ptrIiEEEESE_PS5_SF_jNS0_19identity_decomposerENS1_16block_id_wrapperIjLb0EEEEE10hipError_tT1_PNSt15iterator_traitsISK_E10value_typeET2_T3_PNSL_ISQ_E10value_typeET4_T5_PSV_SW_PNS1_23onesweep_lookback_stateEbbT6_jjT7_P12ihipStream_tbENKUlT_T0_SK_SP_E_clIPiSE_SF_SF_EEDaS13_S14_SK_SP_EUlS13_E_NS1_11comp_targetILNS1_3genE5ELNS1_11target_archE942ELNS1_3gpuE9ELNS1_3repE0EEENS1_47radix_sort_onesweep_sort_config_static_selectorELNS0_4arch9wavefront6targetE1EEEvSK_.kd
    .uniform_work_group_size: 1
    .uses_dynamic_stack: false
    .vgpr_count:     0
    .vgpr_spill_count: 0
    .wavefront_size: 64
  - .agpr_count:     0
    .args:
      - .offset:         0
        .size:           88
        .value_kind:     by_value
    .group_segment_fixed_size: 0
    .kernarg_segment_align: 8
    .kernarg_segment_size: 88
    .language:       OpenCL C
    .language_version:
      - 2
      - 0
    .max_flat_workgroup_size: 1024
    .name:           _ZN7rocprim17ROCPRIM_400000_NS6detail17trampoline_kernelINS0_14default_configENS1_35radix_sort_onesweep_config_selectorIiNS0_10empty_typeEEEZZNS1_29radix_sort_onesweep_iterationIS3_Lb0EN6thrust23THRUST_200600_302600_NS6detail15normal_iteratorINS9_10device_ptrIiEEEESE_PS5_SF_jNS0_19identity_decomposerENS1_16block_id_wrapperIjLb0EEEEE10hipError_tT1_PNSt15iterator_traitsISK_E10value_typeET2_T3_PNSL_ISQ_E10value_typeET4_T5_PSV_SW_PNS1_23onesweep_lookback_stateEbbT6_jjT7_P12ihipStream_tbENKUlT_T0_SK_SP_E_clIPiSE_SF_SF_EEDaS13_S14_SK_SP_EUlS13_E_NS1_11comp_targetILNS1_3genE2ELNS1_11target_archE906ELNS1_3gpuE6ELNS1_3repE0EEENS1_47radix_sort_onesweep_sort_config_static_selectorELNS0_4arch9wavefront6targetE1EEEvSK_
    .private_segment_fixed_size: 0
    .sgpr_count:     6
    .sgpr_spill_count: 0
    .symbol:         _ZN7rocprim17ROCPRIM_400000_NS6detail17trampoline_kernelINS0_14default_configENS1_35radix_sort_onesweep_config_selectorIiNS0_10empty_typeEEEZZNS1_29radix_sort_onesweep_iterationIS3_Lb0EN6thrust23THRUST_200600_302600_NS6detail15normal_iteratorINS9_10device_ptrIiEEEESE_PS5_SF_jNS0_19identity_decomposerENS1_16block_id_wrapperIjLb0EEEEE10hipError_tT1_PNSt15iterator_traitsISK_E10value_typeET2_T3_PNSL_ISQ_E10value_typeET4_T5_PSV_SW_PNS1_23onesweep_lookback_stateEbbT6_jjT7_P12ihipStream_tbENKUlT_T0_SK_SP_E_clIPiSE_SF_SF_EEDaS13_S14_SK_SP_EUlS13_E_NS1_11comp_targetILNS1_3genE2ELNS1_11target_archE906ELNS1_3gpuE6ELNS1_3repE0EEENS1_47radix_sort_onesweep_sort_config_static_selectorELNS0_4arch9wavefront6targetE1EEEvSK_.kd
    .uniform_work_group_size: 1
    .uses_dynamic_stack: false
    .vgpr_count:     0
    .vgpr_spill_count: 0
    .wavefront_size: 64
  - .agpr_count:     0
    .args:
      - .offset:         0
        .size:           88
        .value_kind:     by_value
    .group_segment_fixed_size: 0
    .kernarg_segment_align: 8
    .kernarg_segment_size: 88
    .language:       OpenCL C
    .language_version:
      - 2
      - 0
    .max_flat_workgroup_size: 1024
    .name:           _ZN7rocprim17ROCPRIM_400000_NS6detail17trampoline_kernelINS0_14default_configENS1_35radix_sort_onesweep_config_selectorIiNS0_10empty_typeEEEZZNS1_29radix_sort_onesweep_iterationIS3_Lb0EN6thrust23THRUST_200600_302600_NS6detail15normal_iteratorINS9_10device_ptrIiEEEESE_PS5_SF_jNS0_19identity_decomposerENS1_16block_id_wrapperIjLb0EEEEE10hipError_tT1_PNSt15iterator_traitsISK_E10value_typeET2_T3_PNSL_ISQ_E10value_typeET4_T5_PSV_SW_PNS1_23onesweep_lookback_stateEbbT6_jjT7_P12ihipStream_tbENKUlT_T0_SK_SP_E_clIPiSE_SF_SF_EEDaS13_S14_SK_SP_EUlS13_E_NS1_11comp_targetILNS1_3genE4ELNS1_11target_archE910ELNS1_3gpuE8ELNS1_3repE0EEENS1_47radix_sort_onesweep_sort_config_static_selectorELNS0_4arch9wavefront6targetE1EEEvSK_
    .private_segment_fixed_size: 0
    .sgpr_count:     6
    .sgpr_spill_count: 0
    .symbol:         _ZN7rocprim17ROCPRIM_400000_NS6detail17trampoline_kernelINS0_14default_configENS1_35radix_sort_onesweep_config_selectorIiNS0_10empty_typeEEEZZNS1_29radix_sort_onesweep_iterationIS3_Lb0EN6thrust23THRUST_200600_302600_NS6detail15normal_iteratorINS9_10device_ptrIiEEEESE_PS5_SF_jNS0_19identity_decomposerENS1_16block_id_wrapperIjLb0EEEEE10hipError_tT1_PNSt15iterator_traitsISK_E10value_typeET2_T3_PNSL_ISQ_E10value_typeET4_T5_PSV_SW_PNS1_23onesweep_lookback_stateEbbT6_jjT7_P12ihipStream_tbENKUlT_T0_SK_SP_E_clIPiSE_SF_SF_EEDaS13_S14_SK_SP_EUlS13_E_NS1_11comp_targetILNS1_3genE4ELNS1_11target_archE910ELNS1_3gpuE8ELNS1_3repE0EEENS1_47radix_sort_onesweep_sort_config_static_selectorELNS0_4arch9wavefront6targetE1EEEvSK_.kd
    .uniform_work_group_size: 1
    .uses_dynamic_stack: false
    .vgpr_count:     0
    .vgpr_spill_count: 0
    .wavefront_size: 64
  - .agpr_count:     0
    .args:
      - .offset:         0
        .size:           88
        .value_kind:     by_value
    .group_segment_fixed_size: 0
    .kernarg_segment_align: 8
    .kernarg_segment_size: 88
    .language:       OpenCL C
    .language_version:
      - 2
      - 0
    .max_flat_workgroup_size: 512
    .name:           _ZN7rocprim17ROCPRIM_400000_NS6detail17trampoline_kernelINS0_14default_configENS1_35radix_sort_onesweep_config_selectorIiNS0_10empty_typeEEEZZNS1_29radix_sort_onesweep_iterationIS3_Lb0EN6thrust23THRUST_200600_302600_NS6detail15normal_iteratorINS9_10device_ptrIiEEEESE_PS5_SF_jNS0_19identity_decomposerENS1_16block_id_wrapperIjLb0EEEEE10hipError_tT1_PNSt15iterator_traitsISK_E10value_typeET2_T3_PNSL_ISQ_E10value_typeET4_T5_PSV_SW_PNS1_23onesweep_lookback_stateEbbT6_jjT7_P12ihipStream_tbENKUlT_T0_SK_SP_E_clIPiSE_SF_SF_EEDaS13_S14_SK_SP_EUlS13_E_NS1_11comp_targetILNS1_3genE3ELNS1_11target_archE908ELNS1_3gpuE7ELNS1_3repE0EEENS1_47radix_sort_onesweep_sort_config_static_selectorELNS0_4arch9wavefront6targetE1EEEvSK_
    .private_segment_fixed_size: 0
    .sgpr_count:     6
    .sgpr_spill_count: 0
    .symbol:         _ZN7rocprim17ROCPRIM_400000_NS6detail17trampoline_kernelINS0_14default_configENS1_35radix_sort_onesweep_config_selectorIiNS0_10empty_typeEEEZZNS1_29radix_sort_onesweep_iterationIS3_Lb0EN6thrust23THRUST_200600_302600_NS6detail15normal_iteratorINS9_10device_ptrIiEEEESE_PS5_SF_jNS0_19identity_decomposerENS1_16block_id_wrapperIjLb0EEEEE10hipError_tT1_PNSt15iterator_traitsISK_E10value_typeET2_T3_PNSL_ISQ_E10value_typeET4_T5_PSV_SW_PNS1_23onesweep_lookback_stateEbbT6_jjT7_P12ihipStream_tbENKUlT_T0_SK_SP_E_clIPiSE_SF_SF_EEDaS13_S14_SK_SP_EUlS13_E_NS1_11comp_targetILNS1_3genE3ELNS1_11target_archE908ELNS1_3gpuE7ELNS1_3repE0EEENS1_47radix_sort_onesweep_sort_config_static_selectorELNS0_4arch9wavefront6targetE1EEEvSK_.kd
    .uniform_work_group_size: 1
    .uses_dynamic_stack: false
    .vgpr_count:     0
    .vgpr_spill_count: 0
    .wavefront_size: 64
  - .agpr_count:     0
    .args:
      - .offset:         0
        .size:           88
        .value_kind:     by_value
    .group_segment_fixed_size: 0
    .kernarg_segment_align: 8
    .kernarg_segment_size: 88
    .language:       OpenCL C
    .language_version:
      - 2
      - 0
    .max_flat_workgroup_size: 1024
    .name:           _ZN7rocprim17ROCPRIM_400000_NS6detail17trampoline_kernelINS0_14default_configENS1_35radix_sort_onesweep_config_selectorIiNS0_10empty_typeEEEZZNS1_29radix_sort_onesweep_iterationIS3_Lb0EN6thrust23THRUST_200600_302600_NS6detail15normal_iteratorINS9_10device_ptrIiEEEESE_PS5_SF_jNS0_19identity_decomposerENS1_16block_id_wrapperIjLb0EEEEE10hipError_tT1_PNSt15iterator_traitsISK_E10value_typeET2_T3_PNSL_ISQ_E10value_typeET4_T5_PSV_SW_PNS1_23onesweep_lookback_stateEbbT6_jjT7_P12ihipStream_tbENKUlT_T0_SK_SP_E_clIPiSE_SF_SF_EEDaS13_S14_SK_SP_EUlS13_E_NS1_11comp_targetILNS1_3genE10ELNS1_11target_archE1201ELNS1_3gpuE5ELNS1_3repE0EEENS1_47radix_sort_onesweep_sort_config_static_selectorELNS0_4arch9wavefront6targetE1EEEvSK_
    .private_segment_fixed_size: 0
    .sgpr_count:     6
    .sgpr_spill_count: 0
    .symbol:         _ZN7rocprim17ROCPRIM_400000_NS6detail17trampoline_kernelINS0_14default_configENS1_35radix_sort_onesweep_config_selectorIiNS0_10empty_typeEEEZZNS1_29radix_sort_onesweep_iterationIS3_Lb0EN6thrust23THRUST_200600_302600_NS6detail15normal_iteratorINS9_10device_ptrIiEEEESE_PS5_SF_jNS0_19identity_decomposerENS1_16block_id_wrapperIjLb0EEEEE10hipError_tT1_PNSt15iterator_traitsISK_E10value_typeET2_T3_PNSL_ISQ_E10value_typeET4_T5_PSV_SW_PNS1_23onesweep_lookback_stateEbbT6_jjT7_P12ihipStream_tbENKUlT_T0_SK_SP_E_clIPiSE_SF_SF_EEDaS13_S14_SK_SP_EUlS13_E_NS1_11comp_targetILNS1_3genE10ELNS1_11target_archE1201ELNS1_3gpuE5ELNS1_3repE0EEENS1_47radix_sort_onesweep_sort_config_static_selectorELNS0_4arch9wavefront6targetE1EEEvSK_.kd
    .uniform_work_group_size: 1
    .uses_dynamic_stack: false
    .vgpr_count:     0
    .vgpr_spill_count: 0
    .wavefront_size: 64
  - .agpr_count:     0
    .args:
      - .offset:         0
        .size:           88
        .value_kind:     by_value
    .group_segment_fixed_size: 0
    .kernarg_segment_align: 8
    .kernarg_segment_size: 88
    .language:       OpenCL C
    .language_version:
      - 2
      - 0
    .max_flat_workgroup_size: 1024
    .name:           _ZN7rocprim17ROCPRIM_400000_NS6detail17trampoline_kernelINS0_14default_configENS1_35radix_sort_onesweep_config_selectorIiNS0_10empty_typeEEEZZNS1_29radix_sort_onesweep_iterationIS3_Lb0EN6thrust23THRUST_200600_302600_NS6detail15normal_iteratorINS9_10device_ptrIiEEEESE_PS5_SF_jNS0_19identity_decomposerENS1_16block_id_wrapperIjLb0EEEEE10hipError_tT1_PNSt15iterator_traitsISK_E10value_typeET2_T3_PNSL_ISQ_E10value_typeET4_T5_PSV_SW_PNS1_23onesweep_lookback_stateEbbT6_jjT7_P12ihipStream_tbENKUlT_T0_SK_SP_E_clIPiSE_SF_SF_EEDaS13_S14_SK_SP_EUlS13_E_NS1_11comp_targetILNS1_3genE9ELNS1_11target_archE1100ELNS1_3gpuE3ELNS1_3repE0EEENS1_47radix_sort_onesweep_sort_config_static_selectorELNS0_4arch9wavefront6targetE1EEEvSK_
    .private_segment_fixed_size: 0
    .sgpr_count:     6
    .sgpr_spill_count: 0
    .symbol:         _ZN7rocprim17ROCPRIM_400000_NS6detail17trampoline_kernelINS0_14default_configENS1_35radix_sort_onesweep_config_selectorIiNS0_10empty_typeEEEZZNS1_29radix_sort_onesweep_iterationIS3_Lb0EN6thrust23THRUST_200600_302600_NS6detail15normal_iteratorINS9_10device_ptrIiEEEESE_PS5_SF_jNS0_19identity_decomposerENS1_16block_id_wrapperIjLb0EEEEE10hipError_tT1_PNSt15iterator_traitsISK_E10value_typeET2_T3_PNSL_ISQ_E10value_typeET4_T5_PSV_SW_PNS1_23onesweep_lookback_stateEbbT6_jjT7_P12ihipStream_tbENKUlT_T0_SK_SP_E_clIPiSE_SF_SF_EEDaS13_S14_SK_SP_EUlS13_E_NS1_11comp_targetILNS1_3genE9ELNS1_11target_archE1100ELNS1_3gpuE3ELNS1_3repE0EEENS1_47radix_sort_onesweep_sort_config_static_selectorELNS0_4arch9wavefront6targetE1EEEvSK_.kd
    .uniform_work_group_size: 1
    .uses_dynamic_stack: false
    .vgpr_count:     0
    .vgpr_spill_count: 0
    .wavefront_size: 64
  - .agpr_count:     0
    .args:
      - .offset:         0
        .size:           88
        .value_kind:     by_value
    .group_segment_fixed_size: 0
    .kernarg_segment_align: 8
    .kernarg_segment_size: 88
    .language:       OpenCL C
    .language_version:
      - 2
      - 0
    .max_flat_workgroup_size: 1024
    .name:           _ZN7rocprim17ROCPRIM_400000_NS6detail17trampoline_kernelINS0_14default_configENS1_35radix_sort_onesweep_config_selectorIiNS0_10empty_typeEEEZZNS1_29radix_sort_onesweep_iterationIS3_Lb0EN6thrust23THRUST_200600_302600_NS6detail15normal_iteratorINS9_10device_ptrIiEEEESE_PS5_SF_jNS0_19identity_decomposerENS1_16block_id_wrapperIjLb0EEEEE10hipError_tT1_PNSt15iterator_traitsISK_E10value_typeET2_T3_PNSL_ISQ_E10value_typeET4_T5_PSV_SW_PNS1_23onesweep_lookback_stateEbbT6_jjT7_P12ihipStream_tbENKUlT_T0_SK_SP_E_clIPiSE_SF_SF_EEDaS13_S14_SK_SP_EUlS13_E_NS1_11comp_targetILNS1_3genE8ELNS1_11target_archE1030ELNS1_3gpuE2ELNS1_3repE0EEENS1_47radix_sort_onesweep_sort_config_static_selectorELNS0_4arch9wavefront6targetE1EEEvSK_
    .private_segment_fixed_size: 0
    .sgpr_count:     6
    .sgpr_spill_count: 0
    .symbol:         _ZN7rocprim17ROCPRIM_400000_NS6detail17trampoline_kernelINS0_14default_configENS1_35radix_sort_onesweep_config_selectorIiNS0_10empty_typeEEEZZNS1_29radix_sort_onesweep_iterationIS3_Lb0EN6thrust23THRUST_200600_302600_NS6detail15normal_iteratorINS9_10device_ptrIiEEEESE_PS5_SF_jNS0_19identity_decomposerENS1_16block_id_wrapperIjLb0EEEEE10hipError_tT1_PNSt15iterator_traitsISK_E10value_typeET2_T3_PNSL_ISQ_E10value_typeET4_T5_PSV_SW_PNS1_23onesweep_lookback_stateEbbT6_jjT7_P12ihipStream_tbENKUlT_T0_SK_SP_E_clIPiSE_SF_SF_EEDaS13_S14_SK_SP_EUlS13_E_NS1_11comp_targetILNS1_3genE8ELNS1_11target_archE1030ELNS1_3gpuE2ELNS1_3repE0EEENS1_47radix_sort_onesweep_sort_config_static_selectorELNS0_4arch9wavefront6targetE1EEEvSK_.kd
    .uniform_work_group_size: 1
    .uses_dynamic_stack: false
    .vgpr_count:     0
    .vgpr_spill_count: 0
    .wavefront_size: 64
  - .agpr_count:     0
    .args:
      - .offset:         0
        .size:           48
        .value_kind:     by_value
      - .offset:         48
        .size:           4
        .value_kind:     hidden_block_count_x
      - .offset:         52
        .size:           4
        .value_kind:     hidden_block_count_y
      - .offset:         56
        .size:           4
        .value_kind:     hidden_block_count_z
      - .offset:         60
        .size:           2
        .value_kind:     hidden_group_size_x
      - .offset:         62
        .size:           2
        .value_kind:     hidden_group_size_y
      - .offset:         64
        .size:           2
        .value_kind:     hidden_group_size_z
      - .offset:         66
        .size:           2
        .value_kind:     hidden_remainder_x
      - .offset:         68
        .size:           2
        .value_kind:     hidden_remainder_y
      - .offset:         70
        .size:           2
        .value_kind:     hidden_remainder_z
      - .offset:         88
        .size:           8
        .value_kind:     hidden_global_offset_x
      - .offset:         96
        .size:           8
        .value_kind:     hidden_global_offset_y
      - .offset:         104
        .size:           8
        .value_kind:     hidden_global_offset_z
      - .offset:         112
        .size:           2
        .value_kind:     hidden_grid_dims
    .group_segment_fixed_size: 4112
    .kernarg_segment_align: 8
    .kernarg_segment_size: 304
    .language:       OpenCL C
    .language_version:
      - 2
      - 0
    .max_flat_workgroup_size: 256
    .name:           _ZN7rocprim17ROCPRIM_400000_NS6detail17trampoline_kernelINS0_13kernel_configILj256ELj4ELj4294967295EEENS1_37radix_sort_block_sort_config_selectorIiNS0_10empty_typeEEEZNS1_21radix_sort_block_sortIS4_Lb1EN6thrust23THRUST_200600_302600_NS6detail15normal_iteratorINSA_10device_ptrIiEEEESF_PS6_SG_NS0_19identity_decomposerEEE10hipError_tT1_T2_T3_T4_jRjT5_jjP12ihipStream_tbEUlT_E_NS1_11comp_targetILNS1_3genE0ELNS1_11target_archE4294967295ELNS1_3gpuE0ELNS1_3repE0EEENS1_44radix_sort_block_sort_config_static_selectorELNS0_4arch9wavefront6targetE1EEEvSJ_
    .private_segment_fixed_size: 0
    .sgpr_count:     50
    .sgpr_spill_count: 0
    .symbol:         _ZN7rocprim17ROCPRIM_400000_NS6detail17trampoline_kernelINS0_13kernel_configILj256ELj4ELj4294967295EEENS1_37radix_sort_block_sort_config_selectorIiNS0_10empty_typeEEEZNS1_21radix_sort_block_sortIS4_Lb1EN6thrust23THRUST_200600_302600_NS6detail15normal_iteratorINSA_10device_ptrIiEEEESF_PS6_SG_NS0_19identity_decomposerEEE10hipError_tT1_T2_T3_T4_jRjT5_jjP12ihipStream_tbEUlT_E_NS1_11comp_targetILNS1_3genE0ELNS1_11target_archE4294967295ELNS1_3gpuE0ELNS1_3repE0EEENS1_44radix_sort_block_sort_config_static_selectorELNS0_4arch9wavefront6targetE1EEEvSJ_.kd
    .uniform_work_group_size: 1
    .uses_dynamic_stack: false
    .vgpr_count:     36
    .vgpr_spill_count: 0
    .wavefront_size: 64
  - .agpr_count:     0
    .args:
      - .offset:         0
        .size:           48
        .value_kind:     by_value
    .group_segment_fixed_size: 0
    .kernarg_segment_align: 8
    .kernarg_segment_size: 48
    .language:       OpenCL C
    .language_version:
      - 2
      - 0
    .max_flat_workgroup_size: 256
    .name:           _ZN7rocprim17ROCPRIM_400000_NS6detail17trampoline_kernelINS0_13kernel_configILj256ELj4ELj4294967295EEENS1_37radix_sort_block_sort_config_selectorIiNS0_10empty_typeEEEZNS1_21radix_sort_block_sortIS4_Lb1EN6thrust23THRUST_200600_302600_NS6detail15normal_iteratorINSA_10device_ptrIiEEEESF_PS6_SG_NS0_19identity_decomposerEEE10hipError_tT1_T2_T3_T4_jRjT5_jjP12ihipStream_tbEUlT_E_NS1_11comp_targetILNS1_3genE5ELNS1_11target_archE942ELNS1_3gpuE9ELNS1_3repE0EEENS1_44radix_sort_block_sort_config_static_selectorELNS0_4arch9wavefront6targetE1EEEvSJ_
    .private_segment_fixed_size: 0
    .sgpr_count:     6
    .sgpr_spill_count: 0
    .symbol:         _ZN7rocprim17ROCPRIM_400000_NS6detail17trampoline_kernelINS0_13kernel_configILj256ELj4ELj4294967295EEENS1_37radix_sort_block_sort_config_selectorIiNS0_10empty_typeEEEZNS1_21radix_sort_block_sortIS4_Lb1EN6thrust23THRUST_200600_302600_NS6detail15normal_iteratorINSA_10device_ptrIiEEEESF_PS6_SG_NS0_19identity_decomposerEEE10hipError_tT1_T2_T3_T4_jRjT5_jjP12ihipStream_tbEUlT_E_NS1_11comp_targetILNS1_3genE5ELNS1_11target_archE942ELNS1_3gpuE9ELNS1_3repE0EEENS1_44radix_sort_block_sort_config_static_selectorELNS0_4arch9wavefront6targetE1EEEvSJ_.kd
    .uniform_work_group_size: 1
    .uses_dynamic_stack: false
    .vgpr_count:     0
    .vgpr_spill_count: 0
    .wavefront_size: 64
  - .agpr_count:     0
    .args:
      - .offset:         0
        .size:           48
        .value_kind:     by_value
    .group_segment_fixed_size: 0
    .kernarg_segment_align: 8
    .kernarg_segment_size: 48
    .language:       OpenCL C
    .language_version:
      - 2
      - 0
    .max_flat_workgroup_size: 256
    .name:           _ZN7rocprim17ROCPRIM_400000_NS6detail17trampoline_kernelINS0_13kernel_configILj256ELj4ELj4294967295EEENS1_37radix_sort_block_sort_config_selectorIiNS0_10empty_typeEEEZNS1_21radix_sort_block_sortIS4_Lb1EN6thrust23THRUST_200600_302600_NS6detail15normal_iteratorINSA_10device_ptrIiEEEESF_PS6_SG_NS0_19identity_decomposerEEE10hipError_tT1_T2_T3_T4_jRjT5_jjP12ihipStream_tbEUlT_E_NS1_11comp_targetILNS1_3genE4ELNS1_11target_archE910ELNS1_3gpuE8ELNS1_3repE0EEENS1_44radix_sort_block_sort_config_static_selectorELNS0_4arch9wavefront6targetE1EEEvSJ_
    .private_segment_fixed_size: 0
    .sgpr_count:     6
    .sgpr_spill_count: 0
    .symbol:         _ZN7rocprim17ROCPRIM_400000_NS6detail17trampoline_kernelINS0_13kernel_configILj256ELj4ELj4294967295EEENS1_37radix_sort_block_sort_config_selectorIiNS0_10empty_typeEEEZNS1_21radix_sort_block_sortIS4_Lb1EN6thrust23THRUST_200600_302600_NS6detail15normal_iteratorINSA_10device_ptrIiEEEESF_PS6_SG_NS0_19identity_decomposerEEE10hipError_tT1_T2_T3_T4_jRjT5_jjP12ihipStream_tbEUlT_E_NS1_11comp_targetILNS1_3genE4ELNS1_11target_archE910ELNS1_3gpuE8ELNS1_3repE0EEENS1_44radix_sort_block_sort_config_static_selectorELNS0_4arch9wavefront6targetE1EEEvSJ_.kd
    .uniform_work_group_size: 1
    .uses_dynamic_stack: false
    .vgpr_count:     0
    .vgpr_spill_count: 0
    .wavefront_size: 64
  - .agpr_count:     0
    .args:
      - .offset:         0
        .size:           48
        .value_kind:     by_value
    .group_segment_fixed_size: 0
    .kernarg_segment_align: 8
    .kernarg_segment_size: 48
    .language:       OpenCL C
    .language_version:
      - 2
      - 0
    .max_flat_workgroup_size: 256
    .name:           _ZN7rocprim17ROCPRIM_400000_NS6detail17trampoline_kernelINS0_13kernel_configILj256ELj4ELj4294967295EEENS1_37radix_sort_block_sort_config_selectorIiNS0_10empty_typeEEEZNS1_21radix_sort_block_sortIS4_Lb1EN6thrust23THRUST_200600_302600_NS6detail15normal_iteratorINSA_10device_ptrIiEEEESF_PS6_SG_NS0_19identity_decomposerEEE10hipError_tT1_T2_T3_T4_jRjT5_jjP12ihipStream_tbEUlT_E_NS1_11comp_targetILNS1_3genE3ELNS1_11target_archE908ELNS1_3gpuE7ELNS1_3repE0EEENS1_44radix_sort_block_sort_config_static_selectorELNS0_4arch9wavefront6targetE1EEEvSJ_
    .private_segment_fixed_size: 0
    .sgpr_count:     6
    .sgpr_spill_count: 0
    .symbol:         _ZN7rocprim17ROCPRIM_400000_NS6detail17trampoline_kernelINS0_13kernel_configILj256ELj4ELj4294967295EEENS1_37radix_sort_block_sort_config_selectorIiNS0_10empty_typeEEEZNS1_21radix_sort_block_sortIS4_Lb1EN6thrust23THRUST_200600_302600_NS6detail15normal_iteratorINSA_10device_ptrIiEEEESF_PS6_SG_NS0_19identity_decomposerEEE10hipError_tT1_T2_T3_T4_jRjT5_jjP12ihipStream_tbEUlT_E_NS1_11comp_targetILNS1_3genE3ELNS1_11target_archE908ELNS1_3gpuE7ELNS1_3repE0EEENS1_44radix_sort_block_sort_config_static_selectorELNS0_4arch9wavefront6targetE1EEEvSJ_.kd
    .uniform_work_group_size: 1
    .uses_dynamic_stack: false
    .vgpr_count:     0
    .vgpr_spill_count: 0
    .wavefront_size: 64
  - .agpr_count:     0
    .args:
      - .offset:         0
        .size:           48
        .value_kind:     by_value
    .group_segment_fixed_size: 0
    .kernarg_segment_align: 8
    .kernarg_segment_size: 48
    .language:       OpenCL C
    .language_version:
      - 2
      - 0
    .max_flat_workgroup_size: 256
    .name:           _ZN7rocprim17ROCPRIM_400000_NS6detail17trampoline_kernelINS0_13kernel_configILj256ELj4ELj4294967295EEENS1_37radix_sort_block_sort_config_selectorIiNS0_10empty_typeEEEZNS1_21radix_sort_block_sortIS4_Lb1EN6thrust23THRUST_200600_302600_NS6detail15normal_iteratorINSA_10device_ptrIiEEEESF_PS6_SG_NS0_19identity_decomposerEEE10hipError_tT1_T2_T3_T4_jRjT5_jjP12ihipStream_tbEUlT_E_NS1_11comp_targetILNS1_3genE2ELNS1_11target_archE906ELNS1_3gpuE6ELNS1_3repE0EEENS1_44radix_sort_block_sort_config_static_selectorELNS0_4arch9wavefront6targetE1EEEvSJ_
    .private_segment_fixed_size: 0
    .sgpr_count:     6
    .sgpr_spill_count: 0
    .symbol:         _ZN7rocprim17ROCPRIM_400000_NS6detail17trampoline_kernelINS0_13kernel_configILj256ELj4ELj4294967295EEENS1_37radix_sort_block_sort_config_selectorIiNS0_10empty_typeEEEZNS1_21radix_sort_block_sortIS4_Lb1EN6thrust23THRUST_200600_302600_NS6detail15normal_iteratorINSA_10device_ptrIiEEEESF_PS6_SG_NS0_19identity_decomposerEEE10hipError_tT1_T2_T3_T4_jRjT5_jjP12ihipStream_tbEUlT_E_NS1_11comp_targetILNS1_3genE2ELNS1_11target_archE906ELNS1_3gpuE6ELNS1_3repE0EEENS1_44radix_sort_block_sort_config_static_selectorELNS0_4arch9wavefront6targetE1EEEvSJ_.kd
    .uniform_work_group_size: 1
    .uses_dynamic_stack: false
    .vgpr_count:     0
    .vgpr_spill_count: 0
    .wavefront_size: 64
  - .agpr_count:     0
    .args:
      - .offset:         0
        .size:           48
        .value_kind:     by_value
    .group_segment_fixed_size: 0
    .kernarg_segment_align: 8
    .kernarg_segment_size: 48
    .language:       OpenCL C
    .language_version:
      - 2
      - 0
    .max_flat_workgroup_size: 256
    .name:           _ZN7rocprim17ROCPRIM_400000_NS6detail17trampoline_kernelINS0_13kernel_configILj256ELj4ELj4294967295EEENS1_37radix_sort_block_sort_config_selectorIiNS0_10empty_typeEEEZNS1_21radix_sort_block_sortIS4_Lb1EN6thrust23THRUST_200600_302600_NS6detail15normal_iteratorINSA_10device_ptrIiEEEESF_PS6_SG_NS0_19identity_decomposerEEE10hipError_tT1_T2_T3_T4_jRjT5_jjP12ihipStream_tbEUlT_E_NS1_11comp_targetILNS1_3genE10ELNS1_11target_archE1201ELNS1_3gpuE5ELNS1_3repE0EEENS1_44radix_sort_block_sort_config_static_selectorELNS0_4arch9wavefront6targetE1EEEvSJ_
    .private_segment_fixed_size: 0
    .sgpr_count:     6
    .sgpr_spill_count: 0
    .symbol:         _ZN7rocprim17ROCPRIM_400000_NS6detail17trampoline_kernelINS0_13kernel_configILj256ELj4ELj4294967295EEENS1_37radix_sort_block_sort_config_selectorIiNS0_10empty_typeEEEZNS1_21radix_sort_block_sortIS4_Lb1EN6thrust23THRUST_200600_302600_NS6detail15normal_iteratorINSA_10device_ptrIiEEEESF_PS6_SG_NS0_19identity_decomposerEEE10hipError_tT1_T2_T3_T4_jRjT5_jjP12ihipStream_tbEUlT_E_NS1_11comp_targetILNS1_3genE10ELNS1_11target_archE1201ELNS1_3gpuE5ELNS1_3repE0EEENS1_44radix_sort_block_sort_config_static_selectorELNS0_4arch9wavefront6targetE1EEEvSJ_.kd
    .uniform_work_group_size: 1
    .uses_dynamic_stack: false
    .vgpr_count:     0
    .vgpr_spill_count: 0
    .wavefront_size: 64
  - .agpr_count:     0
    .args:
      - .offset:         0
        .size:           48
        .value_kind:     by_value
    .group_segment_fixed_size: 0
    .kernarg_segment_align: 8
    .kernarg_segment_size: 48
    .language:       OpenCL C
    .language_version:
      - 2
      - 0
    .max_flat_workgroup_size: 256
    .name:           _ZN7rocprim17ROCPRIM_400000_NS6detail17trampoline_kernelINS0_13kernel_configILj256ELj4ELj4294967295EEENS1_37radix_sort_block_sort_config_selectorIiNS0_10empty_typeEEEZNS1_21radix_sort_block_sortIS4_Lb1EN6thrust23THRUST_200600_302600_NS6detail15normal_iteratorINSA_10device_ptrIiEEEESF_PS6_SG_NS0_19identity_decomposerEEE10hipError_tT1_T2_T3_T4_jRjT5_jjP12ihipStream_tbEUlT_E_NS1_11comp_targetILNS1_3genE10ELNS1_11target_archE1200ELNS1_3gpuE4ELNS1_3repE0EEENS1_44radix_sort_block_sort_config_static_selectorELNS0_4arch9wavefront6targetE1EEEvSJ_
    .private_segment_fixed_size: 0
    .sgpr_count:     6
    .sgpr_spill_count: 0
    .symbol:         _ZN7rocprim17ROCPRIM_400000_NS6detail17trampoline_kernelINS0_13kernel_configILj256ELj4ELj4294967295EEENS1_37radix_sort_block_sort_config_selectorIiNS0_10empty_typeEEEZNS1_21radix_sort_block_sortIS4_Lb1EN6thrust23THRUST_200600_302600_NS6detail15normal_iteratorINSA_10device_ptrIiEEEESF_PS6_SG_NS0_19identity_decomposerEEE10hipError_tT1_T2_T3_T4_jRjT5_jjP12ihipStream_tbEUlT_E_NS1_11comp_targetILNS1_3genE10ELNS1_11target_archE1200ELNS1_3gpuE4ELNS1_3repE0EEENS1_44radix_sort_block_sort_config_static_selectorELNS0_4arch9wavefront6targetE1EEEvSJ_.kd
    .uniform_work_group_size: 1
    .uses_dynamic_stack: false
    .vgpr_count:     0
    .vgpr_spill_count: 0
    .wavefront_size: 64
  - .agpr_count:     0
    .args:
      - .offset:         0
        .size:           48
        .value_kind:     by_value
    .group_segment_fixed_size: 0
    .kernarg_segment_align: 8
    .kernarg_segment_size: 48
    .language:       OpenCL C
    .language_version:
      - 2
      - 0
    .max_flat_workgroup_size: 256
    .name:           _ZN7rocprim17ROCPRIM_400000_NS6detail17trampoline_kernelINS0_13kernel_configILj256ELj4ELj4294967295EEENS1_37radix_sort_block_sort_config_selectorIiNS0_10empty_typeEEEZNS1_21radix_sort_block_sortIS4_Lb1EN6thrust23THRUST_200600_302600_NS6detail15normal_iteratorINSA_10device_ptrIiEEEESF_PS6_SG_NS0_19identity_decomposerEEE10hipError_tT1_T2_T3_T4_jRjT5_jjP12ihipStream_tbEUlT_E_NS1_11comp_targetILNS1_3genE9ELNS1_11target_archE1100ELNS1_3gpuE3ELNS1_3repE0EEENS1_44radix_sort_block_sort_config_static_selectorELNS0_4arch9wavefront6targetE1EEEvSJ_
    .private_segment_fixed_size: 0
    .sgpr_count:     6
    .sgpr_spill_count: 0
    .symbol:         _ZN7rocprim17ROCPRIM_400000_NS6detail17trampoline_kernelINS0_13kernel_configILj256ELj4ELj4294967295EEENS1_37radix_sort_block_sort_config_selectorIiNS0_10empty_typeEEEZNS1_21radix_sort_block_sortIS4_Lb1EN6thrust23THRUST_200600_302600_NS6detail15normal_iteratorINSA_10device_ptrIiEEEESF_PS6_SG_NS0_19identity_decomposerEEE10hipError_tT1_T2_T3_T4_jRjT5_jjP12ihipStream_tbEUlT_E_NS1_11comp_targetILNS1_3genE9ELNS1_11target_archE1100ELNS1_3gpuE3ELNS1_3repE0EEENS1_44radix_sort_block_sort_config_static_selectorELNS0_4arch9wavefront6targetE1EEEvSJ_.kd
    .uniform_work_group_size: 1
    .uses_dynamic_stack: false
    .vgpr_count:     0
    .vgpr_spill_count: 0
    .wavefront_size: 64
  - .agpr_count:     0
    .args:
      - .offset:         0
        .size:           48
        .value_kind:     by_value
    .group_segment_fixed_size: 0
    .kernarg_segment_align: 8
    .kernarg_segment_size: 48
    .language:       OpenCL C
    .language_version:
      - 2
      - 0
    .max_flat_workgroup_size: 256
    .name:           _ZN7rocprim17ROCPRIM_400000_NS6detail17trampoline_kernelINS0_13kernel_configILj256ELj4ELj4294967295EEENS1_37radix_sort_block_sort_config_selectorIiNS0_10empty_typeEEEZNS1_21radix_sort_block_sortIS4_Lb1EN6thrust23THRUST_200600_302600_NS6detail15normal_iteratorINSA_10device_ptrIiEEEESF_PS6_SG_NS0_19identity_decomposerEEE10hipError_tT1_T2_T3_T4_jRjT5_jjP12ihipStream_tbEUlT_E_NS1_11comp_targetILNS1_3genE8ELNS1_11target_archE1030ELNS1_3gpuE2ELNS1_3repE0EEENS1_44radix_sort_block_sort_config_static_selectorELNS0_4arch9wavefront6targetE1EEEvSJ_
    .private_segment_fixed_size: 0
    .sgpr_count:     6
    .sgpr_spill_count: 0
    .symbol:         _ZN7rocprim17ROCPRIM_400000_NS6detail17trampoline_kernelINS0_13kernel_configILj256ELj4ELj4294967295EEENS1_37radix_sort_block_sort_config_selectorIiNS0_10empty_typeEEEZNS1_21radix_sort_block_sortIS4_Lb1EN6thrust23THRUST_200600_302600_NS6detail15normal_iteratorINSA_10device_ptrIiEEEESF_PS6_SG_NS0_19identity_decomposerEEE10hipError_tT1_T2_T3_T4_jRjT5_jjP12ihipStream_tbEUlT_E_NS1_11comp_targetILNS1_3genE8ELNS1_11target_archE1030ELNS1_3gpuE2ELNS1_3repE0EEENS1_44radix_sort_block_sort_config_static_selectorELNS0_4arch9wavefront6targetE1EEEvSJ_.kd
    .uniform_work_group_size: 1
    .uses_dynamic_stack: false
    .vgpr_count:     0
    .vgpr_spill_count: 0
    .wavefront_size: 64
  - .agpr_count:     0
    .args:
      - .offset:         0
        .size:           40
        .value_kind:     by_value
    .group_segment_fixed_size: 0
    .kernarg_segment_align: 8
    .kernarg_segment_size: 40
    .language:       OpenCL C
    .language_version:
      - 2
      - 0
    .max_flat_workgroup_size: 128
    .name:           _ZN7rocprim17ROCPRIM_400000_NS6detail17trampoline_kernelINS0_14default_configENS1_38merge_sort_block_merge_config_selectorIiNS0_10empty_typeEEEZZNS1_27merge_sort_block_merge_implIS3_N6thrust23THRUST_200600_302600_NS6detail15normal_iteratorINS9_10device_ptrIiEEEEPS5_jNS1_19radix_merge_compareILb1ELb0EiNS0_19identity_decomposerEEEEE10hipError_tT0_T1_T2_jT3_P12ihipStream_tbPNSt15iterator_traitsISK_E10value_typeEPNSQ_ISL_E10value_typeEPSM_NS1_7vsmem_tEENKUlT_SK_SL_SM_E_clIPiSE_SF_SF_EESJ_SZ_SK_SL_SM_EUlSZ_E_NS1_11comp_targetILNS1_3genE0ELNS1_11target_archE4294967295ELNS1_3gpuE0ELNS1_3repE0EEENS1_48merge_mergepath_partition_config_static_selectorELNS0_4arch9wavefront6targetE1EEEvSL_
    .private_segment_fixed_size: 0
    .sgpr_count:     14
    .sgpr_spill_count: 0
    .symbol:         _ZN7rocprim17ROCPRIM_400000_NS6detail17trampoline_kernelINS0_14default_configENS1_38merge_sort_block_merge_config_selectorIiNS0_10empty_typeEEEZZNS1_27merge_sort_block_merge_implIS3_N6thrust23THRUST_200600_302600_NS6detail15normal_iteratorINS9_10device_ptrIiEEEEPS5_jNS1_19radix_merge_compareILb1ELb0EiNS0_19identity_decomposerEEEEE10hipError_tT0_T1_T2_jT3_P12ihipStream_tbPNSt15iterator_traitsISK_E10value_typeEPNSQ_ISL_E10value_typeEPSM_NS1_7vsmem_tEENKUlT_SK_SL_SM_E_clIPiSE_SF_SF_EESJ_SZ_SK_SL_SM_EUlSZ_E_NS1_11comp_targetILNS1_3genE0ELNS1_11target_archE4294967295ELNS1_3gpuE0ELNS1_3repE0EEENS1_48merge_mergepath_partition_config_static_selectorELNS0_4arch9wavefront6targetE1EEEvSL_.kd
    .uniform_work_group_size: 1
    .uses_dynamic_stack: false
    .vgpr_count:     17
    .vgpr_spill_count: 0
    .wavefront_size: 64
  - .agpr_count:     0
    .args:
      - .offset:         0
        .size:           40
        .value_kind:     by_value
    .group_segment_fixed_size: 0
    .kernarg_segment_align: 8
    .kernarg_segment_size: 40
    .language:       OpenCL C
    .language_version:
      - 2
      - 0
    .max_flat_workgroup_size: 128
    .name:           _ZN7rocprim17ROCPRIM_400000_NS6detail17trampoline_kernelINS0_14default_configENS1_38merge_sort_block_merge_config_selectorIiNS0_10empty_typeEEEZZNS1_27merge_sort_block_merge_implIS3_N6thrust23THRUST_200600_302600_NS6detail15normal_iteratorINS9_10device_ptrIiEEEEPS5_jNS1_19radix_merge_compareILb1ELb0EiNS0_19identity_decomposerEEEEE10hipError_tT0_T1_T2_jT3_P12ihipStream_tbPNSt15iterator_traitsISK_E10value_typeEPNSQ_ISL_E10value_typeEPSM_NS1_7vsmem_tEENKUlT_SK_SL_SM_E_clIPiSE_SF_SF_EESJ_SZ_SK_SL_SM_EUlSZ_E_NS1_11comp_targetILNS1_3genE10ELNS1_11target_archE1201ELNS1_3gpuE5ELNS1_3repE0EEENS1_48merge_mergepath_partition_config_static_selectorELNS0_4arch9wavefront6targetE1EEEvSL_
    .private_segment_fixed_size: 0
    .sgpr_count:     6
    .sgpr_spill_count: 0
    .symbol:         _ZN7rocprim17ROCPRIM_400000_NS6detail17trampoline_kernelINS0_14default_configENS1_38merge_sort_block_merge_config_selectorIiNS0_10empty_typeEEEZZNS1_27merge_sort_block_merge_implIS3_N6thrust23THRUST_200600_302600_NS6detail15normal_iteratorINS9_10device_ptrIiEEEEPS5_jNS1_19radix_merge_compareILb1ELb0EiNS0_19identity_decomposerEEEEE10hipError_tT0_T1_T2_jT3_P12ihipStream_tbPNSt15iterator_traitsISK_E10value_typeEPNSQ_ISL_E10value_typeEPSM_NS1_7vsmem_tEENKUlT_SK_SL_SM_E_clIPiSE_SF_SF_EESJ_SZ_SK_SL_SM_EUlSZ_E_NS1_11comp_targetILNS1_3genE10ELNS1_11target_archE1201ELNS1_3gpuE5ELNS1_3repE0EEENS1_48merge_mergepath_partition_config_static_selectorELNS0_4arch9wavefront6targetE1EEEvSL_.kd
    .uniform_work_group_size: 1
    .uses_dynamic_stack: false
    .vgpr_count:     0
    .vgpr_spill_count: 0
    .wavefront_size: 64
  - .agpr_count:     0
    .args:
      - .offset:         0
        .size:           40
        .value_kind:     by_value
    .group_segment_fixed_size: 0
    .kernarg_segment_align: 8
    .kernarg_segment_size: 40
    .language:       OpenCL C
    .language_version:
      - 2
      - 0
    .max_flat_workgroup_size: 128
    .name:           _ZN7rocprim17ROCPRIM_400000_NS6detail17trampoline_kernelINS0_14default_configENS1_38merge_sort_block_merge_config_selectorIiNS0_10empty_typeEEEZZNS1_27merge_sort_block_merge_implIS3_N6thrust23THRUST_200600_302600_NS6detail15normal_iteratorINS9_10device_ptrIiEEEEPS5_jNS1_19radix_merge_compareILb1ELb0EiNS0_19identity_decomposerEEEEE10hipError_tT0_T1_T2_jT3_P12ihipStream_tbPNSt15iterator_traitsISK_E10value_typeEPNSQ_ISL_E10value_typeEPSM_NS1_7vsmem_tEENKUlT_SK_SL_SM_E_clIPiSE_SF_SF_EESJ_SZ_SK_SL_SM_EUlSZ_E_NS1_11comp_targetILNS1_3genE5ELNS1_11target_archE942ELNS1_3gpuE9ELNS1_3repE0EEENS1_48merge_mergepath_partition_config_static_selectorELNS0_4arch9wavefront6targetE1EEEvSL_
    .private_segment_fixed_size: 0
    .sgpr_count:     6
    .sgpr_spill_count: 0
    .symbol:         _ZN7rocprim17ROCPRIM_400000_NS6detail17trampoline_kernelINS0_14default_configENS1_38merge_sort_block_merge_config_selectorIiNS0_10empty_typeEEEZZNS1_27merge_sort_block_merge_implIS3_N6thrust23THRUST_200600_302600_NS6detail15normal_iteratorINS9_10device_ptrIiEEEEPS5_jNS1_19radix_merge_compareILb1ELb0EiNS0_19identity_decomposerEEEEE10hipError_tT0_T1_T2_jT3_P12ihipStream_tbPNSt15iterator_traitsISK_E10value_typeEPNSQ_ISL_E10value_typeEPSM_NS1_7vsmem_tEENKUlT_SK_SL_SM_E_clIPiSE_SF_SF_EESJ_SZ_SK_SL_SM_EUlSZ_E_NS1_11comp_targetILNS1_3genE5ELNS1_11target_archE942ELNS1_3gpuE9ELNS1_3repE0EEENS1_48merge_mergepath_partition_config_static_selectorELNS0_4arch9wavefront6targetE1EEEvSL_.kd
    .uniform_work_group_size: 1
    .uses_dynamic_stack: false
    .vgpr_count:     0
    .vgpr_spill_count: 0
    .wavefront_size: 64
  - .agpr_count:     0
    .args:
      - .offset:         0
        .size:           40
        .value_kind:     by_value
    .group_segment_fixed_size: 0
    .kernarg_segment_align: 8
    .kernarg_segment_size: 40
    .language:       OpenCL C
    .language_version:
      - 2
      - 0
    .max_flat_workgroup_size: 128
    .name:           _ZN7rocprim17ROCPRIM_400000_NS6detail17trampoline_kernelINS0_14default_configENS1_38merge_sort_block_merge_config_selectorIiNS0_10empty_typeEEEZZNS1_27merge_sort_block_merge_implIS3_N6thrust23THRUST_200600_302600_NS6detail15normal_iteratorINS9_10device_ptrIiEEEEPS5_jNS1_19radix_merge_compareILb1ELb0EiNS0_19identity_decomposerEEEEE10hipError_tT0_T1_T2_jT3_P12ihipStream_tbPNSt15iterator_traitsISK_E10value_typeEPNSQ_ISL_E10value_typeEPSM_NS1_7vsmem_tEENKUlT_SK_SL_SM_E_clIPiSE_SF_SF_EESJ_SZ_SK_SL_SM_EUlSZ_E_NS1_11comp_targetILNS1_3genE4ELNS1_11target_archE910ELNS1_3gpuE8ELNS1_3repE0EEENS1_48merge_mergepath_partition_config_static_selectorELNS0_4arch9wavefront6targetE1EEEvSL_
    .private_segment_fixed_size: 0
    .sgpr_count:     6
    .sgpr_spill_count: 0
    .symbol:         _ZN7rocprim17ROCPRIM_400000_NS6detail17trampoline_kernelINS0_14default_configENS1_38merge_sort_block_merge_config_selectorIiNS0_10empty_typeEEEZZNS1_27merge_sort_block_merge_implIS3_N6thrust23THRUST_200600_302600_NS6detail15normal_iteratorINS9_10device_ptrIiEEEEPS5_jNS1_19radix_merge_compareILb1ELb0EiNS0_19identity_decomposerEEEEE10hipError_tT0_T1_T2_jT3_P12ihipStream_tbPNSt15iterator_traitsISK_E10value_typeEPNSQ_ISL_E10value_typeEPSM_NS1_7vsmem_tEENKUlT_SK_SL_SM_E_clIPiSE_SF_SF_EESJ_SZ_SK_SL_SM_EUlSZ_E_NS1_11comp_targetILNS1_3genE4ELNS1_11target_archE910ELNS1_3gpuE8ELNS1_3repE0EEENS1_48merge_mergepath_partition_config_static_selectorELNS0_4arch9wavefront6targetE1EEEvSL_.kd
    .uniform_work_group_size: 1
    .uses_dynamic_stack: false
    .vgpr_count:     0
    .vgpr_spill_count: 0
    .wavefront_size: 64
  - .agpr_count:     0
    .args:
      - .offset:         0
        .size:           40
        .value_kind:     by_value
    .group_segment_fixed_size: 0
    .kernarg_segment_align: 8
    .kernarg_segment_size: 40
    .language:       OpenCL C
    .language_version:
      - 2
      - 0
    .max_flat_workgroup_size: 128
    .name:           _ZN7rocprim17ROCPRIM_400000_NS6detail17trampoline_kernelINS0_14default_configENS1_38merge_sort_block_merge_config_selectorIiNS0_10empty_typeEEEZZNS1_27merge_sort_block_merge_implIS3_N6thrust23THRUST_200600_302600_NS6detail15normal_iteratorINS9_10device_ptrIiEEEEPS5_jNS1_19radix_merge_compareILb1ELb0EiNS0_19identity_decomposerEEEEE10hipError_tT0_T1_T2_jT3_P12ihipStream_tbPNSt15iterator_traitsISK_E10value_typeEPNSQ_ISL_E10value_typeEPSM_NS1_7vsmem_tEENKUlT_SK_SL_SM_E_clIPiSE_SF_SF_EESJ_SZ_SK_SL_SM_EUlSZ_E_NS1_11comp_targetILNS1_3genE3ELNS1_11target_archE908ELNS1_3gpuE7ELNS1_3repE0EEENS1_48merge_mergepath_partition_config_static_selectorELNS0_4arch9wavefront6targetE1EEEvSL_
    .private_segment_fixed_size: 0
    .sgpr_count:     6
    .sgpr_spill_count: 0
    .symbol:         _ZN7rocprim17ROCPRIM_400000_NS6detail17trampoline_kernelINS0_14default_configENS1_38merge_sort_block_merge_config_selectorIiNS0_10empty_typeEEEZZNS1_27merge_sort_block_merge_implIS3_N6thrust23THRUST_200600_302600_NS6detail15normal_iteratorINS9_10device_ptrIiEEEEPS5_jNS1_19radix_merge_compareILb1ELb0EiNS0_19identity_decomposerEEEEE10hipError_tT0_T1_T2_jT3_P12ihipStream_tbPNSt15iterator_traitsISK_E10value_typeEPNSQ_ISL_E10value_typeEPSM_NS1_7vsmem_tEENKUlT_SK_SL_SM_E_clIPiSE_SF_SF_EESJ_SZ_SK_SL_SM_EUlSZ_E_NS1_11comp_targetILNS1_3genE3ELNS1_11target_archE908ELNS1_3gpuE7ELNS1_3repE0EEENS1_48merge_mergepath_partition_config_static_selectorELNS0_4arch9wavefront6targetE1EEEvSL_.kd
    .uniform_work_group_size: 1
    .uses_dynamic_stack: false
    .vgpr_count:     0
    .vgpr_spill_count: 0
    .wavefront_size: 64
  - .agpr_count:     0
    .args:
      - .offset:         0
        .size:           40
        .value_kind:     by_value
    .group_segment_fixed_size: 0
    .kernarg_segment_align: 8
    .kernarg_segment_size: 40
    .language:       OpenCL C
    .language_version:
      - 2
      - 0
    .max_flat_workgroup_size: 128
    .name:           _ZN7rocprim17ROCPRIM_400000_NS6detail17trampoline_kernelINS0_14default_configENS1_38merge_sort_block_merge_config_selectorIiNS0_10empty_typeEEEZZNS1_27merge_sort_block_merge_implIS3_N6thrust23THRUST_200600_302600_NS6detail15normal_iteratorINS9_10device_ptrIiEEEEPS5_jNS1_19radix_merge_compareILb1ELb0EiNS0_19identity_decomposerEEEEE10hipError_tT0_T1_T2_jT3_P12ihipStream_tbPNSt15iterator_traitsISK_E10value_typeEPNSQ_ISL_E10value_typeEPSM_NS1_7vsmem_tEENKUlT_SK_SL_SM_E_clIPiSE_SF_SF_EESJ_SZ_SK_SL_SM_EUlSZ_E_NS1_11comp_targetILNS1_3genE2ELNS1_11target_archE906ELNS1_3gpuE6ELNS1_3repE0EEENS1_48merge_mergepath_partition_config_static_selectorELNS0_4arch9wavefront6targetE1EEEvSL_
    .private_segment_fixed_size: 0
    .sgpr_count:     6
    .sgpr_spill_count: 0
    .symbol:         _ZN7rocprim17ROCPRIM_400000_NS6detail17trampoline_kernelINS0_14default_configENS1_38merge_sort_block_merge_config_selectorIiNS0_10empty_typeEEEZZNS1_27merge_sort_block_merge_implIS3_N6thrust23THRUST_200600_302600_NS6detail15normal_iteratorINS9_10device_ptrIiEEEEPS5_jNS1_19radix_merge_compareILb1ELb0EiNS0_19identity_decomposerEEEEE10hipError_tT0_T1_T2_jT3_P12ihipStream_tbPNSt15iterator_traitsISK_E10value_typeEPNSQ_ISL_E10value_typeEPSM_NS1_7vsmem_tEENKUlT_SK_SL_SM_E_clIPiSE_SF_SF_EESJ_SZ_SK_SL_SM_EUlSZ_E_NS1_11comp_targetILNS1_3genE2ELNS1_11target_archE906ELNS1_3gpuE6ELNS1_3repE0EEENS1_48merge_mergepath_partition_config_static_selectorELNS0_4arch9wavefront6targetE1EEEvSL_.kd
    .uniform_work_group_size: 1
    .uses_dynamic_stack: false
    .vgpr_count:     0
    .vgpr_spill_count: 0
    .wavefront_size: 64
  - .agpr_count:     0
    .args:
      - .offset:         0
        .size:           40
        .value_kind:     by_value
    .group_segment_fixed_size: 0
    .kernarg_segment_align: 8
    .kernarg_segment_size: 40
    .language:       OpenCL C
    .language_version:
      - 2
      - 0
    .max_flat_workgroup_size: 128
    .name:           _ZN7rocprim17ROCPRIM_400000_NS6detail17trampoline_kernelINS0_14default_configENS1_38merge_sort_block_merge_config_selectorIiNS0_10empty_typeEEEZZNS1_27merge_sort_block_merge_implIS3_N6thrust23THRUST_200600_302600_NS6detail15normal_iteratorINS9_10device_ptrIiEEEEPS5_jNS1_19radix_merge_compareILb1ELb0EiNS0_19identity_decomposerEEEEE10hipError_tT0_T1_T2_jT3_P12ihipStream_tbPNSt15iterator_traitsISK_E10value_typeEPNSQ_ISL_E10value_typeEPSM_NS1_7vsmem_tEENKUlT_SK_SL_SM_E_clIPiSE_SF_SF_EESJ_SZ_SK_SL_SM_EUlSZ_E_NS1_11comp_targetILNS1_3genE9ELNS1_11target_archE1100ELNS1_3gpuE3ELNS1_3repE0EEENS1_48merge_mergepath_partition_config_static_selectorELNS0_4arch9wavefront6targetE1EEEvSL_
    .private_segment_fixed_size: 0
    .sgpr_count:     6
    .sgpr_spill_count: 0
    .symbol:         _ZN7rocprim17ROCPRIM_400000_NS6detail17trampoline_kernelINS0_14default_configENS1_38merge_sort_block_merge_config_selectorIiNS0_10empty_typeEEEZZNS1_27merge_sort_block_merge_implIS3_N6thrust23THRUST_200600_302600_NS6detail15normal_iteratorINS9_10device_ptrIiEEEEPS5_jNS1_19radix_merge_compareILb1ELb0EiNS0_19identity_decomposerEEEEE10hipError_tT0_T1_T2_jT3_P12ihipStream_tbPNSt15iterator_traitsISK_E10value_typeEPNSQ_ISL_E10value_typeEPSM_NS1_7vsmem_tEENKUlT_SK_SL_SM_E_clIPiSE_SF_SF_EESJ_SZ_SK_SL_SM_EUlSZ_E_NS1_11comp_targetILNS1_3genE9ELNS1_11target_archE1100ELNS1_3gpuE3ELNS1_3repE0EEENS1_48merge_mergepath_partition_config_static_selectorELNS0_4arch9wavefront6targetE1EEEvSL_.kd
    .uniform_work_group_size: 1
    .uses_dynamic_stack: false
    .vgpr_count:     0
    .vgpr_spill_count: 0
    .wavefront_size: 64
  - .agpr_count:     0
    .args:
      - .offset:         0
        .size:           40
        .value_kind:     by_value
    .group_segment_fixed_size: 0
    .kernarg_segment_align: 8
    .kernarg_segment_size: 40
    .language:       OpenCL C
    .language_version:
      - 2
      - 0
    .max_flat_workgroup_size: 128
    .name:           _ZN7rocprim17ROCPRIM_400000_NS6detail17trampoline_kernelINS0_14default_configENS1_38merge_sort_block_merge_config_selectorIiNS0_10empty_typeEEEZZNS1_27merge_sort_block_merge_implIS3_N6thrust23THRUST_200600_302600_NS6detail15normal_iteratorINS9_10device_ptrIiEEEEPS5_jNS1_19radix_merge_compareILb1ELb0EiNS0_19identity_decomposerEEEEE10hipError_tT0_T1_T2_jT3_P12ihipStream_tbPNSt15iterator_traitsISK_E10value_typeEPNSQ_ISL_E10value_typeEPSM_NS1_7vsmem_tEENKUlT_SK_SL_SM_E_clIPiSE_SF_SF_EESJ_SZ_SK_SL_SM_EUlSZ_E_NS1_11comp_targetILNS1_3genE8ELNS1_11target_archE1030ELNS1_3gpuE2ELNS1_3repE0EEENS1_48merge_mergepath_partition_config_static_selectorELNS0_4arch9wavefront6targetE1EEEvSL_
    .private_segment_fixed_size: 0
    .sgpr_count:     6
    .sgpr_spill_count: 0
    .symbol:         _ZN7rocprim17ROCPRIM_400000_NS6detail17trampoline_kernelINS0_14default_configENS1_38merge_sort_block_merge_config_selectorIiNS0_10empty_typeEEEZZNS1_27merge_sort_block_merge_implIS3_N6thrust23THRUST_200600_302600_NS6detail15normal_iteratorINS9_10device_ptrIiEEEEPS5_jNS1_19radix_merge_compareILb1ELb0EiNS0_19identity_decomposerEEEEE10hipError_tT0_T1_T2_jT3_P12ihipStream_tbPNSt15iterator_traitsISK_E10value_typeEPNSQ_ISL_E10value_typeEPSM_NS1_7vsmem_tEENKUlT_SK_SL_SM_E_clIPiSE_SF_SF_EESJ_SZ_SK_SL_SM_EUlSZ_E_NS1_11comp_targetILNS1_3genE8ELNS1_11target_archE1030ELNS1_3gpuE2ELNS1_3repE0EEENS1_48merge_mergepath_partition_config_static_selectorELNS0_4arch9wavefront6targetE1EEEvSL_.kd
    .uniform_work_group_size: 1
    .uses_dynamic_stack: false
    .vgpr_count:     0
    .vgpr_spill_count: 0
    .wavefront_size: 64
  - .agpr_count:     0
    .args:
      - .offset:         0
        .size:           64
        .value_kind:     by_value
      - .offset:         64
        .size:           4
        .value_kind:     hidden_block_count_x
      - .offset:         68
        .size:           4
        .value_kind:     hidden_block_count_y
      - .offset:         72
        .size:           4
        .value_kind:     hidden_block_count_z
      - .offset:         76
        .size:           2
        .value_kind:     hidden_group_size_x
      - .offset:         78
        .size:           2
        .value_kind:     hidden_group_size_y
      - .offset:         80
        .size:           2
        .value_kind:     hidden_group_size_z
      - .offset:         82
        .size:           2
        .value_kind:     hidden_remainder_x
      - .offset:         84
        .size:           2
        .value_kind:     hidden_remainder_y
      - .offset:         86
        .size:           2
        .value_kind:     hidden_remainder_z
      - .offset:         104
        .size:           8
        .value_kind:     hidden_global_offset_x
      - .offset:         112
        .size:           8
        .value_kind:     hidden_global_offset_y
      - .offset:         120
        .size:           8
        .value_kind:     hidden_global_offset_z
      - .offset:         128
        .size:           2
        .value_kind:     hidden_grid_dims
    .group_segment_fixed_size: 4224
    .kernarg_segment_align: 8
    .kernarg_segment_size: 320
    .language:       OpenCL C
    .language_version:
      - 2
      - 0
    .max_flat_workgroup_size: 128
    .name:           _ZN7rocprim17ROCPRIM_400000_NS6detail17trampoline_kernelINS0_14default_configENS1_38merge_sort_block_merge_config_selectorIiNS0_10empty_typeEEEZZNS1_27merge_sort_block_merge_implIS3_N6thrust23THRUST_200600_302600_NS6detail15normal_iteratorINS9_10device_ptrIiEEEEPS5_jNS1_19radix_merge_compareILb1ELb0EiNS0_19identity_decomposerEEEEE10hipError_tT0_T1_T2_jT3_P12ihipStream_tbPNSt15iterator_traitsISK_E10value_typeEPNSQ_ISL_E10value_typeEPSM_NS1_7vsmem_tEENKUlT_SK_SL_SM_E_clIPiSE_SF_SF_EESJ_SZ_SK_SL_SM_EUlSZ_E0_NS1_11comp_targetILNS1_3genE0ELNS1_11target_archE4294967295ELNS1_3gpuE0ELNS1_3repE0EEENS1_38merge_mergepath_config_static_selectorELNS0_4arch9wavefront6targetE1EEEvSL_
    .private_segment_fixed_size: 0
    .sgpr_count:     31
    .sgpr_spill_count: 0
    .symbol:         _ZN7rocprim17ROCPRIM_400000_NS6detail17trampoline_kernelINS0_14default_configENS1_38merge_sort_block_merge_config_selectorIiNS0_10empty_typeEEEZZNS1_27merge_sort_block_merge_implIS3_N6thrust23THRUST_200600_302600_NS6detail15normal_iteratorINS9_10device_ptrIiEEEEPS5_jNS1_19radix_merge_compareILb1ELb0EiNS0_19identity_decomposerEEEEE10hipError_tT0_T1_T2_jT3_P12ihipStream_tbPNSt15iterator_traitsISK_E10value_typeEPNSQ_ISL_E10value_typeEPSM_NS1_7vsmem_tEENKUlT_SK_SL_SM_E_clIPiSE_SF_SF_EESJ_SZ_SK_SL_SM_EUlSZ_E0_NS1_11comp_targetILNS1_3genE0ELNS1_11target_archE4294967295ELNS1_3gpuE0ELNS1_3repE0EEENS1_38merge_mergepath_config_static_selectorELNS0_4arch9wavefront6targetE1EEEvSL_.kd
    .uniform_work_group_size: 1
    .uses_dynamic_stack: false
    .vgpr_count:     26
    .vgpr_spill_count: 0
    .wavefront_size: 64
  - .agpr_count:     0
    .args:
      - .offset:         0
        .size:           64
        .value_kind:     by_value
    .group_segment_fixed_size: 0
    .kernarg_segment_align: 8
    .kernarg_segment_size: 64
    .language:       OpenCL C
    .language_version:
      - 2
      - 0
    .max_flat_workgroup_size: 256
    .name:           _ZN7rocprim17ROCPRIM_400000_NS6detail17trampoline_kernelINS0_14default_configENS1_38merge_sort_block_merge_config_selectorIiNS0_10empty_typeEEEZZNS1_27merge_sort_block_merge_implIS3_N6thrust23THRUST_200600_302600_NS6detail15normal_iteratorINS9_10device_ptrIiEEEEPS5_jNS1_19radix_merge_compareILb1ELb0EiNS0_19identity_decomposerEEEEE10hipError_tT0_T1_T2_jT3_P12ihipStream_tbPNSt15iterator_traitsISK_E10value_typeEPNSQ_ISL_E10value_typeEPSM_NS1_7vsmem_tEENKUlT_SK_SL_SM_E_clIPiSE_SF_SF_EESJ_SZ_SK_SL_SM_EUlSZ_E0_NS1_11comp_targetILNS1_3genE10ELNS1_11target_archE1201ELNS1_3gpuE5ELNS1_3repE0EEENS1_38merge_mergepath_config_static_selectorELNS0_4arch9wavefront6targetE1EEEvSL_
    .private_segment_fixed_size: 0
    .sgpr_count:     6
    .sgpr_spill_count: 0
    .symbol:         _ZN7rocprim17ROCPRIM_400000_NS6detail17trampoline_kernelINS0_14default_configENS1_38merge_sort_block_merge_config_selectorIiNS0_10empty_typeEEEZZNS1_27merge_sort_block_merge_implIS3_N6thrust23THRUST_200600_302600_NS6detail15normal_iteratorINS9_10device_ptrIiEEEEPS5_jNS1_19radix_merge_compareILb1ELb0EiNS0_19identity_decomposerEEEEE10hipError_tT0_T1_T2_jT3_P12ihipStream_tbPNSt15iterator_traitsISK_E10value_typeEPNSQ_ISL_E10value_typeEPSM_NS1_7vsmem_tEENKUlT_SK_SL_SM_E_clIPiSE_SF_SF_EESJ_SZ_SK_SL_SM_EUlSZ_E0_NS1_11comp_targetILNS1_3genE10ELNS1_11target_archE1201ELNS1_3gpuE5ELNS1_3repE0EEENS1_38merge_mergepath_config_static_selectorELNS0_4arch9wavefront6targetE1EEEvSL_.kd
    .uniform_work_group_size: 1
    .uses_dynamic_stack: false
    .vgpr_count:     0
    .vgpr_spill_count: 0
    .wavefront_size: 64
  - .agpr_count:     0
    .args:
      - .offset:         0
        .size:           64
        .value_kind:     by_value
    .group_segment_fixed_size: 0
    .kernarg_segment_align: 8
    .kernarg_segment_size: 64
    .language:       OpenCL C
    .language_version:
      - 2
      - 0
    .max_flat_workgroup_size: 128
    .name:           _ZN7rocprim17ROCPRIM_400000_NS6detail17trampoline_kernelINS0_14default_configENS1_38merge_sort_block_merge_config_selectorIiNS0_10empty_typeEEEZZNS1_27merge_sort_block_merge_implIS3_N6thrust23THRUST_200600_302600_NS6detail15normal_iteratorINS9_10device_ptrIiEEEEPS5_jNS1_19radix_merge_compareILb1ELb0EiNS0_19identity_decomposerEEEEE10hipError_tT0_T1_T2_jT3_P12ihipStream_tbPNSt15iterator_traitsISK_E10value_typeEPNSQ_ISL_E10value_typeEPSM_NS1_7vsmem_tEENKUlT_SK_SL_SM_E_clIPiSE_SF_SF_EESJ_SZ_SK_SL_SM_EUlSZ_E0_NS1_11comp_targetILNS1_3genE5ELNS1_11target_archE942ELNS1_3gpuE9ELNS1_3repE0EEENS1_38merge_mergepath_config_static_selectorELNS0_4arch9wavefront6targetE1EEEvSL_
    .private_segment_fixed_size: 0
    .sgpr_count:     6
    .sgpr_spill_count: 0
    .symbol:         _ZN7rocprim17ROCPRIM_400000_NS6detail17trampoline_kernelINS0_14default_configENS1_38merge_sort_block_merge_config_selectorIiNS0_10empty_typeEEEZZNS1_27merge_sort_block_merge_implIS3_N6thrust23THRUST_200600_302600_NS6detail15normal_iteratorINS9_10device_ptrIiEEEEPS5_jNS1_19radix_merge_compareILb1ELb0EiNS0_19identity_decomposerEEEEE10hipError_tT0_T1_T2_jT3_P12ihipStream_tbPNSt15iterator_traitsISK_E10value_typeEPNSQ_ISL_E10value_typeEPSM_NS1_7vsmem_tEENKUlT_SK_SL_SM_E_clIPiSE_SF_SF_EESJ_SZ_SK_SL_SM_EUlSZ_E0_NS1_11comp_targetILNS1_3genE5ELNS1_11target_archE942ELNS1_3gpuE9ELNS1_3repE0EEENS1_38merge_mergepath_config_static_selectorELNS0_4arch9wavefront6targetE1EEEvSL_.kd
    .uniform_work_group_size: 1
    .uses_dynamic_stack: false
    .vgpr_count:     0
    .vgpr_spill_count: 0
    .wavefront_size: 64
  - .agpr_count:     0
    .args:
      - .offset:         0
        .size:           64
        .value_kind:     by_value
    .group_segment_fixed_size: 0
    .kernarg_segment_align: 8
    .kernarg_segment_size: 64
    .language:       OpenCL C
    .language_version:
      - 2
      - 0
    .max_flat_workgroup_size: 128
    .name:           _ZN7rocprim17ROCPRIM_400000_NS6detail17trampoline_kernelINS0_14default_configENS1_38merge_sort_block_merge_config_selectorIiNS0_10empty_typeEEEZZNS1_27merge_sort_block_merge_implIS3_N6thrust23THRUST_200600_302600_NS6detail15normal_iteratorINS9_10device_ptrIiEEEEPS5_jNS1_19radix_merge_compareILb1ELb0EiNS0_19identity_decomposerEEEEE10hipError_tT0_T1_T2_jT3_P12ihipStream_tbPNSt15iterator_traitsISK_E10value_typeEPNSQ_ISL_E10value_typeEPSM_NS1_7vsmem_tEENKUlT_SK_SL_SM_E_clIPiSE_SF_SF_EESJ_SZ_SK_SL_SM_EUlSZ_E0_NS1_11comp_targetILNS1_3genE4ELNS1_11target_archE910ELNS1_3gpuE8ELNS1_3repE0EEENS1_38merge_mergepath_config_static_selectorELNS0_4arch9wavefront6targetE1EEEvSL_
    .private_segment_fixed_size: 0
    .sgpr_count:     6
    .sgpr_spill_count: 0
    .symbol:         _ZN7rocprim17ROCPRIM_400000_NS6detail17trampoline_kernelINS0_14default_configENS1_38merge_sort_block_merge_config_selectorIiNS0_10empty_typeEEEZZNS1_27merge_sort_block_merge_implIS3_N6thrust23THRUST_200600_302600_NS6detail15normal_iteratorINS9_10device_ptrIiEEEEPS5_jNS1_19radix_merge_compareILb1ELb0EiNS0_19identity_decomposerEEEEE10hipError_tT0_T1_T2_jT3_P12ihipStream_tbPNSt15iterator_traitsISK_E10value_typeEPNSQ_ISL_E10value_typeEPSM_NS1_7vsmem_tEENKUlT_SK_SL_SM_E_clIPiSE_SF_SF_EESJ_SZ_SK_SL_SM_EUlSZ_E0_NS1_11comp_targetILNS1_3genE4ELNS1_11target_archE910ELNS1_3gpuE8ELNS1_3repE0EEENS1_38merge_mergepath_config_static_selectorELNS0_4arch9wavefront6targetE1EEEvSL_.kd
    .uniform_work_group_size: 1
    .uses_dynamic_stack: false
    .vgpr_count:     0
    .vgpr_spill_count: 0
    .wavefront_size: 64
  - .agpr_count:     0
    .args:
      - .offset:         0
        .size:           64
        .value_kind:     by_value
    .group_segment_fixed_size: 0
    .kernarg_segment_align: 8
    .kernarg_segment_size: 64
    .language:       OpenCL C
    .language_version:
      - 2
      - 0
    .max_flat_workgroup_size: 128
    .name:           _ZN7rocprim17ROCPRIM_400000_NS6detail17trampoline_kernelINS0_14default_configENS1_38merge_sort_block_merge_config_selectorIiNS0_10empty_typeEEEZZNS1_27merge_sort_block_merge_implIS3_N6thrust23THRUST_200600_302600_NS6detail15normal_iteratorINS9_10device_ptrIiEEEEPS5_jNS1_19radix_merge_compareILb1ELb0EiNS0_19identity_decomposerEEEEE10hipError_tT0_T1_T2_jT3_P12ihipStream_tbPNSt15iterator_traitsISK_E10value_typeEPNSQ_ISL_E10value_typeEPSM_NS1_7vsmem_tEENKUlT_SK_SL_SM_E_clIPiSE_SF_SF_EESJ_SZ_SK_SL_SM_EUlSZ_E0_NS1_11comp_targetILNS1_3genE3ELNS1_11target_archE908ELNS1_3gpuE7ELNS1_3repE0EEENS1_38merge_mergepath_config_static_selectorELNS0_4arch9wavefront6targetE1EEEvSL_
    .private_segment_fixed_size: 0
    .sgpr_count:     6
    .sgpr_spill_count: 0
    .symbol:         _ZN7rocprim17ROCPRIM_400000_NS6detail17trampoline_kernelINS0_14default_configENS1_38merge_sort_block_merge_config_selectorIiNS0_10empty_typeEEEZZNS1_27merge_sort_block_merge_implIS3_N6thrust23THRUST_200600_302600_NS6detail15normal_iteratorINS9_10device_ptrIiEEEEPS5_jNS1_19radix_merge_compareILb1ELb0EiNS0_19identity_decomposerEEEEE10hipError_tT0_T1_T2_jT3_P12ihipStream_tbPNSt15iterator_traitsISK_E10value_typeEPNSQ_ISL_E10value_typeEPSM_NS1_7vsmem_tEENKUlT_SK_SL_SM_E_clIPiSE_SF_SF_EESJ_SZ_SK_SL_SM_EUlSZ_E0_NS1_11comp_targetILNS1_3genE3ELNS1_11target_archE908ELNS1_3gpuE7ELNS1_3repE0EEENS1_38merge_mergepath_config_static_selectorELNS0_4arch9wavefront6targetE1EEEvSL_.kd
    .uniform_work_group_size: 1
    .uses_dynamic_stack: false
    .vgpr_count:     0
    .vgpr_spill_count: 0
    .wavefront_size: 64
  - .agpr_count:     0
    .args:
      - .offset:         0
        .size:           64
        .value_kind:     by_value
    .group_segment_fixed_size: 0
    .kernarg_segment_align: 8
    .kernarg_segment_size: 64
    .language:       OpenCL C
    .language_version:
      - 2
      - 0
    .max_flat_workgroup_size: 128
    .name:           _ZN7rocprim17ROCPRIM_400000_NS6detail17trampoline_kernelINS0_14default_configENS1_38merge_sort_block_merge_config_selectorIiNS0_10empty_typeEEEZZNS1_27merge_sort_block_merge_implIS3_N6thrust23THRUST_200600_302600_NS6detail15normal_iteratorINS9_10device_ptrIiEEEEPS5_jNS1_19radix_merge_compareILb1ELb0EiNS0_19identity_decomposerEEEEE10hipError_tT0_T1_T2_jT3_P12ihipStream_tbPNSt15iterator_traitsISK_E10value_typeEPNSQ_ISL_E10value_typeEPSM_NS1_7vsmem_tEENKUlT_SK_SL_SM_E_clIPiSE_SF_SF_EESJ_SZ_SK_SL_SM_EUlSZ_E0_NS1_11comp_targetILNS1_3genE2ELNS1_11target_archE906ELNS1_3gpuE6ELNS1_3repE0EEENS1_38merge_mergepath_config_static_selectorELNS0_4arch9wavefront6targetE1EEEvSL_
    .private_segment_fixed_size: 0
    .sgpr_count:     6
    .sgpr_spill_count: 0
    .symbol:         _ZN7rocprim17ROCPRIM_400000_NS6detail17trampoline_kernelINS0_14default_configENS1_38merge_sort_block_merge_config_selectorIiNS0_10empty_typeEEEZZNS1_27merge_sort_block_merge_implIS3_N6thrust23THRUST_200600_302600_NS6detail15normal_iteratorINS9_10device_ptrIiEEEEPS5_jNS1_19radix_merge_compareILb1ELb0EiNS0_19identity_decomposerEEEEE10hipError_tT0_T1_T2_jT3_P12ihipStream_tbPNSt15iterator_traitsISK_E10value_typeEPNSQ_ISL_E10value_typeEPSM_NS1_7vsmem_tEENKUlT_SK_SL_SM_E_clIPiSE_SF_SF_EESJ_SZ_SK_SL_SM_EUlSZ_E0_NS1_11comp_targetILNS1_3genE2ELNS1_11target_archE906ELNS1_3gpuE6ELNS1_3repE0EEENS1_38merge_mergepath_config_static_selectorELNS0_4arch9wavefront6targetE1EEEvSL_.kd
    .uniform_work_group_size: 1
    .uses_dynamic_stack: false
    .vgpr_count:     0
    .vgpr_spill_count: 0
    .wavefront_size: 64
  - .agpr_count:     0
    .args:
      - .offset:         0
        .size:           64
        .value_kind:     by_value
    .group_segment_fixed_size: 0
    .kernarg_segment_align: 8
    .kernarg_segment_size: 64
    .language:       OpenCL C
    .language_version:
      - 2
      - 0
    .max_flat_workgroup_size: 256
    .name:           _ZN7rocprim17ROCPRIM_400000_NS6detail17trampoline_kernelINS0_14default_configENS1_38merge_sort_block_merge_config_selectorIiNS0_10empty_typeEEEZZNS1_27merge_sort_block_merge_implIS3_N6thrust23THRUST_200600_302600_NS6detail15normal_iteratorINS9_10device_ptrIiEEEEPS5_jNS1_19radix_merge_compareILb1ELb0EiNS0_19identity_decomposerEEEEE10hipError_tT0_T1_T2_jT3_P12ihipStream_tbPNSt15iterator_traitsISK_E10value_typeEPNSQ_ISL_E10value_typeEPSM_NS1_7vsmem_tEENKUlT_SK_SL_SM_E_clIPiSE_SF_SF_EESJ_SZ_SK_SL_SM_EUlSZ_E0_NS1_11comp_targetILNS1_3genE9ELNS1_11target_archE1100ELNS1_3gpuE3ELNS1_3repE0EEENS1_38merge_mergepath_config_static_selectorELNS0_4arch9wavefront6targetE1EEEvSL_
    .private_segment_fixed_size: 0
    .sgpr_count:     6
    .sgpr_spill_count: 0
    .symbol:         _ZN7rocprim17ROCPRIM_400000_NS6detail17trampoline_kernelINS0_14default_configENS1_38merge_sort_block_merge_config_selectorIiNS0_10empty_typeEEEZZNS1_27merge_sort_block_merge_implIS3_N6thrust23THRUST_200600_302600_NS6detail15normal_iteratorINS9_10device_ptrIiEEEEPS5_jNS1_19radix_merge_compareILb1ELb0EiNS0_19identity_decomposerEEEEE10hipError_tT0_T1_T2_jT3_P12ihipStream_tbPNSt15iterator_traitsISK_E10value_typeEPNSQ_ISL_E10value_typeEPSM_NS1_7vsmem_tEENKUlT_SK_SL_SM_E_clIPiSE_SF_SF_EESJ_SZ_SK_SL_SM_EUlSZ_E0_NS1_11comp_targetILNS1_3genE9ELNS1_11target_archE1100ELNS1_3gpuE3ELNS1_3repE0EEENS1_38merge_mergepath_config_static_selectorELNS0_4arch9wavefront6targetE1EEEvSL_.kd
    .uniform_work_group_size: 1
    .uses_dynamic_stack: false
    .vgpr_count:     0
    .vgpr_spill_count: 0
    .wavefront_size: 64
  - .agpr_count:     0
    .args:
      - .offset:         0
        .size:           64
        .value_kind:     by_value
    .group_segment_fixed_size: 0
    .kernarg_segment_align: 8
    .kernarg_segment_size: 64
    .language:       OpenCL C
    .language_version:
      - 2
      - 0
    .max_flat_workgroup_size: 512
    .name:           _ZN7rocprim17ROCPRIM_400000_NS6detail17trampoline_kernelINS0_14default_configENS1_38merge_sort_block_merge_config_selectorIiNS0_10empty_typeEEEZZNS1_27merge_sort_block_merge_implIS3_N6thrust23THRUST_200600_302600_NS6detail15normal_iteratorINS9_10device_ptrIiEEEEPS5_jNS1_19radix_merge_compareILb1ELb0EiNS0_19identity_decomposerEEEEE10hipError_tT0_T1_T2_jT3_P12ihipStream_tbPNSt15iterator_traitsISK_E10value_typeEPNSQ_ISL_E10value_typeEPSM_NS1_7vsmem_tEENKUlT_SK_SL_SM_E_clIPiSE_SF_SF_EESJ_SZ_SK_SL_SM_EUlSZ_E0_NS1_11comp_targetILNS1_3genE8ELNS1_11target_archE1030ELNS1_3gpuE2ELNS1_3repE0EEENS1_38merge_mergepath_config_static_selectorELNS0_4arch9wavefront6targetE1EEEvSL_
    .private_segment_fixed_size: 0
    .sgpr_count:     6
    .sgpr_spill_count: 0
    .symbol:         _ZN7rocprim17ROCPRIM_400000_NS6detail17trampoline_kernelINS0_14default_configENS1_38merge_sort_block_merge_config_selectorIiNS0_10empty_typeEEEZZNS1_27merge_sort_block_merge_implIS3_N6thrust23THRUST_200600_302600_NS6detail15normal_iteratorINS9_10device_ptrIiEEEEPS5_jNS1_19radix_merge_compareILb1ELb0EiNS0_19identity_decomposerEEEEE10hipError_tT0_T1_T2_jT3_P12ihipStream_tbPNSt15iterator_traitsISK_E10value_typeEPNSQ_ISL_E10value_typeEPSM_NS1_7vsmem_tEENKUlT_SK_SL_SM_E_clIPiSE_SF_SF_EESJ_SZ_SK_SL_SM_EUlSZ_E0_NS1_11comp_targetILNS1_3genE8ELNS1_11target_archE1030ELNS1_3gpuE2ELNS1_3repE0EEENS1_38merge_mergepath_config_static_selectorELNS0_4arch9wavefront6targetE1EEEvSL_.kd
    .uniform_work_group_size: 1
    .uses_dynamic_stack: false
    .vgpr_count:     0
    .vgpr_spill_count: 0
    .wavefront_size: 64
  - .agpr_count:     0
    .args:
      - .offset:         0
        .size:           48
        .value_kind:     by_value
    .group_segment_fixed_size: 0
    .kernarg_segment_align: 8
    .kernarg_segment_size: 48
    .language:       OpenCL C
    .language_version:
      - 2
      - 0
    .max_flat_workgroup_size: 256
    .name:           _ZN7rocprim17ROCPRIM_400000_NS6detail17trampoline_kernelINS0_14default_configENS1_38merge_sort_block_merge_config_selectorIiNS0_10empty_typeEEEZZNS1_27merge_sort_block_merge_implIS3_N6thrust23THRUST_200600_302600_NS6detail15normal_iteratorINS9_10device_ptrIiEEEEPS5_jNS1_19radix_merge_compareILb1ELb0EiNS0_19identity_decomposerEEEEE10hipError_tT0_T1_T2_jT3_P12ihipStream_tbPNSt15iterator_traitsISK_E10value_typeEPNSQ_ISL_E10value_typeEPSM_NS1_7vsmem_tEENKUlT_SK_SL_SM_E_clIPiSE_SF_SF_EESJ_SZ_SK_SL_SM_EUlSZ_E1_NS1_11comp_targetILNS1_3genE0ELNS1_11target_archE4294967295ELNS1_3gpuE0ELNS1_3repE0EEENS1_36merge_oddeven_config_static_selectorELNS0_4arch9wavefront6targetE1EEEvSL_
    .private_segment_fixed_size: 0
    .sgpr_count:     25
    .sgpr_spill_count: 0
    .symbol:         _ZN7rocprim17ROCPRIM_400000_NS6detail17trampoline_kernelINS0_14default_configENS1_38merge_sort_block_merge_config_selectorIiNS0_10empty_typeEEEZZNS1_27merge_sort_block_merge_implIS3_N6thrust23THRUST_200600_302600_NS6detail15normal_iteratorINS9_10device_ptrIiEEEEPS5_jNS1_19radix_merge_compareILb1ELb0EiNS0_19identity_decomposerEEEEE10hipError_tT0_T1_T2_jT3_P12ihipStream_tbPNSt15iterator_traitsISK_E10value_typeEPNSQ_ISL_E10value_typeEPSM_NS1_7vsmem_tEENKUlT_SK_SL_SM_E_clIPiSE_SF_SF_EESJ_SZ_SK_SL_SM_EUlSZ_E1_NS1_11comp_targetILNS1_3genE0ELNS1_11target_archE4294967295ELNS1_3gpuE0ELNS1_3repE0EEENS1_36merge_oddeven_config_static_selectorELNS0_4arch9wavefront6targetE1EEEvSL_.kd
    .uniform_work_group_size: 1
    .uses_dynamic_stack: false
    .vgpr_count:     9
    .vgpr_spill_count: 0
    .wavefront_size: 64
  - .agpr_count:     0
    .args:
      - .offset:         0
        .size:           48
        .value_kind:     by_value
    .group_segment_fixed_size: 0
    .kernarg_segment_align: 8
    .kernarg_segment_size: 48
    .language:       OpenCL C
    .language_version:
      - 2
      - 0
    .max_flat_workgroup_size: 256
    .name:           _ZN7rocprim17ROCPRIM_400000_NS6detail17trampoline_kernelINS0_14default_configENS1_38merge_sort_block_merge_config_selectorIiNS0_10empty_typeEEEZZNS1_27merge_sort_block_merge_implIS3_N6thrust23THRUST_200600_302600_NS6detail15normal_iteratorINS9_10device_ptrIiEEEEPS5_jNS1_19radix_merge_compareILb1ELb0EiNS0_19identity_decomposerEEEEE10hipError_tT0_T1_T2_jT3_P12ihipStream_tbPNSt15iterator_traitsISK_E10value_typeEPNSQ_ISL_E10value_typeEPSM_NS1_7vsmem_tEENKUlT_SK_SL_SM_E_clIPiSE_SF_SF_EESJ_SZ_SK_SL_SM_EUlSZ_E1_NS1_11comp_targetILNS1_3genE10ELNS1_11target_archE1201ELNS1_3gpuE5ELNS1_3repE0EEENS1_36merge_oddeven_config_static_selectorELNS0_4arch9wavefront6targetE1EEEvSL_
    .private_segment_fixed_size: 0
    .sgpr_count:     6
    .sgpr_spill_count: 0
    .symbol:         _ZN7rocprim17ROCPRIM_400000_NS6detail17trampoline_kernelINS0_14default_configENS1_38merge_sort_block_merge_config_selectorIiNS0_10empty_typeEEEZZNS1_27merge_sort_block_merge_implIS3_N6thrust23THRUST_200600_302600_NS6detail15normal_iteratorINS9_10device_ptrIiEEEEPS5_jNS1_19radix_merge_compareILb1ELb0EiNS0_19identity_decomposerEEEEE10hipError_tT0_T1_T2_jT3_P12ihipStream_tbPNSt15iterator_traitsISK_E10value_typeEPNSQ_ISL_E10value_typeEPSM_NS1_7vsmem_tEENKUlT_SK_SL_SM_E_clIPiSE_SF_SF_EESJ_SZ_SK_SL_SM_EUlSZ_E1_NS1_11comp_targetILNS1_3genE10ELNS1_11target_archE1201ELNS1_3gpuE5ELNS1_3repE0EEENS1_36merge_oddeven_config_static_selectorELNS0_4arch9wavefront6targetE1EEEvSL_.kd
    .uniform_work_group_size: 1
    .uses_dynamic_stack: false
    .vgpr_count:     0
    .vgpr_spill_count: 0
    .wavefront_size: 64
  - .agpr_count:     0
    .args:
      - .offset:         0
        .size:           48
        .value_kind:     by_value
    .group_segment_fixed_size: 0
    .kernarg_segment_align: 8
    .kernarg_segment_size: 48
    .language:       OpenCL C
    .language_version:
      - 2
      - 0
    .max_flat_workgroup_size: 256
    .name:           _ZN7rocprim17ROCPRIM_400000_NS6detail17trampoline_kernelINS0_14default_configENS1_38merge_sort_block_merge_config_selectorIiNS0_10empty_typeEEEZZNS1_27merge_sort_block_merge_implIS3_N6thrust23THRUST_200600_302600_NS6detail15normal_iteratorINS9_10device_ptrIiEEEEPS5_jNS1_19radix_merge_compareILb1ELb0EiNS0_19identity_decomposerEEEEE10hipError_tT0_T1_T2_jT3_P12ihipStream_tbPNSt15iterator_traitsISK_E10value_typeEPNSQ_ISL_E10value_typeEPSM_NS1_7vsmem_tEENKUlT_SK_SL_SM_E_clIPiSE_SF_SF_EESJ_SZ_SK_SL_SM_EUlSZ_E1_NS1_11comp_targetILNS1_3genE5ELNS1_11target_archE942ELNS1_3gpuE9ELNS1_3repE0EEENS1_36merge_oddeven_config_static_selectorELNS0_4arch9wavefront6targetE1EEEvSL_
    .private_segment_fixed_size: 0
    .sgpr_count:     6
    .sgpr_spill_count: 0
    .symbol:         _ZN7rocprim17ROCPRIM_400000_NS6detail17trampoline_kernelINS0_14default_configENS1_38merge_sort_block_merge_config_selectorIiNS0_10empty_typeEEEZZNS1_27merge_sort_block_merge_implIS3_N6thrust23THRUST_200600_302600_NS6detail15normal_iteratorINS9_10device_ptrIiEEEEPS5_jNS1_19radix_merge_compareILb1ELb0EiNS0_19identity_decomposerEEEEE10hipError_tT0_T1_T2_jT3_P12ihipStream_tbPNSt15iterator_traitsISK_E10value_typeEPNSQ_ISL_E10value_typeEPSM_NS1_7vsmem_tEENKUlT_SK_SL_SM_E_clIPiSE_SF_SF_EESJ_SZ_SK_SL_SM_EUlSZ_E1_NS1_11comp_targetILNS1_3genE5ELNS1_11target_archE942ELNS1_3gpuE9ELNS1_3repE0EEENS1_36merge_oddeven_config_static_selectorELNS0_4arch9wavefront6targetE1EEEvSL_.kd
    .uniform_work_group_size: 1
    .uses_dynamic_stack: false
    .vgpr_count:     0
    .vgpr_spill_count: 0
    .wavefront_size: 64
  - .agpr_count:     0
    .args:
      - .offset:         0
        .size:           48
        .value_kind:     by_value
    .group_segment_fixed_size: 0
    .kernarg_segment_align: 8
    .kernarg_segment_size: 48
    .language:       OpenCL C
    .language_version:
      - 2
      - 0
    .max_flat_workgroup_size: 256
    .name:           _ZN7rocprim17ROCPRIM_400000_NS6detail17trampoline_kernelINS0_14default_configENS1_38merge_sort_block_merge_config_selectorIiNS0_10empty_typeEEEZZNS1_27merge_sort_block_merge_implIS3_N6thrust23THRUST_200600_302600_NS6detail15normal_iteratorINS9_10device_ptrIiEEEEPS5_jNS1_19radix_merge_compareILb1ELb0EiNS0_19identity_decomposerEEEEE10hipError_tT0_T1_T2_jT3_P12ihipStream_tbPNSt15iterator_traitsISK_E10value_typeEPNSQ_ISL_E10value_typeEPSM_NS1_7vsmem_tEENKUlT_SK_SL_SM_E_clIPiSE_SF_SF_EESJ_SZ_SK_SL_SM_EUlSZ_E1_NS1_11comp_targetILNS1_3genE4ELNS1_11target_archE910ELNS1_3gpuE8ELNS1_3repE0EEENS1_36merge_oddeven_config_static_selectorELNS0_4arch9wavefront6targetE1EEEvSL_
    .private_segment_fixed_size: 0
    .sgpr_count:     6
    .sgpr_spill_count: 0
    .symbol:         _ZN7rocprim17ROCPRIM_400000_NS6detail17trampoline_kernelINS0_14default_configENS1_38merge_sort_block_merge_config_selectorIiNS0_10empty_typeEEEZZNS1_27merge_sort_block_merge_implIS3_N6thrust23THRUST_200600_302600_NS6detail15normal_iteratorINS9_10device_ptrIiEEEEPS5_jNS1_19radix_merge_compareILb1ELb0EiNS0_19identity_decomposerEEEEE10hipError_tT0_T1_T2_jT3_P12ihipStream_tbPNSt15iterator_traitsISK_E10value_typeEPNSQ_ISL_E10value_typeEPSM_NS1_7vsmem_tEENKUlT_SK_SL_SM_E_clIPiSE_SF_SF_EESJ_SZ_SK_SL_SM_EUlSZ_E1_NS1_11comp_targetILNS1_3genE4ELNS1_11target_archE910ELNS1_3gpuE8ELNS1_3repE0EEENS1_36merge_oddeven_config_static_selectorELNS0_4arch9wavefront6targetE1EEEvSL_.kd
    .uniform_work_group_size: 1
    .uses_dynamic_stack: false
    .vgpr_count:     0
    .vgpr_spill_count: 0
    .wavefront_size: 64
  - .agpr_count:     0
    .args:
      - .offset:         0
        .size:           48
        .value_kind:     by_value
    .group_segment_fixed_size: 0
    .kernarg_segment_align: 8
    .kernarg_segment_size: 48
    .language:       OpenCL C
    .language_version:
      - 2
      - 0
    .max_flat_workgroup_size: 256
    .name:           _ZN7rocprim17ROCPRIM_400000_NS6detail17trampoline_kernelINS0_14default_configENS1_38merge_sort_block_merge_config_selectorIiNS0_10empty_typeEEEZZNS1_27merge_sort_block_merge_implIS3_N6thrust23THRUST_200600_302600_NS6detail15normal_iteratorINS9_10device_ptrIiEEEEPS5_jNS1_19radix_merge_compareILb1ELb0EiNS0_19identity_decomposerEEEEE10hipError_tT0_T1_T2_jT3_P12ihipStream_tbPNSt15iterator_traitsISK_E10value_typeEPNSQ_ISL_E10value_typeEPSM_NS1_7vsmem_tEENKUlT_SK_SL_SM_E_clIPiSE_SF_SF_EESJ_SZ_SK_SL_SM_EUlSZ_E1_NS1_11comp_targetILNS1_3genE3ELNS1_11target_archE908ELNS1_3gpuE7ELNS1_3repE0EEENS1_36merge_oddeven_config_static_selectorELNS0_4arch9wavefront6targetE1EEEvSL_
    .private_segment_fixed_size: 0
    .sgpr_count:     6
    .sgpr_spill_count: 0
    .symbol:         _ZN7rocprim17ROCPRIM_400000_NS6detail17trampoline_kernelINS0_14default_configENS1_38merge_sort_block_merge_config_selectorIiNS0_10empty_typeEEEZZNS1_27merge_sort_block_merge_implIS3_N6thrust23THRUST_200600_302600_NS6detail15normal_iteratorINS9_10device_ptrIiEEEEPS5_jNS1_19radix_merge_compareILb1ELb0EiNS0_19identity_decomposerEEEEE10hipError_tT0_T1_T2_jT3_P12ihipStream_tbPNSt15iterator_traitsISK_E10value_typeEPNSQ_ISL_E10value_typeEPSM_NS1_7vsmem_tEENKUlT_SK_SL_SM_E_clIPiSE_SF_SF_EESJ_SZ_SK_SL_SM_EUlSZ_E1_NS1_11comp_targetILNS1_3genE3ELNS1_11target_archE908ELNS1_3gpuE7ELNS1_3repE0EEENS1_36merge_oddeven_config_static_selectorELNS0_4arch9wavefront6targetE1EEEvSL_.kd
    .uniform_work_group_size: 1
    .uses_dynamic_stack: false
    .vgpr_count:     0
    .vgpr_spill_count: 0
    .wavefront_size: 64
  - .agpr_count:     0
    .args:
      - .offset:         0
        .size:           48
        .value_kind:     by_value
    .group_segment_fixed_size: 0
    .kernarg_segment_align: 8
    .kernarg_segment_size: 48
    .language:       OpenCL C
    .language_version:
      - 2
      - 0
    .max_flat_workgroup_size: 256
    .name:           _ZN7rocprim17ROCPRIM_400000_NS6detail17trampoline_kernelINS0_14default_configENS1_38merge_sort_block_merge_config_selectorIiNS0_10empty_typeEEEZZNS1_27merge_sort_block_merge_implIS3_N6thrust23THRUST_200600_302600_NS6detail15normal_iteratorINS9_10device_ptrIiEEEEPS5_jNS1_19radix_merge_compareILb1ELb0EiNS0_19identity_decomposerEEEEE10hipError_tT0_T1_T2_jT3_P12ihipStream_tbPNSt15iterator_traitsISK_E10value_typeEPNSQ_ISL_E10value_typeEPSM_NS1_7vsmem_tEENKUlT_SK_SL_SM_E_clIPiSE_SF_SF_EESJ_SZ_SK_SL_SM_EUlSZ_E1_NS1_11comp_targetILNS1_3genE2ELNS1_11target_archE906ELNS1_3gpuE6ELNS1_3repE0EEENS1_36merge_oddeven_config_static_selectorELNS0_4arch9wavefront6targetE1EEEvSL_
    .private_segment_fixed_size: 0
    .sgpr_count:     6
    .sgpr_spill_count: 0
    .symbol:         _ZN7rocprim17ROCPRIM_400000_NS6detail17trampoline_kernelINS0_14default_configENS1_38merge_sort_block_merge_config_selectorIiNS0_10empty_typeEEEZZNS1_27merge_sort_block_merge_implIS3_N6thrust23THRUST_200600_302600_NS6detail15normal_iteratorINS9_10device_ptrIiEEEEPS5_jNS1_19radix_merge_compareILb1ELb0EiNS0_19identity_decomposerEEEEE10hipError_tT0_T1_T2_jT3_P12ihipStream_tbPNSt15iterator_traitsISK_E10value_typeEPNSQ_ISL_E10value_typeEPSM_NS1_7vsmem_tEENKUlT_SK_SL_SM_E_clIPiSE_SF_SF_EESJ_SZ_SK_SL_SM_EUlSZ_E1_NS1_11comp_targetILNS1_3genE2ELNS1_11target_archE906ELNS1_3gpuE6ELNS1_3repE0EEENS1_36merge_oddeven_config_static_selectorELNS0_4arch9wavefront6targetE1EEEvSL_.kd
    .uniform_work_group_size: 1
    .uses_dynamic_stack: false
    .vgpr_count:     0
    .vgpr_spill_count: 0
    .wavefront_size: 64
  - .agpr_count:     0
    .args:
      - .offset:         0
        .size:           48
        .value_kind:     by_value
    .group_segment_fixed_size: 0
    .kernarg_segment_align: 8
    .kernarg_segment_size: 48
    .language:       OpenCL C
    .language_version:
      - 2
      - 0
    .max_flat_workgroup_size: 256
    .name:           _ZN7rocprim17ROCPRIM_400000_NS6detail17trampoline_kernelINS0_14default_configENS1_38merge_sort_block_merge_config_selectorIiNS0_10empty_typeEEEZZNS1_27merge_sort_block_merge_implIS3_N6thrust23THRUST_200600_302600_NS6detail15normal_iteratorINS9_10device_ptrIiEEEEPS5_jNS1_19radix_merge_compareILb1ELb0EiNS0_19identity_decomposerEEEEE10hipError_tT0_T1_T2_jT3_P12ihipStream_tbPNSt15iterator_traitsISK_E10value_typeEPNSQ_ISL_E10value_typeEPSM_NS1_7vsmem_tEENKUlT_SK_SL_SM_E_clIPiSE_SF_SF_EESJ_SZ_SK_SL_SM_EUlSZ_E1_NS1_11comp_targetILNS1_3genE9ELNS1_11target_archE1100ELNS1_3gpuE3ELNS1_3repE0EEENS1_36merge_oddeven_config_static_selectorELNS0_4arch9wavefront6targetE1EEEvSL_
    .private_segment_fixed_size: 0
    .sgpr_count:     6
    .sgpr_spill_count: 0
    .symbol:         _ZN7rocprim17ROCPRIM_400000_NS6detail17trampoline_kernelINS0_14default_configENS1_38merge_sort_block_merge_config_selectorIiNS0_10empty_typeEEEZZNS1_27merge_sort_block_merge_implIS3_N6thrust23THRUST_200600_302600_NS6detail15normal_iteratorINS9_10device_ptrIiEEEEPS5_jNS1_19radix_merge_compareILb1ELb0EiNS0_19identity_decomposerEEEEE10hipError_tT0_T1_T2_jT3_P12ihipStream_tbPNSt15iterator_traitsISK_E10value_typeEPNSQ_ISL_E10value_typeEPSM_NS1_7vsmem_tEENKUlT_SK_SL_SM_E_clIPiSE_SF_SF_EESJ_SZ_SK_SL_SM_EUlSZ_E1_NS1_11comp_targetILNS1_3genE9ELNS1_11target_archE1100ELNS1_3gpuE3ELNS1_3repE0EEENS1_36merge_oddeven_config_static_selectorELNS0_4arch9wavefront6targetE1EEEvSL_.kd
    .uniform_work_group_size: 1
    .uses_dynamic_stack: false
    .vgpr_count:     0
    .vgpr_spill_count: 0
    .wavefront_size: 64
  - .agpr_count:     0
    .args:
      - .offset:         0
        .size:           48
        .value_kind:     by_value
    .group_segment_fixed_size: 0
    .kernarg_segment_align: 8
    .kernarg_segment_size: 48
    .language:       OpenCL C
    .language_version:
      - 2
      - 0
    .max_flat_workgroup_size: 256
    .name:           _ZN7rocprim17ROCPRIM_400000_NS6detail17trampoline_kernelINS0_14default_configENS1_38merge_sort_block_merge_config_selectorIiNS0_10empty_typeEEEZZNS1_27merge_sort_block_merge_implIS3_N6thrust23THRUST_200600_302600_NS6detail15normal_iteratorINS9_10device_ptrIiEEEEPS5_jNS1_19radix_merge_compareILb1ELb0EiNS0_19identity_decomposerEEEEE10hipError_tT0_T1_T2_jT3_P12ihipStream_tbPNSt15iterator_traitsISK_E10value_typeEPNSQ_ISL_E10value_typeEPSM_NS1_7vsmem_tEENKUlT_SK_SL_SM_E_clIPiSE_SF_SF_EESJ_SZ_SK_SL_SM_EUlSZ_E1_NS1_11comp_targetILNS1_3genE8ELNS1_11target_archE1030ELNS1_3gpuE2ELNS1_3repE0EEENS1_36merge_oddeven_config_static_selectorELNS0_4arch9wavefront6targetE1EEEvSL_
    .private_segment_fixed_size: 0
    .sgpr_count:     6
    .sgpr_spill_count: 0
    .symbol:         _ZN7rocprim17ROCPRIM_400000_NS6detail17trampoline_kernelINS0_14default_configENS1_38merge_sort_block_merge_config_selectorIiNS0_10empty_typeEEEZZNS1_27merge_sort_block_merge_implIS3_N6thrust23THRUST_200600_302600_NS6detail15normal_iteratorINS9_10device_ptrIiEEEEPS5_jNS1_19radix_merge_compareILb1ELb0EiNS0_19identity_decomposerEEEEE10hipError_tT0_T1_T2_jT3_P12ihipStream_tbPNSt15iterator_traitsISK_E10value_typeEPNSQ_ISL_E10value_typeEPSM_NS1_7vsmem_tEENKUlT_SK_SL_SM_E_clIPiSE_SF_SF_EESJ_SZ_SK_SL_SM_EUlSZ_E1_NS1_11comp_targetILNS1_3genE8ELNS1_11target_archE1030ELNS1_3gpuE2ELNS1_3repE0EEENS1_36merge_oddeven_config_static_selectorELNS0_4arch9wavefront6targetE1EEEvSL_.kd
    .uniform_work_group_size: 1
    .uses_dynamic_stack: false
    .vgpr_count:     0
    .vgpr_spill_count: 0
    .wavefront_size: 64
  - .agpr_count:     0
    .args:
      - .offset:         0
        .size:           40
        .value_kind:     by_value
    .group_segment_fixed_size: 0
    .kernarg_segment_align: 8
    .kernarg_segment_size: 40
    .language:       OpenCL C
    .language_version:
      - 2
      - 0
    .max_flat_workgroup_size: 128
    .name:           _ZN7rocprim17ROCPRIM_400000_NS6detail17trampoline_kernelINS0_14default_configENS1_38merge_sort_block_merge_config_selectorIiNS0_10empty_typeEEEZZNS1_27merge_sort_block_merge_implIS3_N6thrust23THRUST_200600_302600_NS6detail15normal_iteratorINS9_10device_ptrIiEEEEPS5_jNS1_19radix_merge_compareILb1ELb0EiNS0_19identity_decomposerEEEEE10hipError_tT0_T1_T2_jT3_P12ihipStream_tbPNSt15iterator_traitsISK_E10value_typeEPNSQ_ISL_E10value_typeEPSM_NS1_7vsmem_tEENKUlT_SK_SL_SM_E_clISE_PiSF_SF_EESJ_SZ_SK_SL_SM_EUlSZ_E_NS1_11comp_targetILNS1_3genE0ELNS1_11target_archE4294967295ELNS1_3gpuE0ELNS1_3repE0EEENS1_48merge_mergepath_partition_config_static_selectorELNS0_4arch9wavefront6targetE1EEEvSL_
    .private_segment_fixed_size: 0
    .sgpr_count:     14
    .sgpr_spill_count: 0
    .symbol:         _ZN7rocprim17ROCPRIM_400000_NS6detail17trampoline_kernelINS0_14default_configENS1_38merge_sort_block_merge_config_selectorIiNS0_10empty_typeEEEZZNS1_27merge_sort_block_merge_implIS3_N6thrust23THRUST_200600_302600_NS6detail15normal_iteratorINS9_10device_ptrIiEEEEPS5_jNS1_19radix_merge_compareILb1ELb0EiNS0_19identity_decomposerEEEEE10hipError_tT0_T1_T2_jT3_P12ihipStream_tbPNSt15iterator_traitsISK_E10value_typeEPNSQ_ISL_E10value_typeEPSM_NS1_7vsmem_tEENKUlT_SK_SL_SM_E_clISE_PiSF_SF_EESJ_SZ_SK_SL_SM_EUlSZ_E_NS1_11comp_targetILNS1_3genE0ELNS1_11target_archE4294967295ELNS1_3gpuE0ELNS1_3repE0EEENS1_48merge_mergepath_partition_config_static_selectorELNS0_4arch9wavefront6targetE1EEEvSL_.kd
    .uniform_work_group_size: 1
    .uses_dynamic_stack: false
    .vgpr_count:     17
    .vgpr_spill_count: 0
    .wavefront_size: 64
  - .agpr_count:     0
    .args:
      - .offset:         0
        .size:           40
        .value_kind:     by_value
    .group_segment_fixed_size: 0
    .kernarg_segment_align: 8
    .kernarg_segment_size: 40
    .language:       OpenCL C
    .language_version:
      - 2
      - 0
    .max_flat_workgroup_size: 128
    .name:           _ZN7rocprim17ROCPRIM_400000_NS6detail17trampoline_kernelINS0_14default_configENS1_38merge_sort_block_merge_config_selectorIiNS0_10empty_typeEEEZZNS1_27merge_sort_block_merge_implIS3_N6thrust23THRUST_200600_302600_NS6detail15normal_iteratorINS9_10device_ptrIiEEEEPS5_jNS1_19radix_merge_compareILb1ELb0EiNS0_19identity_decomposerEEEEE10hipError_tT0_T1_T2_jT3_P12ihipStream_tbPNSt15iterator_traitsISK_E10value_typeEPNSQ_ISL_E10value_typeEPSM_NS1_7vsmem_tEENKUlT_SK_SL_SM_E_clISE_PiSF_SF_EESJ_SZ_SK_SL_SM_EUlSZ_E_NS1_11comp_targetILNS1_3genE10ELNS1_11target_archE1201ELNS1_3gpuE5ELNS1_3repE0EEENS1_48merge_mergepath_partition_config_static_selectorELNS0_4arch9wavefront6targetE1EEEvSL_
    .private_segment_fixed_size: 0
    .sgpr_count:     6
    .sgpr_spill_count: 0
    .symbol:         _ZN7rocprim17ROCPRIM_400000_NS6detail17trampoline_kernelINS0_14default_configENS1_38merge_sort_block_merge_config_selectorIiNS0_10empty_typeEEEZZNS1_27merge_sort_block_merge_implIS3_N6thrust23THRUST_200600_302600_NS6detail15normal_iteratorINS9_10device_ptrIiEEEEPS5_jNS1_19radix_merge_compareILb1ELb0EiNS0_19identity_decomposerEEEEE10hipError_tT0_T1_T2_jT3_P12ihipStream_tbPNSt15iterator_traitsISK_E10value_typeEPNSQ_ISL_E10value_typeEPSM_NS1_7vsmem_tEENKUlT_SK_SL_SM_E_clISE_PiSF_SF_EESJ_SZ_SK_SL_SM_EUlSZ_E_NS1_11comp_targetILNS1_3genE10ELNS1_11target_archE1201ELNS1_3gpuE5ELNS1_3repE0EEENS1_48merge_mergepath_partition_config_static_selectorELNS0_4arch9wavefront6targetE1EEEvSL_.kd
    .uniform_work_group_size: 1
    .uses_dynamic_stack: false
    .vgpr_count:     0
    .vgpr_spill_count: 0
    .wavefront_size: 64
  - .agpr_count:     0
    .args:
      - .offset:         0
        .size:           40
        .value_kind:     by_value
    .group_segment_fixed_size: 0
    .kernarg_segment_align: 8
    .kernarg_segment_size: 40
    .language:       OpenCL C
    .language_version:
      - 2
      - 0
    .max_flat_workgroup_size: 128
    .name:           _ZN7rocprim17ROCPRIM_400000_NS6detail17trampoline_kernelINS0_14default_configENS1_38merge_sort_block_merge_config_selectorIiNS0_10empty_typeEEEZZNS1_27merge_sort_block_merge_implIS3_N6thrust23THRUST_200600_302600_NS6detail15normal_iteratorINS9_10device_ptrIiEEEEPS5_jNS1_19radix_merge_compareILb1ELb0EiNS0_19identity_decomposerEEEEE10hipError_tT0_T1_T2_jT3_P12ihipStream_tbPNSt15iterator_traitsISK_E10value_typeEPNSQ_ISL_E10value_typeEPSM_NS1_7vsmem_tEENKUlT_SK_SL_SM_E_clISE_PiSF_SF_EESJ_SZ_SK_SL_SM_EUlSZ_E_NS1_11comp_targetILNS1_3genE5ELNS1_11target_archE942ELNS1_3gpuE9ELNS1_3repE0EEENS1_48merge_mergepath_partition_config_static_selectorELNS0_4arch9wavefront6targetE1EEEvSL_
    .private_segment_fixed_size: 0
    .sgpr_count:     6
    .sgpr_spill_count: 0
    .symbol:         _ZN7rocprim17ROCPRIM_400000_NS6detail17trampoline_kernelINS0_14default_configENS1_38merge_sort_block_merge_config_selectorIiNS0_10empty_typeEEEZZNS1_27merge_sort_block_merge_implIS3_N6thrust23THRUST_200600_302600_NS6detail15normal_iteratorINS9_10device_ptrIiEEEEPS5_jNS1_19radix_merge_compareILb1ELb0EiNS0_19identity_decomposerEEEEE10hipError_tT0_T1_T2_jT3_P12ihipStream_tbPNSt15iterator_traitsISK_E10value_typeEPNSQ_ISL_E10value_typeEPSM_NS1_7vsmem_tEENKUlT_SK_SL_SM_E_clISE_PiSF_SF_EESJ_SZ_SK_SL_SM_EUlSZ_E_NS1_11comp_targetILNS1_3genE5ELNS1_11target_archE942ELNS1_3gpuE9ELNS1_3repE0EEENS1_48merge_mergepath_partition_config_static_selectorELNS0_4arch9wavefront6targetE1EEEvSL_.kd
    .uniform_work_group_size: 1
    .uses_dynamic_stack: false
    .vgpr_count:     0
    .vgpr_spill_count: 0
    .wavefront_size: 64
  - .agpr_count:     0
    .args:
      - .offset:         0
        .size:           40
        .value_kind:     by_value
    .group_segment_fixed_size: 0
    .kernarg_segment_align: 8
    .kernarg_segment_size: 40
    .language:       OpenCL C
    .language_version:
      - 2
      - 0
    .max_flat_workgroup_size: 128
    .name:           _ZN7rocprim17ROCPRIM_400000_NS6detail17trampoline_kernelINS0_14default_configENS1_38merge_sort_block_merge_config_selectorIiNS0_10empty_typeEEEZZNS1_27merge_sort_block_merge_implIS3_N6thrust23THRUST_200600_302600_NS6detail15normal_iteratorINS9_10device_ptrIiEEEEPS5_jNS1_19radix_merge_compareILb1ELb0EiNS0_19identity_decomposerEEEEE10hipError_tT0_T1_T2_jT3_P12ihipStream_tbPNSt15iterator_traitsISK_E10value_typeEPNSQ_ISL_E10value_typeEPSM_NS1_7vsmem_tEENKUlT_SK_SL_SM_E_clISE_PiSF_SF_EESJ_SZ_SK_SL_SM_EUlSZ_E_NS1_11comp_targetILNS1_3genE4ELNS1_11target_archE910ELNS1_3gpuE8ELNS1_3repE0EEENS1_48merge_mergepath_partition_config_static_selectorELNS0_4arch9wavefront6targetE1EEEvSL_
    .private_segment_fixed_size: 0
    .sgpr_count:     6
    .sgpr_spill_count: 0
    .symbol:         _ZN7rocprim17ROCPRIM_400000_NS6detail17trampoline_kernelINS0_14default_configENS1_38merge_sort_block_merge_config_selectorIiNS0_10empty_typeEEEZZNS1_27merge_sort_block_merge_implIS3_N6thrust23THRUST_200600_302600_NS6detail15normal_iteratorINS9_10device_ptrIiEEEEPS5_jNS1_19radix_merge_compareILb1ELb0EiNS0_19identity_decomposerEEEEE10hipError_tT0_T1_T2_jT3_P12ihipStream_tbPNSt15iterator_traitsISK_E10value_typeEPNSQ_ISL_E10value_typeEPSM_NS1_7vsmem_tEENKUlT_SK_SL_SM_E_clISE_PiSF_SF_EESJ_SZ_SK_SL_SM_EUlSZ_E_NS1_11comp_targetILNS1_3genE4ELNS1_11target_archE910ELNS1_3gpuE8ELNS1_3repE0EEENS1_48merge_mergepath_partition_config_static_selectorELNS0_4arch9wavefront6targetE1EEEvSL_.kd
    .uniform_work_group_size: 1
    .uses_dynamic_stack: false
    .vgpr_count:     0
    .vgpr_spill_count: 0
    .wavefront_size: 64
  - .agpr_count:     0
    .args:
      - .offset:         0
        .size:           40
        .value_kind:     by_value
    .group_segment_fixed_size: 0
    .kernarg_segment_align: 8
    .kernarg_segment_size: 40
    .language:       OpenCL C
    .language_version:
      - 2
      - 0
    .max_flat_workgroup_size: 128
    .name:           _ZN7rocprim17ROCPRIM_400000_NS6detail17trampoline_kernelINS0_14default_configENS1_38merge_sort_block_merge_config_selectorIiNS0_10empty_typeEEEZZNS1_27merge_sort_block_merge_implIS3_N6thrust23THRUST_200600_302600_NS6detail15normal_iteratorINS9_10device_ptrIiEEEEPS5_jNS1_19radix_merge_compareILb1ELb0EiNS0_19identity_decomposerEEEEE10hipError_tT0_T1_T2_jT3_P12ihipStream_tbPNSt15iterator_traitsISK_E10value_typeEPNSQ_ISL_E10value_typeEPSM_NS1_7vsmem_tEENKUlT_SK_SL_SM_E_clISE_PiSF_SF_EESJ_SZ_SK_SL_SM_EUlSZ_E_NS1_11comp_targetILNS1_3genE3ELNS1_11target_archE908ELNS1_3gpuE7ELNS1_3repE0EEENS1_48merge_mergepath_partition_config_static_selectorELNS0_4arch9wavefront6targetE1EEEvSL_
    .private_segment_fixed_size: 0
    .sgpr_count:     6
    .sgpr_spill_count: 0
    .symbol:         _ZN7rocprim17ROCPRIM_400000_NS6detail17trampoline_kernelINS0_14default_configENS1_38merge_sort_block_merge_config_selectorIiNS0_10empty_typeEEEZZNS1_27merge_sort_block_merge_implIS3_N6thrust23THRUST_200600_302600_NS6detail15normal_iteratorINS9_10device_ptrIiEEEEPS5_jNS1_19radix_merge_compareILb1ELb0EiNS0_19identity_decomposerEEEEE10hipError_tT0_T1_T2_jT3_P12ihipStream_tbPNSt15iterator_traitsISK_E10value_typeEPNSQ_ISL_E10value_typeEPSM_NS1_7vsmem_tEENKUlT_SK_SL_SM_E_clISE_PiSF_SF_EESJ_SZ_SK_SL_SM_EUlSZ_E_NS1_11comp_targetILNS1_3genE3ELNS1_11target_archE908ELNS1_3gpuE7ELNS1_3repE0EEENS1_48merge_mergepath_partition_config_static_selectorELNS0_4arch9wavefront6targetE1EEEvSL_.kd
    .uniform_work_group_size: 1
    .uses_dynamic_stack: false
    .vgpr_count:     0
    .vgpr_spill_count: 0
    .wavefront_size: 64
  - .agpr_count:     0
    .args:
      - .offset:         0
        .size:           40
        .value_kind:     by_value
    .group_segment_fixed_size: 0
    .kernarg_segment_align: 8
    .kernarg_segment_size: 40
    .language:       OpenCL C
    .language_version:
      - 2
      - 0
    .max_flat_workgroup_size: 128
    .name:           _ZN7rocprim17ROCPRIM_400000_NS6detail17trampoline_kernelINS0_14default_configENS1_38merge_sort_block_merge_config_selectorIiNS0_10empty_typeEEEZZNS1_27merge_sort_block_merge_implIS3_N6thrust23THRUST_200600_302600_NS6detail15normal_iteratorINS9_10device_ptrIiEEEEPS5_jNS1_19radix_merge_compareILb1ELb0EiNS0_19identity_decomposerEEEEE10hipError_tT0_T1_T2_jT3_P12ihipStream_tbPNSt15iterator_traitsISK_E10value_typeEPNSQ_ISL_E10value_typeEPSM_NS1_7vsmem_tEENKUlT_SK_SL_SM_E_clISE_PiSF_SF_EESJ_SZ_SK_SL_SM_EUlSZ_E_NS1_11comp_targetILNS1_3genE2ELNS1_11target_archE906ELNS1_3gpuE6ELNS1_3repE0EEENS1_48merge_mergepath_partition_config_static_selectorELNS0_4arch9wavefront6targetE1EEEvSL_
    .private_segment_fixed_size: 0
    .sgpr_count:     6
    .sgpr_spill_count: 0
    .symbol:         _ZN7rocprim17ROCPRIM_400000_NS6detail17trampoline_kernelINS0_14default_configENS1_38merge_sort_block_merge_config_selectorIiNS0_10empty_typeEEEZZNS1_27merge_sort_block_merge_implIS3_N6thrust23THRUST_200600_302600_NS6detail15normal_iteratorINS9_10device_ptrIiEEEEPS5_jNS1_19radix_merge_compareILb1ELb0EiNS0_19identity_decomposerEEEEE10hipError_tT0_T1_T2_jT3_P12ihipStream_tbPNSt15iterator_traitsISK_E10value_typeEPNSQ_ISL_E10value_typeEPSM_NS1_7vsmem_tEENKUlT_SK_SL_SM_E_clISE_PiSF_SF_EESJ_SZ_SK_SL_SM_EUlSZ_E_NS1_11comp_targetILNS1_3genE2ELNS1_11target_archE906ELNS1_3gpuE6ELNS1_3repE0EEENS1_48merge_mergepath_partition_config_static_selectorELNS0_4arch9wavefront6targetE1EEEvSL_.kd
    .uniform_work_group_size: 1
    .uses_dynamic_stack: false
    .vgpr_count:     0
    .vgpr_spill_count: 0
    .wavefront_size: 64
  - .agpr_count:     0
    .args:
      - .offset:         0
        .size:           40
        .value_kind:     by_value
    .group_segment_fixed_size: 0
    .kernarg_segment_align: 8
    .kernarg_segment_size: 40
    .language:       OpenCL C
    .language_version:
      - 2
      - 0
    .max_flat_workgroup_size: 128
    .name:           _ZN7rocprim17ROCPRIM_400000_NS6detail17trampoline_kernelINS0_14default_configENS1_38merge_sort_block_merge_config_selectorIiNS0_10empty_typeEEEZZNS1_27merge_sort_block_merge_implIS3_N6thrust23THRUST_200600_302600_NS6detail15normal_iteratorINS9_10device_ptrIiEEEEPS5_jNS1_19radix_merge_compareILb1ELb0EiNS0_19identity_decomposerEEEEE10hipError_tT0_T1_T2_jT3_P12ihipStream_tbPNSt15iterator_traitsISK_E10value_typeEPNSQ_ISL_E10value_typeEPSM_NS1_7vsmem_tEENKUlT_SK_SL_SM_E_clISE_PiSF_SF_EESJ_SZ_SK_SL_SM_EUlSZ_E_NS1_11comp_targetILNS1_3genE9ELNS1_11target_archE1100ELNS1_3gpuE3ELNS1_3repE0EEENS1_48merge_mergepath_partition_config_static_selectorELNS0_4arch9wavefront6targetE1EEEvSL_
    .private_segment_fixed_size: 0
    .sgpr_count:     6
    .sgpr_spill_count: 0
    .symbol:         _ZN7rocprim17ROCPRIM_400000_NS6detail17trampoline_kernelINS0_14default_configENS1_38merge_sort_block_merge_config_selectorIiNS0_10empty_typeEEEZZNS1_27merge_sort_block_merge_implIS3_N6thrust23THRUST_200600_302600_NS6detail15normal_iteratorINS9_10device_ptrIiEEEEPS5_jNS1_19radix_merge_compareILb1ELb0EiNS0_19identity_decomposerEEEEE10hipError_tT0_T1_T2_jT3_P12ihipStream_tbPNSt15iterator_traitsISK_E10value_typeEPNSQ_ISL_E10value_typeEPSM_NS1_7vsmem_tEENKUlT_SK_SL_SM_E_clISE_PiSF_SF_EESJ_SZ_SK_SL_SM_EUlSZ_E_NS1_11comp_targetILNS1_3genE9ELNS1_11target_archE1100ELNS1_3gpuE3ELNS1_3repE0EEENS1_48merge_mergepath_partition_config_static_selectorELNS0_4arch9wavefront6targetE1EEEvSL_.kd
    .uniform_work_group_size: 1
    .uses_dynamic_stack: false
    .vgpr_count:     0
    .vgpr_spill_count: 0
    .wavefront_size: 64
  - .agpr_count:     0
    .args:
      - .offset:         0
        .size:           40
        .value_kind:     by_value
    .group_segment_fixed_size: 0
    .kernarg_segment_align: 8
    .kernarg_segment_size: 40
    .language:       OpenCL C
    .language_version:
      - 2
      - 0
    .max_flat_workgroup_size: 128
    .name:           _ZN7rocprim17ROCPRIM_400000_NS6detail17trampoline_kernelINS0_14default_configENS1_38merge_sort_block_merge_config_selectorIiNS0_10empty_typeEEEZZNS1_27merge_sort_block_merge_implIS3_N6thrust23THRUST_200600_302600_NS6detail15normal_iteratorINS9_10device_ptrIiEEEEPS5_jNS1_19radix_merge_compareILb1ELb0EiNS0_19identity_decomposerEEEEE10hipError_tT0_T1_T2_jT3_P12ihipStream_tbPNSt15iterator_traitsISK_E10value_typeEPNSQ_ISL_E10value_typeEPSM_NS1_7vsmem_tEENKUlT_SK_SL_SM_E_clISE_PiSF_SF_EESJ_SZ_SK_SL_SM_EUlSZ_E_NS1_11comp_targetILNS1_3genE8ELNS1_11target_archE1030ELNS1_3gpuE2ELNS1_3repE0EEENS1_48merge_mergepath_partition_config_static_selectorELNS0_4arch9wavefront6targetE1EEEvSL_
    .private_segment_fixed_size: 0
    .sgpr_count:     6
    .sgpr_spill_count: 0
    .symbol:         _ZN7rocprim17ROCPRIM_400000_NS6detail17trampoline_kernelINS0_14default_configENS1_38merge_sort_block_merge_config_selectorIiNS0_10empty_typeEEEZZNS1_27merge_sort_block_merge_implIS3_N6thrust23THRUST_200600_302600_NS6detail15normal_iteratorINS9_10device_ptrIiEEEEPS5_jNS1_19radix_merge_compareILb1ELb0EiNS0_19identity_decomposerEEEEE10hipError_tT0_T1_T2_jT3_P12ihipStream_tbPNSt15iterator_traitsISK_E10value_typeEPNSQ_ISL_E10value_typeEPSM_NS1_7vsmem_tEENKUlT_SK_SL_SM_E_clISE_PiSF_SF_EESJ_SZ_SK_SL_SM_EUlSZ_E_NS1_11comp_targetILNS1_3genE8ELNS1_11target_archE1030ELNS1_3gpuE2ELNS1_3repE0EEENS1_48merge_mergepath_partition_config_static_selectorELNS0_4arch9wavefront6targetE1EEEvSL_.kd
    .uniform_work_group_size: 1
    .uses_dynamic_stack: false
    .vgpr_count:     0
    .vgpr_spill_count: 0
    .wavefront_size: 64
  - .agpr_count:     0
    .args:
      - .offset:         0
        .size:           64
        .value_kind:     by_value
      - .offset:         64
        .size:           4
        .value_kind:     hidden_block_count_x
      - .offset:         68
        .size:           4
        .value_kind:     hidden_block_count_y
      - .offset:         72
        .size:           4
        .value_kind:     hidden_block_count_z
      - .offset:         76
        .size:           2
        .value_kind:     hidden_group_size_x
      - .offset:         78
        .size:           2
        .value_kind:     hidden_group_size_y
      - .offset:         80
        .size:           2
        .value_kind:     hidden_group_size_z
      - .offset:         82
        .size:           2
        .value_kind:     hidden_remainder_x
      - .offset:         84
        .size:           2
        .value_kind:     hidden_remainder_y
      - .offset:         86
        .size:           2
        .value_kind:     hidden_remainder_z
      - .offset:         104
        .size:           8
        .value_kind:     hidden_global_offset_x
      - .offset:         112
        .size:           8
        .value_kind:     hidden_global_offset_y
      - .offset:         120
        .size:           8
        .value_kind:     hidden_global_offset_z
      - .offset:         128
        .size:           2
        .value_kind:     hidden_grid_dims
    .group_segment_fixed_size: 4224
    .kernarg_segment_align: 8
    .kernarg_segment_size: 320
    .language:       OpenCL C
    .language_version:
      - 2
      - 0
    .max_flat_workgroup_size: 128
    .name:           _ZN7rocprim17ROCPRIM_400000_NS6detail17trampoline_kernelINS0_14default_configENS1_38merge_sort_block_merge_config_selectorIiNS0_10empty_typeEEEZZNS1_27merge_sort_block_merge_implIS3_N6thrust23THRUST_200600_302600_NS6detail15normal_iteratorINS9_10device_ptrIiEEEEPS5_jNS1_19radix_merge_compareILb1ELb0EiNS0_19identity_decomposerEEEEE10hipError_tT0_T1_T2_jT3_P12ihipStream_tbPNSt15iterator_traitsISK_E10value_typeEPNSQ_ISL_E10value_typeEPSM_NS1_7vsmem_tEENKUlT_SK_SL_SM_E_clISE_PiSF_SF_EESJ_SZ_SK_SL_SM_EUlSZ_E0_NS1_11comp_targetILNS1_3genE0ELNS1_11target_archE4294967295ELNS1_3gpuE0ELNS1_3repE0EEENS1_38merge_mergepath_config_static_selectorELNS0_4arch9wavefront6targetE1EEEvSL_
    .private_segment_fixed_size: 0
    .sgpr_count:     31
    .sgpr_spill_count: 0
    .symbol:         _ZN7rocprim17ROCPRIM_400000_NS6detail17trampoline_kernelINS0_14default_configENS1_38merge_sort_block_merge_config_selectorIiNS0_10empty_typeEEEZZNS1_27merge_sort_block_merge_implIS3_N6thrust23THRUST_200600_302600_NS6detail15normal_iteratorINS9_10device_ptrIiEEEEPS5_jNS1_19radix_merge_compareILb1ELb0EiNS0_19identity_decomposerEEEEE10hipError_tT0_T1_T2_jT3_P12ihipStream_tbPNSt15iterator_traitsISK_E10value_typeEPNSQ_ISL_E10value_typeEPSM_NS1_7vsmem_tEENKUlT_SK_SL_SM_E_clISE_PiSF_SF_EESJ_SZ_SK_SL_SM_EUlSZ_E0_NS1_11comp_targetILNS1_3genE0ELNS1_11target_archE4294967295ELNS1_3gpuE0ELNS1_3repE0EEENS1_38merge_mergepath_config_static_selectorELNS0_4arch9wavefront6targetE1EEEvSL_.kd
    .uniform_work_group_size: 1
    .uses_dynamic_stack: false
    .vgpr_count:     26
    .vgpr_spill_count: 0
    .wavefront_size: 64
  - .agpr_count:     0
    .args:
      - .offset:         0
        .size:           64
        .value_kind:     by_value
    .group_segment_fixed_size: 0
    .kernarg_segment_align: 8
    .kernarg_segment_size: 64
    .language:       OpenCL C
    .language_version:
      - 2
      - 0
    .max_flat_workgroup_size: 256
    .name:           _ZN7rocprim17ROCPRIM_400000_NS6detail17trampoline_kernelINS0_14default_configENS1_38merge_sort_block_merge_config_selectorIiNS0_10empty_typeEEEZZNS1_27merge_sort_block_merge_implIS3_N6thrust23THRUST_200600_302600_NS6detail15normal_iteratorINS9_10device_ptrIiEEEEPS5_jNS1_19radix_merge_compareILb1ELb0EiNS0_19identity_decomposerEEEEE10hipError_tT0_T1_T2_jT3_P12ihipStream_tbPNSt15iterator_traitsISK_E10value_typeEPNSQ_ISL_E10value_typeEPSM_NS1_7vsmem_tEENKUlT_SK_SL_SM_E_clISE_PiSF_SF_EESJ_SZ_SK_SL_SM_EUlSZ_E0_NS1_11comp_targetILNS1_3genE10ELNS1_11target_archE1201ELNS1_3gpuE5ELNS1_3repE0EEENS1_38merge_mergepath_config_static_selectorELNS0_4arch9wavefront6targetE1EEEvSL_
    .private_segment_fixed_size: 0
    .sgpr_count:     6
    .sgpr_spill_count: 0
    .symbol:         _ZN7rocprim17ROCPRIM_400000_NS6detail17trampoline_kernelINS0_14default_configENS1_38merge_sort_block_merge_config_selectorIiNS0_10empty_typeEEEZZNS1_27merge_sort_block_merge_implIS3_N6thrust23THRUST_200600_302600_NS6detail15normal_iteratorINS9_10device_ptrIiEEEEPS5_jNS1_19radix_merge_compareILb1ELb0EiNS0_19identity_decomposerEEEEE10hipError_tT0_T1_T2_jT3_P12ihipStream_tbPNSt15iterator_traitsISK_E10value_typeEPNSQ_ISL_E10value_typeEPSM_NS1_7vsmem_tEENKUlT_SK_SL_SM_E_clISE_PiSF_SF_EESJ_SZ_SK_SL_SM_EUlSZ_E0_NS1_11comp_targetILNS1_3genE10ELNS1_11target_archE1201ELNS1_3gpuE5ELNS1_3repE0EEENS1_38merge_mergepath_config_static_selectorELNS0_4arch9wavefront6targetE1EEEvSL_.kd
    .uniform_work_group_size: 1
    .uses_dynamic_stack: false
    .vgpr_count:     0
    .vgpr_spill_count: 0
    .wavefront_size: 64
  - .agpr_count:     0
    .args:
      - .offset:         0
        .size:           64
        .value_kind:     by_value
    .group_segment_fixed_size: 0
    .kernarg_segment_align: 8
    .kernarg_segment_size: 64
    .language:       OpenCL C
    .language_version:
      - 2
      - 0
    .max_flat_workgroup_size: 128
    .name:           _ZN7rocprim17ROCPRIM_400000_NS6detail17trampoline_kernelINS0_14default_configENS1_38merge_sort_block_merge_config_selectorIiNS0_10empty_typeEEEZZNS1_27merge_sort_block_merge_implIS3_N6thrust23THRUST_200600_302600_NS6detail15normal_iteratorINS9_10device_ptrIiEEEEPS5_jNS1_19radix_merge_compareILb1ELb0EiNS0_19identity_decomposerEEEEE10hipError_tT0_T1_T2_jT3_P12ihipStream_tbPNSt15iterator_traitsISK_E10value_typeEPNSQ_ISL_E10value_typeEPSM_NS1_7vsmem_tEENKUlT_SK_SL_SM_E_clISE_PiSF_SF_EESJ_SZ_SK_SL_SM_EUlSZ_E0_NS1_11comp_targetILNS1_3genE5ELNS1_11target_archE942ELNS1_3gpuE9ELNS1_3repE0EEENS1_38merge_mergepath_config_static_selectorELNS0_4arch9wavefront6targetE1EEEvSL_
    .private_segment_fixed_size: 0
    .sgpr_count:     6
    .sgpr_spill_count: 0
    .symbol:         _ZN7rocprim17ROCPRIM_400000_NS6detail17trampoline_kernelINS0_14default_configENS1_38merge_sort_block_merge_config_selectorIiNS0_10empty_typeEEEZZNS1_27merge_sort_block_merge_implIS3_N6thrust23THRUST_200600_302600_NS6detail15normal_iteratorINS9_10device_ptrIiEEEEPS5_jNS1_19radix_merge_compareILb1ELb0EiNS0_19identity_decomposerEEEEE10hipError_tT0_T1_T2_jT3_P12ihipStream_tbPNSt15iterator_traitsISK_E10value_typeEPNSQ_ISL_E10value_typeEPSM_NS1_7vsmem_tEENKUlT_SK_SL_SM_E_clISE_PiSF_SF_EESJ_SZ_SK_SL_SM_EUlSZ_E0_NS1_11comp_targetILNS1_3genE5ELNS1_11target_archE942ELNS1_3gpuE9ELNS1_3repE0EEENS1_38merge_mergepath_config_static_selectorELNS0_4arch9wavefront6targetE1EEEvSL_.kd
    .uniform_work_group_size: 1
    .uses_dynamic_stack: false
    .vgpr_count:     0
    .vgpr_spill_count: 0
    .wavefront_size: 64
  - .agpr_count:     0
    .args:
      - .offset:         0
        .size:           64
        .value_kind:     by_value
    .group_segment_fixed_size: 0
    .kernarg_segment_align: 8
    .kernarg_segment_size: 64
    .language:       OpenCL C
    .language_version:
      - 2
      - 0
    .max_flat_workgroup_size: 128
    .name:           _ZN7rocprim17ROCPRIM_400000_NS6detail17trampoline_kernelINS0_14default_configENS1_38merge_sort_block_merge_config_selectorIiNS0_10empty_typeEEEZZNS1_27merge_sort_block_merge_implIS3_N6thrust23THRUST_200600_302600_NS6detail15normal_iteratorINS9_10device_ptrIiEEEEPS5_jNS1_19radix_merge_compareILb1ELb0EiNS0_19identity_decomposerEEEEE10hipError_tT0_T1_T2_jT3_P12ihipStream_tbPNSt15iterator_traitsISK_E10value_typeEPNSQ_ISL_E10value_typeEPSM_NS1_7vsmem_tEENKUlT_SK_SL_SM_E_clISE_PiSF_SF_EESJ_SZ_SK_SL_SM_EUlSZ_E0_NS1_11comp_targetILNS1_3genE4ELNS1_11target_archE910ELNS1_3gpuE8ELNS1_3repE0EEENS1_38merge_mergepath_config_static_selectorELNS0_4arch9wavefront6targetE1EEEvSL_
    .private_segment_fixed_size: 0
    .sgpr_count:     6
    .sgpr_spill_count: 0
    .symbol:         _ZN7rocprim17ROCPRIM_400000_NS6detail17trampoline_kernelINS0_14default_configENS1_38merge_sort_block_merge_config_selectorIiNS0_10empty_typeEEEZZNS1_27merge_sort_block_merge_implIS3_N6thrust23THRUST_200600_302600_NS6detail15normal_iteratorINS9_10device_ptrIiEEEEPS5_jNS1_19radix_merge_compareILb1ELb0EiNS0_19identity_decomposerEEEEE10hipError_tT0_T1_T2_jT3_P12ihipStream_tbPNSt15iterator_traitsISK_E10value_typeEPNSQ_ISL_E10value_typeEPSM_NS1_7vsmem_tEENKUlT_SK_SL_SM_E_clISE_PiSF_SF_EESJ_SZ_SK_SL_SM_EUlSZ_E0_NS1_11comp_targetILNS1_3genE4ELNS1_11target_archE910ELNS1_3gpuE8ELNS1_3repE0EEENS1_38merge_mergepath_config_static_selectorELNS0_4arch9wavefront6targetE1EEEvSL_.kd
    .uniform_work_group_size: 1
    .uses_dynamic_stack: false
    .vgpr_count:     0
    .vgpr_spill_count: 0
    .wavefront_size: 64
  - .agpr_count:     0
    .args:
      - .offset:         0
        .size:           64
        .value_kind:     by_value
    .group_segment_fixed_size: 0
    .kernarg_segment_align: 8
    .kernarg_segment_size: 64
    .language:       OpenCL C
    .language_version:
      - 2
      - 0
    .max_flat_workgroup_size: 128
    .name:           _ZN7rocprim17ROCPRIM_400000_NS6detail17trampoline_kernelINS0_14default_configENS1_38merge_sort_block_merge_config_selectorIiNS0_10empty_typeEEEZZNS1_27merge_sort_block_merge_implIS3_N6thrust23THRUST_200600_302600_NS6detail15normal_iteratorINS9_10device_ptrIiEEEEPS5_jNS1_19radix_merge_compareILb1ELb0EiNS0_19identity_decomposerEEEEE10hipError_tT0_T1_T2_jT3_P12ihipStream_tbPNSt15iterator_traitsISK_E10value_typeEPNSQ_ISL_E10value_typeEPSM_NS1_7vsmem_tEENKUlT_SK_SL_SM_E_clISE_PiSF_SF_EESJ_SZ_SK_SL_SM_EUlSZ_E0_NS1_11comp_targetILNS1_3genE3ELNS1_11target_archE908ELNS1_3gpuE7ELNS1_3repE0EEENS1_38merge_mergepath_config_static_selectorELNS0_4arch9wavefront6targetE1EEEvSL_
    .private_segment_fixed_size: 0
    .sgpr_count:     6
    .sgpr_spill_count: 0
    .symbol:         _ZN7rocprim17ROCPRIM_400000_NS6detail17trampoline_kernelINS0_14default_configENS1_38merge_sort_block_merge_config_selectorIiNS0_10empty_typeEEEZZNS1_27merge_sort_block_merge_implIS3_N6thrust23THRUST_200600_302600_NS6detail15normal_iteratorINS9_10device_ptrIiEEEEPS5_jNS1_19radix_merge_compareILb1ELb0EiNS0_19identity_decomposerEEEEE10hipError_tT0_T1_T2_jT3_P12ihipStream_tbPNSt15iterator_traitsISK_E10value_typeEPNSQ_ISL_E10value_typeEPSM_NS1_7vsmem_tEENKUlT_SK_SL_SM_E_clISE_PiSF_SF_EESJ_SZ_SK_SL_SM_EUlSZ_E0_NS1_11comp_targetILNS1_3genE3ELNS1_11target_archE908ELNS1_3gpuE7ELNS1_3repE0EEENS1_38merge_mergepath_config_static_selectorELNS0_4arch9wavefront6targetE1EEEvSL_.kd
    .uniform_work_group_size: 1
    .uses_dynamic_stack: false
    .vgpr_count:     0
    .vgpr_spill_count: 0
    .wavefront_size: 64
  - .agpr_count:     0
    .args:
      - .offset:         0
        .size:           64
        .value_kind:     by_value
    .group_segment_fixed_size: 0
    .kernarg_segment_align: 8
    .kernarg_segment_size: 64
    .language:       OpenCL C
    .language_version:
      - 2
      - 0
    .max_flat_workgroup_size: 128
    .name:           _ZN7rocprim17ROCPRIM_400000_NS6detail17trampoline_kernelINS0_14default_configENS1_38merge_sort_block_merge_config_selectorIiNS0_10empty_typeEEEZZNS1_27merge_sort_block_merge_implIS3_N6thrust23THRUST_200600_302600_NS6detail15normal_iteratorINS9_10device_ptrIiEEEEPS5_jNS1_19radix_merge_compareILb1ELb0EiNS0_19identity_decomposerEEEEE10hipError_tT0_T1_T2_jT3_P12ihipStream_tbPNSt15iterator_traitsISK_E10value_typeEPNSQ_ISL_E10value_typeEPSM_NS1_7vsmem_tEENKUlT_SK_SL_SM_E_clISE_PiSF_SF_EESJ_SZ_SK_SL_SM_EUlSZ_E0_NS1_11comp_targetILNS1_3genE2ELNS1_11target_archE906ELNS1_3gpuE6ELNS1_3repE0EEENS1_38merge_mergepath_config_static_selectorELNS0_4arch9wavefront6targetE1EEEvSL_
    .private_segment_fixed_size: 0
    .sgpr_count:     6
    .sgpr_spill_count: 0
    .symbol:         _ZN7rocprim17ROCPRIM_400000_NS6detail17trampoline_kernelINS0_14default_configENS1_38merge_sort_block_merge_config_selectorIiNS0_10empty_typeEEEZZNS1_27merge_sort_block_merge_implIS3_N6thrust23THRUST_200600_302600_NS6detail15normal_iteratorINS9_10device_ptrIiEEEEPS5_jNS1_19radix_merge_compareILb1ELb0EiNS0_19identity_decomposerEEEEE10hipError_tT0_T1_T2_jT3_P12ihipStream_tbPNSt15iterator_traitsISK_E10value_typeEPNSQ_ISL_E10value_typeEPSM_NS1_7vsmem_tEENKUlT_SK_SL_SM_E_clISE_PiSF_SF_EESJ_SZ_SK_SL_SM_EUlSZ_E0_NS1_11comp_targetILNS1_3genE2ELNS1_11target_archE906ELNS1_3gpuE6ELNS1_3repE0EEENS1_38merge_mergepath_config_static_selectorELNS0_4arch9wavefront6targetE1EEEvSL_.kd
    .uniform_work_group_size: 1
    .uses_dynamic_stack: false
    .vgpr_count:     0
    .vgpr_spill_count: 0
    .wavefront_size: 64
  - .agpr_count:     0
    .args:
      - .offset:         0
        .size:           64
        .value_kind:     by_value
    .group_segment_fixed_size: 0
    .kernarg_segment_align: 8
    .kernarg_segment_size: 64
    .language:       OpenCL C
    .language_version:
      - 2
      - 0
    .max_flat_workgroup_size: 256
    .name:           _ZN7rocprim17ROCPRIM_400000_NS6detail17trampoline_kernelINS0_14default_configENS1_38merge_sort_block_merge_config_selectorIiNS0_10empty_typeEEEZZNS1_27merge_sort_block_merge_implIS3_N6thrust23THRUST_200600_302600_NS6detail15normal_iteratorINS9_10device_ptrIiEEEEPS5_jNS1_19radix_merge_compareILb1ELb0EiNS0_19identity_decomposerEEEEE10hipError_tT0_T1_T2_jT3_P12ihipStream_tbPNSt15iterator_traitsISK_E10value_typeEPNSQ_ISL_E10value_typeEPSM_NS1_7vsmem_tEENKUlT_SK_SL_SM_E_clISE_PiSF_SF_EESJ_SZ_SK_SL_SM_EUlSZ_E0_NS1_11comp_targetILNS1_3genE9ELNS1_11target_archE1100ELNS1_3gpuE3ELNS1_3repE0EEENS1_38merge_mergepath_config_static_selectorELNS0_4arch9wavefront6targetE1EEEvSL_
    .private_segment_fixed_size: 0
    .sgpr_count:     6
    .sgpr_spill_count: 0
    .symbol:         _ZN7rocprim17ROCPRIM_400000_NS6detail17trampoline_kernelINS0_14default_configENS1_38merge_sort_block_merge_config_selectorIiNS0_10empty_typeEEEZZNS1_27merge_sort_block_merge_implIS3_N6thrust23THRUST_200600_302600_NS6detail15normal_iteratorINS9_10device_ptrIiEEEEPS5_jNS1_19radix_merge_compareILb1ELb0EiNS0_19identity_decomposerEEEEE10hipError_tT0_T1_T2_jT3_P12ihipStream_tbPNSt15iterator_traitsISK_E10value_typeEPNSQ_ISL_E10value_typeEPSM_NS1_7vsmem_tEENKUlT_SK_SL_SM_E_clISE_PiSF_SF_EESJ_SZ_SK_SL_SM_EUlSZ_E0_NS1_11comp_targetILNS1_3genE9ELNS1_11target_archE1100ELNS1_3gpuE3ELNS1_3repE0EEENS1_38merge_mergepath_config_static_selectorELNS0_4arch9wavefront6targetE1EEEvSL_.kd
    .uniform_work_group_size: 1
    .uses_dynamic_stack: false
    .vgpr_count:     0
    .vgpr_spill_count: 0
    .wavefront_size: 64
  - .agpr_count:     0
    .args:
      - .offset:         0
        .size:           64
        .value_kind:     by_value
    .group_segment_fixed_size: 0
    .kernarg_segment_align: 8
    .kernarg_segment_size: 64
    .language:       OpenCL C
    .language_version:
      - 2
      - 0
    .max_flat_workgroup_size: 512
    .name:           _ZN7rocprim17ROCPRIM_400000_NS6detail17trampoline_kernelINS0_14default_configENS1_38merge_sort_block_merge_config_selectorIiNS0_10empty_typeEEEZZNS1_27merge_sort_block_merge_implIS3_N6thrust23THRUST_200600_302600_NS6detail15normal_iteratorINS9_10device_ptrIiEEEEPS5_jNS1_19radix_merge_compareILb1ELb0EiNS0_19identity_decomposerEEEEE10hipError_tT0_T1_T2_jT3_P12ihipStream_tbPNSt15iterator_traitsISK_E10value_typeEPNSQ_ISL_E10value_typeEPSM_NS1_7vsmem_tEENKUlT_SK_SL_SM_E_clISE_PiSF_SF_EESJ_SZ_SK_SL_SM_EUlSZ_E0_NS1_11comp_targetILNS1_3genE8ELNS1_11target_archE1030ELNS1_3gpuE2ELNS1_3repE0EEENS1_38merge_mergepath_config_static_selectorELNS0_4arch9wavefront6targetE1EEEvSL_
    .private_segment_fixed_size: 0
    .sgpr_count:     6
    .sgpr_spill_count: 0
    .symbol:         _ZN7rocprim17ROCPRIM_400000_NS6detail17trampoline_kernelINS0_14default_configENS1_38merge_sort_block_merge_config_selectorIiNS0_10empty_typeEEEZZNS1_27merge_sort_block_merge_implIS3_N6thrust23THRUST_200600_302600_NS6detail15normal_iteratorINS9_10device_ptrIiEEEEPS5_jNS1_19radix_merge_compareILb1ELb0EiNS0_19identity_decomposerEEEEE10hipError_tT0_T1_T2_jT3_P12ihipStream_tbPNSt15iterator_traitsISK_E10value_typeEPNSQ_ISL_E10value_typeEPSM_NS1_7vsmem_tEENKUlT_SK_SL_SM_E_clISE_PiSF_SF_EESJ_SZ_SK_SL_SM_EUlSZ_E0_NS1_11comp_targetILNS1_3genE8ELNS1_11target_archE1030ELNS1_3gpuE2ELNS1_3repE0EEENS1_38merge_mergepath_config_static_selectorELNS0_4arch9wavefront6targetE1EEEvSL_.kd
    .uniform_work_group_size: 1
    .uses_dynamic_stack: false
    .vgpr_count:     0
    .vgpr_spill_count: 0
    .wavefront_size: 64
  - .agpr_count:     0
    .args:
      - .offset:         0
        .size:           48
        .value_kind:     by_value
    .group_segment_fixed_size: 0
    .kernarg_segment_align: 8
    .kernarg_segment_size: 48
    .language:       OpenCL C
    .language_version:
      - 2
      - 0
    .max_flat_workgroup_size: 256
    .name:           _ZN7rocprim17ROCPRIM_400000_NS6detail17trampoline_kernelINS0_14default_configENS1_38merge_sort_block_merge_config_selectorIiNS0_10empty_typeEEEZZNS1_27merge_sort_block_merge_implIS3_N6thrust23THRUST_200600_302600_NS6detail15normal_iteratorINS9_10device_ptrIiEEEEPS5_jNS1_19radix_merge_compareILb1ELb0EiNS0_19identity_decomposerEEEEE10hipError_tT0_T1_T2_jT3_P12ihipStream_tbPNSt15iterator_traitsISK_E10value_typeEPNSQ_ISL_E10value_typeEPSM_NS1_7vsmem_tEENKUlT_SK_SL_SM_E_clISE_PiSF_SF_EESJ_SZ_SK_SL_SM_EUlSZ_E1_NS1_11comp_targetILNS1_3genE0ELNS1_11target_archE4294967295ELNS1_3gpuE0ELNS1_3repE0EEENS1_36merge_oddeven_config_static_selectorELNS0_4arch9wavefront6targetE1EEEvSL_
    .private_segment_fixed_size: 0
    .sgpr_count:     25
    .sgpr_spill_count: 0
    .symbol:         _ZN7rocprim17ROCPRIM_400000_NS6detail17trampoline_kernelINS0_14default_configENS1_38merge_sort_block_merge_config_selectorIiNS0_10empty_typeEEEZZNS1_27merge_sort_block_merge_implIS3_N6thrust23THRUST_200600_302600_NS6detail15normal_iteratorINS9_10device_ptrIiEEEEPS5_jNS1_19radix_merge_compareILb1ELb0EiNS0_19identity_decomposerEEEEE10hipError_tT0_T1_T2_jT3_P12ihipStream_tbPNSt15iterator_traitsISK_E10value_typeEPNSQ_ISL_E10value_typeEPSM_NS1_7vsmem_tEENKUlT_SK_SL_SM_E_clISE_PiSF_SF_EESJ_SZ_SK_SL_SM_EUlSZ_E1_NS1_11comp_targetILNS1_3genE0ELNS1_11target_archE4294967295ELNS1_3gpuE0ELNS1_3repE0EEENS1_36merge_oddeven_config_static_selectorELNS0_4arch9wavefront6targetE1EEEvSL_.kd
    .uniform_work_group_size: 1
    .uses_dynamic_stack: false
    .vgpr_count:     9
    .vgpr_spill_count: 0
    .wavefront_size: 64
  - .agpr_count:     0
    .args:
      - .offset:         0
        .size:           48
        .value_kind:     by_value
    .group_segment_fixed_size: 0
    .kernarg_segment_align: 8
    .kernarg_segment_size: 48
    .language:       OpenCL C
    .language_version:
      - 2
      - 0
    .max_flat_workgroup_size: 256
    .name:           _ZN7rocprim17ROCPRIM_400000_NS6detail17trampoline_kernelINS0_14default_configENS1_38merge_sort_block_merge_config_selectorIiNS0_10empty_typeEEEZZNS1_27merge_sort_block_merge_implIS3_N6thrust23THRUST_200600_302600_NS6detail15normal_iteratorINS9_10device_ptrIiEEEEPS5_jNS1_19radix_merge_compareILb1ELb0EiNS0_19identity_decomposerEEEEE10hipError_tT0_T1_T2_jT3_P12ihipStream_tbPNSt15iterator_traitsISK_E10value_typeEPNSQ_ISL_E10value_typeEPSM_NS1_7vsmem_tEENKUlT_SK_SL_SM_E_clISE_PiSF_SF_EESJ_SZ_SK_SL_SM_EUlSZ_E1_NS1_11comp_targetILNS1_3genE10ELNS1_11target_archE1201ELNS1_3gpuE5ELNS1_3repE0EEENS1_36merge_oddeven_config_static_selectorELNS0_4arch9wavefront6targetE1EEEvSL_
    .private_segment_fixed_size: 0
    .sgpr_count:     6
    .sgpr_spill_count: 0
    .symbol:         _ZN7rocprim17ROCPRIM_400000_NS6detail17trampoline_kernelINS0_14default_configENS1_38merge_sort_block_merge_config_selectorIiNS0_10empty_typeEEEZZNS1_27merge_sort_block_merge_implIS3_N6thrust23THRUST_200600_302600_NS6detail15normal_iteratorINS9_10device_ptrIiEEEEPS5_jNS1_19radix_merge_compareILb1ELb0EiNS0_19identity_decomposerEEEEE10hipError_tT0_T1_T2_jT3_P12ihipStream_tbPNSt15iterator_traitsISK_E10value_typeEPNSQ_ISL_E10value_typeEPSM_NS1_7vsmem_tEENKUlT_SK_SL_SM_E_clISE_PiSF_SF_EESJ_SZ_SK_SL_SM_EUlSZ_E1_NS1_11comp_targetILNS1_3genE10ELNS1_11target_archE1201ELNS1_3gpuE5ELNS1_3repE0EEENS1_36merge_oddeven_config_static_selectorELNS0_4arch9wavefront6targetE1EEEvSL_.kd
    .uniform_work_group_size: 1
    .uses_dynamic_stack: false
    .vgpr_count:     0
    .vgpr_spill_count: 0
    .wavefront_size: 64
  - .agpr_count:     0
    .args:
      - .offset:         0
        .size:           48
        .value_kind:     by_value
    .group_segment_fixed_size: 0
    .kernarg_segment_align: 8
    .kernarg_segment_size: 48
    .language:       OpenCL C
    .language_version:
      - 2
      - 0
    .max_flat_workgroup_size: 256
    .name:           _ZN7rocprim17ROCPRIM_400000_NS6detail17trampoline_kernelINS0_14default_configENS1_38merge_sort_block_merge_config_selectorIiNS0_10empty_typeEEEZZNS1_27merge_sort_block_merge_implIS3_N6thrust23THRUST_200600_302600_NS6detail15normal_iteratorINS9_10device_ptrIiEEEEPS5_jNS1_19radix_merge_compareILb1ELb0EiNS0_19identity_decomposerEEEEE10hipError_tT0_T1_T2_jT3_P12ihipStream_tbPNSt15iterator_traitsISK_E10value_typeEPNSQ_ISL_E10value_typeEPSM_NS1_7vsmem_tEENKUlT_SK_SL_SM_E_clISE_PiSF_SF_EESJ_SZ_SK_SL_SM_EUlSZ_E1_NS1_11comp_targetILNS1_3genE5ELNS1_11target_archE942ELNS1_3gpuE9ELNS1_3repE0EEENS1_36merge_oddeven_config_static_selectorELNS0_4arch9wavefront6targetE1EEEvSL_
    .private_segment_fixed_size: 0
    .sgpr_count:     6
    .sgpr_spill_count: 0
    .symbol:         _ZN7rocprim17ROCPRIM_400000_NS6detail17trampoline_kernelINS0_14default_configENS1_38merge_sort_block_merge_config_selectorIiNS0_10empty_typeEEEZZNS1_27merge_sort_block_merge_implIS3_N6thrust23THRUST_200600_302600_NS6detail15normal_iteratorINS9_10device_ptrIiEEEEPS5_jNS1_19radix_merge_compareILb1ELb0EiNS0_19identity_decomposerEEEEE10hipError_tT0_T1_T2_jT3_P12ihipStream_tbPNSt15iterator_traitsISK_E10value_typeEPNSQ_ISL_E10value_typeEPSM_NS1_7vsmem_tEENKUlT_SK_SL_SM_E_clISE_PiSF_SF_EESJ_SZ_SK_SL_SM_EUlSZ_E1_NS1_11comp_targetILNS1_3genE5ELNS1_11target_archE942ELNS1_3gpuE9ELNS1_3repE0EEENS1_36merge_oddeven_config_static_selectorELNS0_4arch9wavefront6targetE1EEEvSL_.kd
    .uniform_work_group_size: 1
    .uses_dynamic_stack: false
    .vgpr_count:     0
    .vgpr_spill_count: 0
    .wavefront_size: 64
  - .agpr_count:     0
    .args:
      - .offset:         0
        .size:           48
        .value_kind:     by_value
    .group_segment_fixed_size: 0
    .kernarg_segment_align: 8
    .kernarg_segment_size: 48
    .language:       OpenCL C
    .language_version:
      - 2
      - 0
    .max_flat_workgroup_size: 256
    .name:           _ZN7rocprim17ROCPRIM_400000_NS6detail17trampoline_kernelINS0_14default_configENS1_38merge_sort_block_merge_config_selectorIiNS0_10empty_typeEEEZZNS1_27merge_sort_block_merge_implIS3_N6thrust23THRUST_200600_302600_NS6detail15normal_iteratorINS9_10device_ptrIiEEEEPS5_jNS1_19radix_merge_compareILb1ELb0EiNS0_19identity_decomposerEEEEE10hipError_tT0_T1_T2_jT3_P12ihipStream_tbPNSt15iterator_traitsISK_E10value_typeEPNSQ_ISL_E10value_typeEPSM_NS1_7vsmem_tEENKUlT_SK_SL_SM_E_clISE_PiSF_SF_EESJ_SZ_SK_SL_SM_EUlSZ_E1_NS1_11comp_targetILNS1_3genE4ELNS1_11target_archE910ELNS1_3gpuE8ELNS1_3repE0EEENS1_36merge_oddeven_config_static_selectorELNS0_4arch9wavefront6targetE1EEEvSL_
    .private_segment_fixed_size: 0
    .sgpr_count:     6
    .sgpr_spill_count: 0
    .symbol:         _ZN7rocprim17ROCPRIM_400000_NS6detail17trampoline_kernelINS0_14default_configENS1_38merge_sort_block_merge_config_selectorIiNS0_10empty_typeEEEZZNS1_27merge_sort_block_merge_implIS3_N6thrust23THRUST_200600_302600_NS6detail15normal_iteratorINS9_10device_ptrIiEEEEPS5_jNS1_19radix_merge_compareILb1ELb0EiNS0_19identity_decomposerEEEEE10hipError_tT0_T1_T2_jT3_P12ihipStream_tbPNSt15iterator_traitsISK_E10value_typeEPNSQ_ISL_E10value_typeEPSM_NS1_7vsmem_tEENKUlT_SK_SL_SM_E_clISE_PiSF_SF_EESJ_SZ_SK_SL_SM_EUlSZ_E1_NS1_11comp_targetILNS1_3genE4ELNS1_11target_archE910ELNS1_3gpuE8ELNS1_3repE0EEENS1_36merge_oddeven_config_static_selectorELNS0_4arch9wavefront6targetE1EEEvSL_.kd
    .uniform_work_group_size: 1
    .uses_dynamic_stack: false
    .vgpr_count:     0
    .vgpr_spill_count: 0
    .wavefront_size: 64
  - .agpr_count:     0
    .args:
      - .offset:         0
        .size:           48
        .value_kind:     by_value
    .group_segment_fixed_size: 0
    .kernarg_segment_align: 8
    .kernarg_segment_size: 48
    .language:       OpenCL C
    .language_version:
      - 2
      - 0
    .max_flat_workgroup_size: 256
    .name:           _ZN7rocprim17ROCPRIM_400000_NS6detail17trampoline_kernelINS0_14default_configENS1_38merge_sort_block_merge_config_selectorIiNS0_10empty_typeEEEZZNS1_27merge_sort_block_merge_implIS3_N6thrust23THRUST_200600_302600_NS6detail15normal_iteratorINS9_10device_ptrIiEEEEPS5_jNS1_19radix_merge_compareILb1ELb0EiNS0_19identity_decomposerEEEEE10hipError_tT0_T1_T2_jT3_P12ihipStream_tbPNSt15iterator_traitsISK_E10value_typeEPNSQ_ISL_E10value_typeEPSM_NS1_7vsmem_tEENKUlT_SK_SL_SM_E_clISE_PiSF_SF_EESJ_SZ_SK_SL_SM_EUlSZ_E1_NS1_11comp_targetILNS1_3genE3ELNS1_11target_archE908ELNS1_3gpuE7ELNS1_3repE0EEENS1_36merge_oddeven_config_static_selectorELNS0_4arch9wavefront6targetE1EEEvSL_
    .private_segment_fixed_size: 0
    .sgpr_count:     6
    .sgpr_spill_count: 0
    .symbol:         _ZN7rocprim17ROCPRIM_400000_NS6detail17trampoline_kernelINS0_14default_configENS1_38merge_sort_block_merge_config_selectorIiNS0_10empty_typeEEEZZNS1_27merge_sort_block_merge_implIS3_N6thrust23THRUST_200600_302600_NS6detail15normal_iteratorINS9_10device_ptrIiEEEEPS5_jNS1_19radix_merge_compareILb1ELb0EiNS0_19identity_decomposerEEEEE10hipError_tT0_T1_T2_jT3_P12ihipStream_tbPNSt15iterator_traitsISK_E10value_typeEPNSQ_ISL_E10value_typeEPSM_NS1_7vsmem_tEENKUlT_SK_SL_SM_E_clISE_PiSF_SF_EESJ_SZ_SK_SL_SM_EUlSZ_E1_NS1_11comp_targetILNS1_3genE3ELNS1_11target_archE908ELNS1_3gpuE7ELNS1_3repE0EEENS1_36merge_oddeven_config_static_selectorELNS0_4arch9wavefront6targetE1EEEvSL_.kd
    .uniform_work_group_size: 1
    .uses_dynamic_stack: false
    .vgpr_count:     0
    .vgpr_spill_count: 0
    .wavefront_size: 64
  - .agpr_count:     0
    .args:
      - .offset:         0
        .size:           48
        .value_kind:     by_value
    .group_segment_fixed_size: 0
    .kernarg_segment_align: 8
    .kernarg_segment_size: 48
    .language:       OpenCL C
    .language_version:
      - 2
      - 0
    .max_flat_workgroup_size: 256
    .name:           _ZN7rocprim17ROCPRIM_400000_NS6detail17trampoline_kernelINS0_14default_configENS1_38merge_sort_block_merge_config_selectorIiNS0_10empty_typeEEEZZNS1_27merge_sort_block_merge_implIS3_N6thrust23THRUST_200600_302600_NS6detail15normal_iteratorINS9_10device_ptrIiEEEEPS5_jNS1_19radix_merge_compareILb1ELb0EiNS0_19identity_decomposerEEEEE10hipError_tT0_T1_T2_jT3_P12ihipStream_tbPNSt15iterator_traitsISK_E10value_typeEPNSQ_ISL_E10value_typeEPSM_NS1_7vsmem_tEENKUlT_SK_SL_SM_E_clISE_PiSF_SF_EESJ_SZ_SK_SL_SM_EUlSZ_E1_NS1_11comp_targetILNS1_3genE2ELNS1_11target_archE906ELNS1_3gpuE6ELNS1_3repE0EEENS1_36merge_oddeven_config_static_selectorELNS0_4arch9wavefront6targetE1EEEvSL_
    .private_segment_fixed_size: 0
    .sgpr_count:     6
    .sgpr_spill_count: 0
    .symbol:         _ZN7rocprim17ROCPRIM_400000_NS6detail17trampoline_kernelINS0_14default_configENS1_38merge_sort_block_merge_config_selectorIiNS0_10empty_typeEEEZZNS1_27merge_sort_block_merge_implIS3_N6thrust23THRUST_200600_302600_NS6detail15normal_iteratorINS9_10device_ptrIiEEEEPS5_jNS1_19radix_merge_compareILb1ELb0EiNS0_19identity_decomposerEEEEE10hipError_tT0_T1_T2_jT3_P12ihipStream_tbPNSt15iterator_traitsISK_E10value_typeEPNSQ_ISL_E10value_typeEPSM_NS1_7vsmem_tEENKUlT_SK_SL_SM_E_clISE_PiSF_SF_EESJ_SZ_SK_SL_SM_EUlSZ_E1_NS1_11comp_targetILNS1_3genE2ELNS1_11target_archE906ELNS1_3gpuE6ELNS1_3repE0EEENS1_36merge_oddeven_config_static_selectorELNS0_4arch9wavefront6targetE1EEEvSL_.kd
    .uniform_work_group_size: 1
    .uses_dynamic_stack: false
    .vgpr_count:     0
    .vgpr_spill_count: 0
    .wavefront_size: 64
  - .agpr_count:     0
    .args:
      - .offset:         0
        .size:           48
        .value_kind:     by_value
    .group_segment_fixed_size: 0
    .kernarg_segment_align: 8
    .kernarg_segment_size: 48
    .language:       OpenCL C
    .language_version:
      - 2
      - 0
    .max_flat_workgroup_size: 256
    .name:           _ZN7rocprim17ROCPRIM_400000_NS6detail17trampoline_kernelINS0_14default_configENS1_38merge_sort_block_merge_config_selectorIiNS0_10empty_typeEEEZZNS1_27merge_sort_block_merge_implIS3_N6thrust23THRUST_200600_302600_NS6detail15normal_iteratorINS9_10device_ptrIiEEEEPS5_jNS1_19radix_merge_compareILb1ELb0EiNS0_19identity_decomposerEEEEE10hipError_tT0_T1_T2_jT3_P12ihipStream_tbPNSt15iterator_traitsISK_E10value_typeEPNSQ_ISL_E10value_typeEPSM_NS1_7vsmem_tEENKUlT_SK_SL_SM_E_clISE_PiSF_SF_EESJ_SZ_SK_SL_SM_EUlSZ_E1_NS1_11comp_targetILNS1_3genE9ELNS1_11target_archE1100ELNS1_3gpuE3ELNS1_3repE0EEENS1_36merge_oddeven_config_static_selectorELNS0_4arch9wavefront6targetE1EEEvSL_
    .private_segment_fixed_size: 0
    .sgpr_count:     6
    .sgpr_spill_count: 0
    .symbol:         _ZN7rocprim17ROCPRIM_400000_NS6detail17trampoline_kernelINS0_14default_configENS1_38merge_sort_block_merge_config_selectorIiNS0_10empty_typeEEEZZNS1_27merge_sort_block_merge_implIS3_N6thrust23THRUST_200600_302600_NS6detail15normal_iteratorINS9_10device_ptrIiEEEEPS5_jNS1_19radix_merge_compareILb1ELb0EiNS0_19identity_decomposerEEEEE10hipError_tT0_T1_T2_jT3_P12ihipStream_tbPNSt15iterator_traitsISK_E10value_typeEPNSQ_ISL_E10value_typeEPSM_NS1_7vsmem_tEENKUlT_SK_SL_SM_E_clISE_PiSF_SF_EESJ_SZ_SK_SL_SM_EUlSZ_E1_NS1_11comp_targetILNS1_3genE9ELNS1_11target_archE1100ELNS1_3gpuE3ELNS1_3repE0EEENS1_36merge_oddeven_config_static_selectorELNS0_4arch9wavefront6targetE1EEEvSL_.kd
    .uniform_work_group_size: 1
    .uses_dynamic_stack: false
    .vgpr_count:     0
    .vgpr_spill_count: 0
    .wavefront_size: 64
  - .agpr_count:     0
    .args:
      - .offset:         0
        .size:           48
        .value_kind:     by_value
    .group_segment_fixed_size: 0
    .kernarg_segment_align: 8
    .kernarg_segment_size: 48
    .language:       OpenCL C
    .language_version:
      - 2
      - 0
    .max_flat_workgroup_size: 256
    .name:           _ZN7rocprim17ROCPRIM_400000_NS6detail17trampoline_kernelINS0_14default_configENS1_38merge_sort_block_merge_config_selectorIiNS0_10empty_typeEEEZZNS1_27merge_sort_block_merge_implIS3_N6thrust23THRUST_200600_302600_NS6detail15normal_iteratorINS9_10device_ptrIiEEEEPS5_jNS1_19radix_merge_compareILb1ELb0EiNS0_19identity_decomposerEEEEE10hipError_tT0_T1_T2_jT3_P12ihipStream_tbPNSt15iterator_traitsISK_E10value_typeEPNSQ_ISL_E10value_typeEPSM_NS1_7vsmem_tEENKUlT_SK_SL_SM_E_clISE_PiSF_SF_EESJ_SZ_SK_SL_SM_EUlSZ_E1_NS1_11comp_targetILNS1_3genE8ELNS1_11target_archE1030ELNS1_3gpuE2ELNS1_3repE0EEENS1_36merge_oddeven_config_static_selectorELNS0_4arch9wavefront6targetE1EEEvSL_
    .private_segment_fixed_size: 0
    .sgpr_count:     6
    .sgpr_spill_count: 0
    .symbol:         _ZN7rocprim17ROCPRIM_400000_NS6detail17trampoline_kernelINS0_14default_configENS1_38merge_sort_block_merge_config_selectorIiNS0_10empty_typeEEEZZNS1_27merge_sort_block_merge_implIS3_N6thrust23THRUST_200600_302600_NS6detail15normal_iteratorINS9_10device_ptrIiEEEEPS5_jNS1_19radix_merge_compareILb1ELb0EiNS0_19identity_decomposerEEEEE10hipError_tT0_T1_T2_jT3_P12ihipStream_tbPNSt15iterator_traitsISK_E10value_typeEPNSQ_ISL_E10value_typeEPSM_NS1_7vsmem_tEENKUlT_SK_SL_SM_E_clISE_PiSF_SF_EESJ_SZ_SK_SL_SM_EUlSZ_E1_NS1_11comp_targetILNS1_3genE8ELNS1_11target_archE1030ELNS1_3gpuE2ELNS1_3repE0EEENS1_36merge_oddeven_config_static_selectorELNS0_4arch9wavefront6targetE1EEEvSL_.kd
    .uniform_work_group_size: 1
    .uses_dynamic_stack: false
    .vgpr_count:     0
    .vgpr_spill_count: 0
    .wavefront_size: 64
  - .agpr_count:     0
    .args:
      - .offset:         0
        .size:           40
        .value_kind:     by_value
    .group_segment_fixed_size: 0
    .kernarg_segment_align: 8
    .kernarg_segment_size: 40
    .language:       OpenCL C
    .language_version:
      - 2
      - 0
    .max_flat_workgroup_size: 128
    .name:           _ZN7rocprim17ROCPRIM_400000_NS6detail17trampoline_kernelINS0_14default_configENS1_38merge_sort_block_merge_config_selectorIiNS0_10empty_typeEEEZZNS1_27merge_sort_block_merge_implIS3_N6thrust23THRUST_200600_302600_NS6detail15normal_iteratorINS9_10device_ptrIiEEEEPS5_jNS1_19radix_merge_compareILb1ELb1EiNS0_19identity_decomposerEEEEE10hipError_tT0_T1_T2_jT3_P12ihipStream_tbPNSt15iterator_traitsISK_E10value_typeEPNSQ_ISL_E10value_typeEPSM_NS1_7vsmem_tEENKUlT_SK_SL_SM_E_clIPiSE_SF_SF_EESJ_SZ_SK_SL_SM_EUlSZ_E_NS1_11comp_targetILNS1_3genE0ELNS1_11target_archE4294967295ELNS1_3gpuE0ELNS1_3repE0EEENS1_48merge_mergepath_partition_config_static_selectorELNS0_4arch9wavefront6targetE1EEEvSL_
    .private_segment_fixed_size: 0
    .sgpr_count:     16
    .sgpr_spill_count: 0
    .symbol:         _ZN7rocprim17ROCPRIM_400000_NS6detail17trampoline_kernelINS0_14default_configENS1_38merge_sort_block_merge_config_selectorIiNS0_10empty_typeEEEZZNS1_27merge_sort_block_merge_implIS3_N6thrust23THRUST_200600_302600_NS6detail15normal_iteratorINS9_10device_ptrIiEEEEPS5_jNS1_19radix_merge_compareILb1ELb1EiNS0_19identity_decomposerEEEEE10hipError_tT0_T1_T2_jT3_P12ihipStream_tbPNSt15iterator_traitsISK_E10value_typeEPNSQ_ISL_E10value_typeEPSM_NS1_7vsmem_tEENKUlT_SK_SL_SM_E_clIPiSE_SF_SF_EESJ_SZ_SK_SL_SM_EUlSZ_E_NS1_11comp_targetILNS1_3genE0ELNS1_11target_archE4294967295ELNS1_3gpuE0ELNS1_3repE0EEENS1_48merge_mergepath_partition_config_static_selectorELNS0_4arch9wavefront6targetE1EEEvSL_.kd
    .uniform_work_group_size: 1
    .uses_dynamic_stack: false
    .vgpr_count:     17
    .vgpr_spill_count: 0
    .wavefront_size: 64
  - .agpr_count:     0
    .args:
      - .offset:         0
        .size:           40
        .value_kind:     by_value
    .group_segment_fixed_size: 0
    .kernarg_segment_align: 8
    .kernarg_segment_size: 40
    .language:       OpenCL C
    .language_version:
      - 2
      - 0
    .max_flat_workgroup_size: 128
    .name:           _ZN7rocprim17ROCPRIM_400000_NS6detail17trampoline_kernelINS0_14default_configENS1_38merge_sort_block_merge_config_selectorIiNS0_10empty_typeEEEZZNS1_27merge_sort_block_merge_implIS3_N6thrust23THRUST_200600_302600_NS6detail15normal_iteratorINS9_10device_ptrIiEEEEPS5_jNS1_19radix_merge_compareILb1ELb1EiNS0_19identity_decomposerEEEEE10hipError_tT0_T1_T2_jT3_P12ihipStream_tbPNSt15iterator_traitsISK_E10value_typeEPNSQ_ISL_E10value_typeEPSM_NS1_7vsmem_tEENKUlT_SK_SL_SM_E_clIPiSE_SF_SF_EESJ_SZ_SK_SL_SM_EUlSZ_E_NS1_11comp_targetILNS1_3genE10ELNS1_11target_archE1201ELNS1_3gpuE5ELNS1_3repE0EEENS1_48merge_mergepath_partition_config_static_selectorELNS0_4arch9wavefront6targetE1EEEvSL_
    .private_segment_fixed_size: 0
    .sgpr_count:     6
    .sgpr_spill_count: 0
    .symbol:         _ZN7rocprim17ROCPRIM_400000_NS6detail17trampoline_kernelINS0_14default_configENS1_38merge_sort_block_merge_config_selectorIiNS0_10empty_typeEEEZZNS1_27merge_sort_block_merge_implIS3_N6thrust23THRUST_200600_302600_NS6detail15normal_iteratorINS9_10device_ptrIiEEEEPS5_jNS1_19radix_merge_compareILb1ELb1EiNS0_19identity_decomposerEEEEE10hipError_tT0_T1_T2_jT3_P12ihipStream_tbPNSt15iterator_traitsISK_E10value_typeEPNSQ_ISL_E10value_typeEPSM_NS1_7vsmem_tEENKUlT_SK_SL_SM_E_clIPiSE_SF_SF_EESJ_SZ_SK_SL_SM_EUlSZ_E_NS1_11comp_targetILNS1_3genE10ELNS1_11target_archE1201ELNS1_3gpuE5ELNS1_3repE0EEENS1_48merge_mergepath_partition_config_static_selectorELNS0_4arch9wavefront6targetE1EEEvSL_.kd
    .uniform_work_group_size: 1
    .uses_dynamic_stack: false
    .vgpr_count:     0
    .vgpr_spill_count: 0
    .wavefront_size: 64
  - .agpr_count:     0
    .args:
      - .offset:         0
        .size:           40
        .value_kind:     by_value
    .group_segment_fixed_size: 0
    .kernarg_segment_align: 8
    .kernarg_segment_size: 40
    .language:       OpenCL C
    .language_version:
      - 2
      - 0
    .max_flat_workgroup_size: 128
    .name:           _ZN7rocprim17ROCPRIM_400000_NS6detail17trampoline_kernelINS0_14default_configENS1_38merge_sort_block_merge_config_selectorIiNS0_10empty_typeEEEZZNS1_27merge_sort_block_merge_implIS3_N6thrust23THRUST_200600_302600_NS6detail15normal_iteratorINS9_10device_ptrIiEEEEPS5_jNS1_19radix_merge_compareILb1ELb1EiNS0_19identity_decomposerEEEEE10hipError_tT0_T1_T2_jT3_P12ihipStream_tbPNSt15iterator_traitsISK_E10value_typeEPNSQ_ISL_E10value_typeEPSM_NS1_7vsmem_tEENKUlT_SK_SL_SM_E_clIPiSE_SF_SF_EESJ_SZ_SK_SL_SM_EUlSZ_E_NS1_11comp_targetILNS1_3genE5ELNS1_11target_archE942ELNS1_3gpuE9ELNS1_3repE0EEENS1_48merge_mergepath_partition_config_static_selectorELNS0_4arch9wavefront6targetE1EEEvSL_
    .private_segment_fixed_size: 0
    .sgpr_count:     6
    .sgpr_spill_count: 0
    .symbol:         _ZN7rocprim17ROCPRIM_400000_NS6detail17trampoline_kernelINS0_14default_configENS1_38merge_sort_block_merge_config_selectorIiNS0_10empty_typeEEEZZNS1_27merge_sort_block_merge_implIS3_N6thrust23THRUST_200600_302600_NS6detail15normal_iteratorINS9_10device_ptrIiEEEEPS5_jNS1_19radix_merge_compareILb1ELb1EiNS0_19identity_decomposerEEEEE10hipError_tT0_T1_T2_jT3_P12ihipStream_tbPNSt15iterator_traitsISK_E10value_typeEPNSQ_ISL_E10value_typeEPSM_NS1_7vsmem_tEENKUlT_SK_SL_SM_E_clIPiSE_SF_SF_EESJ_SZ_SK_SL_SM_EUlSZ_E_NS1_11comp_targetILNS1_3genE5ELNS1_11target_archE942ELNS1_3gpuE9ELNS1_3repE0EEENS1_48merge_mergepath_partition_config_static_selectorELNS0_4arch9wavefront6targetE1EEEvSL_.kd
    .uniform_work_group_size: 1
    .uses_dynamic_stack: false
    .vgpr_count:     0
    .vgpr_spill_count: 0
    .wavefront_size: 64
  - .agpr_count:     0
    .args:
      - .offset:         0
        .size:           40
        .value_kind:     by_value
    .group_segment_fixed_size: 0
    .kernarg_segment_align: 8
    .kernarg_segment_size: 40
    .language:       OpenCL C
    .language_version:
      - 2
      - 0
    .max_flat_workgroup_size: 128
    .name:           _ZN7rocprim17ROCPRIM_400000_NS6detail17trampoline_kernelINS0_14default_configENS1_38merge_sort_block_merge_config_selectorIiNS0_10empty_typeEEEZZNS1_27merge_sort_block_merge_implIS3_N6thrust23THRUST_200600_302600_NS6detail15normal_iteratorINS9_10device_ptrIiEEEEPS5_jNS1_19radix_merge_compareILb1ELb1EiNS0_19identity_decomposerEEEEE10hipError_tT0_T1_T2_jT3_P12ihipStream_tbPNSt15iterator_traitsISK_E10value_typeEPNSQ_ISL_E10value_typeEPSM_NS1_7vsmem_tEENKUlT_SK_SL_SM_E_clIPiSE_SF_SF_EESJ_SZ_SK_SL_SM_EUlSZ_E_NS1_11comp_targetILNS1_3genE4ELNS1_11target_archE910ELNS1_3gpuE8ELNS1_3repE0EEENS1_48merge_mergepath_partition_config_static_selectorELNS0_4arch9wavefront6targetE1EEEvSL_
    .private_segment_fixed_size: 0
    .sgpr_count:     6
    .sgpr_spill_count: 0
    .symbol:         _ZN7rocprim17ROCPRIM_400000_NS6detail17trampoline_kernelINS0_14default_configENS1_38merge_sort_block_merge_config_selectorIiNS0_10empty_typeEEEZZNS1_27merge_sort_block_merge_implIS3_N6thrust23THRUST_200600_302600_NS6detail15normal_iteratorINS9_10device_ptrIiEEEEPS5_jNS1_19radix_merge_compareILb1ELb1EiNS0_19identity_decomposerEEEEE10hipError_tT0_T1_T2_jT3_P12ihipStream_tbPNSt15iterator_traitsISK_E10value_typeEPNSQ_ISL_E10value_typeEPSM_NS1_7vsmem_tEENKUlT_SK_SL_SM_E_clIPiSE_SF_SF_EESJ_SZ_SK_SL_SM_EUlSZ_E_NS1_11comp_targetILNS1_3genE4ELNS1_11target_archE910ELNS1_3gpuE8ELNS1_3repE0EEENS1_48merge_mergepath_partition_config_static_selectorELNS0_4arch9wavefront6targetE1EEEvSL_.kd
    .uniform_work_group_size: 1
    .uses_dynamic_stack: false
    .vgpr_count:     0
    .vgpr_spill_count: 0
    .wavefront_size: 64
  - .agpr_count:     0
    .args:
      - .offset:         0
        .size:           40
        .value_kind:     by_value
    .group_segment_fixed_size: 0
    .kernarg_segment_align: 8
    .kernarg_segment_size: 40
    .language:       OpenCL C
    .language_version:
      - 2
      - 0
    .max_flat_workgroup_size: 128
    .name:           _ZN7rocprim17ROCPRIM_400000_NS6detail17trampoline_kernelINS0_14default_configENS1_38merge_sort_block_merge_config_selectorIiNS0_10empty_typeEEEZZNS1_27merge_sort_block_merge_implIS3_N6thrust23THRUST_200600_302600_NS6detail15normal_iteratorINS9_10device_ptrIiEEEEPS5_jNS1_19radix_merge_compareILb1ELb1EiNS0_19identity_decomposerEEEEE10hipError_tT0_T1_T2_jT3_P12ihipStream_tbPNSt15iterator_traitsISK_E10value_typeEPNSQ_ISL_E10value_typeEPSM_NS1_7vsmem_tEENKUlT_SK_SL_SM_E_clIPiSE_SF_SF_EESJ_SZ_SK_SL_SM_EUlSZ_E_NS1_11comp_targetILNS1_3genE3ELNS1_11target_archE908ELNS1_3gpuE7ELNS1_3repE0EEENS1_48merge_mergepath_partition_config_static_selectorELNS0_4arch9wavefront6targetE1EEEvSL_
    .private_segment_fixed_size: 0
    .sgpr_count:     6
    .sgpr_spill_count: 0
    .symbol:         _ZN7rocprim17ROCPRIM_400000_NS6detail17trampoline_kernelINS0_14default_configENS1_38merge_sort_block_merge_config_selectorIiNS0_10empty_typeEEEZZNS1_27merge_sort_block_merge_implIS3_N6thrust23THRUST_200600_302600_NS6detail15normal_iteratorINS9_10device_ptrIiEEEEPS5_jNS1_19radix_merge_compareILb1ELb1EiNS0_19identity_decomposerEEEEE10hipError_tT0_T1_T2_jT3_P12ihipStream_tbPNSt15iterator_traitsISK_E10value_typeEPNSQ_ISL_E10value_typeEPSM_NS1_7vsmem_tEENKUlT_SK_SL_SM_E_clIPiSE_SF_SF_EESJ_SZ_SK_SL_SM_EUlSZ_E_NS1_11comp_targetILNS1_3genE3ELNS1_11target_archE908ELNS1_3gpuE7ELNS1_3repE0EEENS1_48merge_mergepath_partition_config_static_selectorELNS0_4arch9wavefront6targetE1EEEvSL_.kd
    .uniform_work_group_size: 1
    .uses_dynamic_stack: false
    .vgpr_count:     0
    .vgpr_spill_count: 0
    .wavefront_size: 64
  - .agpr_count:     0
    .args:
      - .offset:         0
        .size:           40
        .value_kind:     by_value
    .group_segment_fixed_size: 0
    .kernarg_segment_align: 8
    .kernarg_segment_size: 40
    .language:       OpenCL C
    .language_version:
      - 2
      - 0
    .max_flat_workgroup_size: 128
    .name:           _ZN7rocprim17ROCPRIM_400000_NS6detail17trampoline_kernelINS0_14default_configENS1_38merge_sort_block_merge_config_selectorIiNS0_10empty_typeEEEZZNS1_27merge_sort_block_merge_implIS3_N6thrust23THRUST_200600_302600_NS6detail15normal_iteratorINS9_10device_ptrIiEEEEPS5_jNS1_19radix_merge_compareILb1ELb1EiNS0_19identity_decomposerEEEEE10hipError_tT0_T1_T2_jT3_P12ihipStream_tbPNSt15iterator_traitsISK_E10value_typeEPNSQ_ISL_E10value_typeEPSM_NS1_7vsmem_tEENKUlT_SK_SL_SM_E_clIPiSE_SF_SF_EESJ_SZ_SK_SL_SM_EUlSZ_E_NS1_11comp_targetILNS1_3genE2ELNS1_11target_archE906ELNS1_3gpuE6ELNS1_3repE0EEENS1_48merge_mergepath_partition_config_static_selectorELNS0_4arch9wavefront6targetE1EEEvSL_
    .private_segment_fixed_size: 0
    .sgpr_count:     6
    .sgpr_spill_count: 0
    .symbol:         _ZN7rocprim17ROCPRIM_400000_NS6detail17trampoline_kernelINS0_14default_configENS1_38merge_sort_block_merge_config_selectorIiNS0_10empty_typeEEEZZNS1_27merge_sort_block_merge_implIS3_N6thrust23THRUST_200600_302600_NS6detail15normal_iteratorINS9_10device_ptrIiEEEEPS5_jNS1_19radix_merge_compareILb1ELb1EiNS0_19identity_decomposerEEEEE10hipError_tT0_T1_T2_jT3_P12ihipStream_tbPNSt15iterator_traitsISK_E10value_typeEPNSQ_ISL_E10value_typeEPSM_NS1_7vsmem_tEENKUlT_SK_SL_SM_E_clIPiSE_SF_SF_EESJ_SZ_SK_SL_SM_EUlSZ_E_NS1_11comp_targetILNS1_3genE2ELNS1_11target_archE906ELNS1_3gpuE6ELNS1_3repE0EEENS1_48merge_mergepath_partition_config_static_selectorELNS0_4arch9wavefront6targetE1EEEvSL_.kd
    .uniform_work_group_size: 1
    .uses_dynamic_stack: false
    .vgpr_count:     0
    .vgpr_spill_count: 0
    .wavefront_size: 64
  - .agpr_count:     0
    .args:
      - .offset:         0
        .size:           40
        .value_kind:     by_value
    .group_segment_fixed_size: 0
    .kernarg_segment_align: 8
    .kernarg_segment_size: 40
    .language:       OpenCL C
    .language_version:
      - 2
      - 0
    .max_flat_workgroup_size: 128
    .name:           _ZN7rocprim17ROCPRIM_400000_NS6detail17trampoline_kernelINS0_14default_configENS1_38merge_sort_block_merge_config_selectorIiNS0_10empty_typeEEEZZNS1_27merge_sort_block_merge_implIS3_N6thrust23THRUST_200600_302600_NS6detail15normal_iteratorINS9_10device_ptrIiEEEEPS5_jNS1_19radix_merge_compareILb1ELb1EiNS0_19identity_decomposerEEEEE10hipError_tT0_T1_T2_jT3_P12ihipStream_tbPNSt15iterator_traitsISK_E10value_typeEPNSQ_ISL_E10value_typeEPSM_NS1_7vsmem_tEENKUlT_SK_SL_SM_E_clIPiSE_SF_SF_EESJ_SZ_SK_SL_SM_EUlSZ_E_NS1_11comp_targetILNS1_3genE9ELNS1_11target_archE1100ELNS1_3gpuE3ELNS1_3repE0EEENS1_48merge_mergepath_partition_config_static_selectorELNS0_4arch9wavefront6targetE1EEEvSL_
    .private_segment_fixed_size: 0
    .sgpr_count:     6
    .sgpr_spill_count: 0
    .symbol:         _ZN7rocprim17ROCPRIM_400000_NS6detail17trampoline_kernelINS0_14default_configENS1_38merge_sort_block_merge_config_selectorIiNS0_10empty_typeEEEZZNS1_27merge_sort_block_merge_implIS3_N6thrust23THRUST_200600_302600_NS6detail15normal_iteratorINS9_10device_ptrIiEEEEPS5_jNS1_19radix_merge_compareILb1ELb1EiNS0_19identity_decomposerEEEEE10hipError_tT0_T1_T2_jT3_P12ihipStream_tbPNSt15iterator_traitsISK_E10value_typeEPNSQ_ISL_E10value_typeEPSM_NS1_7vsmem_tEENKUlT_SK_SL_SM_E_clIPiSE_SF_SF_EESJ_SZ_SK_SL_SM_EUlSZ_E_NS1_11comp_targetILNS1_3genE9ELNS1_11target_archE1100ELNS1_3gpuE3ELNS1_3repE0EEENS1_48merge_mergepath_partition_config_static_selectorELNS0_4arch9wavefront6targetE1EEEvSL_.kd
    .uniform_work_group_size: 1
    .uses_dynamic_stack: false
    .vgpr_count:     0
    .vgpr_spill_count: 0
    .wavefront_size: 64
  - .agpr_count:     0
    .args:
      - .offset:         0
        .size:           40
        .value_kind:     by_value
    .group_segment_fixed_size: 0
    .kernarg_segment_align: 8
    .kernarg_segment_size: 40
    .language:       OpenCL C
    .language_version:
      - 2
      - 0
    .max_flat_workgroup_size: 128
    .name:           _ZN7rocprim17ROCPRIM_400000_NS6detail17trampoline_kernelINS0_14default_configENS1_38merge_sort_block_merge_config_selectorIiNS0_10empty_typeEEEZZNS1_27merge_sort_block_merge_implIS3_N6thrust23THRUST_200600_302600_NS6detail15normal_iteratorINS9_10device_ptrIiEEEEPS5_jNS1_19radix_merge_compareILb1ELb1EiNS0_19identity_decomposerEEEEE10hipError_tT0_T1_T2_jT3_P12ihipStream_tbPNSt15iterator_traitsISK_E10value_typeEPNSQ_ISL_E10value_typeEPSM_NS1_7vsmem_tEENKUlT_SK_SL_SM_E_clIPiSE_SF_SF_EESJ_SZ_SK_SL_SM_EUlSZ_E_NS1_11comp_targetILNS1_3genE8ELNS1_11target_archE1030ELNS1_3gpuE2ELNS1_3repE0EEENS1_48merge_mergepath_partition_config_static_selectorELNS0_4arch9wavefront6targetE1EEEvSL_
    .private_segment_fixed_size: 0
    .sgpr_count:     6
    .sgpr_spill_count: 0
    .symbol:         _ZN7rocprim17ROCPRIM_400000_NS6detail17trampoline_kernelINS0_14default_configENS1_38merge_sort_block_merge_config_selectorIiNS0_10empty_typeEEEZZNS1_27merge_sort_block_merge_implIS3_N6thrust23THRUST_200600_302600_NS6detail15normal_iteratorINS9_10device_ptrIiEEEEPS5_jNS1_19radix_merge_compareILb1ELb1EiNS0_19identity_decomposerEEEEE10hipError_tT0_T1_T2_jT3_P12ihipStream_tbPNSt15iterator_traitsISK_E10value_typeEPNSQ_ISL_E10value_typeEPSM_NS1_7vsmem_tEENKUlT_SK_SL_SM_E_clIPiSE_SF_SF_EESJ_SZ_SK_SL_SM_EUlSZ_E_NS1_11comp_targetILNS1_3genE8ELNS1_11target_archE1030ELNS1_3gpuE2ELNS1_3repE0EEENS1_48merge_mergepath_partition_config_static_selectorELNS0_4arch9wavefront6targetE1EEEvSL_.kd
    .uniform_work_group_size: 1
    .uses_dynamic_stack: false
    .vgpr_count:     0
    .vgpr_spill_count: 0
    .wavefront_size: 64
  - .agpr_count:     0
    .args:
      - .offset:         0
        .size:           64
        .value_kind:     by_value
      - .offset:         64
        .size:           4
        .value_kind:     hidden_block_count_x
      - .offset:         68
        .size:           4
        .value_kind:     hidden_block_count_y
      - .offset:         72
        .size:           4
        .value_kind:     hidden_block_count_z
      - .offset:         76
        .size:           2
        .value_kind:     hidden_group_size_x
      - .offset:         78
        .size:           2
        .value_kind:     hidden_group_size_y
      - .offset:         80
        .size:           2
        .value_kind:     hidden_group_size_z
      - .offset:         82
        .size:           2
        .value_kind:     hidden_remainder_x
      - .offset:         84
        .size:           2
        .value_kind:     hidden_remainder_y
      - .offset:         86
        .size:           2
        .value_kind:     hidden_remainder_z
      - .offset:         104
        .size:           8
        .value_kind:     hidden_global_offset_x
      - .offset:         112
        .size:           8
        .value_kind:     hidden_global_offset_y
      - .offset:         120
        .size:           8
        .value_kind:     hidden_global_offset_z
      - .offset:         128
        .size:           2
        .value_kind:     hidden_grid_dims
    .group_segment_fixed_size: 4224
    .kernarg_segment_align: 8
    .kernarg_segment_size: 320
    .language:       OpenCL C
    .language_version:
      - 2
      - 0
    .max_flat_workgroup_size: 128
    .name:           _ZN7rocprim17ROCPRIM_400000_NS6detail17trampoline_kernelINS0_14default_configENS1_38merge_sort_block_merge_config_selectorIiNS0_10empty_typeEEEZZNS1_27merge_sort_block_merge_implIS3_N6thrust23THRUST_200600_302600_NS6detail15normal_iteratorINS9_10device_ptrIiEEEEPS5_jNS1_19radix_merge_compareILb1ELb1EiNS0_19identity_decomposerEEEEE10hipError_tT0_T1_T2_jT3_P12ihipStream_tbPNSt15iterator_traitsISK_E10value_typeEPNSQ_ISL_E10value_typeEPSM_NS1_7vsmem_tEENKUlT_SK_SL_SM_E_clIPiSE_SF_SF_EESJ_SZ_SK_SL_SM_EUlSZ_E0_NS1_11comp_targetILNS1_3genE0ELNS1_11target_archE4294967295ELNS1_3gpuE0ELNS1_3repE0EEENS1_38merge_mergepath_config_static_selectorELNS0_4arch9wavefront6targetE1EEEvSL_
    .private_segment_fixed_size: 0
    .sgpr_count:     31
    .sgpr_spill_count: 0
    .symbol:         _ZN7rocprim17ROCPRIM_400000_NS6detail17trampoline_kernelINS0_14default_configENS1_38merge_sort_block_merge_config_selectorIiNS0_10empty_typeEEEZZNS1_27merge_sort_block_merge_implIS3_N6thrust23THRUST_200600_302600_NS6detail15normal_iteratorINS9_10device_ptrIiEEEEPS5_jNS1_19radix_merge_compareILb1ELb1EiNS0_19identity_decomposerEEEEE10hipError_tT0_T1_T2_jT3_P12ihipStream_tbPNSt15iterator_traitsISK_E10value_typeEPNSQ_ISL_E10value_typeEPSM_NS1_7vsmem_tEENKUlT_SK_SL_SM_E_clIPiSE_SF_SF_EESJ_SZ_SK_SL_SM_EUlSZ_E0_NS1_11comp_targetILNS1_3genE0ELNS1_11target_archE4294967295ELNS1_3gpuE0ELNS1_3repE0EEENS1_38merge_mergepath_config_static_selectorELNS0_4arch9wavefront6targetE1EEEvSL_.kd
    .uniform_work_group_size: 1
    .uses_dynamic_stack: false
    .vgpr_count:     26
    .vgpr_spill_count: 0
    .wavefront_size: 64
  - .agpr_count:     0
    .args:
      - .offset:         0
        .size:           64
        .value_kind:     by_value
    .group_segment_fixed_size: 0
    .kernarg_segment_align: 8
    .kernarg_segment_size: 64
    .language:       OpenCL C
    .language_version:
      - 2
      - 0
    .max_flat_workgroup_size: 256
    .name:           _ZN7rocprim17ROCPRIM_400000_NS6detail17trampoline_kernelINS0_14default_configENS1_38merge_sort_block_merge_config_selectorIiNS0_10empty_typeEEEZZNS1_27merge_sort_block_merge_implIS3_N6thrust23THRUST_200600_302600_NS6detail15normal_iteratorINS9_10device_ptrIiEEEEPS5_jNS1_19radix_merge_compareILb1ELb1EiNS0_19identity_decomposerEEEEE10hipError_tT0_T1_T2_jT3_P12ihipStream_tbPNSt15iterator_traitsISK_E10value_typeEPNSQ_ISL_E10value_typeEPSM_NS1_7vsmem_tEENKUlT_SK_SL_SM_E_clIPiSE_SF_SF_EESJ_SZ_SK_SL_SM_EUlSZ_E0_NS1_11comp_targetILNS1_3genE10ELNS1_11target_archE1201ELNS1_3gpuE5ELNS1_3repE0EEENS1_38merge_mergepath_config_static_selectorELNS0_4arch9wavefront6targetE1EEEvSL_
    .private_segment_fixed_size: 0
    .sgpr_count:     6
    .sgpr_spill_count: 0
    .symbol:         _ZN7rocprim17ROCPRIM_400000_NS6detail17trampoline_kernelINS0_14default_configENS1_38merge_sort_block_merge_config_selectorIiNS0_10empty_typeEEEZZNS1_27merge_sort_block_merge_implIS3_N6thrust23THRUST_200600_302600_NS6detail15normal_iteratorINS9_10device_ptrIiEEEEPS5_jNS1_19radix_merge_compareILb1ELb1EiNS0_19identity_decomposerEEEEE10hipError_tT0_T1_T2_jT3_P12ihipStream_tbPNSt15iterator_traitsISK_E10value_typeEPNSQ_ISL_E10value_typeEPSM_NS1_7vsmem_tEENKUlT_SK_SL_SM_E_clIPiSE_SF_SF_EESJ_SZ_SK_SL_SM_EUlSZ_E0_NS1_11comp_targetILNS1_3genE10ELNS1_11target_archE1201ELNS1_3gpuE5ELNS1_3repE0EEENS1_38merge_mergepath_config_static_selectorELNS0_4arch9wavefront6targetE1EEEvSL_.kd
    .uniform_work_group_size: 1
    .uses_dynamic_stack: false
    .vgpr_count:     0
    .vgpr_spill_count: 0
    .wavefront_size: 64
  - .agpr_count:     0
    .args:
      - .offset:         0
        .size:           64
        .value_kind:     by_value
    .group_segment_fixed_size: 0
    .kernarg_segment_align: 8
    .kernarg_segment_size: 64
    .language:       OpenCL C
    .language_version:
      - 2
      - 0
    .max_flat_workgroup_size: 128
    .name:           _ZN7rocprim17ROCPRIM_400000_NS6detail17trampoline_kernelINS0_14default_configENS1_38merge_sort_block_merge_config_selectorIiNS0_10empty_typeEEEZZNS1_27merge_sort_block_merge_implIS3_N6thrust23THRUST_200600_302600_NS6detail15normal_iteratorINS9_10device_ptrIiEEEEPS5_jNS1_19radix_merge_compareILb1ELb1EiNS0_19identity_decomposerEEEEE10hipError_tT0_T1_T2_jT3_P12ihipStream_tbPNSt15iterator_traitsISK_E10value_typeEPNSQ_ISL_E10value_typeEPSM_NS1_7vsmem_tEENKUlT_SK_SL_SM_E_clIPiSE_SF_SF_EESJ_SZ_SK_SL_SM_EUlSZ_E0_NS1_11comp_targetILNS1_3genE5ELNS1_11target_archE942ELNS1_3gpuE9ELNS1_3repE0EEENS1_38merge_mergepath_config_static_selectorELNS0_4arch9wavefront6targetE1EEEvSL_
    .private_segment_fixed_size: 0
    .sgpr_count:     6
    .sgpr_spill_count: 0
    .symbol:         _ZN7rocprim17ROCPRIM_400000_NS6detail17trampoline_kernelINS0_14default_configENS1_38merge_sort_block_merge_config_selectorIiNS0_10empty_typeEEEZZNS1_27merge_sort_block_merge_implIS3_N6thrust23THRUST_200600_302600_NS6detail15normal_iteratorINS9_10device_ptrIiEEEEPS5_jNS1_19radix_merge_compareILb1ELb1EiNS0_19identity_decomposerEEEEE10hipError_tT0_T1_T2_jT3_P12ihipStream_tbPNSt15iterator_traitsISK_E10value_typeEPNSQ_ISL_E10value_typeEPSM_NS1_7vsmem_tEENKUlT_SK_SL_SM_E_clIPiSE_SF_SF_EESJ_SZ_SK_SL_SM_EUlSZ_E0_NS1_11comp_targetILNS1_3genE5ELNS1_11target_archE942ELNS1_3gpuE9ELNS1_3repE0EEENS1_38merge_mergepath_config_static_selectorELNS0_4arch9wavefront6targetE1EEEvSL_.kd
    .uniform_work_group_size: 1
    .uses_dynamic_stack: false
    .vgpr_count:     0
    .vgpr_spill_count: 0
    .wavefront_size: 64
  - .agpr_count:     0
    .args:
      - .offset:         0
        .size:           64
        .value_kind:     by_value
    .group_segment_fixed_size: 0
    .kernarg_segment_align: 8
    .kernarg_segment_size: 64
    .language:       OpenCL C
    .language_version:
      - 2
      - 0
    .max_flat_workgroup_size: 128
    .name:           _ZN7rocprim17ROCPRIM_400000_NS6detail17trampoline_kernelINS0_14default_configENS1_38merge_sort_block_merge_config_selectorIiNS0_10empty_typeEEEZZNS1_27merge_sort_block_merge_implIS3_N6thrust23THRUST_200600_302600_NS6detail15normal_iteratorINS9_10device_ptrIiEEEEPS5_jNS1_19radix_merge_compareILb1ELb1EiNS0_19identity_decomposerEEEEE10hipError_tT0_T1_T2_jT3_P12ihipStream_tbPNSt15iterator_traitsISK_E10value_typeEPNSQ_ISL_E10value_typeEPSM_NS1_7vsmem_tEENKUlT_SK_SL_SM_E_clIPiSE_SF_SF_EESJ_SZ_SK_SL_SM_EUlSZ_E0_NS1_11comp_targetILNS1_3genE4ELNS1_11target_archE910ELNS1_3gpuE8ELNS1_3repE0EEENS1_38merge_mergepath_config_static_selectorELNS0_4arch9wavefront6targetE1EEEvSL_
    .private_segment_fixed_size: 0
    .sgpr_count:     6
    .sgpr_spill_count: 0
    .symbol:         _ZN7rocprim17ROCPRIM_400000_NS6detail17trampoline_kernelINS0_14default_configENS1_38merge_sort_block_merge_config_selectorIiNS0_10empty_typeEEEZZNS1_27merge_sort_block_merge_implIS3_N6thrust23THRUST_200600_302600_NS6detail15normal_iteratorINS9_10device_ptrIiEEEEPS5_jNS1_19radix_merge_compareILb1ELb1EiNS0_19identity_decomposerEEEEE10hipError_tT0_T1_T2_jT3_P12ihipStream_tbPNSt15iterator_traitsISK_E10value_typeEPNSQ_ISL_E10value_typeEPSM_NS1_7vsmem_tEENKUlT_SK_SL_SM_E_clIPiSE_SF_SF_EESJ_SZ_SK_SL_SM_EUlSZ_E0_NS1_11comp_targetILNS1_3genE4ELNS1_11target_archE910ELNS1_3gpuE8ELNS1_3repE0EEENS1_38merge_mergepath_config_static_selectorELNS0_4arch9wavefront6targetE1EEEvSL_.kd
    .uniform_work_group_size: 1
    .uses_dynamic_stack: false
    .vgpr_count:     0
    .vgpr_spill_count: 0
    .wavefront_size: 64
  - .agpr_count:     0
    .args:
      - .offset:         0
        .size:           64
        .value_kind:     by_value
    .group_segment_fixed_size: 0
    .kernarg_segment_align: 8
    .kernarg_segment_size: 64
    .language:       OpenCL C
    .language_version:
      - 2
      - 0
    .max_flat_workgroup_size: 128
    .name:           _ZN7rocprim17ROCPRIM_400000_NS6detail17trampoline_kernelINS0_14default_configENS1_38merge_sort_block_merge_config_selectorIiNS0_10empty_typeEEEZZNS1_27merge_sort_block_merge_implIS3_N6thrust23THRUST_200600_302600_NS6detail15normal_iteratorINS9_10device_ptrIiEEEEPS5_jNS1_19radix_merge_compareILb1ELb1EiNS0_19identity_decomposerEEEEE10hipError_tT0_T1_T2_jT3_P12ihipStream_tbPNSt15iterator_traitsISK_E10value_typeEPNSQ_ISL_E10value_typeEPSM_NS1_7vsmem_tEENKUlT_SK_SL_SM_E_clIPiSE_SF_SF_EESJ_SZ_SK_SL_SM_EUlSZ_E0_NS1_11comp_targetILNS1_3genE3ELNS1_11target_archE908ELNS1_3gpuE7ELNS1_3repE0EEENS1_38merge_mergepath_config_static_selectorELNS0_4arch9wavefront6targetE1EEEvSL_
    .private_segment_fixed_size: 0
    .sgpr_count:     6
    .sgpr_spill_count: 0
    .symbol:         _ZN7rocprim17ROCPRIM_400000_NS6detail17trampoline_kernelINS0_14default_configENS1_38merge_sort_block_merge_config_selectorIiNS0_10empty_typeEEEZZNS1_27merge_sort_block_merge_implIS3_N6thrust23THRUST_200600_302600_NS6detail15normal_iteratorINS9_10device_ptrIiEEEEPS5_jNS1_19radix_merge_compareILb1ELb1EiNS0_19identity_decomposerEEEEE10hipError_tT0_T1_T2_jT3_P12ihipStream_tbPNSt15iterator_traitsISK_E10value_typeEPNSQ_ISL_E10value_typeEPSM_NS1_7vsmem_tEENKUlT_SK_SL_SM_E_clIPiSE_SF_SF_EESJ_SZ_SK_SL_SM_EUlSZ_E0_NS1_11comp_targetILNS1_3genE3ELNS1_11target_archE908ELNS1_3gpuE7ELNS1_3repE0EEENS1_38merge_mergepath_config_static_selectorELNS0_4arch9wavefront6targetE1EEEvSL_.kd
    .uniform_work_group_size: 1
    .uses_dynamic_stack: false
    .vgpr_count:     0
    .vgpr_spill_count: 0
    .wavefront_size: 64
  - .agpr_count:     0
    .args:
      - .offset:         0
        .size:           64
        .value_kind:     by_value
    .group_segment_fixed_size: 0
    .kernarg_segment_align: 8
    .kernarg_segment_size: 64
    .language:       OpenCL C
    .language_version:
      - 2
      - 0
    .max_flat_workgroup_size: 128
    .name:           _ZN7rocprim17ROCPRIM_400000_NS6detail17trampoline_kernelINS0_14default_configENS1_38merge_sort_block_merge_config_selectorIiNS0_10empty_typeEEEZZNS1_27merge_sort_block_merge_implIS3_N6thrust23THRUST_200600_302600_NS6detail15normal_iteratorINS9_10device_ptrIiEEEEPS5_jNS1_19radix_merge_compareILb1ELb1EiNS0_19identity_decomposerEEEEE10hipError_tT0_T1_T2_jT3_P12ihipStream_tbPNSt15iterator_traitsISK_E10value_typeEPNSQ_ISL_E10value_typeEPSM_NS1_7vsmem_tEENKUlT_SK_SL_SM_E_clIPiSE_SF_SF_EESJ_SZ_SK_SL_SM_EUlSZ_E0_NS1_11comp_targetILNS1_3genE2ELNS1_11target_archE906ELNS1_3gpuE6ELNS1_3repE0EEENS1_38merge_mergepath_config_static_selectorELNS0_4arch9wavefront6targetE1EEEvSL_
    .private_segment_fixed_size: 0
    .sgpr_count:     6
    .sgpr_spill_count: 0
    .symbol:         _ZN7rocprim17ROCPRIM_400000_NS6detail17trampoline_kernelINS0_14default_configENS1_38merge_sort_block_merge_config_selectorIiNS0_10empty_typeEEEZZNS1_27merge_sort_block_merge_implIS3_N6thrust23THRUST_200600_302600_NS6detail15normal_iteratorINS9_10device_ptrIiEEEEPS5_jNS1_19radix_merge_compareILb1ELb1EiNS0_19identity_decomposerEEEEE10hipError_tT0_T1_T2_jT3_P12ihipStream_tbPNSt15iterator_traitsISK_E10value_typeEPNSQ_ISL_E10value_typeEPSM_NS1_7vsmem_tEENKUlT_SK_SL_SM_E_clIPiSE_SF_SF_EESJ_SZ_SK_SL_SM_EUlSZ_E0_NS1_11comp_targetILNS1_3genE2ELNS1_11target_archE906ELNS1_3gpuE6ELNS1_3repE0EEENS1_38merge_mergepath_config_static_selectorELNS0_4arch9wavefront6targetE1EEEvSL_.kd
    .uniform_work_group_size: 1
    .uses_dynamic_stack: false
    .vgpr_count:     0
    .vgpr_spill_count: 0
    .wavefront_size: 64
  - .agpr_count:     0
    .args:
      - .offset:         0
        .size:           64
        .value_kind:     by_value
    .group_segment_fixed_size: 0
    .kernarg_segment_align: 8
    .kernarg_segment_size: 64
    .language:       OpenCL C
    .language_version:
      - 2
      - 0
    .max_flat_workgroup_size: 256
    .name:           _ZN7rocprim17ROCPRIM_400000_NS6detail17trampoline_kernelINS0_14default_configENS1_38merge_sort_block_merge_config_selectorIiNS0_10empty_typeEEEZZNS1_27merge_sort_block_merge_implIS3_N6thrust23THRUST_200600_302600_NS6detail15normal_iteratorINS9_10device_ptrIiEEEEPS5_jNS1_19radix_merge_compareILb1ELb1EiNS0_19identity_decomposerEEEEE10hipError_tT0_T1_T2_jT3_P12ihipStream_tbPNSt15iterator_traitsISK_E10value_typeEPNSQ_ISL_E10value_typeEPSM_NS1_7vsmem_tEENKUlT_SK_SL_SM_E_clIPiSE_SF_SF_EESJ_SZ_SK_SL_SM_EUlSZ_E0_NS1_11comp_targetILNS1_3genE9ELNS1_11target_archE1100ELNS1_3gpuE3ELNS1_3repE0EEENS1_38merge_mergepath_config_static_selectorELNS0_4arch9wavefront6targetE1EEEvSL_
    .private_segment_fixed_size: 0
    .sgpr_count:     6
    .sgpr_spill_count: 0
    .symbol:         _ZN7rocprim17ROCPRIM_400000_NS6detail17trampoline_kernelINS0_14default_configENS1_38merge_sort_block_merge_config_selectorIiNS0_10empty_typeEEEZZNS1_27merge_sort_block_merge_implIS3_N6thrust23THRUST_200600_302600_NS6detail15normal_iteratorINS9_10device_ptrIiEEEEPS5_jNS1_19radix_merge_compareILb1ELb1EiNS0_19identity_decomposerEEEEE10hipError_tT0_T1_T2_jT3_P12ihipStream_tbPNSt15iterator_traitsISK_E10value_typeEPNSQ_ISL_E10value_typeEPSM_NS1_7vsmem_tEENKUlT_SK_SL_SM_E_clIPiSE_SF_SF_EESJ_SZ_SK_SL_SM_EUlSZ_E0_NS1_11comp_targetILNS1_3genE9ELNS1_11target_archE1100ELNS1_3gpuE3ELNS1_3repE0EEENS1_38merge_mergepath_config_static_selectorELNS0_4arch9wavefront6targetE1EEEvSL_.kd
    .uniform_work_group_size: 1
    .uses_dynamic_stack: false
    .vgpr_count:     0
    .vgpr_spill_count: 0
    .wavefront_size: 64
  - .agpr_count:     0
    .args:
      - .offset:         0
        .size:           64
        .value_kind:     by_value
    .group_segment_fixed_size: 0
    .kernarg_segment_align: 8
    .kernarg_segment_size: 64
    .language:       OpenCL C
    .language_version:
      - 2
      - 0
    .max_flat_workgroup_size: 512
    .name:           _ZN7rocprim17ROCPRIM_400000_NS6detail17trampoline_kernelINS0_14default_configENS1_38merge_sort_block_merge_config_selectorIiNS0_10empty_typeEEEZZNS1_27merge_sort_block_merge_implIS3_N6thrust23THRUST_200600_302600_NS6detail15normal_iteratorINS9_10device_ptrIiEEEEPS5_jNS1_19radix_merge_compareILb1ELb1EiNS0_19identity_decomposerEEEEE10hipError_tT0_T1_T2_jT3_P12ihipStream_tbPNSt15iterator_traitsISK_E10value_typeEPNSQ_ISL_E10value_typeEPSM_NS1_7vsmem_tEENKUlT_SK_SL_SM_E_clIPiSE_SF_SF_EESJ_SZ_SK_SL_SM_EUlSZ_E0_NS1_11comp_targetILNS1_3genE8ELNS1_11target_archE1030ELNS1_3gpuE2ELNS1_3repE0EEENS1_38merge_mergepath_config_static_selectorELNS0_4arch9wavefront6targetE1EEEvSL_
    .private_segment_fixed_size: 0
    .sgpr_count:     6
    .sgpr_spill_count: 0
    .symbol:         _ZN7rocprim17ROCPRIM_400000_NS6detail17trampoline_kernelINS0_14default_configENS1_38merge_sort_block_merge_config_selectorIiNS0_10empty_typeEEEZZNS1_27merge_sort_block_merge_implIS3_N6thrust23THRUST_200600_302600_NS6detail15normal_iteratorINS9_10device_ptrIiEEEEPS5_jNS1_19radix_merge_compareILb1ELb1EiNS0_19identity_decomposerEEEEE10hipError_tT0_T1_T2_jT3_P12ihipStream_tbPNSt15iterator_traitsISK_E10value_typeEPNSQ_ISL_E10value_typeEPSM_NS1_7vsmem_tEENKUlT_SK_SL_SM_E_clIPiSE_SF_SF_EESJ_SZ_SK_SL_SM_EUlSZ_E0_NS1_11comp_targetILNS1_3genE8ELNS1_11target_archE1030ELNS1_3gpuE2ELNS1_3repE0EEENS1_38merge_mergepath_config_static_selectorELNS0_4arch9wavefront6targetE1EEEvSL_.kd
    .uniform_work_group_size: 1
    .uses_dynamic_stack: false
    .vgpr_count:     0
    .vgpr_spill_count: 0
    .wavefront_size: 64
  - .agpr_count:     0
    .args:
      - .offset:         0
        .size:           48
        .value_kind:     by_value
    .group_segment_fixed_size: 0
    .kernarg_segment_align: 8
    .kernarg_segment_size: 48
    .language:       OpenCL C
    .language_version:
      - 2
      - 0
    .max_flat_workgroup_size: 256
    .name:           _ZN7rocprim17ROCPRIM_400000_NS6detail17trampoline_kernelINS0_14default_configENS1_38merge_sort_block_merge_config_selectorIiNS0_10empty_typeEEEZZNS1_27merge_sort_block_merge_implIS3_N6thrust23THRUST_200600_302600_NS6detail15normal_iteratorINS9_10device_ptrIiEEEEPS5_jNS1_19radix_merge_compareILb1ELb1EiNS0_19identity_decomposerEEEEE10hipError_tT0_T1_T2_jT3_P12ihipStream_tbPNSt15iterator_traitsISK_E10value_typeEPNSQ_ISL_E10value_typeEPSM_NS1_7vsmem_tEENKUlT_SK_SL_SM_E_clIPiSE_SF_SF_EESJ_SZ_SK_SL_SM_EUlSZ_E1_NS1_11comp_targetILNS1_3genE0ELNS1_11target_archE4294967295ELNS1_3gpuE0ELNS1_3repE0EEENS1_36merge_oddeven_config_static_selectorELNS0_4arch9wavefront6targetE1EEEvSL_
    .private_segment_fixed_size: 0
    .sgpr_count:     27
    .sgpr_spill_count: 0
    .symbol:         _ZN7rocprim17ROCPRIM_400000_NS6detail17trampoline_kernelINS0_14default_configENS1_38merge_sort_block_merge_config_selectorIiNS0_10empty_typeEEEZZNS1_27merge_sort_block_merge_implIS3_N6thrust23THRUST_200600_302600_NS6detail15normal_iteratorINS9_10device_ptrIiEEEEPS5_jNS1_19radix_merge_compareILb1ELb1EiNS0_19identity_decomposerEEEEE10hipError_tT0_T1_T2_jT3_P12ihipStream_tbPNSt15iterator_traitsISK_E10value_typeEPNSQ_ISL_E10value_typeEPSM_NS1_7vsmem_tEENKUlT_SK_SL_SM_E_clIPiSE_SF_SF_EESJ_SZ_SK_SL_SM_EUlSZ_E1_NS1_11comp_targetILNS1_3genE0ELNS1_11target_archE4294967295ELNS1_3gpuE0ELNS1_3repE0EEENS1_36merge_oddeven_config_static_selectorELNS0_4arch9wavefront6targetE1EEEvSL_.kd
    .uniform_work_group_size: 1
    .uses_dynamic_stack: false
    .vgpr_count:     10
    .vgpr_spill_count: 0
    .wavefront_size: 64
  - .agpr_count:     0
    .args:
      - .offset:         0
        .size:           48
        .value_kind:     by_value
    .group_segment_fixed_size: 0
    .kernarg_segment_align: 8
    .kernarg_segment_size: 48
    .language:       OpenCL C
    .language_version:
      - 2
      - 0
    .max_flat_workgroup_size: 256
    .name:           _ZN7rocprim17ROCPRIM_400000_NS6detail17trampoline_kernelINS0_14default_configENS1_38merge_sort_block_merge_config_selectorIiNS0_10empty_typeEEEZZNS1_27merge_sort_block_merge_implIS3_N6thrust23THRUST_200600_302600_NS6detail15normal_iteratorINS9_10device_ptrIiEEEEPS5_jNS1_19radix_merge_compareILb1ELb1EiNS0_19identity_decomposerEEEEE10hipError_tT0_T1_T2_jT3_P12ihipStream_tbPNSt15iterator_traitsISK_E10value_typeEPNSQ_ISL_E10value_typeEPSM_NS1_7vsmem_tEENKUlT_SK_SL_SM_E_clIPiSE_SF_SF_EESJ_SZ_SK_SL_SM_EUlSZ_E1_NS1_11comp_targetILNS1_3genE10ELNS1_11target_archE1201ELNS1_3gpuE5ELNS1_3repE0EEENS1_36merge_oddeven_config_static_selectorELNS0_4arch9wavefront6targetE1EEEvSL_
    .private_segment_fixed_size: 0
    .sgpr_count:     6
    .sgpr_spill_count: 0
    .symbol:         _ZN7rocprim17ROCPRIM_400000_NS6detail17trampoline_kernelINS0_14default_configENS1_38merge_sort_block_merge_config_selectorIiNS0_10empty_typeEEEZZNS1_27merge_sort_block_merge_implIS3_N6thrust23THRUST_200600_302600_NS6detail15normal_iteratorINS9_10device_ptrIiEEEEPS5_jNS1_19radix_merge_compareILb1ELb1EiNS0_19identity_decomposerEEEEE10hipError_tT0_T1_T2_jT3_P12ihipStream_tbPNSt15iterator_traitsISK_E10value_typeEPNSQ_ISL_E10value_typeEPSM_NS1_7vsmem_tEENKUlT_SK_SL_SM_E_clIPiSE_SF_SF_EESJ_SZ_SK_SL_SM_EUlSZ_E1_NS1_11comp_targetILNS1_3genE10ELNS1_11target_archE1201ELNS1_3gpuE5ELNS1_3repE0EEENS1_36merge_oddeven_config_static_selectorELNS0_4arch9wavefront6targetE1EEEvSL_.kd
    .uniform_work_group_size: 1
    .uses_dynamic_stack: false
    .vgpr_count:     0
    .vgpr_spill_count: 0
    .wavefront_size: 64
  - .agpr_count:     0
    .args:
      - .offset:         0
        .size:           48
        .value_kind:     by_value
    .group_segment_fixed_size: 0
    .kernarg_segment_align: 8
    .kernarg_segment_size: 48
    .language:       OpenCL C
    .language_version:
      - 2
      - 0
    .max_flat_workgroup_size: 256
    .name:           _ZN7rocprim17ROCPRIM_400000_NS6detail17trampoline_kernelINS0_14default_configENS1_38merge_sort_block_merge_config_selectorIiNS0_10empty_typeEEEZZNS1_27merge_sort_block_merge_implIS3_N6thrust23THRUST_200600_302600_NS6detail15normal_iteratorINS9_10device_ptrIiEEEEPS5_jNS1_19radix_merge_compareILb1ELb1EiNS0_19identity_decomposerEEEEE10hipError_tT0_T1_T2_jT3_P12ihipStream_tbPNSt15iterator_traitsISK_E10value_typeEPNSQ_ISL_E10value_typeEPSM_NS1_7vsmem_tEENKUlT_SK_SL_SM_E_clIPiSE_SF_SF_EESJ_SZ_SK_SL_SM_EUlSZ_E1_NS1_11comp_targetILNS1_3genE5ELNS1_11target_archE942ELNS1_3gpuE9ELNS1_3repE0EEENS1_36merge_oddeven_config_static_selectorELNS0_4arch9wavefront6targetE1EEEvSL_
    .private_segment_fixed_size: 0
    .sgpr_count:     6
    .sgpr_spill_count: 0
    .symbol:         _ZN7rocprim17ROCPRIM_400000_NS6detail17trampoline_kernelINS0_14default_configENS1_38merge_sort_block_merge_config_selectorIiNS0_10empty_typeEEEZZNS1_27merge_sort_block_merge_implIS3_N6thrust23THRUST_200600_302600_NS6detail15normal_iteratorINS9_10device_ptrIiEEEEPS5_jNS1_19radix_merge_compareILb1ELb1EiNS0_19identity_decomposerEEEEE10hipError_tT0_T1_T2_jT3_P12ihipStream_tbPNSt15iterator_traitsISK_E10value_typeEPNSQ_ISL_E10value_typeEPSM_NS1_7vsmem_tEENKUlT_SK_SL_SM_E_clIPiSE_SF_SF_EESJ_SZ_SK_SL_SM_EUlSZ_E1_NS1_11comp_targetILNS1_3genE5ELNS1_11target_archE942ELNS1_3gpuE9ELNS1_3repE0EEENS1_36merge_oddeven_config_static_selectorELNS0_4arch9wavefront6targetE1EEEvSL_.kd
    .uniform_work_group_size: 1
    .uses_dynamic_stack: false
    .vgpr_count:     0
    .vgpr_spill_count: 0
    .wavefront_size: 64
  - .agpr_count:     0
    .args:
      - .offset:         0
        .size:           48
        .value_kind:     by_value
    .group_segment_fixed_size: 0
    .kernarg_segment_align: 8
    .kernarg_segment_size: 48
    .language:       OpenCL C
    .language_version:
      - 2
      - 0
    .max_flat_workgroup_size: 256
    .name:           _ZN7rocprim17ROCPRIM_400000_NS6detail17trampoline_kernelINS0_14default_configENS1_38merge_sort_block_merge_config_selectorIiNS0_10empty_typeEEEZZNS1_27merge_sort_block_merge_implIS3_N6thrust23THRUST_200600_302600_NS6detail15normal_iteratorINS9_10device_ptrIiEEEEPS5_jNS1_19radix_merge_compareILb1ELb1EiNS0_19identity_decomposerEEEEE10hipError_tT0_T1_T2_jT3_P12ihipStream_tbPNSt15iterator_traitsISK_E10value_typeEPNSQ_ISL_E10value_typeEPSM_NS1_7vsmem_tEENKUlT_SK_SL_SM_E_clIPiSE_SF_SF_EESJ_SZ_SK_SL_SM_EUlSZ_E1_NS1_11comp_targetILNS1_3genE4ELNS1_11target_archE910ELNS1_3gpuE8ELNS1_3repE0EEENS1_36merge_oddeven_config_static_selectorELNS0_4arch9wavefront6targetE1EEEvSL_
    .private_segment_fixed_size: 0
    .sgpr_count:     6
    .sgpr_spill_count: 0
    .symbol:         _ZN7rocprim17ROCPRIM_400000_NS6detail17trampoline_kernelINS0_14default_configENS1_38merge_sort_block_merge_config_selectorIiNS0_10empty_typeEEEZZNS1_27merge_sort_block_merge_implIS3_N6thrust23THRUST_200600_302600_NS6detail15normal_iteratorINS9_10device_ptrIiEEEEPS5_jNS1_19radix_merge_compareILb1ELb1EiNS0_19identity_decomposerEEEEE10hipError_tT0_T1_T2_jT3_P12ihipStream_tbPNSt15iterator_traitsISK_E10value_typeEPNSQ_ISL_E10value_typeEPSM_NS1_7vsmem_tEENKUlT_SK_SL_SM_E_clIPiSE_SF_SF_EESJ_SZ_SK_SL_SM_EUlSZ_E1_NS1_11comp_targetILNS1_3genE4ELNS1_11target_archE910ELNS1_3gpuE8ELNS1_3repE0EEENS1_36merge_oddeven_config_static_selectorELNS0_4arch9wavefront6targetE1EEEvSL_.kd
    .uniform_work_group_size: 1
    .uses_dynamic_stack: false
    .vgpr_count:     0
    .vgpr_spill_count: 0
    .wavefront_size: 64
  - .agpr_count:     0
    .args:
      - .offset:         0
        .size:           48
        .value_kind:     by_value
    .group_segment_fixed_size: 0
    .kernarg_segment_align: 8
    .kernarg_segment_size: 48
    .language:       OpenCL C
    .language_version:
      - 2
      - 0
    .max_flat_workgroup_size: 256
    .name:           _ZN7rocprim17ROCPRIM_400000_NS6detail17trampoline_kernelINS0_14default_configENS1_38merge_sort_block_merge_config_selectorIiNS0_10empty_typeEEEZZNS1_27merge_sort_block_merge_implIS3_N6thrust23THRUST_200600_302600_NS6detail15normal_iteratorINS9_10device_ptrIiEEEEPS5_jNS1_19radix_merge_compareILb1ELb1EiNS0_19identity_decomposerEEEEE10hipError_tT0_T1_T2_jT3_P12ihipStream_tbPNSt15iterator_traitsISK_E10value_typeEPNSQ_ISL_E10value_typeEPSM_NS1_7vsmem_tEENKUlT_SK_SL_SM_E_clIPiSE_SF_SF_EESJ_SZ_SK_SL_SM_EUlSZ_E1_NS1_11comp_targetILNS1_3genE3ELNS1_11target_archE908ELNS1_3gpuE7ELNS1_3repE0EEENS1_36merge_oddeven_config_static_selectorELNS0_4arch9wavefront6targetE1EEEvSL_
    .private_segment_fixed_size: 0
    .sgpr_count:     6
    .sgpr_spill_count: 0
    .symbol:         _ZN7rocprim17ROCPRIM_400000_NS6detail17trampoline_kernelINS0_14default_configENS1_38merge_sort_block_merge_config_selectorIiNS0_10empty_typeEEEZZNS1_27merge_sort_block_merge_implIS3_N6thrust23THRUST_200600_302600_NS6detail15normal_iteratorINS9_10device_ptrIiEEEEPS5_jNS1_19radix_merge_compareILb1ELb1EiNS0_19identity_decomposerEEEEE10hipError_tT0_T1_T2_jT3_P12ihipStream_tbPNSt15iterator_traitsISK_E10value_typeEPNSQ_ISL_E10value_typeEPSM_NS1_7vsmem_tEENKUlT_SK_SL_SM_E_clIPiSE_SF_SF_EESJ_SZ_SK_SL_SM_EUlSZ_E1_NS1_11comp_targetILNS1_3genE3ELNS1_11target_archE908ELNS1_3gpuE7ELNS1_3repE0EEENS1_36merge_oddeven_config_static_selectorELNS0_4arch9wavefront6targetE1EEEvSL_.kd
    .uniform_work_group_size: 1
    .uses_dynamic_stack: false
    .vgpr_count:     0
    .vgpr_spill_count: 0
    .wavefront_size: 64
  - .agpr_count:     0
    .args:
      - .offset:         0
        .size:           48
        .value_kind:     by_value
    .group_segment_fixed_size: 0
    .kernarg_segment_align: 8
    .kernarg_segment_size: 48
    .language:       OpenCL C
    .language_version:
      - 2
      - 0
    .max_flat_workgroup_size: 256
    .name:           _ZN7rocprim17ROCPRIM_400000_NS6detail17trampoline_kernelINS0_14default_configENS1_38merge_sort_block_merge_config_selectorIiNS0_10empty_typeEEEZZNS1_27merge_sort_block_merge_implIS3_N6thrust23THRUST_200600_302600_NS6detail15normal_iteratorINS9_10device_ptrIiEEEEPS5_jNS1_19radix_merge_compareILb1ELb1EiNS0_19identity_decomposerEEEEE10hipError_tT0_T1_T2_jT3_P12ihipStream_tbPNSt15iterator_traitsISK_E10value_typeEPNSQ_ISL_E10value_typeEPSM_NS1_7vsmem_tEENKUlT_SK_SL_SM_E_clIPiSE_SF_SF_EESJ_SZ_SK_SL_SM_EUlSZ_E1_NS1_11comp_targetILNS1_3genE2ELNS1_11target_archE906ELNS1_3gpuE6ELNS1_3repE0EEENS1_36merge_oddeven_config_static_selectorELNS0_4arch9wavefront6targetE1EEEvSL_
    .private_segment_fixed_size: 0
    .sgpr_count:     6
    .sgpr_spill_count: 0
    .symbol:         _ZN7rocprim17ROCPRIM_400000_NS6detail17trampoline_kernelINS0_14default_configENS1_38merge_sort_block_merge_config_selectorIiNS0_10empty_typeEEEZZNS1_27merge_sort_block_merge_implIS3_N6thrust23THRUST_200600_302600_NS6detail15normal_iteratorINS9_10device_ptrIiEEEEPS5_jNS1_19radix_merge_compareILb1ELb1EiNS0_19identity_decomposerEEEEE10hipError_tT0_T1_T2_jT3_P12ihipStream_tbPNSt15iterator_traitsISK_E10value_typeEPNSQ_ISL_E10value_typeEPSM_NS1_7vsmem_tEENKUlT_SK_SL_SM_E_clIPiSE_SF_SF_EESJ_SZ_SK_SL_SM_EUlSZ_E1_NS1_11comp_targetILNS1_3genE2ELNS1_11target_archE906ELNS1_3gpuE6ELNS1_3repE0EEENS1_36merge_oddeven_config_static_selectorELNS0_4arch9wavefront6targetE1EEEvSL_.kd
    .uniform_work_group_size: 1
    .uses_dynamic_stack: false
    .vgpr_count:     0
    .vgpr_spill_count: 0
    .wavefront_size: 64
  - .agpr_count:     0
    .args:
      - .offset:         0
        .size:           48
        .value_kind:     by_value
    .group_segment_fixed_size: 0
    .kernarg_segment_align: 8
    .kernarg_segment_size: 48
    .language:       OpenCL C
    .language_version:
      - 2
      - 0
    .max_flat_workgroup_size: 256
    .name:           _ZN7rocprim17ROCPRIM_400000_NS6detail17trampoline_kernelINS0_14default_configENS1_38merge_sort_block_merge_config_selectorIiNS0_10empty_typeEEEZZNS1_27merge_sort_block_merge_implIS3_N6thrust23THRUST_200600_302600_NS6detail15normal_iteratorINS9_10device_ptrIiEEEEPS5_jNS1_19radix_merge_compareILb1ELb1EiNS0_19identity_decomposerEEEEE10hipError_tT0_T1_T2_jT3_P12ihipStream_tbPNSt15iterator_traitsISK_E10value_typeEPNSQ_ISL_E10value_typeEPSM_NS1_7vsmem_tEENKUlT_SK_SL_SM_E_clIPiSE_SF_SF_EESJ_SZ_SK_SL_SM_EUlSZ_E1_NS1_11comp_targetILNS1_3genE9ELNS1_11target_archE1100ELNS1_3gpuE3ELNS1_3repE0EEENS1_36merge_oddeven_config_static_selectorELNS0_4arch9wavefront6targetE1EEEvSL_
    .private_segment_fixed_size: 0
    .sgpr_count:     6
    .sgpr_spill_count: 0
    .symbol:         _ZN7rocprim17ROCPRIM_400000_NS6detail17trampoline_kernelINS0_14default_configENS1_38merge_sort_block_merge_config_selectorIiNS0_10empty_typeEEEZZNS1_27merge_sort_block_merge_implIS3_N6thrust23THRUST_200600_302600_NS6detail15normal_iteratorINS9_10device_ptrIiEEEEPS5_jNS1_19radix_merge_compareILb1ELb1EiNS0_19identity_decomposerEEEEE10hipError_tT0_T1_T2_jT3_P12ihipStream_tbPNSt15iterator_traitsISK_E10value_typeEPNSQ_ISL_E10value_typeEPSM_NS1_7vsmem_tEENKUlT_SK_SL_SM_E_clIPiSE_SF_SF_EESJ_SZ_SK_SL_SM_EUlSZ_E1_NS1_11comp_targetILNS1_3genE9ELNS1_11target_archE1100ELNS1_3gpuE3ELNS1_3repE0EEENS1_36merge_oddeven_config_static_selectorELNS0_4arch9wavefront6targetE1EEEvSL_.kd
    .uniform_work_group_size: 1
    .uses_dynamic_stack: false
    .vgpr_count:     0
    .vgpr_spill_count: 0
    .wavefront_size: 64
  - .agpr_count:     0
    .args:
      - .offset:         0
        .size:           48
        .value_kind:     by_value
    .group_segment_fixed_size: 0
    .kernarg_segment_align: 8
    .kernarg_segment_size: 48
    .language:       OpenCL C
    .language_version:
      - 2
      - 0
    .max_flat_workgroup_size: 256
    .name:           _ZN7rocprim17ROCPRIM_400000_NS6detail17trampoline_kernelINS0_14default_configENS1_38merge_sort_block_merge_config_selectorIiNS0_10empty_typeEEEZZNS1_27merge_sort_block_merge_implIS3_N6thrust23THRUST_200600_302600_NS6detail15normal_iteratorINS9_10device_ptrIiEEEEPS5_jNS1_19radix_merge_compareILb1ELb1EiNS0_19identity_decomposerEEEEE10hipError_tT0_T1_T2_jT3_P12ihipStream_tbPNSt15iterator_traitsISK_E10value_typeEPNSQ_ISL_E10value_typeEPSM_NS1_7vsmem_tEENKUlT_SK_SL_SM_E_clIPiSE_SF_SF_EESJ_SZ_SK_SL_SM_EUlSZ_E1_NS1_11comp_targetILNS1_3genE8ELNS1_11target_archE1030ELNS1_3gpuE2ELNS1_3repE0EEENS1_36merge_oddeven_config_static_selectorELNS0_4arch9wavefront6targetE1EEEvSL_
    .private_segment_fixed_size: 0
    .sgpr_count:     6
    .sgpr_spill_count: 0
    .symbol:         _ZN7rocprim17ROCPRIM_400000_NS6detail17trampoline_kernelINS0_14default_configENS1_38merge_sort_block_merge_config_selectorIiNS0_10empty_typeEEEZZNS1_27merge_sort_block_merge_implIS3_N6thrust23THRUST_200600_302600_NS6detail15normal_iteratorINS9_10device_ptrIiEEEEPS5_jNS1_19radix_merge_compareILb1ELb1EiNS0_19identity_decomposerEEEEE10hipError_tT0_T1_T2_jT3_P12ihipStream_tbPNSt15iterator_traitsISK_E10value_typeEPNSQ_ISL_E10value_typeEPSM_NS1_7vsmem_tEENKUlT_SK_SL_SM_E_clIPiSE_SF_SF_EESJ_SZ_SK_SL_SM_EUlSZ_E1_NS1_11comp_targetILNS1_3genE8ELNS1_11target_archE1030ELNS1_3gpuE2ELNS1_3repE0EEENS1_36merge_oddeven_config_static_selectorELNS0_4arch9wavefront6targetE1EEEvSL_.kd
    .uniform_work_group_size: 1
    .uses_dynamic_stack: false
    .vgpr_count:     0
    .vgpr_spill_count: 0
    .wavefront_size: 64
  - .agpr_count:     0
    .args:
      - .offset:         0
        .size:           40
        .value_kind:     by_value
    .group_segment_fixed_size: 0
    .kernarg_segment_align: 8
    .kernarg_segment_size: 40
    .language:       OpenCL C
    .language_version:
      - 2
      - 0
    .max_flat_workgroup_size: 128
    .name:           _ZN7rocprim17ROCPRIM_400000_NS6detail17trampoline_kernelINS0_14default_configENS1_38merge_sort_block_merge_config_selectorIiNS0_10empty_typeEEEZZNS1_27merge_sort_block_merge_implIS3_N6thrust23THRUST_200600_302600_NS6detail15normal_iteratorINS9_10device_ptrIiEEEEPS5_jNS1_19radix_merge_compareILb1ELb1EiNS0_19identity_decomposerEEEEE10hipError_tT0_T1_T2_jT3_P12ihipStream_tbPNSt15iterator_traitsISK_E10value_typeEPNSQ_ISL_E10value_typeEPSM_NS1_7vsmem_tEENKUlT_SK_SL_SM_E_clISE_PiSF_SF_EESJ_SZ_SK_SL_SM_EUlSZ_E_NS1_11comp_targetILNS1_3genE0ELNS1_11target_archE4294967295ELNS1_3gpuE0ELNS1_3repE0EEENS1_48merge_mergepath_partition_config_static_selectorELNS0_4arch9wavefront6targetE1EEEvSL_
    .private_segment_fixed_size: 0
    .sgpr_count:     16
    .sgpr_spill_count: 0
    .symbol:         _ZN7rocprim17ROCPRIM_400000_NS6detail17trampoline_kernelINS0_14default_configENS1_38merge_sort_block_merge_config_selectorIiNS0_10empty_typeEEEZZNS1_27merge_sort_block_merge_implIS3_N6thrust23THRUST_200600_302600_NS6detail15normal_iteratorINS9_10device_ptrIiEEEEPS5_jNS1_19radix_merge_compareILb1ELb1EiNS0_19identity_decomposerEEEEE10hipError_tT0_T1_T2_jT3_P12ihipStream_tbPNSt15iterator_traitsISK_E10value_typeEPNSQ_ISL_E10value_typeEPSM_NS1_7vsmem_tEENKUlT_SK_SL_SM_E_clISE_PiSF_SF_EESJ_SZ_SK_SL_SM_EUlSZ_E_NS1_11comp_targetILNS1_3genE0ELNS1_11target_archE4294967295ELNS1_3gpuE0ELNS1_3repE0EEENS1_48merge_mergepath_partition_config_static_selectorELNS0_4arch9wavefront6targetE1EEEvSL_.kd
    .uniform_work_group_size: 1
    .uses_dynamic_stack: false
    .vgpr_count:     17
    .vgpr_spill_count: 0
    .wavefront_size: 64
  - .agpr_count:     0
    .args:
      - .offset:         0
        .size:           40
        .value_kind:     by_value
    .group_segment_fixed_size: 0
    .kernarg_segment_align: 8
    .kernarg_segment_size: 40
    .language:       OpenCL C
    .language_version:
      - 2
      - 0
    .max_flat_workgroup_size: 128
    .name:           _ZN7rocprim17ROCPRIM_400000_NS6detail17trampoline_kernelINS0_14default_configENS1_38merge_sort_block_merge_config_selectorIiNS0_10empty_typeEEEZZNS1_27merge_sort_block_merge_implIS3_N6thrust23THRUST_200600_302600_NS6detail15normal_iteratorINS9_10device_ptrIiEEEEPS5_jNS1_19radix_merge_compareILb1ELb1EiNS0_19identity_decomposerEEEEE10hipError_tT0_T1_T2_jT3_P12ihipStream_tbPNSt15iterator_traitsISK_E10value_typeEPNSQ_ISL_E10value_typeEPSM_NS1_7vsmem_tEENKUlT_SK_SL_SM_E_clISE_PiSF_SF_EESJ_SZ_SK_SL_SM_EUlSZ_E_NS1_11comp_targetILNS1_3genE10ELNS1_11target_archE1201ELNS1_3gpuE5ELNS1_3repE0EEENS1_48merge_mergepath_partition_config_static_selectorELNS0_4arch9wavefront6targetE1EEEvSL_
    .private_segment_fixed_size: 0
    .sgpr_count:     6
    .sgpr_spill_count: 0
    .symbol:         _ZN7rocprim17ROCPRIM_400000_NS6detail17trampoline_kernelINS0_14default_configENS1_38merge_sort_block_merge_config_selectorIiNS0_10empty_typeEEEZZNS1_27merge_sort_block_merge_implIS3_N6thrust23THRUST_200600_302600_NS6detail15normal_iteratorINS9_10device_ptrIiEEEEPS5_jNS1_19radix_merge_compareILb1ELb1EiNS0_19identity_decomposerEEEEE10hipError_tT0_T1_T2_jT3_P12ihipStream_tbPNSt15iterator_traitsISK_E10value_typeEPNSQ_ISL_E10value_typeEPSM_NS1_7vsmem_tEENKUlT_SK_SL_SM_E_clISE_PiSF_SF_EESJ_SZ_SK_SL_SM_EUlSZ_E_NS1_11comp_targetILNS1_3genE10ELNS1_11target_archE1201ELNS1_3gpuE5ELNS1_3repE0EEENS1_48merge_mergepath_partition_config_static_selectorELNS0_4arch9wavefront6targetE1EEEvSL_.kd
    .uniform_work_group_size: 1
    .uses_dynamic_stack: false
    .vgpr_count:     0
    .vgpr_spill_count: 0
    .wavefront_size: 64
  - .agpr_count:     0
    .args:
      - .offset:         0
        .size:           40
        .value_kind:     by_value
    .group_segment_fixed_size: 0
    .kernarg_segment_align: 8
    .kernarg_segment_size: 40
    .language:       OpenCL C
    .language_version:
      - 2
      - 0
    .max_flat_workgroup_size: 128
    .name:           _ZN7rocprim17ROCPRIM_400000_NS6detail17trampoline_kernelINS0_14default_configENS1_38merge_sort_block_merge_config_selectorIiNS0_10empty_typeEEEZZNS1_27merge_sort_block_merge_implIS3_N6thrust23THRUST_200600_302600_NS6detail15normal_iteratorINS9_10device_ptrIiEEEEPS5_jNS1_19radix_merge_compareILb1ELb1EiNS0_19identity_decomposerEEEEE10hipError_tT0_T1_T2_jT3_P12ihipStream_tbPNSt15iterator_traitsISK_E10value_typeEPNSQ_ISL_E10value_typeEPSM_NS1_7vsmem_tEENKUlT_SK_SL_SM_E_clISE_PiSF_SF_EESJ_SZ_SK_SL_SM_EUlSZ_E_NS1_11comp_targetILNS1_3genE5ELNS1_11target_archE942ELNS1_3gpuE9ELNS1_3repE0EEENS1_48merge_mergepath_partition_config_static_selectorELNS0_4arch9wavefront6targetE1EEEvSL_
    .private_segment_fixed_size: 0
    .sgpr_count:     6
    .sgpr_spill_count: 0
    .symbol:         _ZN7rocprim17ROCPRIM_400000_NS6detail17trampoline_kernelINS0_14default_configENS1_38merge_sort_block_merge_config_selectorIiNS0_10empty_typeEEEZZNS1_27merge_sort_block_merge_implIS3_N6thrust23THRUST_200600_302600_NS6detail15normal_iteratorINS9_10device_ptrIiEEEEPS5_jNS1_19radix_merge_compareILb1ELb1EiNS0_19identity_decomposerEEEEE10hipError_tT0_T1_T2_jT3_P12ihipStream_tbPNSt15iterator_traitsISK_E10value_typeEPNSQ_ISL_E10value_typeEPSM_NS1_7vsmem_tEENKUlT_SK_SL_SM_E_clISE_PiSF_SF_EESJ_SZ_SK_SL_SM_EUlSZ_E_NS1_11comp_targetILNS1_3genE5ELNS1_11target_archE942ELNS1_3gpuE9ELNS1_3repE0EEENS1_48merge_mergepath_partition_config_static_selectorELNS0_4arch9wavefront6targetE1EEEvSL_.kd
    .uniform_work_group_size: 1
    .uses_dynamic_stack: false
    .vgpr_count:     0
    .vgpr_spill_count: 0
    .wavefront_size: 64
  - .agpr_count:     0
    .args:
      - .offset:         0
        .size:           40
        .value_kind:     by_value
    .group_segment_fixed_size: 0
    .kernarg_segment_align: 8
    .kernarg_segment_size: 40
    .language:       OpenCL C
    .language_version:
      - 2
      - 0
    .max_flat_workgroup_size: 128
    .name:           _ZN7rocprim17ROCPRIM_400000_NS6detail17trampoline_kernelINS0_14default_configENS1_38merge_sort_block_merge_config_selectorIiNS0_10empty_typeEEEZZNS1_27merge_sort_block_merge_implIS3_N6thrust23THRUST_200600_302600_NS6detail15normal_iteratorINS9_10device_ptrIiEEEEPS5_jNS1_19radix_merge_compareILb1ELb1EiNS0_19identity_decomposerEEEEE10hipError_tT0_T1_T2_jT3_P12ihipStream_tbPNSt15iterator_traitsISK_E10value_typeEPNSQ_ISL_E10value_typeEPSM_NS1_7vsmem_tEENKUlT_SK_SL_SM_E_clISE_PiSF_SF_EESJ_SZ_SK_SL_SM_EUlSZ_E_NS1_11comp_targetILNS1_3genE4ELNS1_11target_archE910ELNS1_3gpuE8ELNS1_3repE0EEENS1_48merge_mergepath_partition_config_static_selectorELNS0_4arch9wavefront6targetE1EEEvSL_
    .private_segment_fixed_size: 0
    .sgpr_count:     6
    .sgpr_spill_count: 0
    .symbol:         _ZN7rocprim17ROCPRIM_400000_NS6detail17trampoline_kernelINS0_14default_configENS1_38merge_sort_block_merge_config_selectorIiNS0_10empty_typeEEEZZNS1_27merge_sort_block_merge_implIS3_N6thrust23THRUST_200600_302600_NS6detail15normal_iteratorINS9_10device_ptrIiEEEEPS5_jNS1_19radix_merge_compareILb1ELb1EiNS0_19identity_decomposerEEEEE10hipError_tT0_T1_T2_jT3_P12ihipStream_tbPNSt15iterator_traitsISK_E10value_typeEPNSQ_ISL_E10value_typeEPSM_NS1_7vsmem_tEENKUlT_SK_SL_SM_E_clISE_PiSF_SF_EESJ_SZ_SK_SL_SM_EUlSZ_E_NS1_11comp_targetILNS1_3genE4ELNS1_11target_archE910ELNS1_3gpuE8ELNS1_3repE0EEENS1_48merge_mergepath_partition_config_static_selectorELNS0_4arch9wavefront6targetE1EEEvSL_.kd
    .uniform_work_group_size: 1
    .uses_dynamic_stack: false
    .vgpr_count:     0
    .vgpr_spill_count: 0
    .wavefront_size: 64
  - .agpr_count:     0
    .args:
      - .offset:         0
        .size:           40
        .value_kind:     by_value
    .group_segment_fixed_size: 0
    .kernarg_segment_align: 8
    .kernarg_segment_size: 40
    .language:       OpenCL C
    .language_version:
      - 2
      - 0
    .max_flat_workgroup_size: 128
    .name:           _ZN7rocprim17ROCPRIM_400000_NS6detail17trampoline_kernelINS0_14default_configENS1_38merge_sort_block_merge_config_selectorIiNS0_10empty_typeEEEZZNS1_27merge_sort_block_merge_implIS3_N6thrust23THRUST_200600_302600_NS6detail15normal_iteratorINS9_10device_ptrIiEEEEPS5_jNS1_19radix_merge_compareILb1ELb1EiNS0_19identity_decomposerEEEEE10hipError_tT0_T1_T2_jT3_P12ihipStream_tbPNSt15iterator_traitsISK_E10value_typeEPNSQ_ISL_E10value_typeEPSM_NS1_7vsmem_tEENKUlT_SK_SL_SM_E_clISE_PiSF_SF_EESJ_SZ_SK_SL_SM_EUlSZ_E_NS1_11comp_targetILNS1_3genE3ELNS1_11target_archE908ELNS1_3gpuE7ELNS1_3repE0EEENS1_48merge_mergepath_partition_config_static_selectorELNS0_4arch9wavefront6targetE1EEEvSL_
    .private_segment_fixed_size: 0
    .sgpr_count:     6
    .sgpr_spill_count: 0
    .symbol:         _ZN7rocprim17ROCPRIM_400000_NS6detail17trampoline_kernelINS0_14default_configENS1_38merge_sort_block_merge_config_selectorIiNS0_10empty_typeEEEZZNS1_27merge_sort_block_merge_implIS3_N6thrust23THRUST_200600_302600_NS6detail15normal_iteratorINS9_10device_ptrIiEEEEPS5_jNS1_19radix_merge_compareILb1ELb1EiNS0_19identity_decomposerEEEEE10hipError_tT0_T1_T2_jT3_P12ihipStream_tbPNSt15iterator_traitsISK_E10value_typeEPNSQ_ISL_E10value_typeEPSM_NS1_7vsmem_tEENKUlT_SK_SL_SM_E_clISE_PiSF_SF_EESJ_SZ_SK_SL_SM_EUlSZ_E_NS1_11comp_targetILNS1_3genE3ELNS1_11target_archE908ELNS1_3gpuE7ELNS1_3repE0EEENS1_48merge_mergepath_partition_config_static_selectorELNS0_4arch9wavefront6targetE1EEEvSL_.kd
    .uniform_work_group_size: 1
    .uses_dynamic_stack: false
    .vgpr_count:     0
    .vgpr_spill_count: 0
    .wavefront_size: 64
  - .agpr_count:     0
    .args:
      - .offset:         0
        .size:           40
        .value_kind:     by_value
    .group_segment_fixed_size: 0
    .kernarg_segment_align: 8
    .kernarg_segment_size: 40
    .language:       OpenCL C
    .language_version:
      - 2
      - 0
    .max_flat_workgroup_size: 128
    .name:           _ZN7rocprim17ROCPRIM_400000_NS6detail17trampoline_kernelINS0_14default_configENS1_38merge_sort_block_merge_config_selectorIiNS0_10empty_typeEEEZZNS1_27merge_sort_block_merge_implIS3_N6thrust23THRUST_200600_302600_NS6detail15normal_iteratorINS9_10device_ptrIiEEEEPS5_jNS1_19radix_merge_compareILb1ELb1EiNS0_19identity_decomposerEEEEE10hipError_tT0_T1_T2_jT3_P12ihipStream_tbPNSt15iterator_traitsISK_E10value_typeEPNSQ_ISL_E10value_typeEPSM_NS1_7vsmem_tEENKUlT_SK_SL_SM_E_clISE_PiSF_SF_EESJ_SZ_SK_SL_SM_EUlSZ_E_NS1_11comp_targetILNS1_3genE2ELNS1_11target_archE906ELNS1_3gpuE6ELNS1_3repE0EEENS1_48merge_mergepath_partition_config_static_selectorELNS0_4arch9wavefront6targetE1EEEvSL_
    .private_segment_fixed_size: 0
    .sgpr_count:     6
    .sgpr_spill_count: 0
    .symbol:         _ZN7rocprim17ROCPRIM_400000_NS6detail17trampoline_kernelINS0_14default_configENS1_38merge_sort_block_merge_config_selectorIiNS0_10empty_typeEEEZZNS1_27merge_sort_block_merge_implIS3_N6thrust23THRUST_200600_302600_NS6detail15normal_iteratorINS9_10device_ptrIiEEEEPS5_jNS1_19radix_merge_compareILb1ELb1EiNS0_19identity_decomposerEEEEE10hipError_tT0_T1_T2_jT3_P12ihipStream_tbPNSt15iterator_traitsISK_E10value_typeEPNSQ_ISL_E10value_typeEPSM_NS1_7vsmem_tEENKUlT_SK_SL_SM_E_clISE_PiSF_SF_EESJ_SZ_SK_SL_SM_EUlSZ_E_NS1_11comp_targetILNS1_3genE2ELNS1_11target_archE906ELNS1_3gpuE6ELNS1_3repE0EEENS1_48merge_mergepath_partition_config_static_selectorELNS0_4arch9wavefront6targetE1EEEvSL_.kd
    .uniform_work_group_size: 1
    .uses_dynamic_stack: false
    .vgpr_count:     0
    .vgpr_spill_count: 0
    .wavefront_size: 64
  - .agpr_count:     0
    .args:
      - .offset:         0
        .size:           40
        .value_kind:     by_value
    .group_segment_fixed_size: 0
    .kernarg_segment_align: 8
    .kernarg_segment_size: 40
    .language:       OpenCL C
    .language_version:
      - 2
      - 0
    .max_flat_workgroup_size: 128
    .name:           _ZN7rocprim17ROCPRIM_400000_NS6detail17trampoline_kernelINS0_14default_configENS1_38merge_sort_block_merge_config_selectorIiNS0_10empty_typeEEEZZNS1_27merge_sort_block_merge_implIS3_N6thrust23THRUST_200600_302600_NS6detail15normal_iteratorINS9_10device_ptrIiEEEEPS5_jNS1_19radix_merge_compareILb1ELb1EiNS0_19identity_decomposerEEEEE10hipError_tT0_T1_T2_jT3_P12ihipStream_tbPNSt15iterator_traitsISK_E10value_typeEPNSQ_ISL_E10value_typeEPSM_NS1_7vsmem_tEENKUlT_SK_SL_SM_E_clISE_PiSF_SF_EESJ_SZ_SK_SL_SM_EUlSZ_E_NS1_11comp_targetILNS1_3genE9ELNS1_11target_archE1100ELNS1_3gpuE3ELNS1_3repE0EEENS1_48merge_mergepath_partition_config_static_selectorELNS0_4arch9wavefront6targetE1EEEvSL_
    .private_segment_fixed_size: 0
    .sgpr_count:     6
    .sgpr_spill_count: 0
    .symbol:         _ZN7rocprim17ROCPRIM_400000_NS6detail17trampoline_kernelINS0_14default_configENS1_38merge_sort_block_merge_config_selectorIiNS0_10empty_typeEEEZZNS1_27merge_sort_block_merge_implIS3_N6thrust23THRUST_200600_302600_NS6detail15normal_iteratorINS9_10device_ptrIiEEEEPS5_jNS1_19radix_merge_compareILb1ELb1EiNS0_19identity_decomposerEEEEE10hipError_tT0_T1_T2_jT3_P12ihipStream_tbPNSt15iterator_traitsISK_E10value_typeEPNSQ_ISL_E10value_typeEPSM_NS1_7vsmem_tEENKUlT_SK_SL_SM_E_clISE_PiSF_SF_EESJ_SZ_SK_SL_SM_EUlSZ_E_NS1_11comp_targetILNS1_3genE9ELNS1_11target_archE1100ELNS1_3gpuE3ELNS1_3repE0EEENS1_48merge_mergepath_partition_config_static_selectorELNS0_4arch9wavefront6targetE1EEEvSL_.kd
    .uniform_work_group_size: 1
    .uses_dynamic_stack: false
    .vgpr_count:     0
    .vgpr_spill_count: 0
    .wavefront_size: 64
  - .agpr_count:     0
    .args:
      - .offset:         0
        .size:           40
        .value_kind:     by_value
    .group_segment_fixed_size: 0
    .kernarg_segment_align: 8
    .kernarg_segment_size: 40
    .language:       OpenCL C
    .language_version:
      - 2
      - 0
    .max_flat_workgroup_size: 128
    .name:           _ZN7rocprim17ROCPRIM_400000_NS6detail17trampoline_kernelINS0_14default_configENS1_38merge_sort_block_merge_config_selectorIiNS0_10empty_typeEEEZZNS1_27merge_sort_block_merge_implIS3_N6thrust23THRUST_200600_302600_NS6detail15normal_iteratorINS9_10device_ptrIiEEEEPS5_jNS1_19radix_merge_compareILb1ELb1EiNS0_19identity_decomposerEEEEE10hipError_tT0_T1_T2_jT3_P12ihipStream_tbPNSt15iterator_traitsISK_E10value_typeEPNSQ_ISL_E10value_typeEPSM_NS1_7vsmem_tEENKUlT_SK_SL_SM_E_clISE_PiSF_SF_EESJ_SZ_SK_SL_SM_EUlSZ_E_NS1_11comp_targetILNS1_3genE8ELNS1_11target_archE1030ELNS1_3gpuE2ELNS1_3repE0EEENS1_48merge_mergepath_partition_config_static_selectorELNS0_4arch9wavefront6targetE1EEEvSL_
    .private_segment_fixed_size: 0
    .sgpr_count:     6
    .sgpr_spill_count: 0
    .symbol:         _ZN7rocprim17ROCPRIM_400000_NS6detail17trampoline_kernelINS0_14default_configENS1_38merge_sort_block_merge_config_selectorIiNS0_10empty_typeEEEZZNS1_27merge_sort_block_merge_implIS3_N6thrust23THRUST_200600_302600_NS6detail15normal_iteratorINS9_10device_ptrIiEEEEPS5_jNS1_19radix_merge_compareILb1ELb1EiNS0_19identity_decomposerEEEEE10hipError_tT0_T1_T2_jT3_P12ihipStream_tbPNSt15iterator_traitsISK_E10value_typeEPNSQ_ISL_E10value_typeEPSM_NS1_7vsmem_tEENKUlT_SK_SL_SM_E_clISE_PiSF_SF_EESJ_SZ_SK_SL_SM_EUlSZ_E_NS1_11comp_targetILNS1_3genE8ELNS1_11target_archE1030ELNS1_3gpuE2ELNS1_3repE0EEENS1_48merge_mergepath_partition_config_static_selectorELNS0_4arch9wavefront6targetE1EEEvSL_.kd
    .uniform_work_group_size: 1
    .uses_dynamic_stack: false
    .vgpr_count:     0
    .vgpr_spill_count: 0
    .wavefront_size: 64
  - .agpr_count:     0
    .args:
      - .offset:         0
        .size:           64
        .value_kind:     by_value
      - .offset:         64
        .size:           4
        .value_kind:     hidden_block_count_x
      - .offset:         68
        .size:           4
        .value_kind:     hidden_block_count_y
      - .offset:         72
        .size:           4
        .value_kind:     hidden_block_count_z
      - .offset:         76
        .size:           2
        .value_kind:     hidden_group_size_x
      - .offset:         78
        .size:           2
        .value_kind:     hidden_group_size_y
      - .offset:         80
        .size:           2
        .value_kind:     hidden_group_size_z
      - .offset:         82
        .size:           2
        .value_kind:     hidden_remainder_x
      - .offset:         84
        .size:           2
        .value_kind:     hidden_remainder_y
      - .offset:         86
        .size:           2
        .value_kind:     hidden_remainder_z
      - .offset:         104
        .size:           8
        .value_kind:     hidden_global_offset_x
      - .offset:         112
        .size:           8
        .value_kind:     hidden_global_offset_y
      - .offset:         120
        .size:           8
        .value_kind:     hidden_global_offset_z
      - .offset:         128
        .size:           2
        .value_kind:     hidden_grid_dims
    .group_segment_fixed_size: 4224
    .kernarg_segment_align: 8
    .kernarg_segment_size: 320
    .language:       OpenCL C
    .language_version:
      - 2
      - 0
    .max_flat_workgroup_size: 128
    .name:           _ZN7rocprim17ROCPRIM_400000_NS6detail17trampoline_kernelINS0_14default_configENS1_38merge_sort_block_merge_config_selectorIiNS0_10empty_typeEEEZZNS1_27merge_sort_block_merge_implIS3_N6thrust23THRUST_200600_302600_NS6detail15normal_iteratorINS9_10device_ptrIiEEEEPS5_jNS1_19radix_merge_compareILb1ELb1EiNS0_19identity_decomposerEEEEE10hipError_tT0_T1_T2_jT3_P12ihipStream_tbPNSt15iterator_traitsISK_E10value_typeEPNSQ_ISL_E10value_typeEPSM_NS1_7vsmem_tEENKUlT_SK_SL_SM_E_clISE_PiSF_SF_EESJ_SZ_SK_SL_SM_EUlSZ_E0_NS1_11comp_targetILNS1_3genE0ELNS1_11target_archE4294967295ELNS1_3gpuE0ELNS1_3repE0EEENS1_38merge_mergepath_config_static_selectorELNS0_4arch9wavefront6targetE1EEEvSL_
    .private_segment_fixed_size: 0
    .sgpr_count:     31
    .sgpr_spill_count: 0
    .symbol:         _ZN7rocprim17ROCPRIM_400000_NS6detail17trampoline_kernelINS0_14default_configENS1_38merge_sort_block_merge_config_selectorIiNS0_10empty_typeEEEZZNS1_27merge_sort_block_merge_implIS3_N6thrust23THRUST_200600_302600_NS6detail15normal_iteratorINS9_10device_ptrIiEEEEPS5_jNS1_19radix_merge_compareILb1ELb1EiNS0_19identity_decomposerEEEEE10hipError_tT0_T1_T2_jT3_P12ihipStream_tbPNSt15iterator_traitsISK_E10value_typeEPNSQ_ISL_E10value_typeEPSM_NS1_7vsmem_tEENKUlT_SK_SL_SM_E_clISE_PiSF_SF_EESJ_SZ_SK_SL_SM_EUlSZ_E0_NS1_11comp_targetILNS1_3genE0ELNS1_11target_archE4294967295ELNS1_3gpuE0ELNS1_3repE0EEENS1_38merge_mergepath_config_static_selectorELNS0_4arch9wavefront6targetE1EEEvSL_.kd
    .uniform_work_group_size: 1
    .uses_dynamic_stack: false
    .vgpr_count:     26
    .vgpr_spill_count: 0
    .wavefront_size: 64
  - .agpr_count:     0
    .args:
      - .offset:         0
        .size:           64
        .value_kind:     by_value
    .group_segment_fixed_size: 0
    .kernarg_segment_align: 8
    .kernarg_segment_size: 64
    .language:       OpenCL C
    .language_version:
      - 2
      - 0
    .max_flat_workgroup_size: 256
    .name:           _ZN7rocprim17ROCPRIM_400000_NS6detail17trampoline_kernelINS0_14default_configENS1_38merge_sort_block_merge_config_selectorIiNS0_10empty_typeEEEZZNS1_27merge_sort_block_merge_implIS3_N6thrust23THRUST_200600_302600_NS6detail15normal_iteratorINS9_10device_ptrIiEEEEPS5_jNS1_19radix_merge_compareILb1ELb1EiNS0_19identity_decomposerEEEEE10hipError_tT0_T1_T2_jT3_P12ihipStream_tbPNSt15iterator_traitsISK_E10value_typeEPNSQ_ISL_E10value_typeEPSM_NS1_7vsmem_tEENKUlT_SK_SL_SM_E_clISE_PiSF_SF_EESJ_SZ_SK_SL_SM_EUlSZ_E0_NS1_11comp_targetILNS1_3genE10ELNS1_11target_archE1201ELNS1_3gpuE5ELNS1_3repE0EEENS1_38merge_mergepath_config_static_selectorELNS0_4arch9wavefront6targetE1EEEvSL_
    .private_segment_fixed_size: 0
    .sgpr_count:     6
    .sgpr_spill_count: 0
    .symbol:         _ZN7rocprim17ROCPRIM_400000_NS6detail17trampoline_kernelINS0_14default_configENS1_38merge_sort_block_merge_config_selectorIiNS0_10empty_typeEEEZZNS1_27merge_sort_block_merge_implIS3_N6thrust23THRUST_200600_302600_NS6detail15normal_iteratorINS9_10device_ptrIiEEEEPS5_jNS1_19radix_merge_compareILb1ELb1EiNS0_19identity_decomposerEEEEE10hipError_tT0_T1_T2_jT3_P12ihipStream_tbPNSt15iterator_traitsISK_E10value_typeEPNSQ_ISL_E10value_typeEPSM_NS1_7vsmem_tEENKUlT_SK_SL_SM_E_clISE_PiSF_SF_EESJ_SZ_SK_SL_SM_EUlSZ_E0_NS1_11comp_targetILNS1_3genE10ELNS1_11target_archE1201ELNS1_3gpuE5ELNS1_3repE0EEENS1_38merge_mergepath_config_static_selectorELNS0_4arch9wavefront6targetE1EEEvSL_.kd
    .uniform_work_group_size: 1
    .uses_dynamic_stack: false
    .vgpr_count:     0
    .vgpr_spill_count: 0
    .wavefront_size: 64
  - .agpr_count:     0
    .args:
      - .offset:         0
        .size:           64
        .value_kind:     by_value
    .group_segment_fixed_size: 0
    .kernarg_segment_align: 8
    .kernarg_segment_size: 64
    .language:       OpenCL C
    .language_version:
      - 2
      - 0
    .max_flat_workgroup_size: 128
    .name:           _ZN7rocprim17ROCPRIM_400000_NS6detail17trampoline_kernelINS0_14default_configENS1_38merge_sort_block_merge_config_selectorIiNS0_10empty_typeEEEZZNS1_27merge_sort_block_merge_implIS3_N6thrust23THRUST_200600_302600_NS6detail15normal_iteratorINS9_10device_ptrIiEEEEPS5_jNS1_19radix_merge_compareILb1ELb1EiNS0_19identity_decomposerEEEEE10hipError_tT0_T1_T2_jT3_P12ihipStream_tbPNSt15iterator_traitsISK_E10value_typeEPNSQ_ISL_E10value_typeEPSM_NS1_7vsmem_tEENKUlT_SK_SL_SM_E_clISE_PiSF_SF_EESJ_SZ_SK_SL_SM_EUlSZ_E0_NS1_11comp_targetILNS1_3genE5ELNS1_11target_archE942ELNS1_3gpuE9ELNS1_3repE0EEENS1_38merge_mergepath_config_static_selectorELNS0_4arch9wavefront6targetE1EEEvSL_
    .private_segment_fixed_size: 0
    .sgpr_count:     6
    .sgpr_spill_count: 0
    .symbol:         _ZN7rocprim17ROCPRIM_400000_NS6detail17trampoline_kernelINS0_14default_configENS1_38merge_sort_block_merge_config_selectorIiNS0_10empty_typeEEEZZNS1_27merge_sort_block_merge_implIS3_N6thrust23THRUST_200600_302600_NS6detail15normal_iteratorINS9_10device_ptrIiEEEEPS5_jNS1_19radix_merge_compareILb1ELb1EiNS0_19identity_decomposerEEEEE10hipError_tT0_T1_T2_jT3_P12ihipStream_tbPNSt15iterator_traitsISK_E10value_typeEPNSQ_ISL_E10value_typeEPSM_NS1_7vsmem_tEENKUlT_SK_SL_SM_E_clISE_PiSF_SF_EESJ_SZ_SK_SL_SM_EUlSZ_E0_NS1_11comp_targetILNS1_3genE5ELNS1_11target_archE942ELNS1_3gpuE9ELNS1_3repE0EEENS1_38merge_mergepath_config_static_selectorELNS0_4arch9wavefront6targetE1EEEvSL_.kd
    .uniform_work_group_size: 1
    .uses_dynamic_stack: false
    .vgpr_count:     0
    .vgpr_spill_count: 0
    .wavefront_size: 64
  - .agpr_count:     0
    .args:
      - .offset:         0
        .size:           64
        .value_kind:     by_value
    .group_segment_fixed_size: 0
    .kernarg_segment_align: 8
    .kernarg_segment_size: 64
    .language:       OpenCL C
    .language_version:
      - 2
      - 0
    .max_flat_workgroup_size: 128
    .name:           _ZN7rocprim17ROCPRIM_400000_NS6detail17trampoline_kernelINS0_14default_configENS1_38merge_sort_block_merge_config_selectorIiNS0_10empty_typeEEEZZNS1_27merge_sort_block_merge_implIS3_N6thrust23THRUST_200600_302600_NS6detail15normal_iteratorINS9_10device_ptrIiEEEEPS5_jNS1_19radix_merge_compareILb1ELb1EiNS0_19identity_decomposerEEEEE10hipError_tT0_T1_T2_jT3_P12ihipStream_tbPNSt15iterator_traitsISK_E10value_typeEPNSQ_ISL_E10value_typeEPSM_NS1_7vsmem_tEENKUlT_SK_SL_SM_E_clISE_PiSF_SF_EESJ_SZ_SK_SL_SM_EUlSZ_E0_NS1_11comp_targetILNS1_3genE4ELNS1_11target_archE910ELNS1_3gpuE8ELNS1_3repE0EEENS1_38merge_mergepath_config_static_selectorELNS0_4arch9wavefront6targetE1EEEvSL_
    .private_segment_fixed_size: 0
    .sgpr_count:     6
    .sgpr_spill_count: 0
    .symbol:         _ZN7rocprim17ROCPRIM_400000_NS6detail17trampoline_kernelINS0_14default_configENS1_38merge_sort_block_merge_config_selectorIiNS0_10empty_typeEEEZZNS1_27merge_sort_block_merge_implIS3_N6thrust23THRUST_200600_302600_NS6detail15normal_iteratorINS9_10device_ptrIiEEEEPS5_jNS1_19radix_merge_compareILb1ELb1EiNS0_19identity_decomposerEEEEE10hipError_tT0_T1_T2_jT3_P12ihipStream_tbPNSt15iterator_traitsISK_E10value_typeEPNSQ_ISL_E10value_typeEPSM_NS1_7vsmem_tEENKUlT_SK_SL_SM_E_clISE_PiSF_SF_EESJ_SZ_SK_SL_SM_EUlSZ_E0_NS1_11comp_targetILNS1_3genE4ELNS1_11target_archE910ELNS1_3gpuE8ELNS1_3repE0EEENS1_38merge_mergepath_config_static_selectorELNS0_4arch9wavefront6targetE1EEEvSL_.kd
    .uniform_work_group_size: 1
    .uses_dynamic_stack: false
    .vgpr_count:     0
    .vgpr_spill_count: 0
    .wavefront_size: 64
  - .agpr_count:     0
    .args:
      - .offset:         0
        .size:           64
        .value_kind:     by_value
    .group_segment_fixed_size: 0
    .kernarg_segment_align: 8
    .kernarg_segment_size: 64
    .language:       OpenCL C
    .language_version:
      - 2
      - 0
    .max_flat_workgroup_size: 128
    .name:           _ZN7rocprim17ROCPRIM_400000_NS6detail17trampoline_kernelINS0_14default_configENS1_38merge_sort_block_merge_config_selectorIiNS0_10empty_typeEEEZZNS1_27merge_sort_block_merge_implIS3_N6thrust23THRUST_200600_302600_NS6detail15normal_iteratorINS9_10device_ptrIiEEEEPS5_jNS1_19radix_merge_compareILb1ELb1EiNS0_19identity_decomposerEEEEE10hipError_tT0_T1_T2_jT3_P12ihipStream_tbPNSt15iterator_traitsISK_E10value_typeEPNSQ_ISL_E10value_typeEPSM_NS1_7vsmem_tEENKUlT_SK_SL_SM_E_clISE_PiSF_SF_EESJ_SZ_SK_SL_SM_EUlSZ_E0_NS1_11comp_targetILNS1_3genE3ELNS1_11target_archE908ELNS1_3gpuE7ELNS1_3repE0EEENS1_38merge_mergepath_config_static_selectorELNS0_4arch9wavefront6targetE1EEEvSL_
    .private_segment_fixed_size: 0
    .sgpr_count:     6
    .sgpr_spill_count: 0
    .symbol:         _ZN7rocprim17ROCPRIM_400000_NS6detail17trampoline_kernelINS0_14default_configENS1_38merge_sort_block_merge_config_selectorIiNS0_10empty_typeEEEZZNS1_27merge_sort_block_merge_implIS3_N6thrust23THRUST_200600_302600_NS6detail15normal_iteratorINS9_10device_ptrIiEEEEPS5_jNS1_19radix_merge_compareILb1ELb1EiNS0_19identity_decomposerEEEEE10hipError_tT0_T1_T2_jT3_P12ihipStream_tbPNSt15iterator_traitsISK_E10value_typeEPNSQ_ISL_E10value_typeEPSM_NS1_7vsmem_tEENKUlT_SK_SL_SM_E_clISE_PiSF_SF_EESJ_SZ_SK_SL_SM_EUlSZ_E0_NS1_11comp_targetILNS1_3genE3ELNS1_11target_archE908ELNS1_3gpuE7ELNS1_3repE0EEENS1_38merge_mergepath_config_static_selectorELNS0_4arch9wavefront6targetE1EEEvSL_.kd
    .uniform_work_group_size: 1
    .uses_dynamic_stack: false
    .vgpr_count:     0
    .vgpr_spill_count: 0
    .wavefront_size: 64
  - .agpr_count:     0
    .args:
      - .offset:         0
        .size:           64
        .value_kind:     by_value
    .group_segment_fixed_size: 0
    .kernarg_segment_align: 8
    .kernarg_segment_size: 64
    .language:       OpenCL C
    .language_version:
      - 2
      - 0
    .max_flat_workgroup_size: 128
    .name:           _ZN7rocprim17ROCPRIM_400000_NS6detail17trampoline_kernelINS0_14default_configENS1_38merge_sort_block_merge_config_selectorIiNS0_10empty_typeEEEZZNS1_27merge_sort_block_merge_implIS3_N6thrust23THRUST_200600_302600_NS6detail15normal_iteratorINS9_10device_ptrIiEEEEPS5_jNS1_19radix_merge_compareILb1ELb1EiNS0_19identity_decomposerEEEEE10hipError_tT0_T1_T2_jT3_P12ihipStream_tbPNSt15iterator_traitsISK_E10value_typeEPNSQ_ISL_E10value_typeEPSM_NS1_7vsmem_tEENKUlT_SK_SL_SM_E_clISE_PiSF_SF_EESJ_SZ_SK_SL_SM_EUlSZ_E0_NS1_11comp_targetILNS1_3genE2ELNS1_11target_archE906ELNS1_3gpuE6ELNS1_3repE0EEENS1_38merge_mergepath_config_static_selectorELNS0_4arch9wavefront6targetE1EEEvSL_
    .private_segment_fixed_size: 0
    .sgpr_count:     6
    .sgpr_spill_count: 0
    .symbol:         _ZN7rocprim17ROCPRIM_400000_NS6detail17trampoline_kernelINS0_14default_configENS1_38merge_sort_block_merge_config_selectorIiNS0_10empty_typeEEEZZNS1_27merge_sort_block_merge_implIS3_N6thrust23THRUST_200600_302600_NS6detail15normal_iteratorINS9_10device_ptrIiEEEEPS5_jNS1_19radix_merge_compareILb1ELb1EiNS0_19identity_decomposerEEEEE10hipError_tT0_T1_T2_jT3_P12ihipStream_tbPNSt15iterator_traitsISK_E10value_typeEPNSQ_ISL_E10value_typeEPSM_NS1_7vsmem_tEENKUlT_SK_SL_SM_E_clISE_PiSF_SF_EESJ_SZ_SK_SL_SM_EUlSZ_E0_NS1_11comp_targetILNS1_3genE2ELNS1_11target_archE906ELNS1_3gpuE6ELNS1_3repE0EEENS1_38merge_mergepath_config_static_selectorELNS0_4arch9wavefront6targetE1EEEvSL_.kd
    .uniform_work_group_size: 1
    .uses_dynamic_stack: false
    .vgpr_count:     0
    .vgpr_spill_count: 0
    .wavefront_size: 64
  - .agpr_count:     0
    .args:
      - .offset:         0
        .size:           64
        .value_kind:     by_value
    .group_segment_fixed_size: 0
    .kernarg_segment_align: 8
    .kernarg_segment_size: 64
    .language:       OpenCL C
    .language_version:
      - 2
      - 0
    .max_flat_workgroup_size: 256
    .name:           _ZN7rocprim17ROCPRIM_400000_NS6detail17trampoline_kernelINS0_14default_configENS1_38merge_sort_block_merge_config_selectorIiNS0_10empty_typeEEEZZNS1_27merge_sort_block_merge_implIS3_N6thrust23THRUST_200600_302600_NS6detail15normal_iteratorINS9_10device_ptrIiEEEEPS5_jNS1_19radix_merge_compareILb1ELb1EiNS0_19identity_decomposerEEEEE10hipError_tT0_T1_T2_jT3_P12ihipStream_tbPNSt15iterator_traitsISK_E10value_typeEPNSQ_ISL_E10value_typeEPSM_NS1_7vsmem_tEENKUlT_SK_SL_SM_E_clISE_PiSF_SF_EESJ_SZ_SK_SL_SM_EUlSZ_E0_NS1_11comp_targetILNS1_3genE9ELNS1_11target_archE1100ELNS1_3gpuE3ELNS1_3repE0EEENS1_38merge_mergepath_config_static_selectorELNS0_4arch9wavefront6targetE1EEEvSL_
    .private_segment_fixed_size: 0
    .sgpr_count:     6
    .sgpr_spill_count: 0
    .symbol:         _ZN7rocprim17ROCPRIM_400000_NS6detail17trampoline_kernelINS0_14default_configENS1_38merge_sort_block_merge_config_selectorIiNS0_10empty_typeEEEZZNS1_27merge_sort_block_merge_implIS3_N6thrust23THRUST_200600_302600_NS6detail15normal_iteratorINS9_10device_ptrIiEEEEPS5_jNS1_19radix_merge_compareILb1ELb1EiNS0_19identity_decomposerEEEEE10hipError_tT0_T1_T2_jT3_P12ihipStream_tbPNSt15iterator_traitsISK_E10value_typeEPNSQ_ISL_E10value_typeEPSM_NS1_7vsmem_tEENKUlT_SK_SL_SM_E_clISE_PiSF_SF_EESJ_SZ_SK_SL_SM_EUlSZ_E0_NS1_11comp_targetILNS1_3genE9ELNS1_11target_archE1100ELNS1_3gpuE3ELNS1_3repE0EEENS1_38merge_mergepath_config_static_selectorELNS0_4arch9wavefront6targetE1EEEvSL_.kd
    .uniform_work_group_size: 1
    .uses_dynamic_stack: false
    .vgpr_count:     0
    .vgpr_spill_count: 0
    .wavefront_size: 64
  - .agpr_count:     0
    .args:
      - .offset:         0
        .size:           64
        .value_kind:     by_value
    .group_segment_fixed_size: 0
    .kernarg_segment_align: 8
    .kernarg_segment_size: 64
    .language:       OpenCL C
    .language_version:
      - 2
      - 0
    .max_flat_workgroup_size: 512
    .name:           _ZN7rocprim17ROCPRIM_400000_NS6detail17trampoline_kernelINS0_14default_configENS1_38merge_sort_block_merge_config_selectorIiNS0_10empty_typeEEEZZNS1_27merge_sort_block_merge_implIS3_N6thrust23THRUST_200600_302600_NS6detail15normal_iteratorINS9_10device_ptrIiEEEEPS5_jNS1_19radix_merge_compareILb1ELb1EiNS0_19identity_decomposerEEEEE10hipError_tT0_T1_T2_jT3_P12ihipStream_tbPNSt15iterator_traitsISK_E10value_typeEPNSQ_ISL_E10value_typeEPSM_NS1_7vsmem_tEENKUlT_SK_SL_SM_E_clISE_PiSF_SF_EESJ_SZ_SK_SL_SM_EUlSZ_E0_NS1_11comp_targetILNS1_3genE8ELNS1_11target_archE1030ELNS1_3gpuE2ELNS1_3repE0EEENS1_38merge_mergepath_config_static_selectorELNS0_4arch9wavefront6targetE1EEEvSL_
    .private_segment_fixed_size: 0
    .sgpr_count:     6
    .sgpr_spill_count: 0
    .symbol:         _ZN7rocprim17ROCPRIM_400000_NS6detail17trampoline_kernelINS0_14default_configENS1_38merge_sort_block_merge_config_selectorIiNS0_10empty_typeEEEZZNS1_27merge_sort_block_merge_implIS3_N6thrust23THRUST_200600_302600_NS6detail15normal_iteratorINS9_10device_ptrIiEEEEPS5_jNS1_19radix_merge_compareILb1ELb1EiNS0_19identity_decomposerEEEEE10hipError_tT0_T1_T2_jT3_P12ihipStream_tbPNSt15iterator_traitsISK_E10value_typeEPNSQ_ISL_E10value_typeEPSM_NS1_7vsmem_tEENKUlT_SK_SL_SM_E_clISE_PiSF_SF_EESJ_SZ_SK_SL_SM_EUlSZ_E0_NS1_11comp_targetILNS1_3genE8ELNS1_11target_archE1030ELNS1_3gpuE2ELNS1_3repE0EEENS1_38merge_mergepath_config_static_selectorELNS0_4arch9wavefront6targetE1EEEvSL_.kd
    .uniform_work_group_size: 1
    .uses_dynamic_stack: false
    .vgpr_count:     0
    .vgpr_spill_count: 0
    .wavefront_size: 64
  - .agpr_count:     0
    .args:
      - .offset:         0
        .size:           48
        .value_kind:     by_value
    .group_segment_fixed_size: 0
    .kernarg_segment_align: 8
    .kernarg_segment_size: 48
    .language:       OpenCL C
    .language_version:
      - 2
      - 0
    .max_flat_workgroup_size: 256
    .name:           _ZN7rocprim17ROCPRIM_400000_NS6detail17trampoline_kernelINS0_14default_configENS1_38merge_sort_block_merge_config_selectorIiNS0_10empty_typeEEEZZNS1_27merge_sort_block_merge_implIS3_N6thrust23THRUST_200600_302600_NS6detail15normal_iteratorINS9_10device_ptrIiEEEEPS5_jNS1_19radix_merge_compareILb1ELb1EiNS0_19identity_decomposerEEEEE10hipError_tT0_T1_T2_jT3_P12ihipStream_tbPNSt15iterator_traitsISK_E10value_typeEPNSQ_ISL_E10value_typeEPSM_NS1_7vsmem_tEENKUlT_SK_SL_SM_E_clISE_PiSF_SF_EESJ_SZ_SK_SL_SM_EUlSZ_E1_NS1_11comp_targetILNS1_3genE0ELNS1_11target_archE4294967295ELNS1_3gpuE0ELNS1_3repE0EEENS1_36merge_oddeven_config_static_selectorELNS0_4arch9wavefront6targetE1EEEvSL_
    .private_segment_fixed_size: 0
    .sgpr_count:     27
    .sgpr_spill_count: 0
    .symbol:         _ZN7rocprim17ROCPRIM_400000_NS6detail17trampoline_kernelINS0_14default_configENS1_38merge_sort_block_merge_config_selectorIiNS0_10empty_typeEEEZZNS1_27merge_sort_block_merge_implIS3_N6thrust23THRUST_200600_302600_NS6detail15normal_iteratorINS9_10device_ptrIiEEEEPS5_jNS1_19radix_merge_compareILb1ELb1EiNS0_19identity_decomposerEEEEE10hipError_tT0_T1_T2_jT3_P12ihipStream_tbPNSt15iterator_traitsISK_E10value_typeEPNSQ_ISL_E10value_typeEPSM_NS1_7vsmem_tEENKUlT_SK_SL_SM_E_clISE_PiSF_SF_EESJ_SZ_SK_SL_SM_EUlSZ_E1_NS1_11comp_targetILNS1_3genE0ELNS1_11target_archE4294967295ELNS1_3gpuE0ELNS1_3repE0EEENS1_36merge_oddeven_config_static_selectorELNS0_4arch9wavefront6targetE1EEEvSL_.kd
    .uniform_work_group_size: 1
    .uses_dynamic_stack: false
    .vgpr_count:     10
    .vgpr_spill_count: 0
    .wavefront_size: 64
  - .agpr_count:     0
    .args:
      - .offset:         0
        .size:           48
        .value_kind:     by_value
    .group_segment_fixed_size: 0
    .kernarg_segment_align: 8
    .kernarg_segment_size: 48
    .language:       OpenCL C
    .language_version:
      - 2
      - 0
    .max_flat_workgroup_size: 256
    .name:           _ZN7rocprim17ROCPRIM_400000_NS6detail17trampoline_kernelINS0_14default_configENS1_38merge_sort_block_merge_config_selectorIiNS0_10empty_typeEEEZZNS1_27merge_sort_block_merge_implIS3_N6thrust23THRUST_200600_302600_NS6detail15normal_iteratorINS9_10device_ptrIiEEEEPS5_jNS1_19radix_merge_compareILb1ELb1EiNS0_19identity_decomposerEEEEE10hipError_tT0_T1_T2_jT3_P12ihipStream_tbPNSt15iterator_traitsISK_E10value_typeEPNSQ_ISL_E10value_typeEPSM_NS1_7vsmem_tEENKUlT_SK_SL_SM_E_clISE_PiSF_SF_EESJ_SZ_SK_SL_SM_EUlSZ_E1_NS1_11comp_targetILNS1_3genE10ELNS1_11target_archE1201ELNS1_3gpuE5ELNS1_3repE0EEENS1_36merge_oddeven_config_static_selectorELNS0_4arch9wavefront6targetE1EEEvSL_
    .private_segment_fixed_size: 0
    .sgpr_count:     6
    .sgpr_spill_count: 0
    .symbol:         _ZN7rocprim17ROCPRIM_400000_NS6detail17trampoline_kernelINS0_14default_configENS1_38merge_sort_block_merge_config_selectorIiNS0_10empty_typeEEEZZNS1_27merge_sort_block_merge_implIS3_N6thrust23THRUST_200600_302600_NS6detail15normal_iteratorINS9_10device_ptrIiEEEEPS5_jNS1_19radix_merge_compareILb1ELb1EiNS0_19identity_decomposerEEEEE10hipError_tT0_T1_T2_jT3_P12ihipStream_tbPNSt15iterator_traitsISK_E10value_typeEPNSQ_ISL_E10value_typeEPSM_NS1_7vsmem_tEENKUlT_SK_SL_SM_E_clISE_PiSF_SF_EESJ_SZ_SK_SL_SM_EUlSZ_E1_NS1_11comp_targetILNS1_3genE10ELNS1_11target_archE1201ELNS1_3gpuE5ELNS1_3repE0EEENS1_36merge_oddeven_config_static_selectorELNS0_4arch9wavefront6targetE1EEEvSL_.kd
    .uniform_work_group_size: 1
    .uses_dynamic_stack: false
    .vgpr_count:     0
    .vgpr_spill_count: 0
    .wavefront_size: 64
  - .agpr_count:     0
    .args:
      - .offset:         0
        .size:           48
        .value_kind:     by_value
    .group_segment_fixed_size: 0
    .kernarg_segment_align: 8
    .kernarg_segment_size: 48
    .language:       OpenCL C
    .language_version:
      - 2
      - 0
    .max_flat_workgroup_size: 256
    .name:           _ZN7rocprim17ROCPRIM_400000_NS6detail17trampoline_kernelINS0_14default_configENS1_38merge_sort_block_merge_config_selectorIiNS0_10empty_typeEEEZZNS1_27merge_sort_block_merge_implIS3_N6thrust23THRUST_200600_302600_NS6detail15normal_iteratorINS9_10device_ptrIiEEEEPS5_jNS1_19radix_merge_compareILb1ELb1EiNS0_19identity_decomposerEEEEE10hipError_tT0_T1_T2_jT3_P12ihipStream_tbPNSt15iterator_traitsISK_E10value_typeEPNSQ_ISL_E10value_typeEPSM_NS1_7vsmem_tEENKUlT_SK_SL_SM_E_clISE_PiSF_SF_EESJ_SZ_SK_SL_SM_EUlSZ_E1_NS1_11comp_targetILNS1_3genE5ELNS1_11target_archE942ELNS1_3gpuE9ELNS1_3repE0EEENS1_36merge_oddeven_config_static_selectorELNS0_4arch9wavefront6targetE1EEEvSL_
    .private_segment_fixed_size: 0
    .sgpr_count:     6
    .sgpr_spill_count: 0
    .symbol:         _ZN7rocprim17ROCPRIM_400000_NS6detail17trampoline_kernelINS0_14default_configENS1_38merge_sort_block_merge_config_selectorIiNS0_10empty_typeEEEZZNS1_27merge_sort_block_merge_implIS3_N6thrust23THRUST_200600_302600_NS6detail15normal_iteratorINS9_10device_ptrIiEEEEPS5_jNS1_19radix_merge_compareILb1ELb1EiNS0_19identity_decomposerEEEEE10hipError_tT0_T1_T2_jT3_P12ihipStream_tbPNSt15iterator_traitsISK_E10value_typeEPNSQ_ISL_E10value_typeEPSM_NS1_7vsmem_tEENKUlT_SK_SL_SM_E_clISE_PiSF_SF_EESJ_SZ_SK_SL_SM_EUlSZ_E1_NS1_11comp_targetILNS1_3genE5ELNS1_11target_archE942ELNS1_3gpuE9ELNS1_3repE0EEENS1_36merge_oddeven_config_static_selectorELNS0_4arch9wavefront6targetE1EEEvSL_.kd
    .uniform_work_group_size: 1
    .uses_dynamic_stack: false
    .vgpr_count:     0
    .vgpr_spill_count: 0
    .wavefront_size: 64
  - .agpr_count:     0
    .args:
      - .offset:         0
        .size:           48
        .value_kind:     by_value
    .group_segment_fixed_size: 0
    .kernarg_segment_align: 8
    .kernarg_segment_size: 48
    .language:       OpenCL C
    .language_version:
      - 2
      - 0
    .max_flat_workgroup_size: 256
    .name:           _ZN7rocprim17ROCPRIM_400000_NS6detail17trampoline_kernelINS0_14default_configENS1_38merge_sort_block_merge_config_selectorIiNS0_10empty_typeEEEZZNS1_27merge_sort_block_merge_implIS3_N6thrust23THRUST_200600_302600_NS6detail15normal_iteratorINS9_10device_ptrIiEEEEPS5_jNS1_19radix_merge_compareILb1ELb1EiNS0_19identity_decomposerEEEEE10hipError_tT0_T1_T2_jT3_P12ihipStream_tbPNSt15iterator_traitsISK_E10value_typeEPNSQ_ISL_E10value_typeEPSM_NS1_7vsmem_tEENKUlT_SK_SL_SM_E_clISE_PiSF_SF_EESJ_SZ_SK_SL_SM_EUlSZ_E1_NS1_11comp_targetILNS1_3genE4ELNS1_11target_archE910ELNS1_3gpuE8ELNS1_3repE0EEENS1_36merge_oddeven_config_static_selectorELNS0_4arch9wavefront6targetE1EEEvSL_
    .private_segment_fixed_size: 0
    .sgpr_count:     6
    .sgpr_spill_count: 0
    .symbol:         _ZN7rocprim17ROCPRIM_400000_NS6detail17trampoline_kernelINS0_14default_configENS1_38merge_sort_block_merge_config_selectorIiNS0_10empty_typeEEEZZNS1_27merge_sort_block_merge_implIS3_N6thrust23THRUST_200600_302600_NS6detail15normal_iteratorINS9_10device_ptrIiEEEEPS5_jNS1_19radix_merge_compareILb1ELb1EiNS0_19identity_decomposerEEEEE10hipError_tT0_T1_T2_jT3_P12ihipStream_tbPNSt15iterator_traitsISK_E10value_typeEPNSQ_ISL_E10value_typeEPSM_NS1_7vsmem_tEENKUlT_SK_SL_SM_E_clISE_PiSF_SF_EESJ_SZ_SK_SL_SM_EUlSZ_E1_NS1_11comp_targetILNS1_3genE4ELNS1_11target_archE910ELNS1_3gpuE8ELNS1_3repE0EEENS1_36merge_oddeven_config_static_selectorELNS0_4arch9wavefront6targetE1EEEvSL_.kd
    .uniform_work_group_size: 1
    .uses_dynamic_stack: false
    .vgpr_count:     0
    .vgpr_spill_count: 0
    .wavefront_size: 64
  - .agpr_count:     0
    .args:
      - .offset:         0
        .size:           48
        .value_kind:     by_value
    .group_segment_fixed_size: 0
    .kernarg_segment_align: 8
    .kernarg_segment_size: 48
    .language:       OpenCL C
    .language_version:
      - 2
      - 0
    .max_flat_workgroup_size: 256
    .name:           _ZN7rocprim17ROCPRIM_400000_NS6detail17trampoline_kernelINS0_14default_configENS1_38merge_sort_block_merge_config_selectorIiNS0_10empty_typeEEEZZNS1_27merge_sort_block_merge_implIS3_N6thrust23THRUST_200600_302600_NS6detail15normal_iteratorINS9_10device_ptrIiEEEEPS5_jNS1_19radix_merge_compareILb1ELb1EiNS0_19identity_decomposerEEEEE10hipError_tT0_T1_T2_jT3_P12ihipStream_tbPNSt15iterator_traitsISK_E10value_typeEPNSQ_ISL_E10value_typeEPSM_NS1_7vsmem_tEENKUlT_SK_SL_SM_E_clISE_PiSF_SF_EESJ_SZ_SK_SL_SM_EUlSZ_E1_NS1_11comp_targetILNS1_3genE3ELNS1_11target_archE908ELNS1_3gpuE7ELNS1_3repE0EEENS1_36merge_oddeven_config_static_selectorELNS0_4arch9wavefront6targetE1EEEvSL_
    .private_segment_fixed_size: 0
    .sgpr_count:     6
    .sgpr_spill_count: 0
    .symbol:         _ZN7rocprim17ROCPRIM_400000_NS6detail17trampoline_kernelINS0_14default_configENS1_38merge_sort_block_merge_config_selectorIiNS0_10empty_typeEEEZZNS1_27merge_sort_block_merge_implIS3_N6thrust23THRUST_200600_302600_NS6detail15normal_iteratorINS9_10device_ptrIiEEEEPS5_jNS1_19radix_merge_compareILb1ELb1EiNS0_19identity_decomposerEEEEE10hipError_tT0_T1_T2_jT3_P12ihipStream_tbPNSt15iterator_traitsISK_E10value_typeEPNSQ_ISL_E10value_typeEPSM_NS1_7vsmem_tEENKUlT_SK_SL_SM_E_clISE_PiSF_SF_EESJ_SZ_SK_SL_SM_EUlSZ_E1_NS1_11comp_targetILNS1_3genE3ELNS1_11target_archE908ELNS1_3gpuE7ELNS1_3repE0EEENS1_36merge_oddeven_config_static_selectorELNS0_4arch9wavefront6targetE1EEEvSL_.kd
    .uniform_work_group_size: 1
    .uses_dynamic_stack: false
    .vgpr_count:     0
    .vgpr_spill_count: 0
    .wavefront_size: 64
  - .agpr_count:     0
    .args:
      - .offset:         0
        .size:           48
        .value_kind:     by_value
    .group_segment_fixed_size: 0
    .kernarg_segment_align: 8
    .kernarg_segment_size: 48
    .language:       OpenCL C
    .language_version:
      - 2
      - 0
    .max_flat_workgroup_size: 256
    .name:           _ZN7rocprim17ROCPRIM_400000_NS6detail17trampoline_kernelINS0_14default_configENS1_38merge_sort_block_merge_config_selectorIiNS0_10empty_typeEEEZZNS1_27merge_sort_block_merge_implIS3_N6thrust23THRUST_200600_302600_NS6detail15normal_iteratorINS9_10device_ptrIiEEEEPS5_jNS1_19radix_merge_compareILb1ELb1EiNS0_19identity_decomposerEEEEE10hipError_tT0_T1_T2_jT3_P12ihipStream_tbPNSt15iterator_traitsISK_E10value_typeEPNSQ_ISL_E10value_typeEPSM_NS1_7vsmem_tEENKUlT_SK_SL_SM_E_clISE_PiSF_SF_EESJ_SZ_SK_SL_SM_EUlSZ_E1_NS1_11comp_targetILNS1_3genE2ELNS1_11target_archE906ELNS1_3gpuE6ELNS1_3repE0EEENS1_36merge_oddeven_config_static_selectorELNS0_4arch9wavefront6targetE1EEEvSL_
    .private_segment_fixed_size: 0
    .sgpr_count:     6
    .sgpr_spill_count: 0
    .symbol:         _ZN7rocprim17ROCPRIM_400000_NS6detail17trampoline_kernelINS0_14default_configENS1_38merge_sort_block_merge_config_selectorIiNS0_10empty_typeEEEZZNS1_27merge_sort_block_merge_implIS3_N6thrust23THRUST_200600_302600_NS6detail15normal_iteratorINS9_10device_ptrIiEEEEPS5_jNS1_19radix_merge_compareILb1ELb1EiNS0_19identity_decomposerEEEEE10hipError_tT0_T1_T2_jT3_P12ihipStream_tbPNSt15iterator_traitsISK_E10value_typeEPNSQ_ISL_E10value_typeEPSM_NS1_7vsmem_tEENKUlT_SK_SL_SM_E_clISE_PiSF_SF_EESJ_SZ_SK_SL_SM_EUlSZ_E1_NS1_11comp_targetILNS1_3genE2ELNS1_11target_archE906ELNS1_3gpuE6ELNS1_3repE0EEENS1_36merge_oddeven_config_static_selectorELNS0_4arch9wavefront6targetE1EEEvSL_.kd
    .uniform_work_group_size: 1
    .uses_dynamic_stack: false
    .vgpr_count:     0
    .vgpr_spill_count: 0
    .wavefront_size: 64
  - .agpr_count:     0
    .args:
      - .offset:         0
        .size:           48
        .value_kind:     by_value
    .group_segment_fixed_size: 0
    .kernarg_segment_align: 8
    .kernarg_segment_size: 48
    .language:       OpenCL C
    .language_version:
      - 2
      - 0
    .max_flat_workgroup_size: 256
    .name:           _ZN7rocprim17ROCPRIM_400000_NS6detail17trampoline_kernelINS0_14default_configENS1_38merge_sort_block_merge_config_selectorIiNS0_10empty_typeEEEZZNS1_27merge_sort_block_merge_implIS3_N6thrust23THRUST_200600_302600_NS6detail15normal_iteratorINS9_10device_ptrIiEEEEPS5_jNS1_19radix_merge_compareILb1ELb1EiNS0_19identity_decomposerEEEEE10hipError_tT0_T1_T2_jT3_P12ihipStream_tbPNSt15iterator_traitsISK_E10value_typeEPNSQ_ISL_E10value_typeEPSM_NS1_7vsmem_tEENKUlT_SK_SL_SM_E_clISE_PiSF_SF_EESJ_SZ_SK_SL_SM_EUlSZ_E1_NS1_11comp_targetILNS1_3genE9ELNS1_11target_archE1100ELNS1_3gpuE3ELNS1_3repE0EEENS1_36merge_oddeven_config_static_selectorELNS0_4arch9wavefront6targetE1EEEvSL_
    .private_segment_fixed_size: 0
    .sgpr_count:     6
    .sgpr_spill_count: 0
    .symbol:         _ZN7rocprim17ROCPRIM_400000_NS6detail17trampoline_kernelINS0_14default_configENS1_38merge_sort_block_merge_config_selectorIiNS0_10empty_typeEEEZZNS1_27merge_sort_block_merge_implIS3_N6thrust23THRUST_200600_302600_NS6detail15normal_iteratorINS9_10device_ptrIiEEEEPS5_jNS1_19radix_merge_compareILb1ELb1EiNS0_19identity_decomposerEEEEE10hipError_tT0_T1_T2_jT3_P12ihipStream_tbPNSt15iterator_traitsISK_E10value_typeEPNSQ_ISL_E10value_typeEPSM_NS1_7vsmem_tEENKUlT_SK_SL_SM_E_clISE_PiSF_SF_EESJ_SZ_SK_SL_SM_EUlSZ_E1_NS1_11comp_targetILNS1_3genE9ELNS1_11target_archE1100ELNS1_3gpuE3ELNS1_3repE0EEENS1_36merge_oddeven_config_static_selectorELNS0_4arch9wavefront6targetE1EEEvSL_.kd
    .uniform_work_group_size: 1
    .uses_dynamic_stack: false
    .vgpr_count:     0
    .vgpr_spill_count: 0
    .wavefront_size: 64
  - .agpr_count:     0
    .args:
      - .offset:         0
        .size:           48
        .value_kind:     by_value
    .group_segment_fixed_size: 0
    .kernarg_segment_align: 8
    .kernarg_segment_size: 48
    .language:       OpenCL C
    .language_version:
      - 2
      - 0
    .max_flat_workgroup_size: 256
    .name:           _ZN7rocprim17ROCPRIM_400000_NS6detail17trampoline_kernelINS0_14default_configENS1_38merge_sort_block_merge_config_selectorIiNS0_10empty_typeEEEZZNS1_27merge_sort_block_merge_implIS3_N6thrust23THRUST_200600_302600_NS6detail15normal_iteratorINS9_10device_ptrIiEEEEPS5_jNS1_19radix_merge_compareILb1ELb1EiNS0_19identity_decomposerEEEEE10hipError_tT0_T1_T2_jT3_P12ihipStream_tbPNSt15iterator_traitsISK_E10value_typeEPNSQ_ISL_E10value_typeEPSM_NS1_7vsmem_tEENKUlT_SK_SL_SM_E_clISE_PiSF_SF_EESJ_SZ_SK_SL_SM_EUlSZ_E1_NS1_11comp_targetILNS1_3genE8ELNS1_11target_archE1030ELNS1_3gpuE2ELNS1_3repE0EEENS1_36merge_oddeven_config_static_selectorELNS0_4arch9wavefront6targetE1EEEvSL_
    .private_segment_fixed_size: 0
    .sgpr_count:     6
    .sgpr_spill_count: 0
    .symbol:         _ZN7rocprim17ROCPRIM_400000_NS6detail17trampoline_kernelINS0_14default_configENS1_38merge_sort_block_merge_config_selectorIiNS0_10empty_typeEEEZZNS1_27merge_sort_block_merge_implIS3_N6thrust23THRUST_200600_302600_NS6detail15normal_iteratorINS9_10device_ptrIiEEEEPS5_jNS1_19radix_merge_compareILb1ELb1EiNS0_19identity_decomposerEEEEE10hipError_tT0_T1_T2_jT3_P12ihipStream_tbPNSt15iterator_traitsISK_E10value_typeEPNSQ_ISL_E10value_typeEPSM_NS1_7vsmem_tEENKUlT_SK_SL_SM_E_clISE_PiSF_SF_EESJ_SZ_SK_SL_SM_EUlSZ_E1_NS1_11comp_targetILNS1_3genE8ELNS1_11target_archE1030ELNS1_3gpuE2ELNS1_3repE0EEENS1_36merge_oddeven_config_static_selectorELNS0_4arch9wavefront6targetE1EEEvSL_.kd
    .uniform_work_group_size: 1
    .uses_dynamic_stack: false
    .vgpr_count:     0
    .vgpr_spill_count: 0
    .wavefront_size: 64
  - .agpr_count:     0
    .args:
      - .offset:         0
        .size:           40
        .value_kind:     by_value
    .group_segment_fixed_size: 0
    .kernarg_segment_align: 8
    .kernarg_segment_size: 40
    .language:       OpenCL C
    .language_version:
      - 2
      - 0
    .max_flat_workgroup_size: 512
    .name:           _ZN7rocprim17ROCPRIM_400000_NS6detail17trampoline_kernelINS0_14default_configENS1_35radix_sort_onesweep_config_selectorIiNS0_10empty_typeEEEZNS1_34radix_sort_onesweep_global_offsetsIS3_Lb1EN6thrust23THRUST_200600_302600_NS6detail15normal_iteratorINS9_10device_ptrIiEEEEPS5_jNS0_19identity_decomposerEEE10hipError_tT1_T2_PT3_SK_jT4_jjP12ihipStream_tbEUlT_E_NS1_11comp_targetILNS1_3genE0ELNS1_11target_archE4294967295ELNS1_3gpuE0ELNS1_3repE0EEENS1_52radix_sort_onesweep_histogram_config_static_selectorELNS0_4arch9wavefront6targetE1EEEvSI_
    .private_segment_fixed_size: 0
    .sgpr_count:     6
    .sgpr_spill_count: 0
    .symbol:         _ZN7rocprim17ROCPRIM_400000_NS6detail17trampoline_kernelINS0_14default_configENS1_35radix_sort_onesweep_config_selectorIiNS0_10empty_typeEEEZNS1_34radix_sort_onesweep_global_offsetsIS3_Lb1EN6thrust23THRUST_200600_302600_NS6detail15normal_iteratorINS9_10device_ptrIiEEEEPS5_jNS0_19identity_decomposerEEE10hipError_tT1_T2_PT3_SK_jT4_jjP12ihipStream_tbEUlT_E_NS1_11comp_targetILNS1_3genE0ELNS1_11target_archE4294967295ELNS1_3gpuE0ELNS1_3repE0EEENS1_52radix_sort_onesweep_histogram_config_static_selectorELNS0_4arch9wavefront6targetE1EEEvSI_.kd
    .uniform_work_group_size: 1
    .uses_dynamic_stack: false
    .vgpr_count:     0
    .vgpr_spill_count: 0
    .wavefront_size: 64
  - .agpr_count:     0
    .args:
      - .offset:         0
        .size:           40
        .value_kind:     by_value
    .group_segment_fixed_size: 16384
    .kernarg_segment_align: 8
    .kernarg_segment_size: 40
    .language:       OpenCL C
    .language_version:
      - 2
      - 0
    .max_flat_workgroup_size: 1024
    .name:           _ZN7rocprim17ROCPRIM_400000_NS6detail17trampoline_kernelINS0_14default_configENS1_35radix_sort_onesweep_config_selectorIiNS0_10empty_typeEEEZNS1_34radix_sort_onesweep_global_offsetsIS3_Lb1EN6thrust23THRUST_200600_302600_NS6detail15normal_iteratorINS9_10device_ptrIiEEEEPS5_jNS0_19identity_decomposerEEE10hipError_tT1_T2_PT3_SK_jT4_jjP12ihipStream_tbEUlT_E_NS1_11comp_targetILNS1_3genE6ELNS1_11target_archE950ELNS1_3gpuE13ELNS1_3repE0EEENS1_52radix_sort_onesweep_histogram_config_static_selectorELNS0_4arch9wavefront6targetE1EEEvSI_
    .private_segment_fixed_size: 0
    .sgpr_count:     25
    .sgpr_spill_count: 0
    .symbol:         _ZN7rocprim17ROCPRIM_400000_NS6detail17trampoline_kernelINS0_14default_configENS1_35radix_sort_onesweep_config_selectorIiNS0_10empty_typeEEEZNS1_34radix_sort_onesweep_global_offsetsIS3_Lb1EN6thrust23THRUST_200600_302600_NS6detail15normal_iteratorINS9_10device_ptrIiEEEEPS5_jNS0_19identity_decomposerEEE10hipError_tT1_T2_PT3_SK_jT4_jjP12ihipStream_tbEUlT_E_NS1_11comp_targetILNS1_3genE6ELNS1_11target_archE950ELNS1_3gpuE13ELNS1_3repE0EEENS1_52radix_sort_onesweep_histogram_config_static_selectorELNS0_4arch9wavefront6targetE1EEEvSI_.kd
    .uniform_work_group_size: 1
    .uses_dynamic_stack: false
    .vgpr_count:     22
    .vgpr_spill_count: 0
    .wavefront_size: 64
  - .agpr_count:     0
    .args:
      - .offset:         0
        .size:           40
        .value_kind:     by_value
    .group_segment_fixed_size: 0
    .kernarg_segment_align: 8
    .kernarg_segment_size: 40
    .language:       OpenCL C
    .language_version:
      - 2
      - 0
    .max_flat_workgroup_size: 1024
    .name:           _ZN7rocprim17ROCPRIM_400000_NS6detail17trampoline_kernelINS0_14default_configENS1_35radix_sort_onesweep_config_selectorIiNS0_10empty_typeEEEZNS1_34radix_sort_onesweep_global_offsetsIS3_Lb1EN6thrust23THRUST_200600_302600_NS6detail15normal_iteratorINS9_10device_ptrIiEEEEPS5_jNS0_19identity_decomposerEEE10hipError_tT1_T2_PT3_SK_jT4_jjP12ihipStream_tbEUlT_E_NS1_11comp_targetILNS1_3genE5ELNS1_11target_archE942ELNS1_3gpuE9ELNS1_3repE0EEENS1_52radix_sort_onesweep_histogram_config_static_selectorELNS0_4arch9wavefront6targetE1EEEvSI_
    .private_segment_fixed_size: 0
    .sgpr_count:     6
    .sgpr_spill_count: 0
    .symbol:         _ZN7rocprim17ROCPRIM_400000_NS6detail17trampoline_kernelINS0_14default_configENS1_35radix_sort_onesweep_config_selectorIiNS0_10empty_typeEEEZNS1_34radix_sort_onesweep_global_offsetsIS3_Lb1EN6thrust23THRUST_200600_302600_NS6detail15normal_iteratorINS9_10device_ptrIiEEEEPS5_jNS0_19identity_decomposerEEE10hipError_tT1_T2_PT3_SK_jT4_jjP12ihipStream_tbEUlT_E_NS1_11comp_targetILNS1_3genE5ELNS1_11target_archE942ELNS1_3gpuE9ELNS1_3repE0EEENS1_52radix_sort_onesweep_histogram_config_static_selectorELNS0_4arch9wavefront6targetE1EEEvSI_.kd
    .uniform_work_group_size: 1
    .uses_dynamic_stack: false
    .vgpr_count:     0
    .vgpr_spill_count: 0
    .wavefront_size: 64
  - .agpr_count:     0
    .args:
      - .offset:         0
        .size:           40
        .value_kind:     by_value
    .group_segment_fixed_size: 0
    .kernarg_segment_align: 8
    .kernarg_segment_size: 40
    .language:       OpenCL C
    .language_version:
      - 2
      - 0
    .max_flat_workgroup_size: 1024
    .name:           _ZN7rocprim17ROCPRIM_400000_NS6detail17trampoline_kernelINS0_14default_configENS1_35radix_sort_onesweep_config_selectorIiNS0_10empty_typeEEEZNS1_34radix_sort_onesweep_global_offsetsIS3_Lb1EN6thrust23THRUST_200600_302600_NS6detail15normal_iteratorINS9_10device_ptrIiEEEEPS5_jNS0_19identity_decomposerEEE10hipError_tT1_T2_PT3_SK_jT4_jjP12ihipStream_tbEUlT_E_NS1_11comp_targetILNS1_3genE2ELNS1_11target_archE906ELNS1_3gpuE6ELNS1_3repE0EEENS1_52radix_sort_onesweep_histogram_config_static_selectorELNS0_4arch9wavefront6targetE1EEEvSI_
    .private_segment_fixed_size: 0
    .sgpr_count:     6
    .sgpr_spill_count: 0
    .symbol:         _ZN7rocprim17ROCPRIM_400000_NS6detail17trampoline_kernelINS0_14default_configENS1_35radix_sort_onesweep_config_selectorIiNS0_10empty_typeEEEZNS1_34radix_sort_onesweep_global_offsetsIS3_Lb1EN6thrust23THRUST_200600_302600_NS6detail15normal_iteratorINS9_10device_ptrIiEEEEPS5_jNS0_19identity_decomposerEEE10hipError_tT1_T2_PT3_SK_jT4_jjP12ihipStream_tbEUlT_E_NS1_11comp_targetILNS1_3genE2ELNS1_11target_archE906ELNS1_3gpuE6ELNS1_3repE0EEENS1_52radix_sort_onesweep_histogram_config_static_selectorELNS0_4arch9wavefront6targetE1EEEvSI_.kd
    .uniform_work_group_size: 1
    .uses_dynamic_stack: false
    .vgpr_count:     0
    .vgpr_spill_count: 0
    .wavefront_size: 64
  - .agpr_count:     0
    .args:
      - .offset:         0
        .size:           40
        .value_kind:     by_value
    .group_segment_fixed_size: 0
    .kernarg_segment_align: 8
    .kernarg_segment_size: 40
    .language:       OpenCL C
    .language_version:
      - 2
      - 0
    .max_flat_workgroup_size: 1024
    .name:           _ZN7rocprim17ROCPRIM_400000_NS6detail17trampoline_kernelINS0_14default_configENS1_35radix_sort_onesweep_config_selectorIiNS0_10empty_typeEEEZNS1_34radix_sort_onesweep_global_offsetsIS3_Lb1EN6thrust23THRUST_200600_302600_NS6detail15normal_iteratorINS9_10device_ptrIiEEEEPS5_jNS0_19identity_decomposerEEE10hipError_tT1_T2_PT3_SK_jT4_jjP12ihipStream_tbEUlT_E_NS1_11comp_targetILNS1_3genE4ELNS1_11target_archE910ELNS1_3gpuE8ELNS1_3repE0EEENS1_52radix_sort_onesweep_histogram_config_static_selectorELNS0_4arch9wavefront6targetE1EEEvSI_
    .private_segment_fixed_size: 0
    .sgpr_count:     6
    .sgpr_spill_count: 0
    .symbol:         _ZN7rocprim17ROCPRIM_400000_NS6detail17trampoline_kernelINS0_14default_configENS1_35radix_sort_onesweep_config_selectorIiNS0_10empty_typeEEEZNS1_34radix_sort_onesweep_global_offsetsIS3_Lb1EN6thrust23THRUST_200600_302600_NS6detail15normal_iteratorINS9_10device_ptrIiEEEEPS5_jNS0_19identity_decomposerEEE10hipError_tT1_T2_PT3_SK_jT4_jjP12ihipStream_tbEUlT_E_NS1_11comp_targetILNS1_3genE4ELNS1_11target_archE910ELNS1_3gpuE8ELNS1_3repE0EEENS1_52radix_sort_onesweep_histogram_config_static_selectorELNS0_4arch9wavefront6targetE1EEEvSI_.kd
    .uniform_work_group_size: 1
    .uses_dynamic_stack: false
    .vgpr_count:     0
    .vgpr_spill_count: 0
    .wavefront_size: 64
  - .agpr_count:     0
    .args:
      - .offset:         0
        .size:           40
        .value_kind:     by_value
    .group_segment_fixed_size: 0
    .kernarg_segment_align: 8
    .kernarg_segment_size: 40
    .language:       OpenCL C
    .language_version:
      - 2
      - 0
    .max_flat_workgroup_size: 512
    .name:           _ZN7rocprim17ROCPRIM_400000_NS6detail17trampoline_kernelINS0_14default_configENS1_35radix_sort_onesweep_config_selectorIiNS0_10empty_typeEEEZNS1_34radix_sort_onesweep_global_offsetsIS3_Lb1EN6thrust23THRUST_200600_302600_NS6detail15normal_iteratorINS9_10device_ptrIiEEEEPS5_jNS0_19identity_decomposerEEE10hipError_tT1_T2_PT3_SK_jT4_jjP12ihipStream_tbEUlT_E_NS1_11comp_targetILNS1_3genE3ELNS1_11target_archE908ELNS1_3gpuE7ELNS1_3repE0EEENS1_52radix_sort_onesweep_histogram_config_static_selectorELNS0_4arch9wavefront6targetE1EEEvSI_
    .private_segment_fixed_size: 0
    .sgpr_count:     6
    .sgpr_spill_count: 0
    .symbol:         _ZN7rocprim17ROCPRIM_400000_NS6detail17trampoline_kernelINS0_14default_configENS1_35radix_sort_onesweep_config_selectorIiNS0_10empty_typeEEEZNS1_34radix_sort_onesweep_global_offsetsIS3_Lb1EN6thrust23THRUST_200600_302600_NS6detail15normal_iteratorINS9_10device_ptrIiEEEEPS5_jNS0_19identity_decomposerEEE10hipError_tT1_T2_PT3_SK_jT4_jjP12ihipStream_tbEUlT_E_NS1_11comp_targetILNS1_3genE3ELNS1_11target_archE908ELNS1_3gpuE7ELNS1_3repE0EEENS1_52radix_sort_onesweep_histogram_config_static_selectorELNS0_4arch9wavefront6targetE1EEEvSI_.kd
    .uniform_work_group_size: 1
    .uses_dynamic_stack: false
    .vgpr_count:     0
    .vgpr_spill_count: 0
    .wavefront_size: 64
  - .agpr_count:     0
    .args:
      - .offset:         0
        .size:           40
        .value_kind:     by_value
    .group_segment_fixed_size: 0
    .kernarg_segment_align: 8
    .kernarg_segment_size: 40
    .language:       OpenCL C
    .language_version:
      - 2
      - 0
    .max_flat_workgroup_size: 1024
    .name:           _ZN7rocprim17ROCPRIM_400000_NS6detail17trampoline_kernelINS0_14default_configENS1_35radix_sort_onesweep_config_selectorIiNS0_10empty_typeEEEZNS1_34radix_sort_onesweep_global_offsetsIS3_Lb1EN6thrust23THRUST_200600_302600_NS6detail15normal_iteratorINS9_10device_ptrIiEEEEPS5_jNS0_19identity_decomposerEEE10hipError_tT1_T2_PT3_SK_jT4_jjP12ihipStream_tbEUlT_E_NS1_11comp_targetILNS1_3genE10ELNS1_11target_archE1201ELNS1_3gpuE5ELNS1_3repE0EEENS1_52radix_sort_onesweep_histogram_config_static_selectorELNS0_4arch9wavefront6targetE1EEEvSI_
    .private_segment_fixed_size: 0
    .sgpr_count:     6
    .sgpr_spill_count: 0
    .symbol:         _ZN7rocprim17ROCPRIM_400000_NS6detail17trampoline_kernelINS0_14default_configENS1_35radix_sort_onesweep_config_selectorIiNS0_10empty_typeEEEZNS1_34radix_sort_onesweep_global_offsetsIS3_Lb1EN6thrust23THRUST_200600_302600_NS6detail15normal_iteratorINS9_10device_ptrIiEEEEPS5_jNS0_19identity_decomposerEEE10hipError_tT1_T2_PT3_SK_jT4_jjP12ihipStream_tbEUlT_E_NS1_11comp_targetILNS1_3genE10ELNS1_11target_archE1201ELNS1_3gpuE5ELNS1_3repE0EEENS1_52radix_sort_onesweep_histogram_config_static_selectorELNS0_4arch9wavefront6targetE1EEEvSI_.kd
    .uniform_work_group_size: 1
    .uses_dynamic_stack: false
    .vgpr_count:     0
    .vgpr_spill_count: 0
    .wavefront_size: 64
  - .agpr_count:     0
    .args:
      - .offset:         0
        .size:           40
        .value_kind:     by_value
    .group_segment_fixed_size: 0
    .kernarg_segment_align: 8
    .kernarg_segment_size: 40
    .language:       OpenCL C
    .language_version:
      - 2
      - 0
    .max_flat_workgroup_size: 1024
    .name:           _ZN7rocprim17ROCPRIM_400000_NS6detail17trampoline_kernelINS0_14default_configENS1_35radix_sort_onesweep_config_selectorIiNS0_10empty_typeEEEZNS1_34radix_sort_onesweep_global_offsetsIS3_Lb1EN6thrust23THRUST_200600_302600_NS6detail15normal_iteratorINS9_10device_ptrIiEEEEPS5_jNS0_19identity_decomposerEEE10hipError_tT1_T2_PT3_SK_jT4_jjP12ihipStream_tbEUlT_E_NS1_11comp_targetILNS1_3genE9ELNS1_11target_archE1100ELNS1_3gpuE3ELNS1_3repE0EEENS1_52radix_sort_onesweep_histogram_config_static_selectorELNS0_4arch9wavefront6targetE1EEEvSI_
    .private_segment_fixed_size: 0
    .sgpr_count:     6
    .sgpr_spill_count: 0
    .symbol:         _ZN7rocprim17ROCPRIM_400000_NS6detail17trampoline_kernelINS0_14default_configENS1_35radix_sort_onesweep_config_selectorIiNS0_10empty_typeEEEZNS1_34radix_sort_onesweep_global_offsetsIS3_Lb1EN6thrust23THRUST_200600_302600_NS6detail15normal_iteratorINS9_10device_ptrIiEEEEPS5_jNS0_19identity_decomposerEEE10hipError_tT1_T2_PT3_SK_jT4_jjP12ihipStream_tbEUlT_E_NS1_11comp_targetILNS1_3genE9ELNS1_11target_archE1100ELNS1_3gpuE3ELNS1_3repE0EEENS1_52radix_sort_onesweep_histogram_config_static_selectorELNS0_4arch9wavefront6targetE1EEEvSI_.kd
    .uniform_work_group_size: 1
    .uses_dynamic_stack: false
    .vgpr_count:     0
    .vgpr_spill_count: 0
    .wavefront_size: 64
  - .agpr_count:     0
    .args:
      - .offset:         0
        .size:           40
        .value_kind:     by_value
    .group_segment_fixed_size: 0
    .kernarg_segment_align: 8
    .kernarg_segment_size: 40
    .language:       OpenCL C
    .language_version:
      - 2
      - 0
    .max_flat_workgroup_size: 1024
    .name:           _ZN7rocprim17ROCPRIM_400000_NS6detail17trampoline_kernelINS0_14default_configENS1_35radix_sort_onesweep_config_selectorIiNS0_10empty_typeEEEZNS1_34radix_sort_onesweep_global_offsetsIS3_Lb1EN6thrust23THRUST_200600_302600_NS6detail15normal_iteratorINS9_10device_ptrIiEEEEPS5_jNS0_19identity_decomposerEEE10hipError_tT1_T2_PT3_SK_jT4_jjP12ihipStream_tbEUlT_E_NS1_11comp_targetILNS1_3genE8ELNS1_11target_archE1030ELNS1_3gpuE2ELNS1_3repE0EEENS1_52radix_sort_onesweep_histogram_config_static_selectorELNS0_4arch9wavefront6targetE1EEEvSI_
    .private_segment_fixed_size: 0
    .sgpr_count:     6
    .sgpr_spill_count: 0
    .symbol:         _ZN7rocprim17ROCPRIM_400000_NS6detail17trampoline_kernelINS0_14default_configENS1_35radix_sort_onesweep_config_selectorIiNS0_10empty_typeEEEZNS1_34radix_sort_onesweep_global_offsetsIS3_Lb1EN6thrust23THRUST_200600_302600_NS6detail15normal_iteratorINS9_10device_ptrIiEEEEPS5_jNS0_19identity_decomposerEEE10hipError_tT1_T2_PT3_SK_jT4_jjP12ihipStream_tbEUlT_E_NS1_11comp_targetILNS1_3genE8ELNS1_11target_archE1030ELNS1_3gpuE2ELNS1_3repE0EEENS1_52radix_sort_onesweep_histogram_config_static_selectorELNS0_4arch9wavefront6targetE1EEEvSI_.kd
    .uniform_work_group_size: 1
    .uses_dynamic_stack: false
    .vgpr_count:     0
    .vgpr_spill_count: 0
    .wavefront_size: 64
  - .agpr_count:     0
    .args:
      - .address_space:  global
        .offset:         0
        .size:           8
        .value_kind:     global_buffer
    .group_segment_fixed_size: 0
    .kernarg_segment_align: 8
    .kernarg_segment_size: 8
    .language:       OpenCL C
    .language_version:
      - 2
      - 0
    .max_flat_workgroup_size: 512
    .name:           _ZN7rocprim17ROCPRIM_400000_NS6detail17trampoline_kernelINS0_14default_configENS1_35radix_sort_onesweep_config_selectorIiNS0_10empty_typeEEEZNS1_34radix_sort_onesweep_global_offsetsIS3_Lb1EN6thrust23THRUST_200600_302600_NS6detail15normal_iteratorINS9_10device_ptrIiEEEEPS5_jNS0_19identity_decomposerEEE10hipError_tT1_T2_PT3_SK_jT4_jjP12ihipStream_tbEUlT_E0_NS1_11comp_targetILNS1_3genE0ELNS1_11target_archE4294967295ELNS1_3gpuE0ELNS1_3repE0EEENS1_52radix_sort_onesweep_histogram_config_static_selectorELNS0_4arch9wavefront6targetE1EEEvSI_
    .private_segment_fixed_size: 0
    .sgpr_count:     6
    .sgpr_spill_count: 0
    .symbol:         _ZN7rocprim17ROCPRIM_400000_NS6detail17trampoline_kernelINS0_14default_configENS1_35radix_sort_onesweep_config_selectorIiNS0_10empty_typeEEEZNS1_34radix_sort_onesweep_global_offsetsIS3_Lb1EN6thrust23THRUST_200600_302600_NS6detail15normal_iteratorINS9_10device_ptrIiEEEEPS5_jNS0_19identity_decomposerEEE10hipError_tT1_T2_PT3_SK_jT4_jjP12ihipStream_tbEUlT_E0_NS1_11comp_targetILNS1_3genE0ELNS1_11target_archE4294967295ELNS1_3gpuE0ELNS1_3repE0EEENS1_52radix_sort_onesweep_histogram_config_static_selectorELNS0_4arch9wavefront6targetE1EEEvSI_.kd
    .uniform_work_group_size: 1
    .uses_dynamic_stack: false
    .vgpr_count:     0
    .vgpr_spill_count: 0
    .wavefront_size: 64
  - .agpr_count:     0
    .args:
      - .address_space:  global
        .offset:         0
        .size:           8
        .value_kind:     global_buffer
    .group_segment_fixed_size: 64
    .kernarg_segment_align: 8
    .kernarg_segment_size: 8
    .language:       OpenCL C
    .language_version:
      - 2
      - 0
    .max_flat_workgroup_size: 1024
    .name:           _ZN7rocprim17ROCPRIM_400000_NS6detail17trampoline_kernelINS0_14default_configENS1_35radix_sort_onesweep_config_selectorIiNS0_10empty_typeEEEZNS1_34radix_sort_onesweep_global_offsetsIS3_Lb1EN6thrust23THRUST_200600_302600_NS6detail15normal_iteratorINS9_10device_ptrIiEEEEPS5_jNS0_19identity_decomposerEEE10hipError_tT1_T2_PT3_SK_jT4_jjP12ihipStream_tbEUlT_E0_NS1_11comp_targetILNS1_3genE6ELNS1_11target_archE950ELNS1_3gpuE13ELNS1_3repE0EEENS1_52radix_sort_onesweep_histogram_config_static_selectorELNS0_4arch9wavefront6targetE1EEEvSI_
    .private_segment_fixed_size: 0
    .sgpr_count:     20
    .sgpr_spill_count: 0
    .symbol:         _ZN7rocprim17ROCPRIM_400000_NS6detail17trampoline_kernelINS0_14default_configENS1_35radix_sort_onesweep_config_selectorIiNS0_10empty_typeEEEZNS1_34radix_sort_onesweep_global_offsetsIS3_Lb1EN6thrust23THRUST_200600_302600_NS6detail15normal_iteratorINS9_10device_ptrIiEEEEPS5_jNS0_19identity_decomposerEEE10hipError_tT1_T2_PT3_SK_jT4_jjP12ihipStream_tbEUlT_E0_NS1_11comp_targetILNS1_3genE6ELNS1_11target_archE950ELNS1_3gpuE13ELNS1_3repE0EEENS1_52radix_sort_onesweep_histogram_config_static_selectorELNS0_4arch9wavefront6targetE1EEEvSI_.kd
    .uniform_work_group_size: 1
    .uses_dynamic_stack: false
    .vgpr_count:     7
    .vgpr_spill_count: 0
    .wavefront_size: 64
  - .agpr_count:     0
    .args:
      - .address_space:  global
        .offset:         0
        .size:           8
        .value_kind:     global_buffer
    .group_segment_fixed_size: 0
    .kernarg_segment_align: 8
    .kernarg_segment_size: 8
    .language:       OpenCL C
    .language_version:
      - 2
      - 0
    .max_flat_workgroup_size: 1024
    .name:           _ZN7rocprim17ROCPRIM_400000_NS6detail17trampoline_kernelINS0_14default_configENS1_35radix_sort_onesweep_config_selectorIiNS0_10empty_typeEEEZNS1_34radix_sort_onesweep_global_offsetsIS3_Lb1EN6thrust23THRUST_200600_302600_NS6detail15normal_iteratorINS9_10device_ptrIiEEEEPS5_jNS0_19identity_decomposerEEE10hipError_tT1_T2_PT3_SK_jT4_jjP12ihipStream_tbEUlT_E0_NS1_11comp_targetILNS1_3genE5ELNS1_11target_archE942ELNS1_3gpuE9ELNS1_3repE0EEENS1_52radix_sort_onesweep_histogram_config_static_selectorELNS0_4arch9wavefront6targetE1EEEvSI_
    .private_segment_fixed_size: 0
    .sgpr_count:     6
    .sgpr_spill_count: 0
    .symbol:         _ZN7rocprim17ROCPRIM_400000_NS6detail17trampoline_kernelINS0_14default_configENS1_35radix_sort_onesweep_config_selectorIiNS0_10empty_typeEEEZNS1_34radix_sort_onesweep_global_offsetsIS3_Lb1EN6thrust23THRUST_200600_302600_NS6detail15normal_iteratorINS9_10device_ptrIiEEEEPS5_jNS0_19identity_decomposerEEE10hipError_tT1_T2_PT3_SK_jT4_jjP12ihipStream_tbEUlT_E0_NS1_11comp_targetILNS1_3genE5ELNS1_11target_archE942ELNS1_3gpuE9ELNS1_3repE0EEENS1_52radix_sort_onesweep_histogram_config_static_selectorELNS0_4arch9wavefront6targetE1EEEvSI_.kd
    .uniform_work_group_size: 1
    .uses_dynamic_stack: false
    .vgpr_count:     0
    .vgpr_spill_count: 0
    .wavefront_size: 64
  - .agpr_count:     0
    .args:
      - .address_space:  global
        .offset:         0
        .size:           8
        .value_kind:     global_buffer
    .group_segment_fixed_size: 0
    .kernarg_segment_align: 8
    .kernarg_segment_size: 8
    .language:       OpenCL C
    .language_version:
      - 2
      - 0
    .max_flat_workgroup_size: 1024
    .name:           _ZN7rocprim17ROCPRIM_400000_NS6detail17trampoline_kernelINS0_14default_configENS1_35radix_sort_onesweep_config_selectorIiNS0_10empty_typeEEEZNS1_34radix_sort_onesweep_global_offsetsIS3_Lb1EN6thrust23THRUST_200600_302600_NS6detail15normal_iteratorINS9_10device_ptrIiEEEEPS5_jNS0_19identity_decomposerEEE10hipError_tT1_T2_PT3_SK_jT4_jjP12ihipStream_tbEUlT_E0_NS1_11comp_targetILNS1_3genE2ELNS1_11target_archE906ELNS1_3gpuE6ELNS1_3repE0EEENS1_52radix_sort_onesweep_histogram_config_static_selectorELNS0_4arch9wavefront6targetE1EEEvSI_
    .private_segment_fixed_size: 0
    .sgpr_count:     6
    .sgpr_spill_count: 0
    .symbol:         _ZN7rocprim17ROCPRIM_400000_NS6detail17trampoline_kernelINS0_14default_configENS1_35radix_sort_onesweep_config_selectorIiNS0_10empty_typeEEEZNS1_34radix_sort_onesweep_global_offsetsIS3_Lb1EN6thrust23THRUST_200600_302600_NS6detail15normal_iteratorINS9_10device_ptrIiEEEEPS5_jNS0_19identity_decomposerEEE10hipError_tT1_T2_PT3_SK_jT4_jjP12ihipStream_tbEUlT_E0_NS1_11comp_targetILNS1_3genE2ELNS1_11target_archE906ELNS1_3gpuE6ELNS1_3repE0EEENS1_52radix_sort_onesweep_histogram_config_static_selectorELNS0_4arch9wavefront6targetE1EEEvSI_.kd
    .uniform_work_group_size: 1
    .uses_dynamic_stack: false
    .vgpr_count:     0
    .vgpr_spill_count: 0
    .wavefront_size: 64
  - .agpr_count:     0
    .args:
      - .address_space:  global
        .offset:         0
        .size:           8
        .value_kind:     global_buffer
    .group_segment_fixed_size: 0
    .kernarg_segment_align: 8
    .kernarg_segment_size: 8
    .language:       OpenCL C
    .language_version:
      - 2
      - 0
    .max_flat_workgroup_size: 1024
    .name:           _ZN7rocprim17ROCPRIM_400000_NS6detail17trampoline_kernelINS0_14default_configENS1_35radix_sort_onesweep_config_selectorIiNS0_10empty_typeEEEZNS1_34radix_sort_onesweep_global_offsetsIS3_Lb1EN6thrust23THRUST_200600_302600_NS6detail15normal_iteratorINS9_10device_ptrIiEEEEPS5_jNS0_19identity_decomposerEEE10hipError_tT1_T2_PT3_SK_jT4_jjP12ihipStream_tbEUlT_E0_NS1_11comp_targetILNS1_3genE4ELNS1_11target_archE910ELNS1_3gpuE8ELNS1_3repE0EEENS1_52radix_sort_onesweep_histogram_config_static_selectorELNS0_4arch9wavefront6targetE1EEEvSI_
    .private_segment_fixed_size: 0
    .sgpr_count:     6
    .sgpr_spill_count: 0
    .symbol:         _ZN7rocprim17ROCPRIM_400000_NS6detail17trampoline_kernelINS0_14default_configENS1_35radix_sort_onesweep_config_selectorIiNS0_10empty_typeEEEZNS1_34radix_sort_onesweep_global_offsetsIS3_Lb1EN6thrust23THRUST_200600_302600_NS6detail15normal_iteratorINS9_10device_ptrIiEEEEPS5_jNS0_19identity_decomposerEEE10hipError_tT1_T2_PT3_SK_jT4_jjP12ihipStream_tbEUlT_E0_NS1_11comp_targetILNS1_3genE4ELNS1_11target_archE910ELNS1_3gpuE8ELNS1_3repE0EEENS1_52radix_sort_onesweep_histogram_config_static_selectorELNS0_4arch9wavefront6targetE1EEEvSI_.kd
    .uniform_work_group_size: 1
    .uses_dynamic_stack: false
    .vgpr_count:     0
    .vgpr_spill_count: 0
    .wavefront_size: 64
  - .agpr_count:     0
    .args:
      - .address_space:  global
        .offset:         0
        .size:           8
        .value_kind:     global_buffer
    .group_segment_fixed_size: 0
    .kernarg_segment_align: 8
    .kernarg_segment_size: 8
    .language:       OpenCL C
    .language_version:
      - 2
      - 0
    .max_flat_workgroup_size: 512
    .name:           _ZN7rocprim17ROCPRIM_400000_NS6detail17trampoline_kernelINS0_14default_configENS1_35radix_sort_onesweep_config_selectorIiNS0_10empty_typeEEEZNS1_34radix_sort_onesweep_global_offsetsIS3_Lb1EN6thrust23THRUST_200600_302600_NS6detail15normal_iteratorINS9_10device_ptrIiEEEEPS5_jNS0_19identity_decomposerEEE10hipError_tT1_T2_PT3_SK_jT4_jjP12ihipStream_tbEUlT_E0_NS1_11comp_targetILNS1_3genE3ELNS1_11target_archE908ELNS1_3gpuE7ELNS1_3repE0EEENS1_52radix_sort_onesweep_histogram_config_static_selectorELNS0_4arch9wavefront6targetE1EEEvSI_
    .private_segment_fixed_size: 0
    .sgpr_count:     6
    .sgpr_spill_count: 0
    .symbol:         _ZN7rocprim17ROCPRIM_400000_NS6detail17trampoline_kernelINS0_14default_configENS1_35radix_sort_onesweep_config_selectorIiNS0_10empty_typeEEEZNS1_34radix_sort_onesweep_global_offsetsIS3_Lb1EN6thrust23THRUST_200600_302600_NS6detail15normal_iteratorINS9_10device_ptrIiEEEEPS5_jNS0_19identity_decomposerEEE10hipError_tT1_T2_PT3_SK_jT4_jjP12ihipStream_tbEUlT_E0_NS1_11comp_targetILNS1_3genE3ELNS1_11target_archE908ELNS1_3gpuE7ELNS1_3repE0EEENS1_52radix_sort_onesweep_histogram_config_static_selectorELNS0_4arch9wavefront6targetE1EEEvSI_.kd
    .uniform_work_group_size: 1
    .uses_dynamic_stack: false
    .vgpr_count:     0
    .vgpr_spill_count: 0
    .wavefront_size: 64
  - .agpr_count:     0
    .args:
      - .address_space:  global
        .offset:         0
        .size:           8
        .value_kind:     global_buffer
    .group_segment_fixed_size: 0
    .kernarg_segment_align: 8
    .kernarg_segment_size: 8
    .language:       OpenCL C
    .language_version:
      - 2
      - 0
    .max_flat_workgroup_size: 1024
    .name:           _ZN7rocprim17ROCPRIM_400000_NS6detail17trampoline_kernelINS0_14default_configENS1_35radix_sort_onesweep_config_selectorIiNS0_10empty_typeEEEZNS1_34radix_sort_onesweep_global_offsetsIS3_Lb1EN6thrust23THRUST_200600_302600_NS6detail15normal_iteratorINS9_10device_ptrIiEEEEPS5_jNS0_19identity_decomposerEEE10hipError_tT1_T2_PT3_SK_jT4_jjP12ihipStream_tbEUlT_E0_NS1_11comp_targetILNS1_3genE10ELNS1_11target_archE1201ELNS1_3gpuE5ELNS1_3repE0EEENS1_52radix_sort_onesweep_histogram_config_static_selectorELNS0_4arch9wavefront6targetE1EEEvSI_
    .private_segment_fixed_size: 0
    .sgpr_count:     6
    .sgpr_spill_count: 0
    .symbol:         _ZN7rocprim17ROCPRIM_400000_NS6detail17trampoline_kernelINS0_14default_configENS1_35radix_sort_onesweep_config_selectorIiNS0_10empty_typeEEEZNS1_34radix_sort_onesweep_global_offsetsIS3_Lb1EN6thrust23THRUST_200600_302600_NS6detail15normal_iteratorINS9_10device_ptrIiEEEEPS5_jNS0_19identity_decomposerEEE10hipError_tT1_T2_PT3_SK_jT4_jjP12ihipStream_tbEUlT_E0_NS1_11comp_targetILNS1_3genE10ELNS1_11target_archE1201ELNS1_3gpuE5ELNS1_3repE0EEENS1_52radix_sort_onesweep_histogram_config_static_selectorELNS0_4arch9wavefront6targetE1EEEvSI_.kd
    .uniform_work_group_size: 1
    .uses_dynamic_stack: false
    .vgpr_count:     0
    .vgpr_spill_count: 0
    .wavefront_size: 64
  - .agpr_count:     0
    .args:
      - .address_space:  global
        .offset:         0
        .size:           8
        .value_kind:     global_buffer
    .group_segment_fixed_size: 0
    .kernarg_segment_align: 8
    .kernarg_segment_size: 8
    .language:       OpenCL C
    .language_version:
      - 2
      - 0
    .max_flat_workgroup_size: 1024
    .name:           _ZN7rocprim17ROCPRIM_400000_NS6detail17trampoline_kernelINS0_14default_configENS1_35radix_sort_onesweep_config_selectorIiNS0_10empty_typeEEEZNS1_34radix_sort_onesweep_global_offsetsIS3_Lb1EN6thrust23THRUST_200600_302600_NS6detail15normal_iteratorINS9_10device_ptrIiEEEEPS5_jNS0_19identity_decomposerEEE10hipError_tT1_T2_PT3_SK_jT4_jjP12ihipStream_tbEUlT_E0_NS1_11comp_targetILNS1_3genE9ELNS1_11target_archE1100ELNS1_3gpuE3ELNS1_3repE0EEENS1_52radix_sort_onesweep_histogram_config_static_selectorELNS0_4arch9wavefront6targetE1EEEvSI_
    .private_segment_fixed_size: 0
    .sgpr_count:     6
    .sgpr_spill_count: 0
    .symbol:         _ZN7rocprim17ROCPRIM_400000_NS6detail17trampoline_kernelINS0_14default_configENS1_35radix_sort_onesweep_config_selectorIiNS0_10empty_typeEEEZNS1_34radix_sort_onesweep_global_offsetsIS3_Lb1EN6thrust23THRUST_200600_302600_NS6detail15normal_iteratorINS9_10device_ptrIiEEEEPS5_jNS0_19identity_decomposerEEE10hipError_tT1_T2_PT3_SK_jT4_jjP12ihipStream_tbEUlT_E0_NS1_11comp_targetILNS1_3genE9ELNS1_11target_archE1100ELNS1_3gpuE3ELNS1_3repE0EEENS1_52radix_sort_onesweep_histogram_config_static_selectorELNS0_4arch9wavefront6targetE1EEEvSI_.kd
    .uniform_work_group_size: 1
    .uses_dynamic_stack: false
    .vgpr_count:     0
    .vgpr_spill_count: 0
    .wavefront_size: 64
  - .agpr_count:     0
    .args:
      - .address_space:  global
        .offset:         0
        .size:           8
        .value_kind:     global_buffer
    .group_segment_fixed_size: 0
    .kernarg_segment_align: 8
    .kernarg_segment_size: 8
    .language:       OpenCL C
    .language_version:
      - 2
      - 0
    .max_flat_workgroup_size: 1024
    .name:           _ZN7rocprim17ROCPRIM_400000_NS6detail17trampoline_kernelINS0_14default_configENS1_35radix_sort_onesweep_config_selectorIiNS0_10empty_typeEEEZNS1_34radix_sort_onesweep_global_offsetsIS3_Lb1EN6thrust23THRUST_200600_302600_NS6detail15normal_iteratorINS9_10device_ptrIiEEEEPS5_jNS0_19identity_decomposerEEE10hipError_tT1_T2_PT3_SK_jT4_jjP12ihipStream_tbEUlT_E0_NS1_11comp_targetILNS1_3genE8ELNS1_11target_archE1030ELNS1_3gpuE2ELNS1_3repE0EEENS1_52radix_sort_onesweep_histogram_config_static_selectorELNS0_4arch9wavefront6targetE1EEEvSI_
    .private_segment_fixed_size: 0
    .sgpr_count:     6
    .sgpr_spill_count: 0
    .symbol:         _ZN7rocprim17ROCPRIM_400000_NS6detail17trampoline_kernelINS0_14default_configENS1_35radix_sort_onesweep_config_selectorIiNS0_10empty_typeEEEZNS1_34radix_sort_onesweep_global_offsetsIS3_Lb1EN6thrust23THRUST_200600_302600_NS6detail15normal_iteratorINS9_10device_ptrIiEEEEPS5_jNS0_19identity_decomposerEEE10hipError_tT1_T2_PT3_SK_jT4_jjP12ihipStream_tbEUlT_E0_NS1_11comp_targetILNS1_3genE8ELNS1_11target_archE1030ELNS1_3gpuE2ELNS1_3repE0EEENS1_52radix_sort_onesweep_histogram_config_static_selectorELNS0_4arch9wavefront6targetE1EEEvSI_.kd
    .uniform_work_group_size: 1
    .uses_dynamic_stack: false
    .vgpr_count:     0
    .vgpr_spill_count: 0
    .wavefront_size: 64
  - .agpr_count:     0
    .args:
      - .offset:         0
        .size:           88
        .value_kind:     by_value
    .group_segment_fixed_size: 0
    .kernarg_segment_align: 8
    .kernarg_segment_size: 88
    .language:       OpenCL C
    .language_version:
      - 2
      - 0
    .max_flat_workgroup_size: 512
    .name:           _ZN7rocprim17ROCPRIM_400000_NS6detail17trampoline_kernelINS0_14default_configENS1_35radix_sort_onesweep_config_selectorIiNS0_10empty_typeEEEZZNS1_29radix_sort_onesweep_iterationIS3_Lb1EN6thrust23THRUST_200600_302600_NS6detail15normal_iteratorINS9_10device_ptrIiEEEESE_PS5_SF_jNS0_19identity_decomposerENS1_16block_id_wrapperIjLb1EEEEE10hipError_tT1_PNSt15iterator_traitsISK_E10value_typeET2_T3_PNSL_ISQ_E10value_typeET4_T5_PSV_SW_PNS1_23onesweep_lookback_stateEbbT6_jjT7_P12ihipStream_tbENKUlT_T0_SK_SP_E_clISE_SE_SF_SF_EEDaS13_S14_SK_SP_EUlS13_E_NS1_11comp_targetILNS1_3genE0ELNS1_11target_archE4294967295ELNS1_3gpuE0ELNS1_3repE0EEENS1_47radix_sort_onesweep_sort_config_static_selectorELNS0_4arch9wavefront6targetE1EEEvSK_
    .private_segment_fixed_size: 0
    .sgpr_count:     6
    .sgpr_spill_count: 0
    .symbol:         _ZN7rocprim17ROCPRIM_400000_NS6detail17trampoline_kernelINS0_14default_configENS1_35radix_sort_onesweep_config_selectorIiNS0_10empty_typeEEEZZNS1_29radix_sort_onesweep_iterationIS3_Lb1EN6thrust23THRUST_200600_302600_NS6detail15normal_iteratorINS9_10device_ptrIiEEEESE_PS5_SF_jNS0_19identity_decomposerENS1_16block_id_wrapperIjLb1EEEEE10hipError_tT1_PNSt15iterator_traitsISK_E10value_typeET2_T3_PNSL_ISQ_E10value_typeET4_T5_PSV_SW_PNS1_23onesweep_lookback_stateEbbT6_jjT7_P12ihipStream_tbENKUlT_T0_SK_SP_E_clISE_SE_SF_SF_EEDaS13_S14_SK_SP_EUlS13_E_NS1_11comp_targetILNS1_3genE0ELNS1_11target_archE4294967295ELNS1_3gpuE0ELNS1_3repE0EEENS1_47radix_sort_onesweep_sort_config_static_selectorELNS0_4arch9wavefront6targetE1EEEvSK_.kd
    .uniform_work_group_size: 1
    .uses_dynamic_stack: false
    .vgpr_count:     0
    .vgpr_spill_count: 0
    .wavefront_size: 64
  - .agpr_count:     0
    .args:
      - .offset:         0
        .size:           88
        .value_kind:     by_value
      - .offset:         88
        .size:           4
        .value_kind:     hidden_block_count_x
      - .offset:         92
        .size:           4
        .value_kind:     hidden_block_count_y
      - .offset:         96
        .size:           4
        .value_kind:     hidden_block_count_z
      - .offset:         100
        .size:           2
        .value_kind:     hidden_group_size_x
      - .offset:         102
        .size:           2
        .value_kind:     hidden_group_size_y
      - .offset:         104
        .size:           2
        .value_kind:     hidden_group_size_z
      - .offset:         106
        .size:           2
        .value_kind:     hidden_remainder_x
      - .offset:         108
        .size:           2
        .value_kind:     hidden_remainder_y
      - .offset:         110
        .size:           2
        .value_kind:     hidden_remainder_z
      - .offset:         128
        .size:           8
        .value_kind:     hidden_global_offset_x
      - .offset:         136
        .size:           8
        .value_kind:     hidden_global_offset_y
      - .offset:         144
        .size:           8
        .value_kind:     hidden_global_offset_z
      - .offset:         152
        .size:           2
        .value_kind:     hidden_grid_dims
    .group_segment_fixed_size: 20552
    .kernarg_segment_align: 8
    .kernarg_segment_size: 344
    .language:       OpenCL C
    .language_version:
      - 2
      - 0
    .max_flat_workgroup_size: 1024
    .name:           _ZN7rocprim17ROCPRIM_400000_NS6detail17trampoline_kernelINS0_14default_configENS1_35radix_sort_onesweep_config_selectorIiNS0_10empty_typeEEEZZNS1_29radix_sort_onesweep_iterationIS3_Lb1EN6thrust23THRUST_200600_302600_NS6detail15normal_iteratorINS9_10device_ptrIiEEEESE_PS5_SF_jNS0_19identity_decomposerENS1_16block_id_wrapperIjLb1EEEEE10hipError_tT1_PNSt15iterator_traitsISK_E10value_typeET2_T3_PNSL_ISQ_E10value_typeET4_T5_PSV_SW_PNS1_23onesweep_lookback_stateEbbT6_jjT7_P12ihipStream_tbENKUlT_T0_SK_SP_E_clISE_SE_SF_SF_EEDaS13_S14_SK_SP_EUlS13_E_NS1_11comp_targetILNS1_3genE6ELNS1_11target_archE950ELNS1_3gpuE13ELNS1_3repE0EEENS1_47radix_sort_onesweep_sort_config_static_selectorELNS0_4arch9wavefront6targetE1EEEvSK_
    .private_segment_fixed_size: 0
    .sgpr_count:     41
    .sgpr_spill_count: 0
    .symbol:         _ZN7rocprim17ROCPRIM_400000_NS6detail17trampoline_kernelINS0_14default_configENS1_35radix_sort_onesweep_config_selectorIiNS0_10empty_typeEEEZZNS1_29radix_sort_onesweep_iterationIS3_Lb1EN6thrust23THRUST_200600_302600_NS6detail15normal_iteratorINS9_10device_ptrIiEEEESE_PS5_SF_jNS0_19identity_decomposerENS1_16block_id_wrapperIjLb1EEEEE10hipError_tT1_PNSt15iterator_traitsISK_E10value_typeET2_T3_PNSL_ISQ_E10value_typeET4_T5_PSV_SW_PNS1_23onesweep_lookback_stateEbbT6_jjT7_P12ihipStream_tbENKUlT_T0_SK_SP_E_clISE_SE_SF_SF_EEDaS13_S14_SK_SP_EUlS13_E_NS1_11comp_targetILNS1_3genE6ELNS1_11target_archE950ELNS1_3gpuE13ELNS1_3repE0EEENS1_47radix_sort_onesweep_sort_config_static_selectorELNS0_4arch9wavefront6targetE1EEEvSK_.kd
    .uniform_work_group_size: 1
    .uses_dynamic_stack: false
    .vgpr_count:     46
    .vgpr_spill_count: 0
    .wavefront_size: 64
  - .agpr_count:     0
    .args:
      - .offset:         0
        .size:           88
        .value_kind:     by_value
    .group_segment_fixed_size: 0
    .kernarg_segment_align: 8
    .kernarg_segment_size: 88
    .language:       OpenCL C
    .language_version:
      - 2
      - 0
    .max_flat_workgroup_size: 1024
    .name:           _ZN7rocprim17ROCPRIM_400000_NS6detail17trampoline_kernelINS0_14default_configENS1_35radix_sort_onesweep_config_selectorIiNS0_10empty_typeEEEZZNS1_29radix_sort_onesweep_iterationIS3_Lb1EN6thrust23THRUST_200600_302600_NS6detail15normal_iteratorINS9_10device_ptrIiEEEESE_PS5_SF_jNS0_19identity_decomposerENS1_16block_id_wrapperIjLb1EEEEE10hipError_tT1_PNSt15iterator_traitsISK_E10value_typeET2_T3_PNSL_ISQ_E10value_typeET4_T5_PSV_SW_PNS1_23onesweep_lookback_stateEbbT6_jjT7_P12ihipStream_tbENKUlT_T0_SK_SP_E_clISE_SE_SF_SF_EEDaS13_S14_SK_SP_EUlS13_E_NS1_11comp_targetILNS1_3genE5ELNS1_11target_archE942ELNS1_3gpuE9ELNS1_3repE0EEENS1_47radix_sort_onesweep_sort_config_static_selectorELNS0_4arch9wavefront6targetE1EEEvSK_
    .private_segment_fixed_size: 0
    .sgpr_count:     6
    .sgpr_spill_count: 0
    .symbol:         _ZN7rocprim17ROCPRIM_400000_NS6detail17trampoline_kernelINS0_14default_configENS1_35radix_sort_onesweep_config_selectorIiNS0_10empty_typeEEEZZNS1_29radix_sort_onesweep_iterationIS3_Lb1EN6thrust23THRUST_200600_302600_NS6detail15normal_iteratorINS9_10device_ptrIiEEEESE_PS5_SF_jNS0_19identity_decomposerENS1_16block_id_wrapperIjLb1EEEEE10hipError_tT1_PNSt15iterator_traitsISK_E10value_typeET2_T3_PNSL_ISQ_E10value_typeET4_T5_PSV_SW_PNS1_23onesweep_lookback_stateEbbT6_jjT7_P12ihipStream_tbENKUlT_T0_SK_SP_E_clISE_SE_SF_SF_EEDaS13_S14_SK_SP_EUlS13_E_NS1_11comp_targetILNS1_3genE5ELNS1_11target_archE942ELNS1_3gpuE9ELNS1_3repE0EEENS1_47radix_sort_onesweep_sort_config_static_selectorELNS0_4arch9wavefront6targetE1EEEvSK_.kd
    .uniform_work_group_size: 1
    .uses_dynamic_stack: false
    .vgpr_count:     0
    .vgpr_spill_count: 0
    .wavefront_size: 64
  - .agpr_count:     0
    .args:
      - .offset:         0
        .size:           88
        .value_kind:     by_value
    .group_segment_fixed_size: 0
    .kernarg_segment_align: 8
    .kernarg_segment_size: 88
    .language:       OpenCL C
    .language_version:
      - 2
      - 0
    .max_flat_workgroup_size: 1024
    .name:           _ZN7rocprim17ROCPRIM_400000_NS6detail17trampoline_kernelINS0_14default_configENS1_35radix_sort_onesweep_config_selectorIiNS0_10empty_typeEEEZZNS1_29radix_sort_onesweep_iterationIS3_Lb1EN6thrust23THRUST_200600_302600_NS6detail15normal_iteratorINS9_10device_ptrIiEEEESE_PS5_SF_jNS0_19identity_decomposerENS1_16block_id_wrapperIjLb1EEEEE10hipError_tT1_PNSt15iterator_traitsISK_E10value_typeET2_T3_PNSL_ISQ_E10value_typeET4_T5_PSV_SW_PNS1_23onesweep_lookback_stateEbbT6_jjT7_P12ihipStream_tbENKUlT_T0_SK_SP_E_clISE_SE_SF_SF_EEDaS13_S14_SK_SP_EUlS13_E_NS1_11comp_targetILNS1_3genE2ELNS1_11target_archE906ELNS1_3gpuE6ELNS1_3repE0EEENS1_47radix_sort_onesweep_sort_config_static_selectorELNS0_4arch9wavefront6targetE1EEEvSK_
    .private_segment_fixed_size: 0
    .sgpr_count:     6
    .sgpr_spill_count: 0
    .symbol:         _ZN7rocprim17ROCPRIM_400000_NS6detail17trampoline_kernelINS0_14default_configENS1_35radix_sort_onesweep_config_selectorIiNS0_10empty_typeEEEZZNS1_29radix_sort_onesweep_iterationIS3_Lb1EN6thrust23THRUST_200600_302600_NS6detail15normal_iteratorINS9_10device_ptrIiEEEESE_PS5_SF_jNS0_19identity_decomposerENS1_16block_id_wrapperIjLb1EEEEE10hipError_tT1_PNSt15iterator_traitsISK_E10value_typeET2_T3_PNSL_ISQ_E10value_typeET4_T5_PSV_SW_PNS1_23onesweep_lookback_stateEbbT6_jjT7_P12ihipStream_tbENKUlT_T0_SK_SP_E_clISE_SE_SF_SF_EEDaS13_S14_SK_SP_EUlS13_E_NS1_11comp_targetILNS1_3genE2ELNS1_11target_archE906ELNS1_3gpuE6ELNS1_3repE0EEENS1_47radix_sort_onesweep_sort_config_static_selectorELNS0_4arch9wavefront6targetE1EEEvSK_.kd
    .uniform_work_group_size: 1
    .uses_dynamic_stack: false
    .vgpr_count:     0
    .vgpr_spill_count: 0
    .wavefront_size: 64
  - .agpr_count:     0
    .args:
      - .offset:         0
        .size:           88
        .value_kind:     by_value
    .group_segment_fixed_size: 0
    .kernarg_segment_align: 8
    .kernarg_segment_size: 88
    .language:       OpenCL C
    .language_version:
      - 2
      - 0
    .max_flat_workgroup_size: 1024
    .name:           _ZN7rocprim17ROCPRIM_400000_NS6detail17trampoline_kernelINS0_14default_configENS1_35radix_sort_onesweep_config_selectorIiNS0_10empty_typeEEEZZNS1_29radix_sort_onesweep_iterationIS3_Lb1EN6thrust23THRUST_200600_302600_NS6detail15normal_iteratorINS9_10device_ptrIiEEEESE_PS5_SF_jNS0_19identity_decomposerENS1_16block_id_wrapperIjLb1EEEEE10hipError_tT1_PNSt15iterator_traitsISK_E10value_typeET2_T3_PNSL_ISQ_E10value_typeET4_T5_PSV_SW_PNS1_23onesweep_lookback_stateEbbT6_jjT7_P12ihipStream_tbENKUlT_T0_SK_SP_E_clISE_SE_SF_SF_EEDaS13_S14_SK_SP_EUlS13_E_NS1_11comp_targetILNS1_3genE4ELNS1_11target_archE910ELNS1_3gpuE8ELNS1_3repE0EEENS1_47radix_sort_onesweep_sort_config_static_selectorELNS0_4arch9wavefront6targetE1EEEvSK_
    .private_segment_fixed_size: 0
    .sgpr_count:     6
    .sgpr_spill_count: 0
    .symbol:         _ZN7rocprim17ROCPRIM_400000_NS6detail17trampoline_kernelINS0_14default_configENS1_35radix_sort_onesweep_config_selectorIiNS0_10empty_typeEEEZZNS1_29radix_sort_onesweep_iterationIS3_Lb1EN6thrust23THRUST_200600_302600_NS6detail15normal_iteratorINS9_10device_ptrIiEEEESE_PS5_SF_jNS0_19identity_decomposerENS1_16block_id_wrapperIjLb1EEEEE10hipError_tT1_PNSt15iterator_traitsISK_E10value_typeET2_T3_PNSL_ISQ_E10value_typeET4_T5_PSV_SW_PNS1_23onesweep_lookback_stateEbbT6_jjT7_P12ihipStream_tbENKUlT_T0_SK_SP_E_clISE_SE_SF_SF_EEDaS13_S14_SK_SP_EUlS13_E_NS1_11comp_targetILNS1_3genE4ELNS1_11target_archE910ELNS1_3gpuE8ELNS1_3repE0EEENS1_47radix_sort_onesweep_sort_config_static_selectorELNS0_4arch9wavefront6targetE1EEEvSK_.kd
    .uniform_work_group_size: 1
    .uses_dynamic_stack: false
    .vgpr_count:     0
    .vgpr_spill_count: 0
    .wavefront_size: 64
  - .agpr_count:     0
    .args:
      - .offset:         0
        .size:           88
        .value_kind:     by_value
    .group_segment_fixed_size: 0
    .kernarg_segment_align: 8
    .kernarg_segment_size: 88
    .language:       OpenCL C
    .language_version:
      - 2
      - 0
    .max_flat_workgroup_size: 512
    .name:           _ZN7rocprim17ROCPRIM_400000_NS6detail17trampoline_kernelINS0_14default_configENS1_35radix_sort_onesweep_config_selectorIiNS0_10empty_typeEEEZZNS1_29radix_sort_onesweep_iterationIS3_Lb1EN6thrust23THRUST_200600_302600_NS6detail15normal_iteratorINS9_10device_ptrIiEEEESE_PS5_SF_jNS0_19identity_decomposerENS1_16block_id_wrapperIjLb1EEEEE10hipError_tT1_PNSt15iterator_traitsISK_E10value_typeET2_T3_PNSL_ISQ_E10value_typeET4_T5_PSV_SW_PNS1_23onesweep_lookback_stateEbbT6_jjT7_P12ihipStream_tbENKUlT_T0_SK_SP_E_clISE_SE_SF_SF_EEDaS13_S14_SK_SP_EUlS13_E_NS1_11comp_targetILNS1_3genE3ELNS1_11target_archE908ELNS1_3gpuE7ELNS1_3repE0EEENS1_47radix_sort_onesweep_sort_config_static_selectorELNS0_4arch9wavefront6targetE1EEEvSK_
    .private_segment_fixed_size: 0
    .sgpr_count:     6
    .sgpr_spill_count: 0
    .symbol:         _ZN7rocprim17ROCPRIM_400000_NS6detail17trampoline_kernelINS0_14default_configENS1_35radix_sort_onesweep_config_selectorIiNS0_10empty_typeEEEZZNS1_29radix_sort_onesweep_iterationIS3_Lb1EN6thrust23THRUST_200600_302600_NS6detail15normal_iteratorINS9_10device_ptrIiEEEESE_PS5_SF_jNS0_19identity_decomposerENS1_16block_id_wrapperIjLb1EEEEE10hipError_tT1_PNSt15iterator_traitsISK_E10value_typeET2_T3_PNSL_ISQ_E10value_typeET4_T5_PSV_SW_PNS1_23onesweep_lookback_stateEbbT6_jjT7_P12ihipStream_tbENKUlT_T0_SK_SP_E_clISE_SE_SF_SF_EEDaS13_S14_SK_SP_EUlS13_E_NS1_11comp_targetILNS1_3genE3ELNS1_11target_archE908ELNS1_3gpuE7ELNS1_3repE0EEENS1_47radix_sort_onesweep_sort_config_static_selectorELNS0_4arch9wavefront6targetE1EEEvSK_.kd
    .uniform_work_group_size: 1
    .uses_dynamic_stack: false
    .vgpr_count:     0
    .vgpr_spill_count: 0
    .wavefront_size: 64
  - .agpr_count:     0
    .args:
      - .offset:         0
        .size:           88
        .value_kind:     by_value
    .group_segment_fixed_size: 0
    .kernarg_segment_align: 8
    .kernarg_segment_size: 88
    .language:       OpenCL C
    .language_version:
      - 2
      - 0
    .max_flat_workgroup_size: 1024
    .name:           _ZN7rocprim17ROCPRIM_400000_NS6detail17trampoline_kernelINS0_14default_configENS1_35radix_sort_onesweep_config_selectorIiNS0_10empty_typeEEEZZNS1_29radix_sort_onesweep_iterationIS3_Lb1EN6thrust23THRUST_200600_302600_NS6detail15normal_iteratorINS9_10device_ptrIiEEEESE_PS5_SF_jNS0_19identity_decomposerENS1_16block_id_wrapperIjLb1EEEEE10hipError_tT1_PNSt15iterator_traitsISK_E10value_typeET2_T3_PNSL_ISQ_E10value_typeET4_T5_PSV_SW_PNS1_23onesweep_lookback_stateEbbT6_jjT7_P12ihipStream_tbENKUlT_T0_SK_SP_E_clISE_SE_SF_SF_EEDaS13_S14_SK_SP_EUlS13_E_NS1_11comp_targetILNS1_3genE10ELNS1_11target_archE1201ELNS1_3gpuE5ELNS1_3repE0EEENS1_47radix_sort_onesweep_sort_config_static_selectorELNS0_4arch9wavefront6targetE1EEEvSK_
    .private_segment_fixed_size: 0
    .sgpr_count:     6
    .sgpr_spill_count: 0
    .symbol:         _ZN7rocprim17ROCPRIM_400000_NS6detail17trampoline_kernelINS0_14default_configENS1_35radix_sort_onesweep_config_selectorIiNS0_10empty_typeEEEZZNS1_29radix_sort_onesweep_iterationIS3_Lb1EN6thrust23THRUST_200600_302600_NS6detail15normal_iteratorINS9_10device_ptrIiEEEESE_PS5_SF_jNS0_19identity_decomposerENS1_16block_id_wrapperIjLb1EEEEE10hipError_tT1_PNSt15iterator_traitsISK_E10value_typeET2_T3_PNSL_ISQ_E10value_typeET4_T5_PSV_SW_PNS1_23onesweep_lookback_stateEbbT6_jjT7_P12ihipStream_tbENKUlT_T0_SK_SP_E_clISE_SE_SF_SF_EEDaS13_S14_SK_SP_EUlS13_E_NS1_11comp_targetILNS1_3genE10ELNS1_11target_archE1201ELNS1_3gpuE5ELNS1_3repE0EEENS1_47radix_sort_onesweep_sort_config_static_selectorELNS0_4arch9wavefront6targetE1EEEvSK_.kd
    .uniform_work_group_size: 1
    .uses_dynamic_stack: false
    .vgpr_count:     0
    .vgpr_spill_count: 0
    .wavefront_size: 64
  - .agpr_count:     0
    .args:
      - .offset:         0
        .size:           88
        .value_kind:     by_value
    .group_segment_fixed_size: 0
    .kernarg_segment_align: 8
    .kernarg_segment_size: 88
    .language:       OpenCL C
    .language_version:
      - 2
      - 0
    .max_flat_workgroup_size: 1024
    .name:           _ZN7rocprim17ROCPRIM_400000_NS6detail17trampoline_kernelINS0_14default_configENS1_35radix_sort_onesweep_config_selectorIiNS0_10empty_typeEEEZZNS1_29radix_sort_onesweep_iterationIS3_Lb1EN6thrust23THRUST_200600_302600_NS6detail15normal_iteratorINS9_10device_ptrIiEEEESE_PS5_SF_jNS0_19identity_decomposerENS1_16block_id_wrapperIjLb1EEEEE10hipError_tT1_PNSt15iterator_traitsISK_E10value_typeET2_T3_PNSL_ISQ_E10value_typeET4_T5_PSV_SW_PNS1_23onesweep_lookback_stateEbbT6_jjT7_P12ihipStream_tbENKUlT_T0_SK_SP_E_clISE_SE_SF_SF_EEDaS13_S14_SK_SP_EUlS13_E_NS1_11comp_targetILNS1_3genE9ELNS1_11target_archE1100ELNS1_3gpuE3ELNS1_3repE0EEENS1_47radix_sort_onesweep_sort_config_static_selectorELNS0_4arch9wavefront6targetE1EEEvSK_
    .private_segment_fixed_size: 0
    .sgpr_count:     6
    .sgpr_spill_count: 0
    .symbol:         _ZN7rocprim17ROCPRIM_400000_NS6detail17trampoline_kernelINS0_14default_configENS1_35radix_sort_onesweep_config_selectorIiNS0_10empty_typeEEEZZNS1_29radix_sort_onesweep_iterationIS3_Lb1EN6thrust23THRUST_200600_302600_NS6detail15normal_iteratorINS9_10device_ptrIiEEEESE_PS5_SF_jNS0_19identity_decomposerENS1_16block_id_wrapperIjLb1EEEEE10hipError_tT1_PNSt15iterator_traitsISK_E10value_typeET2_T3_PNSL_ISQ_E10value_typeET4_T5_PSV_SW_PNS1_23onesweep_lookback_stateEbbT6_jjT7_P12ihipStream_tbENKUlT_T0_SK_SP_E_clISE_SE_SF_SF_EEDaS13_S14_SK_SP_EUlS13_E_NS1_11comp_targetILNS1_3genE9ELNS1_11target_archE1100ELNS1_3gpuE3ELNS1_3repE0EEENS1_47radix_sort_onesweep_sort_config_static_selectorELNS0_4arch9wavefront6targetE1EEEvSK_.kd
    .uniform_work_group_size: 1
    .uses_dynamic_stack: false
    .vgpr_count:     0
    .vgpr_spill_count: 0
    .wavefront_size: 64
  - .agpr_count:     0
    .args:
      - .offset:         0
        .size:           88
        .value_kind:     by_value
    .group_segment_fixed_size: 0
    .kernarg_segment_align: 8
    .kernarg_segment_size: 88
    .language:       OpenCL C
    .language_version:
      - 2
      - 0
    .max_flat_workgroup_size: 1024
    .name:           _ZN7rocprim17ROCPRIM_400000_NS6detail17trampoline_kernelINS0_14default_configENS1_35radix_sort_onesweep_config_selectorIiNS0_10empty_typeEEEZZNS1_29radix_sort_onesweep_iterationIS3_Lb1EN6thrust23THRUST_200600_302600_NS6detail15normal_iteratorINS9_10device_ptrIiEEEESE_PS5_SF_jNS0_19identity_decomposerENS1_16block_id_wrapperIjLb1EEEEE10hipError_tT1_PNSt15iterator_traitsISK_E10value_typeET2_T3_PNSL_ISQ_E10value_typeET4_T5_PSV_SW_PNS1_23onesweep_lookback_stateEbbT6_jjT7_P12ihipStream_tbENKUlT_T0_SK_SP_E_clISE_SE_SF_SF_EEDaS13_S14_SK_SP_EUlS13_E_NS1_11comp_targetILNS1_3genE8ELNS1_11target_archE1030ELNS1_3gpuE2ELNS1_3repE0EEENS1_47radix_sort_onesweep_sort_config_static_selectorELNS0_4arch9wavefront6targetE1EEEvSK_
    .private_segment_fixed_size: 0
    .sgpr_count:     6
    .sgpr_spill_count: 0
    .symbol:         _ZN7rocprim17ROCPRIM_400000_NS6detail17trampoline_kernelINS0_14default_configENS1_35radix_sort_onesweep_config_selectorIiNS0_10empty_typeEEEZZNS1_29radix_sort_onesweep_iterationIS3_Lb1EN6thrust23THRUST_200600_302600_NS6detail15normal_iteratorINS9_10device_ptrIiEEEESE_PS5_SF_jNS0_19identity_decomposerENS1_16block_id_wrapperIjLb1EEEEE10hipError_tT1_PNSt15iterator_traitsISK_E10value_typeET2_T3_PNSL_ISQ_E10value_typeET4_T5_PSV_SW_PNS1_23onesweep_lookback_stateEbbT6_jjT7_P12ihipStream_tbENKUlT_T0_SK_SP_E_clISE_SE_SF_SF_EEDaS13_S14_SK_SP_EUlS13_E_NS1_11comp_targetILNS1_3genE8ELNS1_11target_archE1030ELNS1_3gpuE2ELNS1_3repE0EEENS1_47radix_sort_onesweep_sort_config_static_selectorELNS0_4arch9wavefront6targetE1EEEvSK_.kd
    .uniform_work_group_size: 1
    .uses_dynamic_stack: false
    .vgpr_count:     0
    .vgpr_spill_count: 0
    .wavefront_size: 64
  - .agpr_count:     0
    .args:
      - .offset:         0
        .size:           88
        .value_kind:     by_value
    .group_segment_fixed_size: 0
    .kernarg_segment_align: 8
    .kernarg_segment_size: 88
    .language:       OpenCL C
    .language_version:
      - 2
      - 0
    .max_flat_workgroup_size: 512
    .name:           _ZN7rocprim17ROCPRIM_400000_NS6detail17trampoline_kernelINS0_14default_configENS1_35radix_sort_onesweep_config_selectorIiNS0_10empty_typeEEEZZNS1_29radix_sort_onesweep_iterationIS3_Lb1EN6thrust23THRUST_200600_302600_NS6detail15normal_iteratorINS9_10device_ptrIiEEEESE_PS5_SF_jNS0_19identity_decomposerENS1_16block_id_wrapperIjLb1EEEEE10hipError_tT1_PNSt15iterator_traitsISK_E10value_typeET2_T3_PNSL_ISQ_E10value_typeET4_T5_PSV_SW_PNS1_23onesweep_lookback_stateEbbT6_jjT7_P12ihipStream_tbENKUlT_T0_SK_SP_E_clISE_PiSF_SF_EEDaS13_S14_SK_SP_EUlS13_E_NS1_11comp_targetILNS1_3genE0ELNS1_11target_archE4294967295ELNS1_3gpuE0ELNS1_3repE0EEENS1_47radix_sort_onesweep_sort_config_static_selectorELNS0_4arch9wavefront6targetE1EEEvSK_
    .private_segment_fixed_size: 0
    .sgpr_count:     6
    .sgpr_spill_count: 0
    .symbol:         _ZN7rocprim17ROCPRIM_400000_NS6detail17trampoline_kernelINS0_14default_configENS1_35radix_sort_onesweep_config_selectorIiNS0_10empty_typeEEEZZNS1_29radix_sort_onesweep_iterationIS3_Lb1EN6thrust23THRUST_200600_302600_NS6detail15normal_iteratorINS9_10device_ptrIiEEEESE_PS5_SF_jNS0_19identity_decomposerENS1_16block_id_wrapperIjLb1EEEEE10hipError_tT1_PNSt15iterator_traitsISK_E10value_typeET2_T3_PNSL_ISQ_E10value_typeET4_T5_PSV_SW_PNS1_23onesweep_lookback_stateEbbT6_jjT7_P12ihipStream_tbENKUlT_T0_SK_SP_E_clISE_PiSF_SF_EEDaS13_S14_SK_SP_EUlS13_E_NS1_11comp_targetILNS1_3genE0ELNS1_11target_archE4294967295ELNS1_3gpuE0ELNS1_3repE0EEENS1_47radix_sort_onesweep_sort_config_static_selectorELNS0_4arch9wavefront6targetE1EEEvSK_.kd
    .uniform_work_group_size: 1
    .uses_dynamic_stack: false
    .vgpr_count:     0
    .vgpr_spill_count: 0
    .wavefront_size: 64
  - .agpr_count:     0
    .args:
      - .offset:         0
        .size:           88
        .value_kind:     by_value
      - .offset:         88
        .size:           4
        .value_kind:     hidden_block_count_x
      - .offset:         92
        .size:           4
        .value_kind:     hidden_block_count_y
      - .offset:         96
        .size:           4
        .value_kind:     hidden_block_count_z
      - .offset:         100
        .size:           2
        .value_kind:     hidden_group_size_x
      - .offset:         102
        .size:           2
        .value_kind:     hidden_group_size_y
      - .offset:         104
        .size:           2
        .value_kind:     hidden_group_size_z
      - .offset:         106
        .size:           2
        .value_kind:     hidden_remainder_x
      - .offset:         108
        .size:           2
        .value_kind:     hidden_remainder_y
      - .offset:         110
        .size:           2
        .value_kind:     hidden_remainder_z
      - .offset:         128
        .size:           8
        .value_kind:     hidden_global_offset_x
      - .offset:         136
        .size:           8
        .value_kind:     hidden_global_offset_y
      - .offset:         144
        .size:           8
        .value_kind:     hidden_global_offset_z
      - .offset:         152
        .size:           2
        .value_kind:     hidden_grid_dims
    .group_segment_fixed_size: 20552
    .kernarg_segment_align: 8
    .kernarg_segment_size: 344
    .language:       OpenCL C
    .language_version:
      - 2
      - 0
    .max_flat_workgroup_size: 1024
    .name:           _ZN7rocprim17ROCPRIM_400000_NS6detail17trampoline_kernelINS0_14default_configENS1_35radix_sort_onesweep_config_selectorIiNS0_10empty_typeEEEZZNS1_29radix_sort_onesweep_iterationIS3_Lb1EN6thrust23THRUST_200600_302600_NS6detail15normal_iteratorINS9_10device_ptrIiEEEESE_PS5_SF_jNS0_19identity_decomposerENS1_16block_id_wrapperIjLb1EEEEE10hipError_tT1_PNSt15iterator_traitsISK_E10value_typeET2_T3_PNSL_ISQ_E10value_typeET4_T5_PSV_SW_PNS1_23onesweep_lookback_stateEbbT6_jjT7_P12ihipStream_tbENKUlT_T0_SK_SP_E_clISE_PiSF_SF_EEDaS13_S14_SK_SP_EUlS13_E_NS1_11comp_targetILNS1_3genE6ELNS1_11target_archE950ELNS1_3gpuE13ELNS1_3repE0EEENS1_47radix_sort_onesweep_sort_config_static_selectorELNS0_4arch9wavefront6targetE1EEEvSK_
    .private_segment_fixed_size: 0
    .sgpr_count:     41
    .sgpr_spill_count: 0
    .symbol:         _ZN7rocprim17ROCPRIM_400000_NS6detail17trampoline_kernelINS0_14default_configENS1_35radix_sort_onesweep_config_selectorIiNS0_10empty_typeEEEZZNS1_29radix_sort_onesweep_iterationIS3_Lb1EN6thrust23THRUST_200600_302600_NS6detail15normal_iteratorINS9_10device_ptrIiEEEESE_PS5_SF_jNS0_19identity_decomposerENS1_16block_id_wrapperIjLb1EEEEE10hipError_tT1_PNSt15iterator_traitsISK_E10value_typeET2_T3_PNSL_ISQ_E10value_typeET4_T5_PSV_SW_PNS1_23onesweep_lookback_stateEbbT6_jjT7_P12ihipStream_tbENKUlT_T0_SK_SP_E_clISE_PiSF_SF_EEDaS13_S14_SK_SP_EUlS13_E_NS1_11comp_targetILNS1_3genE6ELNS1_11target_archE950ELNS1_3gpuE13ELNS1_3repE0EEENS1_47radix_sort_onesweep_sort_config_static_selectorELNS0_4arch9wavefront6targetE1EEEvSK_.kd
    .uniform_work_group_size: 1
    .uses_dynamic_stack: false
    .vgpr_count:     46
    .vgpr_spill_count: 0
    .wavefront_size: 64
  - .agpr_count:     0
    .args:
      - .offset:         0
        .size:           88
        .value_kind:     by_value
    .group_segment_fixed_size: 0
    .kernarg_segment_align: 8
    .kernarg_segment_size: 88
    .language:       OpenCL C
    .language_version:
      - 2
      - 0
    .max_flat_workgroup_size: 1024
    .name:           _ZN7rocprim17ROCPRIM_400000_NS6detail17trampoline_kernelINS0_14default_configENS1_35radix_sort_onesweep_config_selectorIiNS0_10empty_typeEEEZZNS1_29radix_sort_onesweep_iterationIS3_Lb1EN6thrust23THRUST_200600_302600_NS6detail15normal_iteratorINS9_10device_ptrIiEEEESE_PS5_SF_jNS0_19identity_decomposerENS1_16block_id_wrapperIjLb1EEEEE10hipError_tT1_PNSt15iterator_traitsISK_E10value_typeET2_T3_PNSL_ISQ_E10value_typeET4_T5_PSV_SW_PNS1_23onesweep_lookback_stateEbbT6_jjT7_P12ihipStream_tbENKUlT_T0_SK_SP_E_clISE_PiSF_SF_EEDaS13_S14_SK_SP_EUlS13_E_NS1_11comp_targetILNS1_3genE5ELNS1_11target_archE942ELNS1_3gpuE9ELNS1_3repE0EEENS1_47radix_sort_onesweep_sort_config_static_selectorELNS0_4arch9wavefront6targetE1EEEvSK_
    .private_segment_fixed_size: 0
    .sgpr_count:     6
    .sgpr_spill_count: 0
    .symbol:         _ZN7rocprim17ROCPRIM_400000_NS6detail17trampoline_kernelINS0_14default_configENS1_35radix_sort_onesweep_config_selectorIiNS0_10empty_typeEEEZZNS1_29radix_sort_onesweep_iterationIS3_Lb1EN6thrust23THRUST_200600_302600_NS6detail15normal_iteratorINS9_10device_ptrIiEEEESE_PS5_SF_jNS0_19identity_decomposerENS1_16block_id_wrapperIjLb1EEEEE10hipError_tT1_PNSt15iterator_traitsISK_E10value_typeET2_T3_PNSL_ISQ_E10value_typeET4_T5_PSV_SW_PNS1_23onesweep_lookback_stateEbbT6_jjT7_P12ihipStream_tbENKUlT_T0_SK_SP_E_clISE_PiSF_SF_EEDaS13_S14_SK_SP_EUlS13_E_NS1_11comp_targetILNS1_3genE5ELNS1_11target_archE942ELNS1_3gpuE9ELNS1_3repE0EEENS1_47radix_sort_onesweep_sort_config_static_selectorELNS0_4arch9wavefront6targetE1EEEvSK_.kd
    .uniform_work_group_size: 1
    .uses_dynamic_stack: false
    .vgpr_count:     0
    .vgpr_spill_count: 0
    .wavefront_size: 64
  - .agpr_count:     0
    .args:
      - .offset:         0
        .size:           88
        .value_kind:     by_value
    .group_segment_fixed_size: 0
    .kernarg_segment_align: 8
    .kernarg_segment_size: 88
    .language:       OpenCL C
    .language_version:
      - 2
      - 0
    .max_flat_workgroup_size: 1024
    .name:           _ZN7rocprim17ROCPRIM_400000_NS6detail17trampoline_kernelINS0_14default_configENS1_35radix_sort_onesweep_config_selectorIiNS0_10empty_typeEEEZZNS1_29radix_sort_onesweep_iterationIS3_Lb1EN6thrust23THRUST_200600_302600_NS6detail15normal_iteratorINS9_10device_ptrIiEEEESE_PS5_SF_jNS0_19identity_decomposerENS1_16block_id_wrapperIjLb1EEEEE10hipError_tT1_PNSt15iterator_traitsISK_E10value_typeET2_T3_PNSL_ISQ_E10value_typeET4_T5_PSV_SW_PNS1_23onesweep_lookback_stateEbbT6_jjT7_P12ihipStream_tbENKUlT_T0_SK_SP_E_clISE_PiSF_SF_EEDaS13_S14_SK_SP_EUlS13_E_NS1_11comp_targetILNS1_3genE2ELNS1_11target_archE906ELNS1_3gpuE6ELNS1_3repE0EEENS1_47radix_sort_onesweep_sort_config_static_selectorELNS0_4arch9wavefront6targetE1EEEvSK_
    .private_segment_fixed_size: 0
    .sgpr_count:     6
    .sgpr_spill_count: 0
    .symbol:         _ZN7rocprim17ROCPRIM_400000_NS6detail17trampoline_kernelINS0_14default_configENS1_35radix_sort_onesweep_config_selectorIiNS0_10empty_typeEEEZZNS1_29radix_sort_onesweep_iterationIS3_Lb1EN6thrust23THRUST_200600_302600_NS6detail15normal_iteratorINS9_10device_ptrIiEEEESE_PS5_SF_jNS0_19identity_decomposerENS1_16block_id_wrapperIjLb1EEEEE10hipError_tT1_PNSt15iterator_traitsISK_E10value_typeET2_T3_PNSL_ISQ_E10value_typeET4_T5_PSV_SW_PNS1_23onesweep_lookback_stateEbbT6_jjT7_P12ihipStream_tbENKUlT_T0_SK_SP_E_clISE_PiSF_SF_EEDaS13_S14_SK_SP_EUlS13_E_NS1_11comp_targetILNS1_3genE2ELNS1_11target_archE906ELNS1_3gpuE6ELNS1_3repE0EEENS1_47radix_sort_onesweep_sort_config_static_selectorELNS0_4arch9wavefront6targetE1EEEvSK_.kd
    .uniform_work_group_size: 1
    .uses_dynamic_stack: false
    .vgpr_count:     0
    .vgpr_spill_count: 0
    .wavefront_size: 64
  - .agpr_count:     0
    .args:
      - .offset:         0
        .size:           88
        .value_kind:     by_value
    .group_segment_fixed_size: 0
    .kernarg_segment_align: 8
    .kernarg_segment_size: 88
    .language:       OpenCL C
    .language_version:
      - 2
      - 0
    .max_flat_workgroup_size: 1024
    .name:           _ZN7rocprim17ROCPRIM_400000_NS6detail17trampoline_kernelINS0_14default_configENS1_35radix_sort_onesweep_config_selectorIiNS0_10empty_typeEEEZZNS1_29radix_sort_onesweep_iterationIS3_Lb1EN6thrust23THRUST_200600_302600_NS6detail15normal_iteratorINS9_10device_ptrIiEEEESE_PS5_SF_jNS0_19identity_decomposerENS1_16block_id_wrapperIjLb1EEEEE10hipError_tT1_PNSt15iterator_traitsISK_E10value_typeET2_T3_PNSL_ISQ_E10value_typeET4_T5_PSV_SW_PNS1_23onesweep_lookback_stateEbbT6_jjT7_P12ihipStream_tbENKUlT_T0_SK_SP_E_clISE_PiSF_SF_EEDaS13_S14_SK_SP_EUlS13_E_NS1_11comp_targetILNS1_3genE4ELNS1_11target_archE910ELNS1_3gpuE8ELNS1_3repE0EEENS1_47radix_sort_onesweep_sort_config_static_selectorELNS0_4arch9wavefront6targetE1EEEvSK_
    .private_segment_fixed_size: 0
    .sgpr_count:     6
    .sgpr_spill_count: 0
    .symbol:         _ZN7rocprim17ROCPRIM_400000_NS6detail17trampoline_kernelINS0_14default_configENS1_35radix_sort_onesweep_config_selectorIiNS0_10empty_typeEEEZZNS1_29radix_sort_onesweep_iterationIS3_Lb1EN6thrust23THRUST_200600_302600_NS6detail15normal_iteratorINS9_10device_ptrIiEEEESE_PS5_SF_jNS0_19identity_decomposerENS1_16block_id_wrapperIjLb1EEEEE10hipError_tT1_PNSt15iterator_traitsISK_E10value_typeET2_T3_PNSL_ISQ_E10value_typeET4_T5_PSV_SW_PNS1_23onesweep_lookback_stateEbbT6_jjT7_P12ihipStream_tbENKUlT_T0_SK_SP_E_clISE_PiSF_SF_EEDaS13_S14_SK_SP_EUlS13_E_NS1_11comp_targetILNS1_3genE4ELNS1_11target_archE910ELNS1_3gpuE8ELNS1_3repE0EEENS1_47radix_sort_onesweep_sort_config_static_selectorELNS0_4arch9wavefront6targetE1EEEvSK_.kd
    .uniform_work_group_size: 1
    .uses_dynamic_stack: false
    .vgpr_count:     0
    .vgpr_spill_count: 0
    .wavefront_size: 64
  - .agpr_count:     0
    .args:
      - .offset:         0
        .size:           88
        .value_kind:     by_value
    .group_segment_fixed_size: 0
    .kernarg_segment_align: 8
    .kernarg_segment_size: 88
    .language:       OpenCL C
    .language_version:
      - 2
      - 0
    .max_flat_workgroup_size: 512
    .name:           _ZN7rocprim17ROCPRIM_400000_NS6detail17trampoline_kernelINS0_14default_configENS1_35radix_sort_onesweep_config_selectorIiNS0_10empty_typeEEEZZNS1_29radix_sort_onesweep_iterationIS3_Lb1EN6thrust23THRUST_200600_302600_NS6detail15normal_iteratorINS9_10device_ptrIiEEEESE_PS5_SF_jNS0_19identity_decomposerENS1_16block_id_wrapperIjLb1EEEEE10hipError_tT1_PNSt15iterator_traitsISK_E10value_typeET2_T3_PNSL_ISQ_E10value_typeET4_T5_PSV_SW_PNS1_23onesweep_lookback_stateEbbT6_jjT7_P12ihipStream_tbENKUlT_T0_SK_SP_E_clISE_PiSF_SF_EEDaS13_S14_SK_SP_EUlS13_E_NS1_11comp_targetILNS1_3genE3ELNS1_11target_archE908ELNS1_3gpuE7ELNS1_3repE0EEENS1_47radix_sort_onesweep_sort_config_static_selectorELNS0_4arch9wavefront6targetE1EEEvSK_
    .private_segment_fixed_size: 0
    .sgpr_count:     6
    .sgpr_spill_count: 0
    .symbol:         _ZN7rocprim17ROCPRIM_400000_NS6detail17trampoline_kernelINS0_14default_configENS1_35radix_sort_onesweep_config_selectorIiNS0_10empty_typeEEEZZNS1_29radix_sort_onesweep_iterationIS3_Lb1EN6thrust23THRUST_200600_302600_NS6detail15normal_iteratorINS9_10device_ptrIiEEEESE_PS5_SF_jNS0_19identity_decomposerENS1_16block_id_wrapperIjLb1EEEEE10hipError_tT1_PNSt15iterator_traitsISK_E10value_typeET2_T3_PNSL_ISQ_E10value_typeET4_T5_PSV_SW_PNS1_23onesweep_lookback_stateEbbT6_jjT7_P12ihipStream_tbENKUlT_T0_SK_SP_E_clISE_PiSF_SF_EEDaS13_S14_SK_SP_EUlS13_E_NS1_11comp_targetILNS1_3genE3ELNS1_11target_archE908ELNS1_3gpuE7ELNS1_3repE0EEENS1_47radix_sort_onesweep_sort_config_static_selectorELNS0_4arch9wavefront6targetE1EEEvSK_.kd
    .uniform_work_group_size: 1
    .uses_dynamic_stack: false
    .vgpr_count:     0
    .vgpr_spill_count: 0
    .wavefront_size: 64
  - .agpr_count:     0
    .args:
      - .offset:         0
        .size:           88
        .value_kind:     by_value
    .group_segment_fixed_size: 0
    .kernarg_segment_align: 8
    .kernarg_segment_size: 88
    .language:       OpenCL C
    .language_version:
      - 2
      - 0
    .max_flat_workgroup_size: 1024
    .name:           _ZN7rocprim17ROCPRIM_400000_NS6detail17trampoline_kernelINS0_14default_configENS1_35radix_sort_onesweep_config_selectorIiNS0_10empty_typeEEEZZNS1_29radix_sort_onesweep_iterationIS3_Lb1EN6thrust23THRUST_200600_302600_NS6detail15normal_iteratorINS9_10device_ptrIiEEEESE_PS5_SF_jNS0_19identity_decomposerENS1_16block_id_wrapperIjLb1EEEEE10hipError_tT1_PNSt15iterator_traitsISK_E10value_typeET2_T3_PNSL_ISQ_E10value_typeET4_T5_PSV_SW_PNS1_23onesweep_lookback_stateEbbT6_jjT7_P12ihipStream_tbENKUlT_T0_SK_SP_E_clISE_PiSF_SF_EEDaS13_S14_SK_SP_EUlS13_E_NS1_11comp_targetILNS1_3genE10ELNS1_11target_archE1201ELNS1_3gpuE5ELNS1_3repE0EEENS1_47radix_sort_onesweep_sort_config_static_selectorELNS0_4arch9wavefront6targetE1EEEvSK_
    .private_segment_fixed_size: 0
    .sgpr_count:     6
    .sgpr_spill_count: 0
    .symbol:         _ZN7rocprim17ROCPRIM_400000_NS6detail17trampoline_kernelINS0_14default_configENS1_35radix_sort_onesweep_config_selectorIiNS0_10empty_typeEEEZZNS1_29radix_sort_onesweep_iterationIS3_Lb1EN6thrust23THRUST_200600_302600_NS6detail15normal_iteratorINS9_10device_ptrIiEEEESE_PS5_SF_jNS0_19identity_decomposerENS1_16block_id_wrapperIjLb1EEEEE10hipError_tT1_PNSt15iterator_traitsISK_E10value_typeET2_T3_PNSL_ISQ_E10value_typeET4_T5_PSV_SW_PNS1_23onesweep_lookback_stateEbbT6_jjT7_P12ihipStream_tbENKUlT_T0_SK_SP_E_clISE_PiSF_SF_EEDaS13_S14_SK_SP_EUlS13_E_NS1_11comp_targetILNS1_3genE10ELNS1_11target_archE1201ELNS1_3gpuE5ELNS1_3repE0EEENS1_47radix_sort_onesweep_sort_config_static_selectorELNS0_4arch9wavefront6targetE1EEEvSK_.kd
    .uniform_work_group_size: 1
    .uses_dynamic_stack: false
    .vgpr_count:     0
    .vgpr_spill_count: 0
    .wavefront_size: 64
  - .agpr_count:     0
    .args:
      - .offset:         0
        .size:           88
        .value_kind:     by_value
    .group_segment_fixed_size: 0
    .kernarg_segment_align: 8
    .kernarg_segment_size: 88
    .language:       OpenCL C
    .language_version:
      - 2
      - 0
    .max_flat_workgroup_size: 1024
    .name:           _ZN7rocprim17ROCPRIM_400000_NS6detail17trampoline_kernelINS0_14default_configENS1_35radix_sort_onesweep_config_selectorIiNS0_10empty_typeEEEZZNS1_29radix_sort_onesweep_iterationIS3_Lb1EN6thrust23THRUST_200600_302600_NS6detail15normal_iteratorINS9_10device_ptrIiEEEESE_PS5_SF_jNS0_19identity_decomposerENS1_16block_id_wrapperIjLb1EEEEE10hipError_tT1_PNSt15iterator_traitsISK_E10value_typeET2_T3_PNSL_ISQ_E10value_typeET4_T5_PSV_SW_PNS1_23onesweep_lookback_stateEbbT6_jjT7_P12ihipStream_tbENKUlT_T0_SK_SP_E_clISE_PiSF_SF_EEDaS13_S14_SK_SP_EUlS13_E_NS1_11comp_targetILNS1_3genE9ELNS1_11target_archE1100ELNS1_3gpuE3ELNS1_3repE0EEENS1_47radix_sort_onesweep_sort_config_static_selectorELNS0_4arch9wavefront6targetE1EEEvSK_
    .private_segment_fixed_size: 0
    .sgpr_count:     6
    .sgpr_spill_count: 0
    .symbol:         _ZN7rocprim17ROCPRIM_400000_NS6detail17trampoline_kernelINS0_14default_configENS1_35radix_sort_onesweep_config_selectorIiNS0_10empty_typeEEEZZNS1_29radix_sort_onesweep_iterationIS3_Lb1EN6thrust23THRUST_200600_302600_NS6detail15normal_iteratorINS9_10device_ptrIiEEEESE_PS5_SF_jNS0_19identity_decomposerENS1_16block_id_wrapperIjLb1EEEEE10hipError_tT1_PNSt15iterator_traitsISK_E10value_typeET2_T3_PNSL_ISQ_E10value_typeET4_T5_PSV_SW_PNS1_23onesweep_lookback_stateEbbT6_jjT7_P12ihipStream_tbENKUlT_T0_SK_SP_E_clISE_PiSF_SF_EEDaS13_S14_SK_SP_EUlS13_E_NS1_11comp_targetILNS1_3genE9ELNS1_11target_archE1100ELNS1_3gpuE3ELNS1_3repE0EEENS1_47radix_sort_onesweep_sort_config_static_selectorELNS0_4arch9wavefront6targetE1EEEvSK_.kd
    .uniform_work_group_size: 1
    .uses_dynamic_stack: false
    .vgpr_count:     0
    .vgpr_spill_count: 0
    .wavefront_size: 64
  - .agpr_count:     0
    .args:
      - .offset:         0
        .size:           88
        .value_kind:     by_value
    .group_segment_fixed_size: 0
    .kernarg_segment_align: 8
    .kernarg_segment_size: 88
    .language:       OpenCL C
    .language_version:
      - 2
      - 0
    .max_flat_workgroup_size: 1024
    .name:           _ZN7rocprim17ROCPRIM_400000_NS6detail17trampoline_kernelINS0_14default_configENS1_35radix_sort_onesweep_config_selectorIiNS0_10empty_typeEEEZZNS1_29radix_sort_onesweep_iterationIS3_Lb1EN6thrust23THRUST_200600_302600_NS6detail15normal_iteratorINS9_10device_ptrIiEEEESE_PS5_SF_jNS0_19identity_decomposerENS1_16block_id_wrapperIjLb1EEEEE10hipError_tT1_PNSt15iterator_traitsISK_E10value_typeET2_T3_PNSL_ISQ_E10value_typeET4_T5_PSV_SW_PNS1_23onesweep_lookback_stateEbbT6_jjT7_P12ihipStream_tbENKUlT_T0_SK_SP_E_clISE_PiSF_SF_EEDaS13_S14_SK_SP_EUlS13_E_NS1_11comp_targetILNS1_3genE8ELNS1_11target_archE1030ELNS1_3gpuE2ELNS1_3repE0EEENS1_47radix_sort_onesweep_sort_config_static_selectorELNS0_4arch9wavefront6targetE1EEEvSK_
    .private_segment_fixed_size: 0
    .sgpr_count:     6
    .sgpr_spill_count: 0
    .symbol:         _ZN7rocprim17ROCPRIM_400000_NS6detail17trampoline_kernelINS0_14default_configENS1_35radix_sort_onesweep_config_selectorIiNS0_10empty_typeEEEZZNS1_29radix_sort_onesweep_iterationIS3_Lb1EN6thrust23THRUST_200600_302600_NS6detail15normal_iteratorINS9_10device_ptrIiEEEESE_PS5_SF_jNS0_19identity_decomposerENS1_16block_id_wrapperIjLb1EEEEE10hipError_tT1_PNSt15iterator_traitsISK_E10value_typeET2_T3_PNSL_ISQ_E10value_typeET4_T5_PSV_SW_PNS1_23onesweep_lookback_stateEbbT6_jjT7_P12ihipStream_tbENKUlT_T0_SK_SP_E_clISE_PiSF_SF_EEDaS13_S14_SK_SP_EUlS13_E_NS1_11comp_targetILNS1_3genE8ELNS1_11target_archE1030ELNS1_3gpuE2ELNS1_3repE0EEENS1_47radix_sort_onesweep_sort_config_static_selectorELNS0_4arch9wavefront6targetE1EEEvSK_.kd
    .uniform_work_group_size: 1
    .uses_dynamic_stack: false
    .vgpr_count:     0
    .vgpr_spill_count: 0
    .wavefront_size: 64
  - .agpr_count:     0
    .args:
      - .offset:         0
        .size:           88
        .value_kind:     by_value
    .group_segment_fixed_size: 0
    .kernarg_segment_align: 8
    .kernarg_segment_size: 88
    .language:       OpenCL C
    .language_version:
      - 2
      - 0
    .max_flat_workgroup_size: 512
    .name:           _ZN7rocprim17ROCPRIM_400000_NS6detail17trampoline_kernelINS0_14default_configENS1_35radix_sort_onesweep_config_selectorIiNS0_10empty_typeEEEZZNS1_29radix_sort_onesweep_iterationIS3_Lb1EN6thrust23THRUST_200600_302600_NS6detail15normal_iteratorINS9_10device_ptrIiEEEESE_PS5_SF_jNS0_19identity_decomposerENS1_16block_id_wrapperIjLb1EEEEE10hipError_tT1_PNSt15iterator_traitsISK_E10value_typeET2_T3_PNSL_ISQ_E10value_typeET4_T5_PSV_SW_PNS1_23onesweep_lookback_stateEbbT6_jjT7_P12ihipStream_tbENKUlT_T0_SK_SP_E_clIPiSE_SF_SF_EEDaS13_S14_SK_SP_EUlS13_E_NS1_11comp_targetILNS1_3genE0ELNS1_11target_archE4294967295ELNS1_3gpuE0ELNS1_3repE0EEENS1_47radix_sort_onesweep_sort_config_static_selectorELNS0_4arch9wavefront6targetE1EEEvSK_
    .private_segment_fixed_size: 0
    .sgpr_count:     6
    .sgpr_spill_count: 0
    .symbol:         _ZN7rocprim17ROCPRIM_400000_NS6detail17trampoline_kernelINS0_14default_configENS1_35radix_sort_onesweep_config_selectorIiNS0_10empty_typeEEEZZNS1_29radix_sort_onesweep_iterationIS3_Lb1EN6thrust23THRUST_200600_302600_NS6detail15normal_iteratorINS9_10device_ptrIiEEEESE_PS5_SF_jNS0_19identity_decomposerENS1_16block_id_wrapperIjLb1EEEEE10hipError_tT1_PNSt15iterator_traitsISK_E10value_typeET2_T3_PNSL_ISQ_E10value_typeET4_T5_PSV_SW_PNS1_23onesweep_lookback_stateEbbT6_jjT7_P12ihipStream_tbENKUlT_T0_SK_SP_E_clIPiSE_SF_SF_EEDaS13_S14_SK_SP_EUlS13_E_NS1_11comp_targetILNS1_3genE0ELNS1_11target_archE4294967295ELNS1_3gpuE0ELNS1_3repE0EEENS1_47radix_sort_onesweep_sort_config_static_selectorELNS0_4arch9wavefront6targetE1EEEvSK_.kd
    .uniform_work_group_size: 1
    .uses_dynamic_stack: false
    .vgpr_count:     0
    .vgpr_spill_count: 0
    .wavefront_size: 64
  - .agpr_count:     0
    .args:
      - .offset:         0
        .size:           88
        .value_kind:     by_value
      - .offset:         88
        .size:           4
        .value_kind:     hidden_block_count_x
      - .offset:         92
        .size:           4
        .value_kind:     hidden_block_count_y
      - .offset:         96
        .size:           4
        .value_kind:     hidden_block_count_z
      - .offset:         100
        .size:           2
        .value_kind:     hidden_group_size_x
      - .offset:         102
        .size:           2
        .value_kind:     hidden_group_size_y
      - .offset:         104
        .size:           2
        .value_kind:     hidden_group_size_z
      - .offset:         106
        .size:           2
        .value_kind:     hidden_remainder_x
      - .offset:         108
        .size:           2
        .value_kind:     hidden_remainder_y
      - .offset:         110
        .size:           2
        .value_kind:     hidden_remainder_z
      - .offset:         128
        .size:           8
        .value_kind:     hidden_global_offset_x
      - .offset:         136
        .size:           8
        .value_kind:     hidden_global_offset_y
      - .offset:         144
        .size:           8
        .value_kind:     hidden_global_offset_z
      - .offset:         152
        .size:           2
        .value_kind:     hidden_grid_dims
    .group_segment_fixed_size: 20552
    .kernarg_segment_align: 8
    .kernarg_segment_size: 344
    .language:       OpenCL C
    .language_version:
      - 2
      - 0
    .max_flat_workgroup_size: 1024
    .name:           _ZN7rocprim17ROCPRIM_400000_NS6detail17trampoline_kernelINS0_14default_configENS1_35radix_sort_onesweep_config_selectorIiNS0_10empty_typeEEEZZNS1_29radix_sort_onesweep_iterationIS3_Lb1EN6thrust23THRUST_200600_302600_NS6detail15normal_iteratorINS9_10device_ptrIiEEEESE_PS5_SF_jNS0_19identity_decomposerENS1_16block_id_wrapperIjLb1EEEEE10hipError_tT1_PNSt15iterator_traitsISK_E10value_typeET2_T3_PNSL_ISQ_E10value_typeET4_T5_PSV_SW_PNS1_23onesweep_lookback_stateEbbT6_jjT7_P12ihipStream_tbENKUlT_T0_SK_SP_E_clIPiSE_SF_SF_EEDaS13_S14_SK_SP_EUlS13_E_NS1_11comp_targetILNS1_3genE6ELNS1_11target_archE950ELNS1_3gpuE13ELNS1_3repE0EEENS1_47radix_sort_onesweep_sort_config_static_selectorELNS0_4arch9wavefront6targetE1EEEvSK_
    .private_segment_fixed_size: 0
    .sgpr_count:     41
    .sgpr_spill_count: 0
    .symbol:         _ZN7rocprim17ROCPRIM_400000_NS6detail17trampoline_kernelINS0_14default_configENS1_35radix_sort_onesweep_config_selectorIiNS0_10empty_typeEEEZZNS1_29radix_sort_onesweep_iterationIS3_Lb1EN6thrust23THRUST_200600_302600_NS6detail15normal_iteratorINS9_10device_ptrIiEEEESE_PS5_SF_jNS0_19identity_decomposerENS1_16block_id_wrapperIjLb1EEEEE10hipError_tT1_PNSt15iterator_traitsISK_E10value_typeET2_T3_PNSL_ISQ_E10value_typeET4_T5_PSV_SW_PNS1_23onesweep_lookback_stateEbbT6_jjT7_P12ihipStream_tbENKUlT_T0_SK_SP_E_clIPiSE_SF_SF_EEDaS13_S14_SK_SP_EUlS13_E_NS1_11comp_targetILNS1_3genE6ELNS1_11target_archE950ELNS1_3gpuE13ELNS1_3repE0EEENS1_47radix_sort_onesweep_sort_config_static_selectorELNS0_4arch9wavefront6targetE1EEEvSK_.kd
    .uniform_work_group_size: 1
    .uses_dynamic_stack: false
    .vgpr_count:     46
    .vgpr_spill_count: 0
    .wavefront_size: 64
  - .agpr_count:     0
    .args:
      - .offset:         0
        .size:           88
        .value_kind:     by_value
    .group_segment_fixed_size: 0
    .kernarg_segment_align: 8
    .kernarg_segment_size: 88
    .language:       OpenCL C
    .language_version:
      - 2
      - 0
    .max_flat_workgroup_size: 1024
    .name:           _ZN7rocprim17ROCPRIM_400000_NS6detail17trampoline_kernelINS0_14default_configENS1_35radix_sort_onesweep_config_selectorIiNS0_10empty_typeEEEZZNS1_29radix_sort_onesweep_iterationIS3_Lb1EN6thrust23THRUST_200600_302600_NS6detail15normal_iteratorINS9_10device_ptrIiEEEESE_PS5_SF_jNS0_19identity_decomposerENS1_16block_id_wrapperIjLb1EEEEE10hipError_tT1_PNSt15iterator_traitsISK_E10value_typeET2_T3_PNSL_ISQ_E10value_typeET4_T5_PSV_SW_PNS1_23onesweep_lookback_stateEbbT6_jjT7_P12ihipStream_tbENKUlT_T0_SK_SP_E_clIPiSE_SF_SF_EEDaS13_S14_SK_SP_EUlS13_E_NS1_11comp_targetILNS1_3genE5ELNS1_11target_archE942ELNS1_3gpuE9ELNS1_3repE0EEENS1_47radix_sort_onesweep_sort_config_static_selectorELNS0_4arch9wavefront6targetE1EEEvSK_
    .private_segment_fixed_size: 0
    .sgpr_count:     6
    .sgpr_spill_count: 0
    .symbol:         _ZN7rocprim17ROCPRIM_400000_NS6detail17trampoline_kernelINS0_14default_configENS1_35radix_sort_onesweep_config_selectorIiNS0_10empty_typeEEEZZNS1_29radix_sort_onesweep_iterationIS3_Lb1EN6thrust23THRUST_200600_302600_NS6detail15normal_iteratorINS9_10device_ptrIiEEEESE_PS5_SF_jNS0_19identity_decomposerENS1_16block_id_wrapperIjLb1EEEEE10hipError_tT1_PNSt15iterator_traitsISK_E10value_typeET2_T3_PNSL_ISQ_E10value_typeET4_T5_PSV_SW_PNS1_23onesweep_lookback_stateEbbT6_jjT7_P12ihipStream_tbENKUlT_T0_SK_SP_E_clIPiSE_SF_SF_EEDaS13_S14_SK_SP_EUlS13_E_NS1_11comp_targetILNS1_3genE5ELNS1_11target_archE942ELNS1_3gpuE9ELNS1_3repE0EEENS1_47radix_sort_onesweep_sort_config_static_selectorELNS0_4arch9wavefront6targetE1EEEvSK_.kd
    .uniform_work_group_size: 1
    .uses_dynamic_stack: false
    .vgpr_count:     0
    .vgpr_spill_count: 0
    .wavefront_size: 64
  - .agpr_count:     0
    .args:
      - .offset:         0
        .size:           88
        .value_kind:     by_value
    .group_segment_fixed_size: 0
    .kernarg_segment_align: 8
    .kernarg_segment_size: 88
    .language:       OpenCL C
    .language_version:
      - 2
      - 0
    .max_flat_workgroup_size: 1024
    .name:           _ZN7rocprim17ROCPRIM_400000_NS6detail17trampoline_kernelINS0_14default_configENS1_35radix_sort_onesweep_config_selectorIiNS0_10empty_typeEEEZZNS1_29radix_sort_onesweep_iterationIS3_Lb1EN6thrust23THRUST_200600_302600_NS6detail15normal_iteratorINS9_10device_ptrIiEEEESE_PS5_SF_jNS0_19identity_decomposerENS1_16block_id_wrapperIjLb1EEEEE10hipError_tT1_PNSt15iterator_traitsISK_E10value_typeET2_T3_PNSL_ISQ_E10value_typeET4_T5_PSV_SW_PNS1_23onesweep_lookback_stateEbbT6_jjT7_P12ihipStream_tbENKUlT_T0_SK_SP_E_clIPiSE_SF_SF_EEDaS13_S14_SK_SP_EUlS13_E_NS1_11comp_targetILNS1_3genE2ELNS1_11target_archE906ELNS1_3gpuE6ELNS1_3repE0EEENS1_47radix_sort_onesweep_sort_config_static_selectorELNS0_4arch9wavefront6targetE1EEEvSK_
    .private_segment_fixed_size: 0
    .sgpr_count:     6
    .sgpr_spill_count: 0
    .symbol:         _ZN7rocprim17ROCPRIM_400000_NS6detail17trampoline_kernelINS0_14default_configENS1_35radix_sort_onesweep_config_selectorIiNS0_10empty_typeEEEZZNS1_29radix_sort_onesweep_iterationIS3_Lb1EN6thrust23THRUST_200600_302600_NS6detail15normal_iteratorINS9_10device_ptrIiEEEESE_PS5_SF_jNS0_19identity_decomposerENS1_16block_id_wrapperIjLb1EEEEE10hipError_tT1_PNSt15iterator_traitsISK_E10value_typeET2_T3_PNSL_ISQ_E10value_typeET4_T5_PSV_SW_PNS1_23onesweep_lookback_stateEbbT6_jjT7_P12ihipStream_tbENKUlT_T0_SK_SP_E_clIPiSE_SF_SF_EEDaS13_S14_SK_SP_EUlS13_E_NS1_11comp_targetILNS1_3genE2ELNS1_11target_archE906ELNS1_3gpuE6ELNS1_3repE0EEENS1_47radix_sort_onesweep_sort_config_static_selectorELNS0_4arch9wavefront6targetE1EEEvSK_.kd
    .uniform_work_group_size: 1
    .uses_dynamic_stack: false
    .vgpr_count:     0
    .vgpr_spill_count: 0
    .wavefront_size: 64
  - .agpr_count:     0
    .args:
      - .offset:         0
        .size:           88
        .value_kind:     by_value
    .group_segment_fixed_size: 0
    .kernarg_segment_align: 8
    .kernarg_segment_size: 88
    .language:       OpenCL C
    .language_version:
      - 2
      - 0
    .max_flat_workgroup_size: 1024
    .name:           _ZN7rocprim17ROCPRIM_400000_NS6detail17trampoline_kernelINS0_14default_configENS1_35radix_sort_onesweep_config_selectorIiNS0_10empty_typeEEEZZNS1_29radix_sort_onesweep_iterationIS3_Lb1EN6thrust23THRUST_200600_302600_NS6detail15normal_iteratorINS9_10device_ptrIiEEEESE_PS5_SF_jNS0_19identity_decomposerENS1_16block_id_wrapperIjLb1EEEEE10hipError_tT1_PNSt15iterator_traitsISK_E10value_typeET2_T3_PNSL_ISQ_E10value_typeET4_T5_PSV_SW_PNS1_23onesweep_lookback_stateEbbT6_jjT7_P12ihipStream_tbENKUlT_T0_SK_SP_E_clIPiSE_SF_SF_EEDaS13_S14_SK_SP_EUlS13_E_NS1_11comp_targetILNS1_3genE4ELNS1_11target_archE910ELNS1_3gpuE8ELNS1_3repE0EEENS1_47radix_sort_onesweep_sort_config_static_selectorELNS0_4arch9wavefront6targetE1EEEvSK_
    .private_segment_fixed_size: 0
    .sgpr_count:     6
    .sgpr_spill_count: 0
    .symbol:         _ZN7rocprim17ROCPRIM_400000_NS6detail17trampoline_kernelINS0_14default_configENS1_35radix_sort_onesweep_config_selectorIiNS0_10empty_typeEEEZZNS1_29radix_sort_onesweep_iterationIS3_Lb1EN6thrust23THRUST_200600_302600_NS6detail15normal_iteratorINS9_10device_ptrIiEEEESE_PS5_SF_jNS0_19identity_decomposerENS1_16block_id_wrapperIjLb1EEEEE10hipError_tT1_PNSt15iterator_traitsISK_E10value_typeET2_T3_PNSL_ISQ_E10value_typeET4_T5_PSV_SW_PNS1_23onesweep_lookback_stateEbbT6_jjT7_P12ihipStream_tbENKUlT_T0_SK_SP_E_clIPiSE_SF_SF_EEDaS13_S14_SK_SP_EUlS13_E_NS1_11comp_targetILNS1_3genE4ELNS1_11target_archE910ELNS1_3gpuE8ELNS1_3repE0EEENS1_47radix_sort_onesweep_sort_config_static_selectorELNS0_4arch9wavefront6targetE1EEEvSK_.kd
    .uniform_work_group_size: 1
    .uses_dynamic_stack: false
    .vgpr_count:     0
    .vgpr_spill_count: 0
    .wavefront_size: 64
  - .agpr_count:     0
    .args:
      - .offset:         0
        .size:           88
        .value_kind:     by_value
    .group_segment_fixed_size: 0
    .kernarg_segment_align: 8
    .kernarg_segment_size: 88
    .language:       OpenCL C
    .language_version:
      - 2
      - 0
    .max_flat_workgroup_size: 512
    .name:           _ZN7rocprim17ROCPRIM_400000_NS6detail17trampoline_kernelINS0_14default_configENS1_35radix_sort_onesweep_config_selectorIiNS0_10empty_typeEEEZZNS1_29radix_sort_onesweep_iterationIS3_Lb1EN6thrust23THRUST_200600_302600_NS6detail15normal_iteratorINS9_10device_ptrIiEEEESE_PS5_SF_jNS0_19identity_decomposerENS1_16block_id_wrapperIjLb1EEEEE10hipError_tT1_PNSt15iterator_traitsISK_E10value_typeET2_T3_PNSL_ISQ_E10value_typeET4_T5_PSV_SW_PNS1_23onesweep_lookback_stateEbbT6_jjT7_P12ihipStream_tbENKUlT_T0_SK_SP_E_clIPiSE_SF_SF_EEDaS13_S14_SK_SP_EUlS13_E_NS1_11comp_targetILNS1_3genE3ELNS1_11target_archE908ELNS1_3gpuE7ELNS1_3repE0EEENS1_47radix_sort_onesweep_sort_config_static_selectorELNS0_4arch9wavefront6targetE1EEEvSK_
    .private_segment_fixed_size: 0
    .sgpr_count:     6
    .sgpr_spill_count: 0
    .symbol:         _ZN7rocprim17ROCPRIM_400000_NS6detail17trampoline_kernelINS0_14default_configENS1_35radix_sort_onesweep_config_selectorIiNS0_10empty_typeEEEZZNS1_29radix_sort_onesweep_iterationIS3_Lb1EN6thrust23THRUST_200600_302600_NS6detail15normal_iteratorINS9_10device_ptrIiEEEESE_PS5_SF_jNS0_19identity_decomposerENS1_16block_id_wrapperIjLb1EEEEE10hipError_tT1_PNSt15iterator_traitsISK_E10value_typeET2_T3_PNSL_ISQ_E10value_typeET4_T5_PSV_SW_PNS1_23onesweep_lookback_stateEbbT6_jjT7_P12ihipStream_tbENKUlT_T0_SK_SP_E_clIPiSE_SF_SF_EEDaS13_S14_SK_SP_EUlS13_E_NS1_11comp_targetILNS1_3genE3ELNS1_11target_archE908ELNS1_3gpuE7ELNS1_3repE0EEENS1_47radix_sort_onesweep_sort_config_static_selectorELNS0_4arch9wavefront6targetE1EEEvSK_.kd
    .uniform_work_group_size: 1
    .uses_dynamic_stack: false
    .vgpr_count:     0
    .vgpr_spill_count: 0
    .wavefront_size: 64
  - .agpr_count:     0
    .args:
      - .offset:         0
        .size:           88
        .value_kind:     by_value
    .group_segment_fixed_size: 0
    .kernarg_segment_align: 8
    .kernarg_segment_size: 88
    .language:       OpenCL C
    .language_version:
      - 2
      - 0
    .max_flat_workgroup_size: 1024
    .name:           _ZN7rocprim17ROCPRIM_400000_NS6detail17trampoline_kernelINS0_14default_configENS1_35radix_sort_onesweep_config_selectorIiNS0_10empty_typeEEEZZNS1_29radix_sort_onesweep_iterationIS3_Lb1EN6thrust23THRUST_200600_302600_NS6detail15normal_iteratorINS9_10device_ptrIiEEEESE_PS5_SF_jNS0_19identity_decomposerENS1_16block_id_wrapperIjLb1EEEEE10hipError_tT1_PNSt15iterator_traitsISK_E10value_typeET2_T3_PNSL_ISQ_E10value_typeET4_T5_PSV_SW_PNS1_23onesweep_lookback_stateEbbT6_jjT7_P12ihipStream_tbENKUlT_T0_SK_SP_E_clIPiSE_SF_SF_EEDaS13_S14_SK_SP_EUlS13_E_NS1_11comp_targetILNS1_3genE10ELNS1_11target_archE1201ELNS1_3gpuE5ELNS1_3repE0EEENS1_47radix_sort_onesweep_sort_config_static_selectorELNS0_4arch9wavefront6targetE1EEEvSK_
    .private_segment_fixed_size: 0
    .sgpr_count:     6
    .sgpr_spill_count: 0
    .symbol:         _ZN7rocprim17ROCPRIM_400000_NS6detail17trampoline_kernelINS0_14default_configENS1_35radix_sort_onesweep_config_selectorIiNS0_10empty_typeEEEZZNS1_29radix_sort_onesweep_iterationIS3_Lb1EN6thrust23THRUST_200600_302600_NS6detail15normal_iteratorINS9_10device_ptrIiEEEESE_PS5_SF_jNS0_19identity_decomposerENS1_16block_id_wrapperIjLb1EEEEE10hipError_tT1_PNSt15iterator_traitsISK_E10value_typeET2_T3_PNSL_ISQ_E10value_typeET4_T5_PSV_SW_PNS1_23onesweep_lookback_stateEbbT6_jjT7_P12ihipStream_tbENKUlT_T0_SK_SP_E_clIPiSE_SF_SF_EEDaS13_S14_SK_SP_EUlS13_E_NS1_11comp_targetILNS1_3genE10ELNS1_11target_archE1201ELNS1_3gpuE5ELNS1_3repE0EEENS1_47radix_sort_onesweep_sort_config_static_selectorELNS0_4arch9wavefront6targetE1EEEvSK_.kd
    .uniform_work_group_size: 1
    .uses_dynamic_stack: false
    .vgpr_count:     0
    .vgpr_spill_count: 0
    .wavefront_size: 64
  - .agpr_count:     0
    .args:
      - .offset:         0
        .size:           88
        .value_kind:     by_value
    .group_segment_fixed_size: 0
    .kernarg_segment_align: 8
    .kernarg_segment_size: 88
    .language:       OpenCL C
    .language_version:
      - 2
      - 0
    .max_flat_workgroup_size: 1024
    .name:           _ZN7rocprim17ROCPRIM_400000_NS6detail17trampoline_kernelINS0_14default_configENS1_35radix_sort_onesweep_config_selectorIiNS0_10empty_typeEEEZZNS1_29radix_sort_onesweep_iterationIS3_Lb1EN6thrust23THRUST_200600_302600_NS6detail15normal_iteratorINS9_10device_ptrIiEEEESE_PS5_SF_jNS0_19identity_decomposerENS1_16block_id_wrapperIjLb1EEEEE10hipError_tT1_PNSt15iterator_traitsISK_E10value_typeET2_T3_PNSL_ISQ_E10value_typeET4_T5_PSV_SW_PNS1_23onesweep_lookback_stateEbbT6_jjT7_P12ihipStream_tbENKUlT_T0_SK_SP_E_clIPiSE_SF_SF_EEDaS13_S14_SK_SP_EUlS13_E_NS1_11comp_targetILNS1_3genE9ELNS1_11target_archE1100ELNS1_3gpuE3ELNS1_3repE0EEENS1_47radix_sort_onesweep_sort_config_static_selectorELNS0_4arch9wavefront6targetE1EEEvSK_
    .private_segment_fixed_size: 0
    .sgpr_count:     6
    .sgpr_spill_count: 0
    .symbol:         _ZN7rocprim17ROCPRIM_400000_NS6detail17trampoline_kernelINS0_14default_configENS1_35radix_sort_onesweep_config_selectorIiNS0_10empty_typeEEEZZNS1_29radix_sort_onesweep_iterationIS3_Lb1EN6thrust23THRUST_200600_302600_NS6detail15normal_iteratorINS9_10device_ptrIiEEEESE_PS5_SF_jNS0_19identity_decomposerENS1_16block_id_wrapperIjLb1EEEEE10hipError_tT1_PNSt15iterator_traitsISK_E10value_typeET2_T3_PNSL_ISQ_E10value_typeET4_T5_PSV_SW_PNS1_23onesweep_lookback_stateEbbT6_jjT7_P12ihipStream_tbENKUlT_T0_SK_SP_E_clIPiSE_SF_SF_EEDaS13_S14_SK_SP_EUlS13_E_NS1_11comp_targetILNS1_3genE9ELNS1_11target_archE1100ELNS1_3gpuE3ELNS1_3repE0EEENS1_47radix_sort_onesweep_sort_config_static_selectorELNS0_4arch9wavefront6targetE1EEEvSK_.kd
    .uniform_work_group_size: 1
    .uses_dynamic_stack: false
    .vgpr_count:     0
    .vgpr_spill_count: 0
    .wavefront_size: 64
  - .agpr_count:     0
    .args:
      - .offset:         0
        .size:           88
        .value_kind:     by_value
    .group_segment_fixed_size: 0
    .kernarg_segment_align: 8
    .kernarg_segment_size: 88
    .language:       OpenCL C
    .language_version:
      - 2
      - 0
    .max_flat_workgroup_size: 1024
    .name:           _ZN7rocprim17ROCPRIM_400000_NS6detail17trampoline_kernelINS0_14default_configENS1_35radix_sort_onesweep_config_selectorIiNS0_10empty_typeEEEZZNS1_29radix_sort_onesweep_iterationIS3_Lb1EN6thrust23THRUST_200600_302600_NS6detail15normal_iteratorINS9_10device_ptrIiEEEESE_PS5_SF_jNS0_19identity_decomposerENS1_16block_id_wrapperIjLb1EEEEE10hipError_tT1_PNSt15iterator_traitsISK_E10value_typeET2_T3_PNSL_ISQ_E10value_typeET4_T5_PSV_SW_PNS1_23onesweep_lookback_stateEbbT6_jjT7_P12ihipStream_tbENKUlT_T0_SK_SP_E_clIPiSE_SF_SF_EEDaS13_S14_SK_SP_EUlS13_E_NS1_11comp_targetILNS1_3genE8ELNS1_11target_archE1030ELNS1_3gpuE2ELNS1_3repE0EEENS1_47radix_sort_onesweep_sort_config_static_selectorELNS0_4arch9wavefront6targetE1EEEvSK_
    .private_segment_fixed_size: 0
    .sgpr_count:     6
    .sgpr_spill_count: 0
    .symbol:         _ZN7rocprim17ROCPRIM_400000_NS6detail17trampoline_kernelINS0_14default_configENS1_35radix_sort_onesweep_config_selectorIiNS0_10empty_typeEEEZZNS1_29radix_sort_onesweep_iterationIS3_Lb1EN6thrust23THRUST_200600_302600_NS6detail15normal_iteratorINS9_10device_ptrIiEEEESE_PS5_SF_jNS0_19identity_decomposerENS1_16block_id_wrapperIjLb1EEEEE10hipError_tT1_PNSt15iterator_traitsISK_E10value_typeET2_T3_PNSL_ISQ_E10value_typeET4_T5_PSV_SW_PNS1_23onesweep_lookback_stateEbbT6_jjT7_P12ihipStream_tbENKUlT_T0_SK_SP_E_clIPiSE_SF_SF_EEDaS13_S14_SK_SP_EUlS13_E_NS1_11comp_targetILNS1_3genE8ELNS1_11target_archE1030ELNS1_3gpuE2ELNS1_3repE0EEENS1_47radix_sort_onesweep_sort_config_static_selectorELNS0_4arch9wavefront6targetE1EEEvSK_.kd
    .uniform_work_group_size: 1
    .uses_dynamic_stack: false
    .vgpr_count:     0
    .vgpr_spill_count: 0
    .wavefront_size: 64
  - .agpr_count:     0
    .args:
      - .offset:         0
        .size:           88
        .value_kind:     by_value
    .group_segment_fixed_size: 0
    .kernarg_segment_align: 8
    .kernarg_segment_size: 88
    .language:       OpenCL C
    .language_version:
      - 2
      - 0
    .max_flat_workgroup_size: 512
    .name:           _ZN7rocprim17ROCPRIM_400000_NS6detail17trampoline_kernelINS0_14default_configENS1_35radix_sort_onesweep_config_selectorIiNS0_10empty_typeEEEZZNS1_29radix_sort_onesweep_iterationIS3_Lb1EN6thrust23THRUST_200600_302600_NS6detail15normal_iteratorINS9_10device_ptrIiEEEESE_PS5_SF_jNS0_19identity_decomposerENS1_16block_id_wrapperIjLb0EEEEE10hipError_tT1_PNSt15iterator_traitsISK_E10value_typeET2_T3_PNSL_ISQ_E10value_typeET4_T5_PSV_SW_PNS1_23onesweep_lookback_stateEbbT6_jjT7_P12ihipStream_tbENKUlT_T0_SK_SP_E_clISE_SE_SF_SF_EEDaS13_S14_SK_SP_EUlS13_E_NS1_11comp_targetILNS1_3genE0ELNS1_11target_archE4294967295ELNS1_3gpuE0ELNS1_3repE0EEENS1_47radix_sort_onesweep_sort_config_static_selectorELNS0_4arch9wavefront6targetE1EEEvSK_
    .private_segment_fixed_size: 0
    .sgpr_count:     6
    .sgpr_spill_count: 0
    .symbol:         _ZN7rocprim17ROCPRIM_400000_NS6detail17trampoline_kernelINS0_14default_configENS1_35radix_sort_onesweep_config_selectorIiNS0_10empty_typeEEEZZNS1_29radix_sort_onesweep_iterationIS3_Lb1EN6thrust23THRUST_200600_302600_NS6detail15normal_iteratorINS9_10device_ptrIiEEEESE_PS5_SF_jNS0_19identity_decomposerENS1_16block_id_wrapperIjLb0EEEEE10hipError_tT1_PNSt15iterator_traitsISK_E10value_typeET2_T3_PNSL_ISQ_E10value_typeET4_T5_PSV_SW_PNS1_23onesweep_lookback_stateEbbT6_jjT7_P12ihipStream_tbENKUlT_T0_SK_SP_E_clISE_SE_SF_SF_EEDaS13_S14_SK_SP_EUlS13_E_NS1_11comp_targetILNS1_3genE0ELNS1_11target_archE4294967295ELNS1_3gpuE0ELNS1_3repE0EEENS1_47radix_sort_onesweep_sort_config_static_selectorELNS0_4arch9wavefront6targetE1EEEvSK_.kd
    .uniform_work_group_size: 1
    .uses_dynamic_stack: false
    .vgpr_count:     0
    .vgpr_spill_count: 0
    .wavefront_size: 64
  - .agpr_count:     0
    .args:
      - .offset:         0
        .size:           88
        .value_kind:     by_value
      - .offset:         88
        .size:           4
        .value_kind:     hidden_block_count_x
      - .offset:         92
        .size:           4
        .value_kind:     hidden_block_count_y
      - .offset:         96
        .size:           4
        .value_kind:     hidden_block_count_z
      - .offset:         100
        .size:           2
        .value_kind:     hidden_group_size_x
      - .offset:         102
        .size:           2
        .value_kind:     hidden_group_size_y
      - .offset:         104
        .size:           2
        .value_kind:     hidden_group_size_z
      - .offset:         106
        .size:           2
        .value_kind:     hidden_remainder_x
      - .offset:         108
        .size:           2
        .value_kind:     hidden_remainder_y
      - .offset:         110
        .size:           2
        .value_kind:     hidden_remainder_z
      - .offset:         128
        .size:           8
        .value_kind:     hidden_global_offset_x
      - .offset:         136
        .size:           8
        .value_kind:     hidden_global_offset_y
      - .offset:         144
        .size:           8
        .value_kind:     hidden_global_offset_z
      - .offset:         152
        .size:           2
        .value_kind:     hidden_grid_dims
    .group_segment_fixed_size: 20552
    .kernarg_segment_align: 8
    .kernarg_segment_size: 344
    .language:       OpenCL C
    .language_version:
      - 2
      - 0
    .max_flat_workgroup_size: 1024
    .name:           _ZN7rocprim17ROCPRIM_400000_NS6detail17trampoline_kernelINS0_14default_configENS1_35radix_sort_onesweep_config_selectorIiNS0_10empty_typeEEEZZNS1_29radix_sort_onesweep_iterationIS3_Lb1EN6thrust23THRUST_200600_302600_NS6detail15normal_iteratorINS9_10device_ptrIiEEEESE_PS5_SF_jNS0_19identity_decomposerENS1_16block_id_wrapperIjLb0EEEEE10hipError_tT1_PNSt15iterator_traitsISK_E10value_typeET2_T3_PNSL_ISQ_E10value_typeET4_T5_PSV_SW_PNS1_23onesweep_lookback_stateEbbT6_jjT7_P12ihipStream_tbENKUlT_T0_SK_SP_E_clISE_SE_SF_SF_EEDaS13_S14_SK_SP_EUlS13_E_NS1_11comp_targetILNS1_3genE6ELNS1_11target_archE950ELNS1_3gpuE13ELNS1_3repE0EEENS1_47radix_sort_onesweep_sort_config_static_selectorELNS0_4arch9wavefront6targetE1EEEvSK_
    .private_segment_fixed_size: 0
    .sgpr_count:     37
    .sgpr_spill_count: 0
    .symbol:         _ZN7rocprim17ROCPRIM_400000_NS6detail17trampoline_kernelINS0_14default_configENS1_35radix_sort_onesweep_config_selectorIiNS0_10empty_typeEEEZZNS1_29radix_sort_onesweep_iterationIS3_Lb1EN6thrust23THRUST_200600_302600_NS6detail15normal_iteratorINS9_10device_ptrIiEEEESE_PS5_SF_jNS0_19identity_decomposerENS1_16block_id_wrapperIjLb0EEEEE10hipError_tT1_PNSt15iterator_traitsISK_E10value_typeET2_T3_PNSL_ISQ_E10value_typeET4_T5_PSV_SW_PNS1_23onesweep_lookback_stateEbbT6_jjT7_P12ihipStream_tbENKUlT_T0_SK_SP_E_clISE_SE_SF_SF_EEDaS13_S14_SK_SP_EUlS13_E_NS1_11comp_targetILNS1_3genE6ELNS1_11target_archE950ELNS1_3gpuE13ELNS1_3repE0EEENS1_47radix_sort_onesweep_sort_config_static_selectorELNS0_4arch9wavefront6targetE1EEEvSK_.kd
    .uniform_work_group_size: 1
    .uses_dynamic_stack: false
    .vgpr_count:     46
    .vgpr_spill_count: 0
    .wavefront_size: 64
  - .agpr_count:     0
    .args:
      - .offset:         0
        .size:           88
        .value_kind:     by_value
    .group_segment_fixed_size: 0
    .kernarg_segment_align: 8
    .kernarg_segment_size: 88
    .language:       OpenCL C
    .language_version:
      - 2
      - 0
    .max_flat_workgroup_size: 1024
    .name:           _ZN7rocprim17ROCPRIM_400000_NS6detail17trampoline_kernelINS0_14default_configENS1_35radix_sort_onesweep_config_selectorIiNS0_10empty_typeEEEZZNS1_29radix_sort_onesweep_iterationIS3_Lb1EN6thrust23THRUST_200600_302600_NS6detail15normal_iteratorINS9_10device_ptrIiEEEESE_PS5_SF_jNS0_19identity_decomposerENS1_16block_id_wrapperIjLb0EEEEE10hipError_tT1_PNSt15iterator_traitsISK_E10value_typeET2_T3_PNSL_ISQ_E10value_typeET4_T5_PSV_SW_PNS1_23onesweep_lookback_stateEbbT6_jjT7_P12ihipStream_tbENKUlT_T0_SK_SP_E_clISE_SE_SF_SF_EEDaS13_S14_SK_SP_EUlS13_E_NS1_11comp_targetILNS1_3genE5ELNS1_11target_archE942ELNS1_3gpuE9ELNS1_3repE0EEENS1_47radix_sort_onesweep_sort_config_static_selectorELNS0_4arch9wavefront6targetE1EEEvSK_
    .private_segment_fixed_size: 0
    .sgpr_count:     6
    .sgpr_spill_count: 0
    .symbol:         _ZN7rocprim17ROCPRIM_400000_NS6detail17trampoline_kernelINS0_14default_configENS1_35radix_sort_onesweep_config_selectorIiNS0_10empty_typeEEEZZNS1_29radix_sort_onesweep_iterationIS3_Lb1EN6thrust23THRUST_200600_302600_NS6detail15normal_iteratorINS9_10device_ptrIiEEEESE_PS5_SF_jNS0_19identity_decomposerENS1_16block_id_wrapperIjLb0EEEEE10hipError_tT1_PNSt15iterator_traitsISK_E10value_typeET2_T3_PNSL_ISQ_E10value_typeET4_T5_PSV_SW_PNS1_23onesweep_lookback_stateEbbT6_jjT7_P12ihipStream_tbENKUlT_T0_SK_SP_E_clISE_SE_SF_SF_EEDaS13_S14_SK_SP_EUlS13_E_NS1_11comp_targetILNS1_3genE5ELNS1_11target_archE942ELNS1_3gpuE9ELNS1_3repE0EEENS1_47radix_sort_onesweep_sort_config_static_selectorELNS0_4arch9wavefront6targetE1EEEvSK_.kd
    .uniform_work_group_size: 1
    .uses_dynamic_stack: false
    .vgpr_count:     0
    .vgpr_spill_count: 0
    .wavefront_size: 64
  - .agpr_count:     0
    .args:
      - .offset:         0
        .size:           88
        .value_kind:     by_value
    .group_segment_fixed_size: 0
    .kernarg_segment_align: 8
    .kernarg_segment_size: 88
    .language:       OpenCL C
    .language_version:
      - 2
      - 0
    .max_flat_workgroup_size: 1024
    .name:           _ZN7rocprim17ROCPRIM_400000_NS6detail17trampoline_kernelINS0_14default_configENS1_35radix_sort_onesweep_config_selectorIiNS0_10empty_typeEEEZZNS1_29radix_sort_onesweep_iterationIS3_Lb1EN6thrust23THRUST_200600_302600_NS6detail15normal_iteratorINS9_10device_ptrIiEEEESE_PS5_SF_jNS0_19identity_decomposerENS1_16block_id_wrapperIjLb0EEEEE10hipError_tT1_PNSt15iterator_traitsISK_E10value_typeET2_T3_PNSL_ISQ_E10value_typeET4_T5_PSV_SW_PNS1_23onesweep_lookback_stateEbbT6_jjT7_P12ihipStream_tbENKUlT_T0_SK_SP_E_clISE_SE_SF_SF_EEDaS13_S14_SK_SP_EUlS13_E_NS1_11comp_targetILNS1_3genE2ELNS1_11target_archE906ELNS1_3gpuE6ELNS1_3repE0EEENS1_47radix_sort_onesweep_sort_config_static_selectorELNS0_4arch9wavefront6targetE1EEEvSK_
    .private_segment_fixed_size: 0
    .sgpr_count:     6
    .sgpr_spill_count: 0
    .symbol:         _ZN7rocprim17ROCPRIM_400000_NS6detail17trampoline_kernelINS0_14default_configENS1_35radix_sort_onesweep_config_selectorIiNS0_10empty_typeEEEZZNS1_29radix_sort_onesweep_iterationIS3_Lb1EN6thrust23THRUST_200600_302600_NS6detail15normal_iteratorINS9_10device_ptrIiEEEESE_PS5_SF_jNS0_19identity_decomposerENS1_16block_id_wrapperIjLb0EEEEE10hipError_tT1_PNSt15iterator_traitsISK_E10value_typeET2_T3_PNSL_ISQ_E10value_typeET4_T5_PSV_SW_PNS1_23onesweep_lookback_stateEbbT6_jjT7_P12ihipStream_tbENKUlT_T0_SK_SP_E_clISE_SE_SF_SF_EEDaS13_S14_SK_SP_EUlS13_E_NS1_11comp_targetILNS1_3genE2ELNS1_11target_archE906ELNS1_3gpuE6ELNS1_3repE0EEENS1_47radix_sort_onesweep_sort_config_static_selectorELNS0_4arch9wavefront6targetE1EEEvSK_.kd
    .uniform_work_group_size: 1
    .uses_dynamic_stack: false
    .vgpr_count:     0
    .vgpr_spill_count: 0
    .wavefront_size: 64
  - .agpr_count:     0
    .args:
      - .offset:         0
        .size:           88
        .value_kind:     by_value
    .group_segment_fixed_size: 0
    .kernarg_segment_align: 8
    .kernarg_segment_size: 88
    .language:       OpenCL C
    .language_version:
      - 2
      - 0
    .max_flat_workgroup_size: 1024
    .name:           _ZN7rocprim17ROCPRIM_400000_NS6detail17trampoline_kernelINS0_14default_configENS1_35radix_sort_onesweep_config_selectorIiNS0_10empty_typeEEEZZNS1_29radix_sort_onesweep_iterationIS3_Lb1EN6thrust23THRUST_200600_302600_NS6detail15normal_iteratorINS9_10device_ptrIiEEEESE_PS5_SF_jNS0_19identity_decomposerENS1_16block_id_wrapperIjLb0EEEEE10hipError_tT1_PNSt15iterator_traitsISK_E10value_typeET2_T3_PNSL_ISQ_E10value_typeET4_T5_PSV_SW_PNS1_23onesweep_lookback_stateEbbT6_jjT7_P12ihipStream_tbENKUlT_T0_SK_SP_E_clISE_SE_SF_SF_EEDaS13_S14_SK_SP_EUlS13_E_NS1_11comp_targetILNS1_3genE4ELNS1_11target_archE910ELNS1_3gpuE8ELNS1_3repE0EEENS1_47radix_sort_onesweep_sort_config_static_selectorELNS0_4arch9wavefront6targetE1EEEvSK_
    .private_segment_fixed_size: 0
    .sgpr_count:     6
    .sgpr_spill_count: 0
    .symbol:         _ZN7rocprim17ROCPRIM_400000_NS6detail17trampoline_kernelINS0_14default_configENS1_35radix_sort_onesweep_config_selectorIiNS0_10empty_typeEEEZZNS1_29radix_sort_onesweep_iterationIS3_Lb1EN6thrust23THRUST_200600_302600_NS6detail15normal_iteratorINS9_10device_ptrIiEEEESE_PS5_SF_jNS0_19identity_decomposerENS1_16block_id_wrapperIjLb0EEEEE10hipError_tT1_PNSt15iterator_traitsISK_E10value_typeET2_T3_PNSL_ISQ_E10value_typeET4_T5_PSV_SW_PNS1_23onesweep_lookback_stateEbbT6_jjT7_P12ihipStream_tbENKUlT_T0_SK_SP_E_clISE_SE_SF_SF_EEDaS13_S14_SK_SP_EUlS13_E_NS1_11comp_targetILNS1_3genE4ELNS1_11target_archE910ELNS1_3gpuE8ELNS1_3repE0EEENS1_47radix_sort_onesweep_sort_config_static_selectorELNS0_4arch9wavefront6targetE1EEEvSK_.kd
    .uniform_work_group_size: 1
    .uses_dynamic_stack: false
    .vgpr_count:     0
    .vgpr_spill_count: 0
    .wavefront_size: 64
  - .agpr_count:     0
    .args:
      - .offset:         0
        .size:           88
        .value_kind:     by_value
    .group_segment_fixed_size: 0
    .kernarg_segment_align: 8
    .kernarg_segment_size: 88
    .language:       OpenCL C
    .language_version:
      - 2
      - 0
    .max_flat_workgroup_size: 512
    .name:           _ZN7rocprim17ROCPRIM_400000_NS6detail17trampoline_kernelINS0_14default_configENS1_35radix_sort_onesweep_config_selectorIiNS0_10empty_typeEEEZZNS1_29radix_sort_onesweep_iterationIS3_Lb1EN6thrust23THRUST_200600_302600_NS6detail15normal_iteratorINS9_10device_ptrIiEEEESE_PS5_SF_jNS0_19identity_decomposerENS1_16block_id_wrapperIjLb0EEEEE10hipError_tT1_PNSt15iterator_traitsISK_E10value_typeET2_T3_PNSL_ISQ_E10value_typeET4_T5_PSV_SW_PNS1_23onesweep_lookback_stateEbbT6_jjT7_P12ihipStream_tbENKUlT_T0_SK_SP_E_clISE_SE_SF_SF_EEDaS13_S14_SK_SP_EUlS13_E_NS1_11comp_targetILNS1_3genE3ELNS1_11target_archE908ELNS1_3gpuE7ELNS1_3repE0EEENS1_47radix_sort_onesweep_sort_config_static_selectorELNS0_4arch9wavefront6targetE1EEEvSK_
    .private_segment_fixed_size: 0
    .sgpr_count:     6
    .sgpr_spill_count: 0
    .symbol:         _ZN7rocprim17ROCPRIM_400000_NS6detail17trampoline_kernelINS0_14default_configENS1_35radix_sort_onesweep_config_selectorIiNS0_10empty_typeEEEZZNS1_29radix_sort_onesweep_iterationIS3_Lb1EN6thrust23THRUST_200600_302600_NS6detail15normal_iteratorINS9_10device_ptrIiEEEESE_PS5_SF_jNS0_19identity_decomposerENS1_16block_id_wrapperIjLb0EEEEE10hipError_tT1_PNSt15iterator_traitsISK_E10value_typeET2_T3_PNSL_ISQ_E10value_typeET4_T5_PSV_SW_PNS1_23onesweep_lookback_stateEbbT6_jjT7_P12ihipStream_tbENKUlT_T0_SK_SP_E_clISE_SE_SF_SF_EEDaS13_S14_SK_SP_EUlS13_E_NS1_11comp_targetILNS1_3genE3ELNS1_11target_archE908ELNS1_3gpuE7ELNS1_3repE0EEENS1_47radix_sort_onesweep_sort_config_static_selectorELNS0_4arch9wavefront6targetE1EEEvSK_.kd
    .uniform_work_group_size: 1
    .uses_dynamic_stack: false
    .vgpr_count:     0
    .vgpr_spill_count: 0
    .wavefront_size: 64
  - .agpr_count:     0
    .args:
      - .offset:         0
        .size:           88
        .value_kind:     by_value
    .group_segment_fixed_size: 0
    .kernarg_segment_align: 8
    .kernarg_segment_size: 88
    .language:       OpenCL C
    .language_version:
      - 2
      - 0
    .max_flat_workgroup_size: 1024
    .name:           _ZN7rocprim17ROCPRIM_400000_NS6detail17trampoline_kernelINS0_14default_configENS1_35radix_sort_onesweep_config_selectorIiNS0_10empty_typeEEEZZNS1_29radix_sort_onesweep_iterationIS3_Lb1EN6thrust23THRUST_200600_302600_NS6detail15normal_iteratorINS9_10device_ptrIiEEEESE_PS5_SF_jNS0_19identity_decomposerENS1_16block_id_wrapperIjLb0EEEEE10hipError_tT1_PNSt15iterator_traitsISK_E10value_typeET2_T3_PNSL_ISQ_E10value_typeET4_T5_PSV_SW_PNS1_23onesweep_lookback_stateEbbT6_jjT7_P12ihipStream_tbENKUlT_T0_SK_SP_E_clISE_SE_SF_SF_EEDaS13_S14_SK_SP_EUlS13_E_NS1_11comp_targetILNS1_3genE10ELNS1_11target_archE1201ELNS1_3gpuE5ELNS1_3repE0EEENS1_47radix_sort_onesweep_sort_config_static_selectorELNS0_4arch9wavefront6targetE1EEEvSK_
    .private_segment_fixed_size: 0
    .sgpr_count:     6
    .sgpr_spill_count: 0
    .symbol:         _ZN7rocprim17ROCPRIM_400000_NS6detail17trampoline_kernelINS0_14default_configENS1_35radix_sort_onesweep_config_selectorIiNS0_10empty_typeEEEZZNS1_29radix_sort_onesweep_iterationIS3_Lb1EN6thrust23THRUST_200600_302600_NS6detail15normal_iteratorINS9_10device_ptrIiEEEESE_PS5_SF_jNS0_19identity_decomposerENS1_16block_id_wrapperIjLb0EEEEE10hipError_tT1_PNSt15iterator_traitsISK_E10value_typeET2_T3_PNSL_ISQ_E10value_typeET4_T5_PSV_SW_PNS1_23onesweep_lookback_stateEbbT6_jjT7_P12ihipStream_tbENKUlT_T0_SK_SP_E_clISE_SE_SF_SF_EEDaS13_S14_SK_SP_EUlS13_E_NS1_11comp_targetILNS1_3genE10ELNS1_11target_archE1201ELNS1_3gpuE5ELNS1_3repE0EEENS1_47radix_sort_onesweep_sort_config_static_selectorELNS0_4arch9wavefront6targetE1EEEvSK_.kd
    .uniform_work_group_size: 1
    .uses_dynamic_stack: false
    .vgpr_count:     0
    .vgpr_spill_count: 0
    .wavefront_size: 64
  - .agpr_count:     0
    .args:
      - .offset:         0
        .size:           88
        .value_kind:     by_value
    .group_segment_fixed_size: 0
    .kernarg_segment_align: 8
    .kernarg_segment_size: 88
    .language:       OpenCL C
    .language_version:
      - 2
      - 0
    .max_flat_workgroup_size: 1024
    .name:           _ZN7rocprim17ROCPRIM_400000_NS6detail17trampoline_kernelINS0_14default_configENS1_35radix_sort_onesweep_config_selectorIiNS0_10empty_typeEEEZZNS1_29radix_sort_onesweep_iterationIS3_Lb1EN6thrust23THRUST_200600_302600_NS6detail15normal_iteratorINS9_10device_ptrIiEEEESE_PS5_SF_jNS0_19identity_decomposerENS1_16block_id_wrapperIjLb0EEEEE10hipError_tT1_PNSt15iterator_traitsISK_E10value_typeET2_T3_PNSL_ISQ_E10value_typeET4_T5_PSV_SW_PNS1_23onesweep_lookback_stateEbbT6_jjT7_P12ihipStream_tbENKUlT_T0_SK_SP_E_clISE_SE_SF_SF_EEDaS13_S14_SK_SP_EUlS13_E_NS1_11comp_targetILNS1_3genE9ELNS1_11target_archE1100ELNS1_3gpuE3ELNS1_3repE0EEENS1_47radix_sort_onesweep_sort_config_static_selectorELNS0_4arch9wavefront6targetE1EEEvSK_
    .private_segment_fixed_size: 0
    .sgpr_count:     6
    .sgpr_spill_count: 0
    .symbol:         _ZN7rocprim17ROCPRIM_400000_NS6detail17trampoline_kernelINS0_14default_configENS1_35radix_sort_onesweep_config_selectorIiNS0_10empty_typeEEEZZNS1_29radix_sort_onesweep_iterationIS3_Lb1EN6thrust23THRUST_200600_302600_NS6detail15normal_iteratorINS9_10device_ptrIiEEEESE_PS5_SF_jNS0_19identity_decomposerENS1_16block_id_wrapperIjLb0EEEEE10hipError_tT1_PNSt15iterator_traitsISK_E10value_typeET2_T3_PNSL_ISQ_E10value_typeET4_T5_PSV_SW_PNS1_23onesweep_lookback_stateEbbT6_jjT7_P12ihipStream_tbENKUlT_T0_SK_SP_E_clISE_SE_SF_SF_EEDaS13_S14_SK_SP_EUlS13_E_NS1_11comp_targetILNS1_3genE9ELNS1_11target_archE1100ELNS1_3gpuE3ELNS1_3repE0EEENS1_47radix_sort_onesweep_sort_config_static_selectorELNS0_4arch9wavefront6targetE1EEEvSK_.kd
    .uniform_work_group_size: 1
    .uses_dynamic_stack: false
    .vgpr_count:     0
    .vgpr_spill_count: 0
    .wavefront_size: 64
  - .agpr_count:     0
    .args:
      - .offset:         0
        .size:           88
        .value_kind:     by_value
    .group_segment_fixed_size: 0
    .kernarg_segment_align: 8
    .kernarg_segment_size: 88
    .language:       OpenCL C
    .language_version:
      - 2
      - 0
    .max_flat_workgroup_size: 1024
    .name:           _ZN7rocprim17ROCPRIM_400000_NS6detail17trampoline_kernelINS0_14default_configENS1_35radix_sort_onesweep_config_selectorIiNS0_10empty_typeEEEZZNS1_29radix_sort_onesweep_iterationIS3_Lb1EN6thrust23THRUST_200600_302600_NS6detail15normal_iteratorINS9_10device_ptrIiEEEESE_PS5_SF_jNS0_19identity_decomposerENS1_16block_id_wrapperIjLb0EEEEE10hipError_tT1_PNSt15iterator_traitsISK_E10value_typeET2_T3_PNSL_ISQ_E10value_typeET4_T5_PSV_SW_PNS1_23onesweep_lookback_stateEbbT6_jjT7_P12ihipStream_tbENKUlT_T0_SK_SP_E_clISE_SE_SF_SF_EEDaS13_S14_SK_SP_EUlS13_E_NS1_11comp_targetILNS1_3genE8ELNS1_11target_archE1030ELNS1_3gpuE2ELNS1_3repE0EEENS1_47radix_sort_onesweep_sort_config_static_selectorELNS0_4arch9wavefront6targetE1EEEvSK_
    .private_segment_fixed_size: 0
    .sgpr_count:     6
    .sgpr_spill_count: 0
    .symbol:         _ZN7rocprim17ROCPRIM_400000_NS6detail17trampoline_kernelINS0_14default_configENS1_35radix_sort_onesweep_config_selectorIiNS0_10empty_typeEEEZZNS1_29radix_sort_onesweep_iterationIS3_Lb1EN6thrust23THRUST_200600_302600_NS6detail15normal_iteratorINS9_10device_ptrIiEEEESE_PS5_SF_jNS0_19identity_decomposerENS1_16block_id_wrapperIjLb0EEEEE10hipError_tT1_PNSt15iterator_traitsISK_E10value_typeET2_T3_PNSL_ISQ_E10value_typeET4_T5_PSV_SW_PNS1_23onesweep_lookback_stateEbbT6_jjT7_P12ihipStream_tbENKUlT_T0_SK_SP_E_clISE_SE_SF_SF_EEDaS13_S14_SK_SP_EUlS13_E_NS1_11comp_targetILNS1_3genE8ELNS1_11target_archE1030ELNS1_3gpuE2ELNS1_3repE0EEENS1_47radix_sort_onesweep_sort_config_static_selectorELNS0_4arch9wavefront6targetE1EEEvSK_.kd
    .uniform_work_group_size: 1
    .uses_dynamic_stack: false
    .vgpr_count:     0
    .vgpr_spill_count: 0
    .wavefront_size: 64
  - .agpr_count:     0
    .args:
      - .offset:         0
        .size:           88
        .value_kind:     by_value
    .group_segment_fixed_size: 0
    .kernarg_segment_align: 8
    .kernarg_segment_size: 88
    .language:       OpenCL C
    .language_version:
      - 2
      - 0
    .max_flat_workgroup_size: 512
    .name:           _ZN7rocprim17ROCPRIM_400000_NS6detail17trampoline_kernelINS0_14default_configENS1_35radix_sort_onesweep_config_selectorIiNS0_10empty_typeEEEZZNS1_29radix_sort_onesweep_iterationIS3_Lb1EN6thrust23THRUST_200600_302600_NS6detail15normal_iteratorINS9_10device_ptrIiEEEESE_PS5_SF_jNS0_19identity_decomposerENS1_16block_id_wrapperIjLb0EEEEE10hipError_tT1_PNSt15iterator_traitsISK_E10value_typeET2_T3_PNSL_ISQ_E10value_typeET4_T5_PSV_SW_PNS1_23onesweep_lookback_stateEbbT6_jjT7_P12ihipStream_tbENKUlT_T0_SK_SP_E_clISE_PiSF_SF_EEDaS13_S14_SK_SP_EUlS13_E_NS1_11comp_targetILNS1_3genE0ELNS1_11target_archE4294967295ELNS1_3gpuE0ELNS1_3repE0EEENS1_47radix_sort_onesweep_sort_config_static_selectorELNS0_4arch9wavefront6targetE1EEEvSK_
    .private_segment_fixed_size: 0
    .sgpr_count:     6
    .sgpr_spill_count: 0
    .symbol:         _ZN7rocprim17ROCPRIM_400000_NS6detail17trampoline_kernelINS0_14default_configENS1_35radix_sort_onesweep_config_selectorIiNS0_10empty_typeEEEZZNS1_29radix_sort_onesweep_iterationIS3_Lb1EN6thrust23THRUST_200600_302600_NS6detail15normal_iteratorINS9_10device_ptrIiEEEESE_PS5_SF_jNS0_19identity_decomposerENS1_16block_id_wrapperIjLb0EEEEE10hipError_tT1_PNSt15iterator_traitsISK_E10value_typeET2_T3_PNSL_ISQ_E10value_typeET4_T5_PSV_SW_PNS1_23onesweep_lookback_stateEbbT6_jjT7_P12ihipStream_tbENKUlT_T0_SK_SP_E_clISE_PiSF_SF_EEDaS13_S14_SK_SP_EUlS13_E_NS1_11comp_targetILNS1_3genE0ELNS1_11target_archE4294967295ELNS1_3gpuE0ELNS1_3repE0EEENS1_47radix_sort_onesweep_sort_config_static_selectorELNS0_4arch9wavefront6targetE1EEEvSK_.kd
    .uniform_work_group_size: 1
    .uses_dynamic_stack: false
    .vgpr_count:     0
    .vgpr_spill_count: 0
    .wavefront_size: 64
  - .agpr_count:     0
    .args:
      - .offset:         0
        .size:           88
        .value_kind:     by_value
      - .offset:         88
        .size:           4
        .value_kind:     hidden_block_count_x
      - .offset:         92
        .size:           4
        .value_kind:     hidden_block_count_y
      - .offset:         96
        .size:           4
        .value_kind:     hidden_block_count_z
      - .offset:         100
        .size:           2
        .value_kind:     hidden_group_size_x
      - .offset:         102
        .size:           2
        .value_kind:     hidden_group_size_y
      - .offset:         104
        .size:           2
        .value_kind:     hidden_group_size_z
      - .offset:         106
        .size:           2
        .value_kind:     hidden_remainder_x
      - .offset:         108
        .size:           2
        .value_kind:     hidden_remainder_y
      - .offset:         110
        .size:           2
        .value_kind:     hidden_remainder_z
      - .offset:         128
        .size:           8
        .value_kind:     hidden_global_offset_x
      - .offset:         136
        .size:           8
        .value_kind:     hidden_global_offset_y
      - .offset:         144
        .size:           8
        .value_kind:     hidden_global_offset_z
      - .offset:         152
        .size:           2
        .value_kind:     hidden_grid_dims
    .group_segment_fixed_size: 20552
    .kernarg_segment_align: 8
    .kernarg_segment_size: 344
    .language:       OpenCL C
    .language_version:
      - 2
      - 0
    .max_flat_workgroup_size: 1024
    .name:           _ZN7rocprim17ROCPRIM_400000_NS6detail17trampoline_kernelINS0_14default_configENS1_35radix_sort_onesweep_config_selectorIiNS0_10empty_typeEEEZZNS1_29radix_sort_onesweep_iterationIS3_Lb1EN6thrust23THRUST_200600_302600_NS6detail15normal_iteratorINS9_10device_ptrIiEEEESE_PS5_SF_jNS0_19identity_decomposerENS1_16block_id_wrapperIjLb0EEEEE10hipError_tT1_PNSt15iterator_traitsISK_E10value_typeET2_T3_PNSL_ISQ_E10value_typeET4_T5_PSV_SW_PNS1_23onesweep_lookback_stateEbbT6_jjT7_P12ihipStream_tbENKUlT_T0_SK_SP_E_clISE_PiSF_SF_EEDaS13_S14_SK_SP_EUlS13_E_NS1_11comp_targetILNS1_3genE6ELNS1_11target_archE950ELNS1_3gpuE13ELNS1_3repE0EEENS1_47radix_sort_onesweep_sort_config_static_selectorELNS0_4arch9wavefront6targetE1EEEvSK_
    .private_segment_fixed_size: 0
    .sgpr_count:     37
    .sgpr_spill_count: 0
    .symbol:         _ZN7rocprim17ROCPRIM_400000_NS6detail17trampoline_kernelINS0_14default_configENS1_35radix_sort_onesweep_config_selectorIiNS0_10empty_typeEEEZZNS1_29radix_sort_onesweep_iterationIS3_Lb1EN6thrust23THRUST_200600_302600_NS6detail15normal_iteratorINS9_10device_ptrIiEEEESE_PS5_SF_jNS0_19identity_decomposerENS1_16block_id_wrapperIjLb0EEEEE10hipError_tT1_PNSt15iterator_traitsISK_E10value_typeET2_T3_PNSL_ISQ_E10value_typeET4_T5_PSV_SW_PNS1_23onesweep_lookback_stateEbbT6_jjT7_P12ihipStream_tbENKUlT_T0_SK_SP_E_clISE_PiSF_SF_EEDaS13_S14_SK_SP_EUlS13_E_NS1_11comp_targetILNS1_3genE6ELNS1_11target_archE950ELNS1_3gpuE13ELNS1_3repE0EEENS1_47radix_sort_onesweep_sort_config_static_selectorELNS0_4arch9wavefront6targetE1EEEvSK_.kd
    .uniform_work_group_size: 1
    .uses_dynamic_stack: false
    .vgpr_count:     46
    .vgpr_spill_count: 0
    .wavefront_size: 64
  - .agpr_count:     0
    .args:
      - .offset:         0
        .size:           88
        .value_kind:     by_value
    .group_segment_fixed_size: 0
    .kernarg_segment_align: 8
    .kernarg_segment_size: 88
    .language:       OpenCL C
    .language_version:
      - 2
      - 0
    .max_flat_workgroup_size: 1024
    .name:           _ZN7rocprim17ROCPRIM_400000_NS6detail17trampoline_kernelINS0_14default_configENS1_35radix_sort_onesweep_config_selectorIiNS0_10empty_typeEEEZZNS1_29radix_sort_onesweep_iterationIS3_Lb1EN6thrust23THRUST_200600_302600_NS6detail15normal_iteratorINS9_10device_ptrIiEEEESE_PS5_SF_jNS0_19identity_decomposerENS1_16block_id_wrapperIjLb0EEEEE10hipError_tT1_PNSt15iterator_traitsISK_E10value_typeET2_T3_PNSL_ISQ_E10value_typeET4_T5_PSV_SW_PNS1_23onesweep_lookback_stateEbbT6_jjT7_P12ihipStream_tbENKUlT_T0_SK_SP_E_clISE_PiSF_SF_EEDaS13_S14_SK_SP_EUlS13_E_NS1_11comp_targetILNS1_3genE5ELNS1_11target_archE942ELNS1_3gpuE9ELNS1_3repE0EEENS1_47radix_sort_onesweep_sort_config_static_selectorELNS0_4arch9wavefront6targetE1EEEvSK_
    .private_segment_fixed_size: 0
    .sgpr_count:     6
    .sgpr_spill_count: 0
    .symbol:         _ZN7rocprim17ROCPRIM_400000_NS6detail17trampoline_kernelINS0_14default_configENS1_35radix_sort_onesweep_config_selectorIiNS0_10empty_typeEEEZZNS1_29radix_sort_onesweep_iterationIS3_Lb1EN6thrust23THRUST_200600_302600_NS6detail15normal_iteratorINS9_10device_ptrIiEEEESE_PS5_SF_jNS0_19identity_decomposerENS1_16block_id_wrapperIjLb0EEEEE10hipError_tT1_PNSt15iterator_traitsISK_E10value_typeET2_T3_PNSL_ISQ_E10value_typeET4_T5_PSV_SW_PNS1_23onesweep_lookback_stateEbbT6_jjT7_P12ihipStream_tbENKUlT_T0_SK_SP_E_clISE_PiSF_SF_EEDaS13_S14_SK_SP_EUlS13_E_NS1_11comp_targetILNS1_3genE5ELNS1_11target_archE942ELNS1_3gpuE9ELNS1_3repE0EEENS1_47radix_sort_onesweep_sort_config_static_selectorELNS0_4arch9wavefront6targetE1EEEvSK_.kd
    .uniform_work_group_size: 1
    .uses_dynamic_stack: false
    .vgpr_count:     0
    .vgpr_spill_count: 0
    .wavefront_size: 64
  - .agpr_count:     0
    .args:
      - .offset:         0
        .size:           88
        .value_kind:     by_value
    .group_segment_fixed_size: 0
    .kernarg_segment_align: 8
    .kernarg_segment_size: 88
    .language:       OpenCL C
    .language_version:
      - 2
      - 0
    .max_flat_workgroup_size: 1024
    .name:           _ZN7rocprim17ROCPRIM_400000_NS6detail17trampoline_kernelINS0_14default_configENS1_35radix_sort_onesweep_config_selectorIiNS0_10empty_typeEEEZZNS1_29radix_sort_onesweep_iterationIS3_Lb1EN6thrust23THRUST_200600_302600_NS6detail15normal_iteratorINS9_10device_ptrIiEEEESE_PS5_SF_jNS0_19identity_decomposerENS1_16block_id_wrapperIjLb0EEEEE10hipError_tT1_PNSt15iterator_traitsISK_E10value_typeET2_T3_PNSL_ISQ_E10value_typeET4_T5_PSV_SW_PNS1_23onesweep_lookback_stateEbbT6_jjT7_P12ihipStream_tbENKUlT_T0_SK_SP_E_clISE_PiSF_SF_EEDaS13_S14_SK_SP_EUlS13_E_NS1_11comp_targetILNS1_3genE2ELNS1_11target_archE906ELNS1_3gpuE6ELNS1_3repE0EEENS1_47radix_sort_onesweep_sort_config_static_selectorELNS0_4arch9wavefront6targetE1EEEvSK_
    .private_segment_fixed_size: 0
    .sgpr_count:     6
    .sgpr_spill_count: 0
    .symbol:         _ZN7rocprim17ROCPRIM_400000_NS6detail17trampoline_kernelINS0_14default_configENS1_35radix_sort_onesweep_config_selectorIiNS0_10empty_typeEEEZZNS1_29radix_sort_onesweep_iterationIS3_Lb1EN6thrust23THRUST_200600_302600_NS6detail15normal_iteratorINS9_10device_ptrIiEEEESE_PS5_SF_jNS0_19identity_decomposerENS1_16block_id_wrapperIjLb0EEEEE10hipError_tT1_PNSt15iterator_traitsISK_E10value_typeET2_T3_PNSL_ISQ_E10value_typeET4_T5_PSV_SW_PNS1_23onesweep_lookback_stateEbbT6_jjT7_P12ihipStream_tbENKUlT_T0_SK_SP_E_clISE_PiSF_SF_EEDaS13_S14_SK_SP_EUlS13_E_NS1_11comp_targetILNS1_3genE2ELNS1_11target_archE906ELNS1_3gpuE6ELNS1_3repE0EEENS1_47radix_sort_onesweep_sort_config_static_selectorELNS0_4arch9wavefront6targetE1EEEvSK_.kd
    .uniform_work_group_size: 1
    .uses_dynamic_stack: false
    .vgpr_count:     0
    .vgpr_spill_count: 0
    .wavefront_size: 64
  - .agpr_count:     0
    .args:
      - .offset:         0
        .size:           88
        .value_kind:     by_value
    .group_segment_fixed_size: 0
    .kernarg_segment_align: 8
    .kernarg_segment_size: 88
    .language:       OpenCL C
    .language_version:
      - 2
      - 0
    .max_flat_workgroup_size: 1024
    .name:           _ZN7rocprim17ROCPRIM_400000_NS6detail17trampoline_kernelINS0_14default_configENS1_35radix_sort_onesweep_config_selectorIiNS0_10empty_typeEEEZZNS1_29radix_sort_onesweep_iterationIS3_Lb1EN6thrust23THRUST_200600_302600_NS6detail15normal_iteratorINS9_10device_ptrIiEEEESE_PS5_SF_jNS0_19identity_decomposerENS1_16block_id_wrapperIjLb0EEEEE10hipError_tT1_PNSt15iterator_traitsISK_E10value_typeET2_T3_PNSL_ISQ_E10value_typeET4_T5_PSV_SW_PNS1_23onesweep_lookback_stateEbbT6_jjT7_P12ihipStream_tbENKUlT_T0_SK_SP_E_clISE_PiSF_SF_EEDaS13_S14_SK_SP_EUlS13_E_NS1_11comp_targetILNS1_3genE4ELNS1_11target_archE910ELNS1_3gpuE8ELNS1_3repE0EEENS1_47radix_sort_onesweep_sort_config_static_selectorELNS0_4arch9wavefront6targetE1EEEvSK_
    .private_segment_fixed_size: 0
    .sgpr_count:     6
    .sgpr_spill_count: 0
    .symbol:         _ZN7rocprim17ROCPRIM_400000_NS6detail17trampoline_kernelINS0_14default_configENS1_35radix_sort_onesweep_config_selectorIiNS0_10empty_typeEEEZZNS1_29radix_sort_onesweep_iterationIS3_Lb1EN6thrust23THRUST_200600_302600_NS6detail15normal_iteratorINS9_10device_ptrIiEEEESE_PS5_SF_jNS0_19identity_decomposerENS1_16block_id_wrapperIjLb0EEEEE10hipError_tT1_PNSt15iterator_traitsISK_E10value_typeET2_T3_PNSL_ISQ_E10value_typeET4_T5_PSV_SW_PNS1_23onesweep_lookback_stateEbbT6_jjT7_P12ihipStream_tbENKUlT_T0_SK_SP_E_clISE_PiSF_SF_EEDaS13_S14_SK_SP_EUlS13_E_NS1_11comp_targetILNS1_3genE4ELNS1_11target_archE910ELNS1_3gpuE8ELNS1_3repE0EEENS1_47radix_sort_onesweep_sort_config_static_selectorELNS0_4arch9wavefront6targetE1EEEvSK_.kd
    .uniform_work_group_size: 1
    .uses_dynamic_stack: false
    .vgpr_count:     0
    .vgpr_spill_count: 0
    .wavefront_size: 64
  - .agpr_count:     0
    .args:
      - .offset:         0
        .size:           88
        .value_kind:     by_value
    .group_segment_fixed_size: 0
    .kernarg_segment_align: 8
    .kernarg_segment_size: 88
    .language:       OpenCL C
    .language_version:
      - 2
      - 0
    .max_flat_workgroup_size: 512
    .name:           _ZN7rocprim17ROCPRIM_400000_NS6detail17trampoline_kernelINS0_14default_configENS1_35radix_sort_onesweep_config_selectorIiNS0_10empty_typeEEEZZNS1_29radix_sort_onesweep_iterationIS3_Lb1EN6thrust23THRUST_200600_302600_NS6detail15normal_iteratorINS9_10device_ptrIiEEEESE_PS5_SF_jNS0_19identity_decomposerENS1_16block_id_wrapperIjLb0EEEEE10hipError_tT1_PNSt15iterator_traitsISK_E10value_typeET2_T3_PNSL_ISQ_E10value_typeET4_T5_PSV_SW_PNS1_23onesweep_lookback_stateEbbT6_jjT7_P12ihipStream_tbENKUlT_T0_SK_SP_E_clISE_PiSF_SF_EEDaS13_S14_SK_SP_EUlS13_E_NS1_11comp_targetILNS1_3genE3ELNS1_11target_archE908ELNS1_3gpuE7ELNS1_3repE0EEENS1_47radix_sort_onesweep_sort_config_static_selectorELNS0_4arch9wavefront6targetE1EEEvSK_
    .private_segment_fixed_size: 0
    .sgpr_count:     6
    .sgpr_spill_count: 0
    .symbol:         _ZN7rocprim17ROCPRIM_400000_NS6detail17trampoline_kernelINS0_14default_configENS1_35radix_sort_onesweep_config_selectorIiNS0_10empty_typeEEEZZNS1_29radix_sort_onesweep_iterationIS3_Lb1EN6thrust23THRUST_200600_302600_NS6detail15normal_iteratorINS9_10device_ptrIiEEEESE_PS5_SF_jNS0_19identity_decomposerENS1_16block_id_wrapperIjLb0EEEEE10hipError_tT1_PNSt15iterator_traitsISK_E10value_typeET2_T3_PNSL_ISQ_E10value_typeET4_T5_PSV_SW_PNS1_23onesweep_lookback_stateEbbT6_jjT7_P12ihipStream_tbENKUlT_T0_SK_SP_E_clISE_PiSF_SF_EEDaS13_S14_SK_SP_EUlS13_E_NS1_11comp_targetILNS1_3genE3ELNS1_11target_archE908ELNS1_3gpuE7ELNS1_3repE0EEENS1_47radix_sort_onesweep_sort_config_static_selectorELNS0_4arch9wavefront6targetE1EEEvSK_.kd
    .uniform_work_group_size: 1
    .uses_dynamic_stack: false
    .vgpr_count:     0
    .vgpr_spill_count: 0
    .wavefront_size: 64
  - .agpr_count:     0
    .args:
      - .offset:         0
        .size:           88
        .value_kind:     by_value
    .group_segment_fixed_size: 0
    .kernarg_segment_align: 8
    .kernarg_segment_size: 88
    .language:       OpenCL C
    .language_version:
      - 2
      - 0
    .max_flat_workgroup_size: 1024
    .name:           _ZN7rocprim17ROCPRIM_400000_NS6detail17trampoline_kernelINS0_14default_configENS1_35radix_sort_onesweep_config_selectorIiNS0_10empty_typeEEEZZNS1_29radix_sort_onesweep_iterationIS3_Lb1EN6thrust23THRUST_200600_302600_NS6detail15normal_iteratorINS9_10device_ptrIiEEEESE_PS5_SF_jNS0_19identity_decomposerENS1_16block_id_wrapperIjLb0EEEEE10hipError_tT1_PNSt15iterator_traitsISK_E10value_typeET2_T3_PNSL_ISQ_E10value_typeET4_T5_PSV_SW_PNS1_23onesweep_lookback_stateEbbT6_jjT7_P12ihipStream_tbENKUlT_T0_SK_SP_E_clISE_PiSF_SF_EEDaS13_S14_SK_SP_EUlS13_E_NS1_11comp_targetILNS1_3genE10ELNS1_11target_archE1201ELNS1_3gpuE5ELNS1_3repE0EEENS1_47radix_sort_onesweep_sort_config_static_selectorELNS0_4arch9wavefront6targetE1EEEvSK_
    .private_segment_fixed_size: 0
    .sgpr_count:     6
    .sgpr_spill_count: 0
    .symbol:         _ZN7rocprim17ROCPRIM_400000_NS6detail17trampoline_kernelINS0_14default_configENS1_35radix_sort_onesweep_config_selectorIiNS0_10empty_typeEEEZZNS1_29radix_sort_onesweep_iterationIS3_Lb1EN6thrust23THRUST_200600_302600_NS6detail15normal_iteratorINS9_10device_ptrIiEEEESE_PS5_SF_jNS0_19identity_decomposerENS1_16block_id_wrapperIjLb0EEEEE10hipError_tT1_PNSt15iterator_traitsISK_E10value_typeET2_T3_PNSL_ISQ_E10value_typeET4_T5_PSV_SW_PNS1_23onesweep_lookback_stateEbbT6_jjT7_P12ihipStream_tbENKUlT_T0_SK_SP_E_clISE_PiSF_SF_EEDaS13_S14_SK_SP_EUlS13_E_NS1_11comp_targetILNS1_3genE10ELNS1_11target_archE1201ELNS1_3gpuE5ELNS1_3repE0EEENS1_47radix_sort_onesweep_sort_config_static_selectorELNS0_4arch9wavefront6targetE1EEEvSK_.kd
    .uniform_work_group_size: 1
    .uses_dynamic_stack: false
    .vgpr_count:     0
    .vgpr_spill_count: 0
    .wavefront_size: 64
  - .agpr_count:     0
    .args:
      - .offset:         0
        .size:           88
        .value_kind:     by_value
    .group_segment_fixed_size: 0
    .kernarg_segment_align: 8
    .kernarg_segment_size: 88
    .language:       OpenCL C
    .language_version:
      - 2
      - 0
    .max_flat_workgroup_size: 1024
    .name:           _ZN7rocprim17ROCPRIM_400000_NS6detail17trampoline_kernelINS0_14default_configENS1_35radix_sort_onesweep_config_selectorIiNS0_10empty_typeEEEZZNS1_29radix_sort_onesweep_iterationIS3_Lb1EN6thrust23THRUST_200600_302600_NS6detail15normal_iteratorINS9_10device_ptrIiEEEESE_PS5_SF_jNS0_19identity_decomposerENS1_16block_id_wrapperIjLb0EEEEE10hipError_tT1_PNSt15iterator_traitsISK_E10value_typeET2_T3_PNSL_ISQ_E10value_typeET4_T5_PSV_SW_PNS1_23onesweep_lookback_stateEbbT6_jjT7_P12ihipStream_tbENKUlT_T0_SK_SP_E_clISE_PiSF_SF_EEDaS13_S14_SK_SP_EUlS13_E_NS1_11comp_targetILNS1_3genE9ELNS1_11target_archE1100ELNS1_3gpuE3ELNS1_3repE0EEENS1_47radix_sort_onesweep_sort_config_static_selectorELNS0_4arch9wavefront6targetE1EEEvSK_
    .private_segment_fixed_size: 0
    .sgpr_count:     6
    .sgpr_spill_count: 0
    .symbol:         _ZN7rocprim17ROCPRIM_400000_NS6detail17trampoline_kernelINS0_14default_configENS1_35radix_sort_onesweep_config_selectorIiNS0_10empty_typeEEEZZNS1_29radix_sort_onesweep_iterationIS3_Lb1EN6thrust23THRUST_200600_302600_NS6detail15normal_iteratorINS9_10device_ptrIiEEEESE_PS5_SF_jNS0_19identity_decomposerENS1_16block_id_wrapperIjLb0EEEEE10hipError_tT1_PNSt15iterator_traitsISK_E10value_typeET2_T3_PNSL_ISQ_E10value_typeET4_T5_PSV_SW_PNS1_23onesweep_lookback_stateEbbT6_jjT7_P12ihipStream_tbENKUlT_T0_SK_SP_E_clISE_PiSF_SF_EEDaS13_S14_SK_SP_EUlS13_E_NS1_11comp_targetILNS1_3genE9ELNS1_11target_archE1100ELNS1_3gpuE3ELNS1_3repE0EEENS1_47radix_sort_onesweep_sort_config_static_selectorELNS0_4arch9wavefront6targetE1EEEvSK_.kd
    .uniform_work_group_size: 1
    .uses_dynamic_stack: false
    .vgpr_count:     0
    .vgpr_spill_count: 0
    .wavefront_size: 64
  - .agpr_count:     0
    .args:
      - .offset:         0
        .size:           88
        .value_kind:     by_value
    .group_segment_fixed_size: 0
    .kernarg_segment_align: 8
    .kernarg_segment_size: 88
    .language:       OpenCL C
    .language_version:
      - 2
      - 0
    .max_flat_workgroup_size: 1024
    .name:           _ZN7rocprim17ROCPRIM_400000_NS6detail17trampoline_kernelINS0_14default_configENS1_35radix_sort_onesweep_config_selectorIiNS0_10empty_typeEEEZZNS1_29radix_sort_onesweep_iterationIS3_Lb1EN6thrust23THRUST_200600_302600_NS6detail15normal_iteratorINS9_10device_ptrIiEEEESE_PS5_SF_jNS0_19identity_decomposerENS1_16block_id_wrapperIjLb0EEEEE10hipError_tT1_PNSt15iterator_traitsISK_E10value_typeET2_T3_PNSL_ISQ_E10value_typeET4_T5_PSV_SW_PNS1_23onesweep_lookback_stateEbbT6_jjT7_P12ihipStream_tbENKUlT_T0_SK_SP_E_clISE_PiSF_SF_EEDaS13_S14_SK_SP_EUlS13_E_NS1_11comp_targetILNS1_3genE8ELNS1_11target_archE1030ELNS1_3gpuE2ELNS1_3repE0EEENS1_47radix_sort_onesweep_sort_config_static_selectorELNS0_4arch9wavefront6targetE1EEEvSK_
    .private_segment_fixed_size: 0
    .sgpr_count:     6
    .sgpr_spill_count: 0
    .symbol:         _ZN7rocprim17ROCPRIM_400000_NS6detail17trampoline_kernelINS0_14default_configENS1_35radix_sort_onesweep_config_selectorIiNS0_10empty_typeEEEZZNS1_29radix_sort_onesweep_iterationIS3_Lb1EN6thrust23THRUST_200600_302600_NS6detail15normal_iteratorINS9_10device_ptrIiEEEESE_PS5_SF_jNS0_19identity_decomposerENS1_16block_id_wrapperIjLb0EEEEE10hipError_tT1_PNSt15iterator_traitsISK_E10value_typeET2_T3_PNSL_ISQ_E10value_typeET4_T5_PSV_SW_PNS1_23onesweep_lookback_stateEbbT6_jjT7_P12ihipStream_tbENKUlT_T0_SK_SP_E_clISE_PiSF_SF_EEDaS13_S14_SK_SP_EUlS13_E_NS1_11comp_targetILNS1_3genE8ELNS1_11target_archE1030ELNS1_3gpuE2ELNS1_3repE0EEENS1_47radix_sort_onesweep_sort_config_static_selectorELNS0_4arch9wavefront6targetE1EEEvSK_.kd
    .uniform_work_group_size: 1
    .uses_dynamic_stack: false
    .vgpr_count:     0
    .vgpr_spill_count: 0
    .wavefront_size: 64
  - .agpr_count:     0
    .args:
      - .offset:         0
        .size:           88
        .value_kind:     by_value
    .group_segment_fixed_size: 0
    .kernarg_segment_align: 8
    .kernarg_segment_size: 88
    .language:       OpenCL C
    .language_version:
      - 2
      - 0
    .max_flat_workgroup_size: 512
    .name:           _ZN7rocprim17ROCPRIM_400000_NS6detail17trampoline_kernelINS0_14default_configENS1_35radix_sort_onesweep_config_selectorIiNS0_10empty_typeEEEZZNS1_29radix_sort_onesweep_iterationIS3_Lb1EN6thrust23THRUST_200600_302600_NS6detail15normal_iteratorINS9_10device_ptrIiEEEESE_PS5_SF_jNS0_19identity_decomposerENS1_16block_id_wrapperIjLb0EEEEE10hipError_tT1_PNSt15iterator_traitsISK_E10value_typeET2_T3_PNSL_ISQ_E10value_typeET4_T5_PSV_SW_PNS1_23onesweep_lookback_stateEbbT6_jjT7_P12ihipStream_tbENKUlT_T0_SK_SP_E_clIPiSE_SF_SF_EEDaS13_S14_SK_SP_EUlS13_E_NS1_11comp_targetILNS1_3genE0ELNS1_11target_archE4294967295ELNS1_3gpuE0ELNS1_3repE0EEENS1_47radix_sort_onesweep_sort_config_static_selectorELNS0_4arch9wavefront6targetE1EEEvSK_
    .private_segment_fixed_size: 0
    .sgpr_count:     6
    .sgpr_spill_count: 0
    .symbol:         _ZN7rocprim17ROCPRIM_400000_NS6detail17trampoline_kernelINS0_14default_configENS1_35radix_sort_onesweep_config_selectorIiNS0_10empty_typeEEEZZNS1_29radix_sort_onesweep_iterationIS3_Lb1EN6thrust23THRUST_200600_302600_NS6detail15normal_iteratorINS9_10device_ptrIiEEEESE_PS5_SF_jNS0_19identity_decomposerENS1_16block_id_wrapperIjLb0EEEEE10hipError_tT1_PNSt15iterator_traitsISK_E10value_typeET2_T3_PNSL_ISQ_E10value_typeET4_T5_PSV_SW_PNS1_23onesweep_lookback_stateEbbT6_jjT7_P12ihipStream_tbENKUlT_T0_SK_SP_E_clIPiSE_SF_SF_EEDaS13_S14_SK_SP_EUlS13_E_NS1_11comp_targetILNS1_3genE0ELNS1_11target_archE4294967295ELNS1_3gpuE0ELNS1_3repE0EEENS1_47radix_sort_onesweep_sort_config_static_selectorELNS0_4arch9wavefront6targetE1EEEvSK_.kd
    .uniform_work_group_size: 1
    .uses_dynamic_stack: false
    .vgpr_count:     0
    .vgpr_spill_count: 0
    .wavefront_size: 64
  - .agpr_count:     0
    .args:
      - .offset:         0
        .size:           88
        .value_kind:     by_value
      - .offset:         88
        .size:           4
        .value_kind:     hidden_block_count_x
      - .offset:         92
        .size:           4
        .value_kind:     hidden_block_count_y
      - .offset:         96
        .size:           4
        .value_kind:     hidden_block_count_z
      - .offset:         100
        .size:           2
        .value_kind:     hidden_group_size_x
      - .offset:         102
        .size:           2
        .value_kind:     hidden_group_size_y
      - .offset:         104
        .size:           2
        .value_kind:     hidden_group_size_z
      - .offset:         106
        .size:           2
        .value_kind:     hidden_remainder_x
      - .offset:         108
        .size:           2
        .value_kind:     hidden_remainder_y
      - .offset:         110
        .size:           2
        .value_kind:     hidden_remainder_z
      - .offset:         128
        .size:           8
        .value_kind:     hidden_global_offset_x
      - .offset:         136
        .size:           8
        .value_kind:     hidden_global_offset_y
      - .offset:         144
        .size:           8
        .value_kind:     hidden_global_offset_z
      - .offset:         152
        .size:           2
        .value_kind:     hidden_grid_dims
    .group_segment_fixed_size: 20552
    .kernarg_segment_align: 8
    .kernarg_segment_size: 344
    .language:       OpenCL C
    .language_version:
      - 2
      - 0
    .max_flat_workgroup_size: 1024
    .name:           _ZN7rocprim17ROCPRIM_400000_NS6detail17trampoline_kernelINS0_14default_configENS1_35radix_sort_onesweep_config_selectorIiNS0_10empty_typeEEEZZNS1_29radix_sort_onesweep_iterationIS3_Lb1EN6thrust23THRUST_200600_302600_NS6detail15normal_iteratorINS9_10device_ptrIiEEEESE_PS5_SF_jNS0_19identity_decomposerENS1_16block_id_wrapperIjLb0EEEEE10hipError_tT1_PNSt15iterator_traitsISK_E10value_typeET2_T3_PNSL_ISQ_E10value_typeET4_T5_PSV_SW_PNS1_23onesweep_lookback_stateEbbT6_jjT7_P12ihipStream_tbENKUlT_T0_SK_SP_E_clIPiSE_SF_SF_EEDaS13_S14_SK_SP_EUlS13_E_NS1_11comp_targetILNS1_3genE6ELNS1_11target_archE950ELNS1_3gpuE13ELNS1_3repE0EEENS1_47radix_sort_onesweep_sort_config_static_selectorELNS0_4arch9wavefront6targetE1EEEvSK_
    .private_segment_fixed_size: 0
    .sgpr_count:     37
    .sgpr_spill_count: 0
    .symbol:         _ZN7rocprim17ROCPRIM_400000_NS6detail17trampoline_kernelINS0_14default_configENS1_35radix_sort_onesweep_config_selectorIiNS0_10empty_typeEEEZZNS1_29radix_sort_onesweep_iterationIS3_Lb1EN6thrust23THRUST_200600_302600_NS6detail15normal_iteratorINS9_10device_ptrIiEEEESE_PS5_SF_jNS0_19identity_decomposerENS1_16block_id_wrapperIjLb0EEEEE10hipError_tT1_PNSt15iterator_traitsISK_E10value_typeET2_T3_PNSL_ISQ_E10value_typeET4_T5_PSV_SW_PNS1_23onesweep_lookback_stateEbbT6_jjT7_P12ihipStream_tbENKUlT_T0_SK_SP_E_clIPiSE_SF_SF_EEDaS13_S14_SK_SP_EUlS13_E_NS1_11comp_targetILNS1_3genE6ELNS1_11target_archE950ELNS1_3gpuE13ELNS1_3repE0EEENS1_47radix_sort_onesweep_sort_config_static_selectorELNS0_4arch9wavefront6targetE1EEEvSK_.kd
    .uniform_work_group_size: 1
    .uses_dynamic_stack: false
    .vgpr_count:     46
    .vgpr_spill_count: 0
    .wavefront_size: 64
  - .agpr_count:     0
    .args:
      - .offset:         0
        .size:           88
        .value_kind:     by_value
    .group_segment_fixed_size: 0
    .kernarg_segment_align: 8
    .kernarg_segment_size: 88
    .language:       OpenCL C
    .language_version:
      - 2
      - 0
    .max_flat_workgroup_size: 1024
    .name:           _ZN7rocprim17ROCPRIM_400000_NS6detail17trampoline_kernelINS0_14default_configENS1_35radix_sort_onesweep_config_selectorIiNS0_10empty_typeEEEZZNS1_29radix_sort_onesweep_iterationIS3_Lb1EN6thrust23THRUST_200600_302600_NS6detail15normal_iteratorINS9_10device_ptrIiEEEESE_PS5_SF_jNS0_19identity_decomposerENS1_16block_id_wrapperIjLb0EEEEE10hipError_tT1_PNSt15iterator_traitsISK_E10value_typeET2_T3_PNSL_ISQ_E10value_typeET4_T5_PSV_SW_PNS1_23onesweep_lookback_stateEbbT6_jjT7_P12ihipStream_tbENKUlT_T0_SK_SP_E_clIPiSE_SF_SF_EEDaS13_S14_SK_SP_EUlS13_E_NS1_11comp_targetILNS1_3genE5ELNS1_11target_archE942ELNS1_3gpuE9ELNS1_3repE0EEENS1_47radix_sort_onesweep_sort_config_static_selectorELNS0_4arch9wavefront6targetE1EEEvSK_
    .private_segment_fixed_size: 0
    .sgpr_count:     6
    .sgpr_spill_count: 0
    .symbol:         _ZN7rocprim17ROCPRIM_400000_NS6detail17trampoline_kernelINS0_14default_configENS1_35radix_sort_onesweep_config_selectorIiNS0_10empty_typeEEEZZNS1_29radix_sort_onesweep_iterationIS3_Lb1EN6thrust23THRUST_200600_302600_NS6detail15normal_iteratorINS9_10device_ptrIiEEEESE_PS5_SF_jNS0_19identity_decomposerENS1_16block_id_wrapperIjLb0EEEEE10hipError_tT1_PNSt15iterator_traitsISK_E10value_typeET2_T3_PNSL_ISQ_E10value_typeET4_T5_PSV_SW_PNS1_23onesweep_lookback_stateEbbT6_jjT7_P12ihipStream_tbENKUlT_T0_SK_SP_E_clIPiSE_SF_SF_EEDaS13_S14_SK_SP_EUlS13_E_NS1_11comp_targetILNS1_3genE5ELNS1_11target_archE942ELNS1_3gpuE9ELNS1_3repE0EEENS1_47radix_sort_onesweep_sort_config_static_selectorELNS0_4arch9wavefront6targetE1EEEvSK_.kd
    .uniform_work_group_size: 1
    .uses_dynamic_stack: false
    .vgpr_count:     0
    .vgpr_spill_count: 0
    .wavefront_size: 64
  - .agpr_count:     0
    .args:
      - .offset:         0
        .size:           88
        .value_kind:     by_value
    .group_segment_fixed_size: 0
    .kernarg_segment_align: 8
    .kernarg_segment_size: 88
    .language:       OpenCL C
    .language_version:
      - 2
      - 0
    .max_flat_workgroup_size: 1024
    .name:           _ZN7rocprim17ROCPRIM_400000_NS6detail17trampoline_kernelINS0_14default_configENS1_35radix_sort_onesweep_config_selectorIiNS0_10empty_typeEEEZZNS1_29radix_sort_onesweep_iterationIS3_Lb1EN6thrust23THRUST_200600_302600_NS6detail15normal_iteratorINS9_10device_ptrIiEEEESE_PS5_SF_jNS0_19identity_decomposerENS1_16block_id_wrapperIjLb0EEEEE10hipError_tT1_PNSt15iterator_traitsISK_E10value_typeET2_T3_PNSL_ISQ_E10value_typeET4_T5_PSV_SW_PNS1_23onesweep_lookback_stateEbbT6_jjT7_P12ihipStream_tbENKUlT_T0_SK_SP_E_clIPiSE_SF_SF_EEDaS13_S14_SK_SP_EUlS13_E_NS1_11comp_targetILNS1_3genE2ELNS1_11target_archE906ELNS1_3gpuE6ELNS1_3repE0EEENS1_47radix_sort_onesweep_sort_config_static_selectorELNS0_4arch9wavefront6targetE1EEEvSK_
    .private_segment_fixed_size: 0
    .sgpr_count:     6
    .sgpr_spill_count: 0
    .symbol:         _ZN7rocprim17ROCPRIM_400000_NS6detail17trampoline_kernelINS0_14default_configENS1_35radix_sort_onesweep_config_selectorIiNS0_10empty_typeEEEZZNS1_29radix_sort_onesweep_iterationIS3_Lb1EN6thrust23THRUST_200600_302600_NS6detail15normal_iteratorINS9_10device_ptrIiEEEESE_PS5_SF_jNS0_19identity_decomposerENS1_16block_id_wrapperIjLb0EEEEE10hipError_tT1_PNSt15iterator_traitsISK_E10value_typeET2_T3_PNSL_ISQ_E10value_typeET4_T5_PSV_SW_PNS1_23onesweep_lookback_stateEbbT6_jjT7_P12ihipStream_tbENKUlT_T0_SK_SP_E_clIPiSE_SF_SF_EEDaS13_S14_SK_SP_EUlS13_E_NS1_11comp_targetILNS1_3genE2ELNS1_11target_archE906ELNS1_3gpuE6ELNS1_3repE0EEENS1_47radix_sort_onesweep_sort_config_static_selectorELNS0_4arch9wavefront6targetE1EEEvSK_.kd
    .uniform_work_group_size: 1
    .uses_dynamic_stack: false
    .vgpr_count:     0
    .vgpr_spill_count: 0
    .wavefront_size: 64
  - .agpr_count:     0
    .args:
      - .offset:         0
        .size:           88
        .value_kind:     by_value
    .group_segment_fixed_size: 0
    .kernarg_segment_align: 8
    .kernarg_segment_size: 88
    .language:       OpenCL C
    .language_version:
      - 2
      - 0
    .max_flat_workgroup_size: 1024
    .name:           _ZN7rocprim17ROCPRIM_400000_NS6detail17trampoline_kernelINS0_14default_configENS1_35radix_sort_onesweep_config_selectorIiNS0_10empty_typeEEEZZNS1_29radix_sort_onesweep_iterationIS3_Lb1EN6thrust23THRUST_200600_302600_NS6detail15normal_iteratorINS9_10device_ptrIiEEEESE_PS5_SF_jNS0_19identity_decomposerENS1_16block_id_wrapperIjLb0EEEEE10hipError_tT1_PNSt15iterator_traitsISK_E10value_typeET2_T3_PNSL_ISQ_E10value_typeET4_T5_PSV_SW_PNS1_23onesweep_lookback_stateEbbT6_jjT7_P12ihipStream_tbENKUlT_T0_SK_SP_E_clIPiSE_SF_SF_EEDaS13_S14_SK_SP_EUlS13_E_NS1_11comp_targetILNS1_3genE4ELNS1_11target_archE910ELNS1_3gpuE8ELNS1_3repE0EEENS1_47radix_sort_onesweep_sort_config_static_selectorELNS0_4arch9wavefront6targetE1EEEvSK_
    .private_segment_fixed_size: 0
    .sgpr_count:     6
    .sgpr_spill_count: 0
    .symbol:         _ZN7rocprim17ROCPRIM_400000_NS6detail17trampoline_kernelINS0_14default_configENS1_35radix_sort_onesweep_config_selectorIiNS0_10empty_typeEEEZZNS1_29radix_sort_onesweep_iterationIS3_Lb1EN6thrust23THRUST_200600_302600_NS6detail15normal_iteratorINS9_10device_ptrIiEEEESE_PS5_SF_jNS0_19identity_decomposerENS1_16block_id_wrapperIjLb0EEEEE10hipError_tT1_PNSt15iterator_traitsISK_E10value_typeET2_T3_PNSL_ISQ_E10value_typeET4_T5_PSV_SW_PNS1_23onesweep_lookback_stateEbbT6_jjT7_P12ihipStream_tbENKUlT_T0_SK_SP_E_clIPiSE_SF_SF_EEDaS13_S14_SK_SP_EUlS13_E_NS1_11comp_targetILNS1_3genE4ELNS1_11target_archE910ELNS1_3gpuE8ELNS1_3repE0EEENS1_47radix_sort_onesweep_sort_config_static_selectorELNS0_4arch9wavefront6targetE1EEEvSK_.kd
    .uniform_work_group_size: 1
    .uses_dynamic_stack: false
    .vgpr_count:     0
    .vgpr_spill_count: 0
    .wavefront_size: 64
  - .agpr_count:     0
    .args:
      - .offset:         0
        .size:           88
        .value_kind:     by_value
    .group_segment_fixed_size: 0
    .kernarg_segment_align: 8
    .kernarg_segment_size: 88
    .language:       OpenCL C
    .language_version:
      - 2
      - 0
    .max_flat_workgroup_size: 512
    .name:           _ZN7rocprim17ROCPRIM_400000_NS6detail17trampoline_kernelINS0_14default_configENS1_35radix_sort_onesweep_config_selectorIiNS0_10empty_typeEEEZZNS1_29radix_sort_onesweep_iterationIS3_Lb1EN6thrust23THRUST_200600_302600_NS6detail15normal_iteratorINS9_10device_ptrIiEEEESE_PS5_SF_jNS0_19identity_decomposerENS1_16block_id_wrapperIjLb0EEEEE10hipError_tT1_PNSt15iterator_traitsISK_E10value_typeET2_T3_PNSL_ISQ_E10value_typeET4_T5_PSV_SW_PNS1_23onesweep_lookback_stateEbbT6_jjT7_P12ihipStream_tbENKUlT_T0_SK_SP_E_clIPiSE_SF_SF_EEDaS13_S14_SK_SP_EUlS13_E_NS1_11comp_targetILNS1_3genE3ELNS1_11target_archE908ELNS1_3gpuE7ELNS1_3repE0EEENS1_47radix_sort_onesweep_sort_config_static_selectorELNS0_4arch9wavefront6targetE1EEEvSK_
    .private_segment_fixed_size: 0
    .sgpr_count:     6
    .sgpr_spill_count: 0
    .symbol:         _ZN7rocprim17ROCPRIM_400000_NS6detail17trampoline_kernelINS0_14default_configENS1_35radix_sort_onesweep_config_selectorIiNS0_10empty_typeEEEZZNS1_29radix_sort_onesweep_iterationIS3_Lb1EN6thrust23THRUST_200600_302600_NS6detail15normal_iteratorINS9_10device_ptrIiEEEESE_PS5_SF_jNS0_19identity_decomposerENS1_16block_id_wrapperIjLb0EEEEE10hipError_tT1_PNSt15iterator_traitsISK_E10value_typeET2_T3_PNSL_ISQ_E10value_typeET4_T5_PSV_SW_PNS1_23onesweep_lookback_stateEbbT6_jjT7_P12ihipStream_tbENKUlT_T0_SK_SP_E_clIPiSE_SF_SF_EEDaS13_S14_SK_SP_EUlS13_E_NS1_11comp_targetILNS1_3genE3ELNS1_11target_archE908ELNS1_3gpuE7ELNS1_3repE0EEENS1_47radix_sort_onesweep_sort_config_static_selectorELNS0_4arch9wavefront6targetE1EEEvSK_.kd
    .uniform_work_group_size: 1
    .uses_dynamic_stack: false
    .vgpr_count:     0
    .vgpr_spill_count: 0
    .wavefront_size: 64
  - .agpr_count:     0
    .args:
      - .offset:         0
        .size:           88
        .value_kind:     by_value
    .group_segment_fixed_size: 0
    .kernarg_segment_align: 8
    .kernarg_segment_size: 88
    .language:       OpenCL C
    .language_version:
      - 2
      - 0
    .max_flat_workgroup_size: 1024
    .name:           _ZN7rocprim17ROCPRIM_400000_NS6detail17trampoline_kernelINS0_14default_configENS1_35radix_sort_onesweep_config_selectorIiNS0_10empty_typeEEEZZNS1_29radix_sort_onesweep_iterationIS3_Lb1EN6thrust23THRUST_200600_302600_NS6detail15normal_iteratorINS9_10device_ptrIiEEEESE_PS5_SF_jNS0_19identity_decomposerENS1_16block_id_wrapperIjLb0EEEEE10hipError_tT1_PNSt15iterator_traitsISK_E10value_typeET2_T3_PNSL_ISQ_E10value_typeET4_T5_PSV_SW_PNS1_23onesweep_lookback_stateEbbT6_jjT7_P12ihipStream_tbENKUlT_T0_SK_SP_E_clIPiSE_SF_SF_EEDaS13_S14_SK_SP_EUlS13_E_NS1_11comp_targetILNS1_3genE10ELNS1_11target_archE1201ELNS1_3gpuE5ELNS1_3repE0EEENS1_47radix_sort_onesweep_sort_config_static_selectorELNS0_4arch9wavefront6targetE1EEEvSK_
    .private_segment_fixed_size: 0
    .sgpr_count:     6
    .sgpr_spill_count: 0
    .symbol:         _ZN7rocprim17ROCPRIM_400000_NS6detail17trampoline_kernelINS0_14default_configENS1_35radix_sort_onesweep_config_selectorIiNS0_10empty_typeEEEZZNS1_29radix_sort_onesweep_iterationIS3_Lb1EN6thrust23THRUST_200600_302600_NS6detail15normal_iteratorINS9_10device_ptrIiEEEESE_PS5_SF_jNS0_19identity_decomposerENS1_16block_id_wrapperIjLb0EEEEE10hipError_tT1_PNSt15iterator_traitsISK_E10value_typeET2_T3_PNSL_ISQ_E10value_typeET4_T5_PSV_SW_PNS1_23onesweep_lookback_stateEbbT6_jjT7_P12ihipStream_tbENKUlT_T0_SK_SP_E_clIPiSE_SF_SF_EEDaS13_S14_SK_SP_EUlS13_E_NS1_11comp_targetILNS1_3genE10ELNS1_11target_archE1201ELNS1_3gpuE5ELNS1_3repE0EEENS1_47radix_sort_onesweep_sort_config_static_selectorELNS0_4arch9wavefront6targetE1EEEvSK_.kd
    .uniform_work_group_size: 1
    .uses_dynamic_stack: false
    .vgpr_count:     0
    .vgpr_spill_count: 0
    .wavefront_size: 64
  - .agpr_count:     0
    .args:
      - .offset:         0
        .size:           88
        .value_kind:     by_value
    .group_segment_fixed_size: 0
    .kernarg_segment_align: 8
    .kernarg_segment_size: 88
    .language:       OpenCL C
    .language_version:
      - 2
      - 0
    .max_flat_workgroup_size: 1024
    .name:           _ZN7rocprim17ROCPRIM_400000_NS6detail17trampoline_kernelINS0_14default_configENS1_35radix_sort_onesweep_config_selectorIiNS0_10empty_typeEEEZZNS1_29radix_sort_onesweep_iterationIS3_Lb1EN6thrust23THRUST_200600_302600_NS6detail15normal_iteratorINS9_10device_ptrIiEEEESE_PS5_SF_jNS0_19identity_decomposerENS1_16block_id_wrapperIjLb0EEEEE10hipError_tT1_PNSt15iterator_traitsISK_E10value_typeET2_T3_PNSL_ISQ_E10value_typeET4_T5_PSV_SW_PNS1_23onesweep_lookback_stateEbbT6_jjT7_P12ihipStream_tbENKUlT_T0_SK_SP_E_clIPiSE_SF_SF_EEDaS13_S14_SK_SP_EUlS13_E_NS1_11comp_targetILNS1_3genE9ELNS1_11target_archE1100ELNS1_3gpuE3ELNS1_3repE0EEENS1_47radix_sort_onesweep_sort_config_static_selectorELNS0_4arch9wavefront6targetE1EEEvSK_
    .private_segment_fixed_size: 0
    .sgpr_count:     6
    .sgpr_spill_count: 0
    .symbol:         _ZN7rocprim17ROCPRIM_400000_NS6detail17trampoline_kernelINS0_14default_configENS1_35radix_sort_onesweep_config_selectorIiNS0_10empty_typeEEEZZNS1_29radix_sort_onesweep_iterationIS3_Lb1EN6thrust23THRUST_200600_302600_NS6detail15normal_iteratorINS9_10device_ptrIiEEEESE_PS5_SF_jNS0_19identity_decomposerENS1_16block_id_wrapperIjLb0EEEEE10hipError_tT1_PNSt15iterator_traitsISK_E10value_typeET2_T3_PNSL_ISQ_E10value_typeET4_T5_PSV_SW_PNS1_23onesweep_lookback_stateEbbT6_jjT7_P12ihipStream_tbENKUlT_T0_SK_SP_E_clIPiSE_SF_SF_EEDaS13_S14_SK_SP_EUlS13_E_NS1_11comp_targetILNS1_3genE9ELNS1_11target_archE1100ELNS1_3gpuE3ELNS1_3repE0EEENS1_47radix_sort_onesweep_sort_config_static_selectorELNS0_4arch9wavefront6targetE1EEEvSK_.kd
    .uniform_work_group_size: 1
    .uses_dynamic_stack: false
    .vgpr_count:     0
    .vgpr_spill_count: 0
    .wavefront_size: 64
  - .agpr_count:     0
    .args:
      - .offset:         0
        .size:           88
        .value_kind:     by_value
    .group_segment_fixed_size: 0
    .kernarg_segment_align: 8
    .kernarg_segment_size: 88
    .language:       OpenCL C
    .language_version:
      - 2
      - 0
    .max_flat_workgroup_size: 1024
    .name:           _ZN7rocprim17ROCPRIM_400000_NS6detail17trampoline_kernelINS0_14default_configENS1_35radix_sort_onesweep_config_selectorIiNS0_10empty_typeEEEZZNS1_29radix_sort_onesweep_iterationIS3_Lb1EN6thrust23THRUST_200600_302600_NS6detail15normal_iteratorINS9_10device_ptrIiEEEESE_PS5_SF_jNS0_19identity_decomposerENS1_16block_id_wrapperIjLb0EEEEE10hipError_tT1_PNSt15iterator_traitsISK_E10value_typeET2_T3_PNSL_ISQ_E10value_typeET4_T5_PSV_SW_PNS1_23onesweep_lookback_stateEbbT6_jjT7_P12ihipStream_tbENKUlT_T0_SK_SP_E_clIPiSE_SF_SF_EEDaS13_S14_SK_SP_EUlS13_E_NS1_11comp_targetILNS1_3genE8ELNS1_11target_archE1030ELNS1_3gpuE2ELNS1_3repE0EEENS1_47radix_sort_onesweep_sort_config_static_selectorELNS0_4arch9wavefront6targetE1EEEvSK_
    .private_segment_fixed_size: 0
    .sgpr_count:     6
    .sgpr_spill_count: 0
    .symbol:         _ZN7rocprim17ROCPRIM_400000_NS6detail17trampoline_kernelINS0_14default_configENS1_35radix_sort_onesweep_config_selectorIiNS0_10empty_typeEEEZZNS1_29radix_sort_onesweep_iterationIS3_Lb1EN6thrust23THRUST_200600_302600_NS6detail15normal_iteratorINS9_10device_ptrIiEEEESE_PS5_SF_jNS0_19identity_decomposerENS1_16block_id_wrapperIjLb0EEEEE10hipError_tT1_PNSt15iterator_traitsISK_E10value_typeET2_T3_PNSL_ISQ_E10value_typeET4_T5_PSV_SW_PNS1_23onesweep_lookback_stateEbbT6_jjT7_P12ihipStream_tbENKUlT_T0_SK_SP_E_clIPiSE_SF_SF_EEDaS13_S14_SK_SP_EUlS13_E_NS1_11comp_targetILNS1_3genE8ELNS1_11target_archE1030ELNS1_3gpuE2ELNS1_3repE0EEENS1_47radix_sort_onesweep_sort_config_static_selectorELNS0_4arch9wavefront6targetE1EEEvSK_.kd
    .uniform_work_group_size: 1
    .uses_dynamic_stack: false
    .vgpr_count:     0
    .vgpr_spill_count: 0
    .wavefront_size: 64
  - .agpr_count:     0
    .args:           []
    .group_segment_fixed_size: 0
    .kernarg_segment_align: 4
    .kernarg_segment_size: 0
    .language:       OpenCL C
    .language_version:
      - 2
      - 0
    .max_flat_workgroup_size: 1024
    .name:           _ZN7rocprim17ROCPRIM_400000_NS6detail44device_merge_sort_compile_time_verifier_archINS1_11comp_targetILNS1_3genE0ELNS1_11target_archE4294967295ELNS1_3gpuE0ELNS1_3repE0EEES8_NS0_14default_configES9_NS1_37merge_sort_block_sort_config_selectorIiNS0_10empty_typeEEENS1_38merge_sort_block_merge_config_selectorIiSB_EEEEvv
    .private_segment_fixed_size: 0
    .sgpr_count:     6
    .sgpr_spill_count: 0
    .symbol:         _ZN7rocprim17ROCPRIM_400000_NS6detail44device_merge_sort_compile_time_verifier_archINS1_11comp_targetILNS1_3genE0ELNS1_11target_archE4294967295ELNS1_3gpuE0ELNS1_3repE0EEES8_NS0_14default_configES9_NS1_37merge_sort_block_sort_config_selectorIiNS0_10empty_typeEEENS1_38merge_sort_block_merge_config_selectorIiSB_EEEEvv.kd
    .uniform_work_group_size: 1
    .uses_dynamic_stack: false
    .vgpr_count:     0
    .vgpr_spill_count: 0
    .wavefront_size: 64
  - .agpr_count:     0
    .args:           []
    .group_segment_fixed_size: 0
    .kernarg_segment_align: 4
    .kernarg_segment_size: 0
    .language:       OpenCL C
    .language_version:
      - 2
      - 0
    .max_flat_workgroup_size: 1024
    .name:           _ZN7rocprim17ROCPRIM_400000_NS6detail44device_merge_sort_compile_time_verifier_archINS1_11comp_targetILNS1_3genE5ELNS1_11target_archE942ELNS1_3gpuE9ELNS1_3repE0EEES8_NS0_14default_configES9_NS1_37merge_sort_block_sort_config_selectorIiNS0_10empty_typeEEENS1_38merge_sort_block_merge_config_selectorIiSB_EEEEvv
    .private_segment_fixed_size: 0
    .sgpr_count:     6
    .sgpr_spill_count: 0
    .symbol:         _ZN7rocprim17ROCPRIM_400000_NS6detail44device_merge_sort_compile_time_verifier_archINS1_11comp_targetILNS1_3genE5ELNS1_11target_archE942ELNS1_3gpuE9ELNS1_3repE0EEES8_NS0_14default_configES9_NS1_37merge_sort_block_sort_config_selectorIiNS0_10empty_typeEEENS1_38merge_sort_block_merge_config_selectorIiSB_EEEEvv.kd
    .uniform_work_group_size: 1
    .uses_dynamic_stack: false
    .vgpr_count:     0
    .vgpr_spill_count: 0
    .wavefront_size: 64
  - .agpr_count:     0
    .args:           []
    .group_segment_fixed_size: 0
    .kernarg_segment_align: 4
    .kernarg_segment_size: 0
    .language:       OpenCL C
    .language_version:
      - 2
      - 0
    .max_flat_workgroup_size: 1024
    .name:           _ZN7rocprim17ROCPRIM_400000_NS6detail44device_merge_sort_compile_time_verifier_archINS1_11comp_targetILNS1_3genE4ELNS1_11target_archE910ELNS1_3gpuE8ELNS1_3repE0EEES8_NS0_14default_configES9_NS1_37merge_sort_block_sort_config_selectorIiNS0_10empty_typeEEENS1_38merge_sort_block_merge_config_selectorIiSB_EEEEvv
    .private_segment_fixed_size: 0
    .sgpr_count:     6
    .sgpr_spill_count: 0
    .symbol:         _ZN7rocprim17ROCPRIM_400000_NS6detail44device_merge_sort_compile_time_verifier_archINS1_11comp_targetILNS1_3genE4ELNS1_11target_archE910ELNS1_3gpuE8ELNS1_3repE0EEES8_NS0_14default_configES9_NS1_37merge_sort_block_sort_config_selectorIiNS0_10empty_typeEEENS1_38merge_sort_block_merge_config_selectorIiSB_EEEEvv.kd
    .uniform_work_group_size: 1
    .uses_dynamic_stack: false
    .vgpr_count:     0
    .vgpr_spill_count: 0
    .wavefront_size: 64
  - .agpr_count:     0
    .args:           []
    .group_segment_fixed_size: 0
    .kernarg_segment_align: 4
    .kernarg_segment_size: 0
    .language:       OpenCL C
    .language_version:
      - 2
      - 0
    .max_flat_workgroup_size: 1024
    .name:           _ZN7rocprim17ROCPRIM_400000_NS6detail44device_merge_sort_compile_time_verifier_archINS1_11comp_targetILNS1_3genE3ELNS1_11target_archE908ELNS1_3gpuE7ELNS1_3repE0EEES8_NS0_14default_configES9_NS1_37merge_sort_block_sort_config_selectorIiNS0_10empty_typeEEENS1_38merge_sort_block_merge_config_selectorIiSB_EEEEvv
    .private_segment_fixed_size: 0
    .sgpr_count:     6
    .sgpr_spill_count: 0
    .symbol:         _ZN7rocprim17ROCPRIM_400000_NS6detail44device_merge_sort_compile_time_verifier_archINS1_11comp_targetILNS1_3genE3ELNS1_11target_archE908ELNS1_3gpuE7ELNS1_3repE0EEES8_NS0_14default_configES9_NS1_37merge_sort_block_sort_config_selectorIiNS0_10empty_typeEEENS1_38merge_sort_block_merge_config_selectorIiSB_EEEEvv.kd
    .uniform_work_group_size: 1
    .uses_dynamic_stack: false
    .vgpr_count:     0
    .vgpr_spill_count: 0
    .wavefront_size: 64
  - .agpr_count:     0
    .args:           []
    .group_segment_fixed_size: 0
    .kernarg_segment_align: 4
    .kernarg_segment_size: 0
    .language:       OpenCL C
    .language_version:
      - 2
      - 0
    .max_flat_workgroup_size: 1024
    .name:           _ZN7rocprim17ROCPRIM_400000_NS6detail44device_merge_sort_compile_time_verifier_archINS1_11comp_targetILNS1_3genE2ELNS1_11target_archE906ELNS1_3gpuE6ELNS1_3repE0EEES8_NS0_14default_configES9_NS1_37merge_sort_block_sort_config_selectorIiNS0_10empty_typeEEENS1_38merge_sort_block_merge_config_selectorIiSB_EEEEvv
    .private_segment_fixed_size: 0
    .sgpr_count:     6
    .sgpr_spill_count: 0
    .symbol:         _ZN7rocprim17ROCPRIM_400000_NS6detail44device_merge_sort_compile_time_verifier_archINS1_11comp_targetILNS1_3genE2ELNS1_11target_archE906ELNS1_3gpuE6ELNS1_3repE0EEES8_NS0_14default_configES9_NS1_37merge_sort_block_sort_config_selectorIiNS0_10empty_typeEEENS1_38merge_sort_block_merge_config_selectorIiSB_EEEEvv.kd
    .uniform_work_group_size: 1
    .uses_dynamic_stack: false
    .vgpr_count:     0
    .vgpr_spill_count: 0
    .wavefront_size: 64
  - .agpr_count:     0
    .args:           []
    .group_segment_fixed_size: 0
    .kernarg_segment_align: 4
    .kernarg_segment_size: 0
    .language:       OpenCL C
    .language_version:
      - 2
      - 0
    .max_flat_workgroup_size: 1024
    .name:           _ZN7rocprim17ROCPRIM_400000_NS6detail44device_merge_sort_compile_time_verifier_archINS1_11comp_targetILNS1_3genE10ELNS1_11target_archE1201ELNS1_3gpuE5ELNS1_3repE0EEES8_NS0_14default_configES9_NS1_37merge_sort_block_sort_config_selectorIiNS0_10empty_typeEEENS1_38merge_sort_block_merge_config_selectorIiSB_EEEEvv
    .private_segment_fixed_size: 0
    .sgpr_count:     6
    .sgpr_spill_count: 0
    .symbol:         _ZN7rocprim17ROCPRIM_400000_NS6detail44device_merge_sort_compile_time_verifier_archINS1_11comp_targetILNS1_3genE10ELNS1_11target_archE1201ELNS1_3gpuE5ELNS1_3repE0EEES8_NS0_14default_configES9_NS1_37merge_sort_block_sort_config_selectorIiNS0_10empty_typeEEENS1_38merge_sort_block_merge_config_selectorIiSB_EEEEvv.kd
    .uniform_work_group_size: 1
    .uses_dynamic_stack: false
    .vgpr_count:     0
    .vgpr_spill_count: 0
    .wavefront_size: 64
  - .agpr_count:     0
    .args:           []
    .group_segment_fixed_size: 0
    .kernarg_segment_align: 4
    .kernarg_segment_size: 0
    .language:       OpenCL C
    .language_version:
      - 2
      - 0
    .max_flat_workgroup_size: 1024
    .name:           _ZN7rocprim17ROCPRIM_400000_NS6detail44device_merge_sort_compile_time_verifier_archINS1_11comp_targetILNS1_3genE10ELNS1_11target_archE1200ELNS1_3gpuE4ELNS1_3repE0EEENS3_ILS4_10ELS5_1201ELS6_5ELS7_0EEENS0_14default_configESA_NS1_37merge_sort_block_sort_config_selectorIiNS0_10empty_typeEEENS1_38merge_sort_block_merge_config_selectorIiSC_EEEEvv
    .private_segment_fixed_size: 0
    .sgpr_count:     6
    .sgpr_spill_count: 0
    .symbol:         _ZN7rocprim17ROCPRIM_400000_NS6detail44device_merge_sort_compile_time_verifier_archINS1_11comp_targetILNS1_3genE10ELNS1_11target_archE1200ELNS1_3gpuE4ELNS1_3repE0EEENS3_ILS4_10ELS5_1201ELS6_5ELS7_0EEENS0_14default_configESA_NS1_37merge_sort_block_sort_config_selectorIiNS0_10empty_typeEEENS1_38merge_sort_block_merge_config_selectorIiSC_EEEEvv.kd
    .uniform_work_group_size: 1
    .uses_dynamic_stack: false
    .vgpr_count:     0
    .vgpr_spill_count: 0
    .wavefront_size: 64
  - .agpr_count:     0
    .args:           []
    .group_segment_fixed_size: 0
    .kernarg_segment_align: 4
    .kernarg_segment_size: 0
    .language:       OpenCL C
    .language_version:
      - 2
      - 0
    .max_flat_workgroup_size: 1024
    .name:           _ZN7rocprim17ROCPRIM_400000_NS6detail44device_merge_sort_compile_time_verifier_archINS1_11comp_targetILNS1_3genE9ELNS1_11target_archE1100ELNS1_3gpuE3ELNS1_3repE0EEES8_NS0_14default_configES9_NS1_37merge_sort_block_sort_config_selectorIiNS0_10empty_typeEEENS1_38merge_sort_block_merge_config_selectorIiSB_EEEEvv
    .private_segment_fixed_size: 0
    .sgpr_count:     6
    .sgpr_spill_count: 0
    .symbol:         _ZN7rocprim17ROCPRIM_400000_NS6detail44device_merge_sort_compile_time_verifier_archINS1_11comp_targetILNS1_3genE9ELNS1_11target_archE1100ELNS1_3gpuE3ELNS1_3repE0EEES8_NS0_14default_configES9_NS1_37merge_sort_block_sort_config_selectorIiNS0_10empty_typeEEENS1_38merge_sort_block_merge_config_selectorIiSB_EEEEvv.kd
    .uniform_work_group_size: 1
    .uses_dynamic_stack: false
    .vgpr_count:     0
    .vgpr_spill_count: 0
    .wavefront_size: 64
  - .agpr_count:     0
    .args:           []
    .group_segment_fixed_size: 0
    .kernarg_segment_align: 4
    .kernarg_segment_size: 0
    .language:       OpenCL C
    .language_version:
      - 2
      - 0
    .max_flat_workgroup_size: 1024
    .name:           _ZN7rocprim17ROCPRIM_400000_NS6detail44device_merge_sort_compile_time_verifier_archINS1_11comp_targetILNS1_3genE8ELNS1_11target_archE1030ELNS1_3gpuE2ELNS1_3repE0EEES8_NS0_14default_configES9_NS1_37merge_sort_block_sort_config_selectorIiNS0_10empty_typeEEENS1_38merge_sort_block_merge_config_selectorIiSB_EEEEvv
    .private_segment_fixed_size: 0
    .sgpr_count:     6
    .sgpr_spill_count: 0
    .symbol:         _ZN7rocprim17ROCPRIM_400000_NS6detail44device_merge_sort_compile_time_verifier_archINS1_11comp_targetILNS1_3genE8ELNS1_11target_archE1030ELNS1_3gpuE2ELNS1_3repE0EEES8_NS0_14default_configES9_NS1_37merge_sort_block_sort_config_selectorIiNS0_10empty_typeEEENS1_38merge_sort_block_merge_config_selectorIiSB_EEEEvv.kd
    .uniform_work_group_size: 1
    .uses_dynamic_stack: false
    .vgpr_count:     0
    .vgpr_spill_count: 0
    .wavefront_size: 64
  - .agpr_count:     0
    .args:
      - .offset:         0
        .size:           64
        .value_kind:     by_value
      - .offset:         64
        .size:           4
        .value_kind:     hidden_block_count_x
      - .offset:         68
        .size:           4
        .value_kind:     hidden_block_count_y
      - .offset:         72
        .size:           4
        .value_kind:     hidden_block_count_z
      - .offset:         76
        .size:           2
        .value_kind:     hidden_group_size_x
      - .offset:         78
        .size:           2
        .value_kind:     hidden_group_size_y
      - .offset:         80
        .size:           2
        .value_kind:     hidden_group_size_z
      - .offset:         82
        .size:           2
        .value_kind:     hidden_remainder_x
      - .offset:         84
        .size:           2
        .value_kind:     hidden_remainder_y
      - .offset:         86
        .size:           2
        .value_kind:     hidden_remainder_z
      - .offset:         104
        .size:           8
        .value_kind:     hidden_global_offset_x
      - .offset:         112
        .size:           8
        .value_kind:     hidden_global_offset_y
      - .offset:         120
        .size:           8
        .value_kind:     hidden_global_offset_z
      - .offset:         128
        .size:           2
        .value_kind:     hidden_grid_dims
    .group_segment_fixed_size: 8448
    .kernarg_segment_align: 8
    .kernarg_segment_size: 320
    .language:       OpenCL C
    .language_version:
      - 2
      - 0
    .max_flat_workgroup_size: 256
    .name:           _ZN7rocprim17ROCPRIM_400000_NS6detail17trampoline_kernelINS0_14default_configENS1_37merge_sort_block_sort_config_selectorIiNS0_10empty_typeEEEZNS1_21merge_sort_block_sortIS3_N6thrust23THRUST_200600_302600_NS6detail15normal_iteratorINS9_10device_ptrIiEEEESE_PS5_SF_17evens_before_oddsEE10hipError_tT0_T1_T2_T3_mRjT4_P12ihipStream_tbNS1_7vsmem_tEEUlT_E_NS1_11comp_targetILNS1_3genE0ELNS1_11target_archE4294967295ELNS1_3gpuE0ELNS1_3repE0EEENS1_30default_config_static_selectorELNS0_4arch9wavefront6targetE1EEEvSJ_
    .private_segment_fixed_size: 0
    .sgpr_count:     47
    .sgpr_spill_count: 0
    .symbol:         _ZN7rocprim17ROCPRIM_400000_NS6detail17trampoline_kernelINS0_14default_configENS1_37merge_sort_block_sort_config_selectorIiNS0_10empty_typeEEEZNS1_21merge_sort_block_sortIS3_N6thrust23THRUST_200600_302600_NS6detail15normal_iteratorINS9_10device_ptrIiEEEESE_PS5_SF_17evens_before_oddsEE10hipError_tT0_T1_T2_T3_mRjT4_P12ihipStream_tbNS1_7vsmem_tEEUlT_E_NS1_11comp_targetILNS1_3genE0ELNS1_11target_archE4294967295ELNS1_3gpuE0ELNS1_3repE0EEENS1_30default_config_static_selectorELNS0_4arch9wavefront6targetE1EEEvSJ_.kd
    .uniform_work_group_size: 1
    .uses_dynamic_stack: false
    .vgpr_count:     81
    .vgpr_spill_count: 0
    .wavefront_size: 64
  - .agpr_count:     0
    .args:
      - .offset:         0
        .size:           64
        .value_kind:     by_value
    .group_segment_fixed_size: 0
    .kernarg_segment_align: 8
    .kernarg_segment_size: 64
    .language:       OpenCL C
    .language_version:
      - 2
      - 0
    .max_flat_workgroup_size: 256
    .name:           _ZN7rocprim17ROCPRIM_400000_NS6detail17trampoline_kernelINS0_14default_configENS1_37merge_sort_block_sort_config_selectorIiNS0_10empty_typeEEEZNS1_21merge_sort_block_sortIS3_N6thrust23THRUST_200600_302600_NS6detail15normal_iteratorINS9_10device_ptrIiEEEESE_PS5_SF_17evens_before_oddsEE10hipError_tT0_T1_T2_T3_mRjT4_P12ihipStream_tbNS1_7vsmem_tEEUlT_E_NS1_11comp_targetILNS1_3genE5ELNS1_11target_archE942ELNS1_3gpuE9ELNS1_3repE0EEENS1_30default_config_static_selectorELNS0_4arch9wavefront6targetE1EEEvSJ_
    .private_segment_fixed_size: 0
    .sgpr_count:     6
    .sgpr_spill_count: 0
    .symbol:         _ZN7rocprim17ROCPRIM_400000_NS6detail17trampoline_kernelINS0_14default_configENS1_37merge_sort_block_sort_config_selectorIiNS0_10empty_typeEEEZNS1_21merge_sort_block_sortIS3_N6thrust23THRUST_200600_302600_NS6detail15normal_iteratorINS9_10device_ptrIiEEEESE_PS5_SF_17evens_before_oddsEE10hipError_tT0_T1_T2_T3_mRjT4_P12ihipStream_tbNS1_7vsmem_tEEUlT_E_NS1_11comp_targetILNS1_3genE5ELNS1_11target_archE942ELNS1_3gpuE9ELNS1_3repE0EEENS1_30default_config_static_selectorELNS0_4arch9wavefront6targetE1EEEvSJ_.kd
    .uniform_work_group_size: 1
    .uses_dynamic_stack: false
    .vgpr_count:     0
    .vgpr_spill_count: 0
    .wavefront_size: 64
  - .agpr_count:     0
    .args:
      - .offset:         0
        .size:           64
        .value_kind:     by_value
    .group_segment_fixed_size: 0
    .kernarg_segment_align: 8
    .kernarg_segment_size: 64
    .language:       OpenCL C
    .language_version:
      - 2
      - 0
    .max_flat_workgroup_size: 256
    .name:           _ZN7rocprim17ROCPRIM_400000_NS6detail17trampoline_kernelINS0_14default_configENS1_37merge_sort_block_sort_config_selectorIiNS0_10empty_typeEEEZNS1_21merge_sort_block_sortIS3_N6thrust23THRUST_200600_302600_NS6detail15normal_iteratorINS9_10device_ptrIiEEEESE_PS5_SF_17evens_before_oddsEE10hipError_tT0_T1_T2_T3_mRjT4_P12ihipStream_tbNS1_7vsmem_tEEUlT_E_NS1_11comp_targetILNS1_3genE4ELNS1_11target_archE910ELNS1_3gpuE8ELNS1_3repE0EEENS1_30default_config_static_selectorELNS0_4arch9wavefront6targetE1EEEvSJ_
    .private_segment_fixed_size: 0
    .sgpr_count:     6
    .sgpr_spill_count: 0
    .symbol:         _ZN7rocprim17ROCPRIM_400000_NS6detail17trampoline_kernelINS0_14default_configENS1_37merge_sort_block_sort_config_selectorIiNS0_10empty_typeEEEZNS1_21merge_sort_block_sortIS3_N6thrust23THRUST_200600_302600_NS6detail15normal_iteratorINS9_10device_ptrIiEEEESE_PS5_SF_17evens_before_oddsEE10hipError_tT0_T1_T2_T3_mRjT4_P12ihipStream_tbNS1_7vsmem_tEEUlT_E_NS1_11comp_targetILNS1_3genE4ELNS1_11target_archE910ELNS1_3gpuE8ELNS1_3repE0EEENS1_30default_config_static_selectorELNS0_4arch9wavefront6targetE1EEEvSJ_.kd
    .uniform_work_group_size: 1
    .uses_dynamic_stack: false
    .vgpr_count:     0
    .vgpr_spill_count: 0
    .wavefront_size: 64
  - .agpr_count:     0
    .args:
      - .offset:         0
        .size:           64
        .value_kind:     by_value
    .group_segment_fixed_size: 0
    .kernarg_segment_align: 8
    .kernarg_segment_size: 64
    .language:       OpenCL C
    .language_version:
      - 2
      - 0
    .max_flat_workgroup_size: 256
    .name:           _ZN7rocprim17ROCPRIM_400000_NS6detail17trampoline_kernelINS0_14default_configENS1_37merge_sort_block_sort_config_selectorIiNS0_10empty_typeEEEZNS1_21merge_sort_block_sortIS3_N6thrust23THRUST_200600_302600_NS6detail15normal_iteratorINS9_10device_ptrIiEEEESE_PS5_SF_17evens_before_oddsEE10hipError_tT0_T1_T2_T3_mRjT4_P12ihipStream_tbNS1_7vsmem_tEEUlT_E_NS1_11comp_targetILNS1_3genE3ELNS1_11target_archE908ELNS1_3gpuE7ELNS1_3repE0EEENS1_30default_config_static_selectorELNS0_4arch9wavefront6targetE1EEEvSJ_
    .private_segment_fixed_size: 0
    .sgpr_count:     6
    .sgpr_spill_count: 0
    .symbol:         _ZN7rocprim17ROCPRIM_400000_NS6detail17trampoline_kernelINS0_14default_configENS1_37merge_sort_block_sort_config_selectorIiNS0_10empty_typeEEEZNS1_21merge_sort_block_sortIS3_N6thrust23THRUST_200600_302600_NS6detail15normal_iteratorINS9_10device_ptrIiEEEESE_PS5_SF_17evens_before_oddsEE10hipError_tT0_T1_T2_T3_mRjT4_P12ihipStream_tbNS1_7vsmem_tEEUlT_E_NS1_11comp_targetILNS1_3genE3ELNS1_11target_archE908ELNS1_3gpuE7ELNS1_3repE0EEENS1_30default_config_static_selectorELNS0_4arch9wavefront6targetE1EEEvSJ_.kd
    .uniform_work_group_size: 1
    .uses_dynamic_stack: false
    .vgpr_count:     0
    .vgpr_spill_count: 0
    .wavefront_size: 64
  - .agpr_count:     0
    .args:
      - .offset:         0
        .size:           64
        .value_kind:     by_value
    .group_segment_fixed_size: 0
    .kernarg_segment_align: 8
    .kernarg_segment_size: 64
    .language:       OpenCL C
    .language_version:
      - 2
      - 0
    .max_flat_workgroup_size: 256
    .name:           _ZN7rocprim17ROCPRIM_400000_NS6detail17trampoline_kernelINS0_14default_configENS1_37merge_sort_block_sort_config_selectorIiNS0_10empty_typeEEEZNS1_21merge_sort_block_sortIS3_N6thrust23THRUST_200600_302600_NS6detail15normal_iteratorINS9_10device_ptrIiEEEESE_PS5_SF_17evens_before_oddsEE10hipError_tT0_T1_T2_T3_mRjT4_P12ihipStream_tbNS1_7vsmem_tEEUlT_E_NS1_11comp_targetILNS1_3genE2ELNS1_11target_archE906ELNS1_3gpuE6ELNS1_3repE0EEENS1_30default_config_static_selectorELNS0_4arch9wavefront6targetE1EEEvSJ_
    .private_segment_fixed_size: 0
    .sgpr_count:     6
    .sgpr_spill_count: 0
    .symbol:         _ZN7rocprim17ROCPRIM_400000_NS6detail17trampoline_kernelINS0_14default_configENS1_37merge_sort_block_sort_config_selectorIiNS0_10empty_typeEEEZNS1_21merge_sort_block_sortIS3_N6thrust23THRUST_200600_302600_NS6detail15normal_iteratorINS9_10device_ptrIiEEEESE_PS5_SF_17evens_before_oddsEE10hipError_tT0_T1_T2_T3_mRjT4_P12ihipStream_tbNS1_7vsmem_tEEUlT_E_NS1_11comp_targetILNS1_3genE2ELNS1_11target_archE906ELNS1_3gpuE6ELNS1_3repE0EEENS1_30default_config_static_selectorELNS0_4arch9wavefront6targetE1EEEvSJ_.kd
    .uniform_work_group_size: 1
    .uses_dynamic_stack: false
    .vgpr_count:     0
    .vgpr_spill_count: 0
    .wavefront_size: 64
  - .agpr_count:     0
    .args:
      - .offset:         0
        .size:           64
        .value_kind:     by_value
    .group_segment_fixed_size: 0
    .kernarg_segment_align: 8
    .kernarg_segment_size: 64
    .language:       OpenCL C
    .language_version:
      - 2
      - 0
    .max_flat_workgroup_size: 256
    .name:           _ZN7rocprim17ROCPRIM_400000_NS6detail17trampoline_kernelINS0_14default_configENS1_37merge_sort_block_sort_config_selectorIiNS0_10empty_typeEEEZNS1_21merge_sort_block_sortIS3_N6thrust23THRUST_200600_302600_NS6detail15normal_iteratorINS9_10device_ptrIiEEEESE_PS5_SF_17evens_before_oddsEE10hipError_tT0_T1_T2_T3_mRjT4_P12ihipStream_tbNS1_7vsmem_tEEUlT_E_NS1_11comp_targetILNS1_3genE10ELNS1_11target_archE1201ELNS1_3gpuE5ELNS1_3repE0EEENS1_30default_config_static_selectorELNS0_4arch9wavefront6targetE1EEEvSJ_
    .private_segment_fixed_size: 0
    .sgpr_count:     6
    .sgpr_spill_count: 0
    .symbol:         _ZN7rocprim17ROCPRIM_400000_NS6detail17trampoline_kernelINS0_14default_configENS1_37merge_sort_block_sort_config_selectorIiNS0_10empty_typeEEEZNS1_21merge_sort_block_sortIS3_N6thrust23THRUST_200600_302600_NS6detail15normal_iteratorINS9_10device_ptrIiEEEESE_PS5_SF_17evens_before_oddsEE10hipError_tT0_T1_T2_T3_mRjT4_P12ihipStream_tbNS1_7vsmem_tEEUlT_E_NS1_11comp_targetILNS1_3genE10ELNS1_11target_archE1201ELNS1_3gpuE5ELNS1_3repE0EEENS1_30default_config_static_selectorELNS0_4arch9wavefront6targetE1EEEvSJ_.kd
    .uniform_work_group_size: 1
    .uses_dynamic_stack: false
    .vgpr_count:     0
    .vgpr_spill_count: 0
    .wavefront_size: 64
  - .agpr_count:     0
    .args:
      - .offset:         0
        .size:           64
        .value_kind:     by_value
    .group_segment_fixed_size: 0
    .kernarg_segment_align: 8
    .kernarg_segment_size: 64
    .language:       OpenCL C
    .language_version:
      - 2
      - 0
    .max_flat_workgroup_size: 256
    .name:           _ZN7rocprim17ROCPRIM_400000_NS6detail17trampoline_kernelINS0_14default_configENS1_37merge_sort_block_sort_config_selectorIiNS0_10empty_typeEEEZNS1_21merge_sort_block_sortIS3_N6thrust23THRUST_200600_302600_NS6detail15normal_iteratorINS9_10device_ptrIiEEEESE_PS5_SF_17evens_before_oddsEE10hipError_tT0_T1_T2_T3_mRjT4_P12ihipStream_tbNS1_7vsmem_tEEUlT_E_NS1_11comp_targetILNS1_3genE10ELNS1_11target_archE1200ELNS1_3gpuE4ELNS1_3repE0EEENS1_30default_config_static_selectorELNS0_4arch9wavefront6targetE1EEEvSJ_
    .private_segment_fixed_size: 0
    .sgpr_count:     6
    .sgpr_spill_count: 0
    .symbol:         _ZN7rocprim17ROCPRIM_400000_NS6detail17trampoline_kernelINS0_14default_configENS1_37merge_sort_block_sort_config_selectorIiNS0_10empty_typeEEEZNS1_21merge_sort_block_sortIS3_N6thrust23THRUST_200600_302600_NS6detail15normal_iteratorINS9_10device_ptrIiEEEESE_PS5_SF_17evens_before_oddsEE10hipError_tT0_T1_T2_T3_mRjT4_P12ihipStream_tbNS1_7vsmem_tEEUlT_E_NS1_11comp_targetILNS1_3genE10ELNS1_11target_archE1200ELNS1_3gpuE4ELNS1_3repE0EEENS1_30default_config_static_selectorELNS0_4arch9wavefront6targetE1EEEvSJ_.kd
    .uniform_work_group_size: 1
    .uses_dynamic_stack: false
    .vgpr_count:     0
    .vgpr_spill_count: 0
    .wavefront_size: 64
  - .agpr_count:     0
    .args:
      - .offset:         0
        .size:           64
        .value_kind:     by_value
    .group_segment_fixed_size: 0
    .kernarg_segment_align: 8
    .kernarg_segment_size: 64
    .language:       OpenCL C
    .language_version:
      - 2
      - 0
    .max_flat_workgroup_size: 256
    .name:           _ZN7rocprim17ROCPRIM_400000_NS6detail17trampoline_kernelINS0_14default_configENS1_37merge_sort_block_sort_config_selectorIiNS0_10empty_typeEEEZNS1_21merge_sort_block_sortIS3_N6thrust23THRUST_200600_302600_NS6detail15normal_iteratorINS9_10device_ptrIiEEEESE_PS5_SF_17evens_before_oddsEE10hipError_tT0_T1_T2_T3_mRjT4_P12ihipStream_tbNS1_7vsmem_tEEUlT_E_NS1_11comp_targetILNS1_3genE9ELNS1_11target_archE1100ELNS1_3gpuE3ELNS1_3repE0EEENS1_30default_config_static_selectorELNS0_4arch9wavefront6targetE1EEEvSJ_
    .private_segment_fixed_size: 0
    .sgpr_count:     6
    .sgpr_spill_count: 0
    .symbol:         _ZN7rocprim17ROCPRIM_400000_NS6detail17trampoline_kernelINS0_14default_configENS1_37merge_sort_block_sort_config_selectorIiNS0_10empty_typeEEEZNS1_21merge_sort_block_sortIS3_N6thrust23THRUST_200600_302600_NS6detail15normal_iteratorINS9_10device_ptrIiEEEESE_PS5_SF_17evens_before_oddsEE10hipError_tT0_T1_T2_T3_mRjT4_P12ihipStream_tbNS1_7vsmem_tEEUlT_E_NS1_11comp_targetILNS1_3genE9ELNS1_11target_archE1100ELNS1_3gpuE3ELNS1_3repE0EEENS1_30default_config_static_selectorELNS0_4arch9wavefront6targetE1EEEvSJ_.kd
    .uniform_work_group_size: 1
    .uses_dynamic_stack: false
    .vgpr_count:     0
    .vgpr_spill_count: 0
    .wavefront_size: 64
  - .agpr_count:     0
    .args:
      - .offset:         0
        .size:           64
        .value_kind:     by_value
    .group_segment_fixed_size: 0
    .kernarg_segment_align: 8
    .kernarg_segment_size: 64
    .language:       OpenCL C
    .language_version:
      - 2
      - 0
    .max_flat_workgroup_size: 256
    .name:           _ZN7rocprim17ROCPRIM_400000_NS6detail17trampoline_kernelINS0_14default_configENS1_37merge_sort_block_sort_config_selectorIiNS0_10empty_typeEEEZNS1_21merge_sort_block_sortIS3_N6thrust23THRUST_200600_302600_NS6detail15normal_iteratorINS9_10device_ptrIiEEEESE_PS5_SF_17evens_before_oddsEE10hipError_tT0_T1_T2_T3_mRjT4_P12ihipStream_tbNS1_7vsmem_tEEUlT_E_NS1_11comp_targetILNS1_3genE8ELNS1_11target_archE1030ELNS1_3gpuE2ELNS1_3repE0EEENS1_30default_config_static_selectorELNS0_4arch9wavefront6targetE1EEEvSJ_
    .private_segment_fixed_size: 0
    .sgpr_count:     6
    .sgpr_spill_count: 0
    .symbol:         _ZN7rocprim17ROCPRIM_400000_NS6detail17trampoline_kernelINS0_14default_configENS1_37merge_sort_block_sort_config_selectorIiNS0_10empty_typeEEEZNS1_21merge_sort_block_sortIS3_N6thrust23THRUST_200600_302600_NS6detail15normal_iteratorINS9_10device_ptrIiEEEESE_PS5_SF_17evens_before_oddsEE10hipError_tT0_T1_T2_T3_mRjT4_P12ihipStream_tbNS1_7vsmem_tEEUlT_E_NS1_11comp_targetILNS1_3genE8ELNS1_11target_archE1030ELNS1_3gpuE2ELNS1_3repE0EEENS1_30default_config_static_selectorELNS0_4arch9wavefront6targetE1EEEvSJ_.kd
    .uniform_work_group_size: 1
    .uses_dynamic_stack: false
    .vgpr_count:     0
    .vgpr_spill_count: 0
    .wavefront_size: 64
  - .agpr_count:     0
    .args:
      - .offset:         0
        .size:           48
        .value_kind:     by_value
    .group_segment_fixed_size: 0
    .kernarg_segment_align: 8
    .kernarg_segment_size: 48
    .language:       OpenCL C
    .language_version:
      - 2
      - 0
    .max_flat_workgroup_size: 128
    .name:           _ZN7rocprim17ROCPRIM_400000_NS6detail17trampoline_kernelINS0_14default_configENS1_38merge_sort_block_merge_config_selectorIiNS0_10empty_typeEEEZZNS1_27merge_sort_block_merge_implIS3_N6thrust23THRUST_200600_302600_NS6detail15normal_iteratorINS9_10device_ptrIiEEEEPS5_m17evens_before_oddsEE10hipError_tT0_T1_T2_jT3_P12ihipStream_tbPNSt15iterator_traitsISI_E10value_typeEPNSO_ISJ_E10value_typeEPSK_NS1_7vsmem_tEENKUlT_SI_SJ_SK_E_clIPiSE_SF_SF_EESH_SX_SI_SJ_SK_EUlSX_E_NS1_11comp_targetILNS1_3genE0ELNS1_11target_archE4294967295ELNS1_3gpuE0ELNS1_3repE0EEENS1_48merge_mergepath_partition_config_static_selectorELNS0_4arch9wavefront6targetE1EEEvSJ_
    .private_segment_fixed_size: 0
    .sgpr_count:     16
    .sgpr_spill_count: 0
    .symbol:         _ZN7rocprim17ROCPRIM_400000_NS6detail17trampoline_kernelINS0_14default_configENS1_38merge_sort_block_merge_config_selectorIiNS0_10empty_typeEEEZZNS1_27merge_sort_block_merge_implIS3_N6thrust23THRUST_200600_302600_NS6detail15normal_iteratorINS9_10device_ptrIiEEEEPS5_m17evens_before_oddsEE10hipError_tT0_T1_T2_jT3_P12ihipStream_tbPNSt15iterator_traitsISI_E10value_typeEPNSO_ISJ_E10value_typeEPSK_NS1_7vsmem_tEENKUlT_SI_SJ_SK_E_clIPiSE_SF_SF_EESH_SX_SI_SJ_SK_EUlSX_E_NS1_11comp_targetILNS1_3genE0ELNS1_11target_archE4294967295ELNS1_3gpuE0ELNS1_3repE0EEENS1_48merge_mergepath_partition_config_static_selectorELNS0_4arch9wavefront6targetE1EEEvSJ_.kd
    .uniform_work_group_size: 1
    .uses_dynamic_stack: false
    .vgpr_count:     20
    .vgpr_spill_count: 0
    .wavefront_size: 64
  - .agpr_count:     0
    .args:
      - .offset:         0
        .size:           48
        .value_kind:     by_value
    .group_segment_fixed_size: 0
    .kernarg_segment_align: 8
    .kernarg_segment_size: 48
    .language:       OpenCL C
    .language_version:
      - 2
      - 0
    .max_flat_workgroup_size: 128
    .name:           _ZN7rocprim17ROCPRIM_400000_NS6detail17trampoline_kernelINS0_14default_configENS1_38merge_sort_block_merge_config_selectorIiNS0_10empty_typeEEEZZNS1_27merge_sort_block_merge_implIS3_N6thrust23THRUST_200600_302600_NS6detail15normal_iteratorINS9_10device_ptrIiEEEEPS5_m17evens_before_oddsEE10hipError_tT0_T1_T2_jT3_P12ihipStream_tbPNSt15iterator_traitsISI_E10value_typeEPNSO_ISJ_E10value_typeEPSK_NS1_7vsmem_tEENKUlT_SI_SJ_SK_E_clIPiSE_SF_SF_EESH_SX_SI_SJ_SK_EUlSX_E_NS1_11comp_targetILNS1_3genE10ELNS1_11target_archE1201ELNS1_3gpuE5ELNS1_3repE0EEENS1_48merge_mergepath_partition_config_static_selectorELNS0_4arch9wavefront6targetE1EEEvSJ_
    .private_segment_fixed_size: 0
    .sgpr_count:     6
    .sgpr_spill_count: 0
    .symbol:         _ZN7rocprim17ROCPRIM_400000_NS6detail17trampoline_kernelINS0_14default_configENS1_38merge_sort_block_merge_config_selectorIiNS0_10empty_typeEEEZZNS1_27merge_sort_block_merge_implIS3_N6thrust23THRUST_200600_302600_NS6detail15normal_iteratorINS9_10device_ptrIiEEEEPS5_m17evens_before_oddsEE10hipError_tT0_T1_T2_jT3_P12ihipStream_tbPNSt15iterator_traitsISI_E10value_typeEPNSO_ISJ_E10value_typeEPSK_NS1_7vsmem_tEENKUlT_SI_SJ_SK_E_clIPiSE_SF_SF_EESH_SX_SI_SJ_SK_EUlSX_E_NS1_11comp_targetILNS1_3genE10ELNS1_11target_archE1201ELNS1_3gpuE5ELNS1_3repE0EEENS1_48merge_mergepath_partition_config_static_selectorELNS0_4arch9wavefront6targetE1EEEvSJ_.kd
    .uniform_work_group_size: 1
    .uses_dynamic_stack: false
    .vgpr_count:     0
    .vgpr_spill_count: 0
    .wavefront_size: 64
  - .agpr_count:     0
    .args:
      - .offset:         0
        .size:           48
        .value_kind:     by_value
    .group_segment_fixed_size: 0
    .kernarg_segment_align: 8
    .kernarg_segment_size: 48
    .language:       OpenCL C
    .language_version:
      - 2
      - 0
    .max_flat_workgroup_size: 128
    .name:           _ZN7rocprim17ROCPRIM_400000_NS6detail17trampoline_kernelINS0_14default_configENS1_38merge_sort_block_merge_config_selectorIiNS0_10empty_typeEEEZZNS1_27merge_sort_block_merge_implIS3_N6thrust23THRUST_200600_302600_NS6detail15normal_iteratorINS9_10device_ptrIiEEEEPS5_m17evens_before_oddsEE10hipError_tT0_T1_T2_jT3_P12ihipStream_tbPNSt15iterator_traitsISI_E10value_typeEPNSO_ISJ_E10value_typeEPSK_NS1_7vsmem_tEENKUlT_SI_SJ_SK_E_clIPiSE_SF_SF_EESH_SX_SI_SJ_SK_EUlSX_E_NS1_11comp_targetILNS1_3genE5ELNS1_11target_archE942ELNS1_3gpuE9ELNS1_3repE0EEENS1_48merge_mergepath_partition_config_static_selectorELNS0_4arch9wavefront6targetE1EEEvSJ_
    .private_segment_fixed_size: 0
    .sgpr_count:     6
    .sgpr_spill_count: 0
    .symbol:         _ZN7rocprim17ROCPRIM_400000_NS6detail17trampoline_kernelINS0_14default_configENS1_38merge_sort_block_merge_config_selectorIiNS0_10empty_typeEEEZZNS1_27merge_sort_block_merge_implIS3_N6thrust23THRUST_200600_302600_NS6detail15normal_iteratorINS9_10device_ptrIiEEEEPS5_m17evens_before_oddsEE10hipError_tT0_T1_T2_jT3_P12ihipStream_tbPNSt15iterator_traitsISI_E10value_typeEPNSO_ISJ_E10value_typeEPSK_NS1_7vsmem_tEENKUlT_SI_SJ_SK_E_clIPiSE_SF_SF_EESH_SX_SI_SJ_SK_EUlSX_E_NS1_11comp_targetILNS1_3genE5ELNS1_11target_archE942ELNS1_3gpuE9ELNS1_3repE0EEENS1_48merge_mergepath_partition_config_static_selectorELNS0_4arch9wavefront6targetE1EEEvSJ_.kd
    .uniform_work_group_size: 1
    .uses_dynamic_stack: false
    .vgpr_count:     0
    .vgpr_spill_count: 0
    .wavefront_size: 64
  - .agpr_count:     0
    .args:
      - .offset:         0
        .size:           48
        .value_kind:     by_value
    .group_segment_fixed_size: 0
    .kernarg_segment_align: 8
    .kernarg_segment_size: 48
    .language:       OpenCL C
    .language_version:
      - 2
      - 0
    .max_flat_workgroup_size: 128
    .name:           _ZN7rocprim17ROCPRIM_400000_NS6detail17trampoline_kernelINS0_14default_configENS1_38merge_sort_block_merge_config_selectorIiNS0_10empty_typeEEEZZNS1_27merge_sort_block_merge_implIS3_N6thrust23THRUST_200600_302600_NS6detail15normal_iteratorINS9_10device_ptrIiEEEEPS5_m17evens_before_oddsEE10hipError_tT0_T1_T2_jT3_P12ihipStream_tbPNSt15iterator_traitsISI_E10value_typeEPNSO_ISJ_E10value_typeEPSK_NS1_7vsmem_tEENKUlT_SI_SJ_SK_E_clIPiSE_SF_SF_EESH_SX_SI_SJ_SK_EUlSX_E_NS1_11comp_targetILNS1_3genE4ELNS1_11target_archE910ELNS1_3gpuE8ELNS1_3repE0EEENS1_48merge_mergepath_partition_config_static_selectorELNS0_4arch9wavefront6targetE1EEEvSJ_
    .private_segment_fixed_size: 0
    .sgpr_count:     6
    .sgpr_spill_count: 0
    .symbol:         _ZN7rocprim17ROCPRIM_400000_NS6detail17trampoline_kernelINS0_14default_configENS1_38merge_sort_block_merge_config_selectorIiNS0_10empty_typeEEEZZNS1_27merge_sort_block_merge_implIS3_N6thrust23THRUST_200600_302600_NS6detail15normal_iteratorINS9_10device_ptrIiEEEEPS5_m17evens_before_oddsEE10hipError_tT0_T1_T2_jT3_P12ihipStream_tbPNSt15iterator_traitsISI_E10value_typeEPNSO_ISJ_E10value_typeEPSK_NS1_7vsmem_tEENKUlT_SI_SJ_SK_E_clIPiSE_SF_SF_EESH_SX_SI_SJ_SK_EUlSX_E_NS1_11comp_targetILNS1_3genE4ELNS1_11target_archE910ELNS1_3gpuE8ELNS1_3repE0EEENS1_48merge_mergepath_partition_config_static_selectorELNS0_4arch9wavefront6targetE1EEEvSJ_.kd
    .uniform_work_group_size: 1
    .uses_dynamic_stack: false
    .vgpr_count:     0
    .vgpr_spill_count: 0
    .wavefront_size: 64
  - .agpr_count:     0
    .args:
      - .offset:         0
        .size:           48
        .value_kind:     by_value
    .group_segment_fixed_size: 0
    .kernarg_segment_align: 8
    .kernarg_segment_size: 48
    .language:       OpenCL C
    .language_version:
      - 2
      - 0
    .max_flat_workgroup_size: 128
    .name:           _ZN7rocprim17ROCPRIM_400000_NS6detail17trampoline_kernelINS0_14default_configENS1_38merge_sort_block_merge_config_selectorIiNS0_10empty_typeEEEZZNS1_27merge_sort_block_merge_implIS3_N6thrust23THRUST_200600_302600_NS6detail15normal_iteratorINS9_10device_ptrIiEEEEPS5_m17evens_before_oddsEE10hipError_tT0_T1_T2_jT3_P12ihipStream_tbPNSt15iterator_traitsISI_E10value_typeEPNSO_ISJ_E10value_typeEPSK_NS1_7vsmem_tEENKUlT_SI_SJ_SK_E_clIPiSE_SF_SF_EESH_SX_SI_SJ_SK_EUlSX_E_NS1_11comp_targetILNS1_3genE3ELNS1_11target_archE908ELNS1_3gpuE7ELNS1_3repE0EEENS1_48merge_mergepath_partition_config_static_selectorELNS0_4arch9wavefront6targetE1EEEvSJ_
    .private_segment_fixed_size: 0
    .sgpr_count:     6
    .sgpr_spill_count: 0
    .symbol:         _ZN7rocprim17ROCPRIM_400000_NS6detail17trampoline_kernelINS0_14default_configENS1_38merge_sort_block_merge_config_selectorIiNS0_10empty_typeEEEZZNS1_27merge_sort_block_merge_implIS3_N6thrust23THRUST_200600_302600_NS6detail15normal_iteratorINS9_10device_ptrIiEEEEPS5_m17evens_before_oddsEE10hipError_tT0_T1_T2_jT3_P12ihipStream_tbPNSt15iterator_traitsISI_E10value_typeEPNSO_ISJ_E10value_typeEPSK_NS1_7vsmem_tEENKUlT_SI_SJ_SK_E_clIPiSE_SF_SF_EESH_SX_SI_SJ_SK_EUlSX_E_NS1_11comp_targetILNS1_3genE3ELNS1_11target_archE908ELNS1_3gpuE7ELNS1_3repE0EEENS1_48merge_mergepath_partition_config_static_selectorELNS0_4arch9wavefront6targetE1EEEvSJ_.kd
    .uniform_work_group_size: 1
    .uses_dynamic_stack: false
    .vgpr_count:     0
    .vgpr_spill_count: 0
    .wavefront_size: 64
  - .agpr_count:     0
    .args:
      - .offset:         0
        .size:           48
        .value_kind:     by_value
    .group_segment_fixed_size: 0
    .kernarg_segment_align: 8
    .kernarg_segment_size: 48
    .language:       OpenCL C
    .language_version:
      - 2
      - 0
    .max_flat_workgroup_size: 128
    .name:           _ZN7rocprim17ROCPRIM_400000_NS6detail17trampoline_kernelINS0_14default_configENS1_38merge_sort_block_merge_config_selectorIiNS0_10empty_typeEEEZZNS1_27merge_sort_block_merge_implIS3_N6thrust23THRUST_200600_302600_NS6detail15normal_iteratorINS9_10device_ptrIiEEEEPS5_m17evens_before_oddsEE10hipError_tT0_T1_T2_jT3_P12ihipStream_tbPNSt15iterator_traitsISI_E10value_typeEPNSO_ISJ_E10value_typeEPSK_NS1_7vsmem_tEENKUlT_SI_SJ_SK_E_clIPiSE_SF_SF_EESH_SX_SI_SJ_SK_EUlSX_E_NS1_11comp_targetILNS1_3genE2ELNS1_11target_archE906ELNS1_3gpuE6ELNS1_3repE0EEENS1_48merge_mergepath_partition_config_static_selectorELNS0_4arch9wavefront6targetE1EEEvSJ_
    .private_segment_fixed_size: 0
    .sgpr_count:     6
    .sgpr_spill_count: 0
    .symbol:         _ZN7rocprim17ROCPRIM_400000_NS6detail17trampoline_kernelINS0_14default_configENS1_38merge_sort_block_merge_config_selectorIiNS0_10empty_typeEEEZZNS1_27merge_sort_block_merge_implIS3_N6thrust23THRUST_200600_302600_NS6detail15normal_iteratorINS9_10device_ptrIiEEEEPS5_m17evens_before_oddsEE10hipError_tT0_T1_T2_jT3_P12ihipStream_tbPNSt15iterator_traitsISI_E10value_typeEPNSO_ISJ_E10value_typeEPSK_NS1_7vsmem_tEENKUlT_SI_SJ_SK_E_clIPiSE_SF_SF_EESH_SX_SI_SJ_SK_EUlSX_E_NS1_11comp_targetILNS1_3genE2ELNS1_11target_archE906ELNS1_3gpuE6ELNS1_3repE0EEENS1_48merge_mergepath_partition_config_static_selectorELNS0_4arch9wavefront6targetE1EEEvSJ_.kd
    .uniform_work_group_size: 1
    .uses_dynamic_stack: false
    .vgpr_count:     0
    .vgpr_spill_count: 0
    .wavefront_size: 64
  - .agpr_count:     0
    .args:
      - .offset:         0
        .size:           48
        .value_kind:     by_value
    .group_segment_fixed_size: 0
    .kernarg_segment_align: 8
    .kernarg_segment_size: 48
    .language:       OpenCL C
    .language_version:
      - 2
      - 0
    .max_flat_workgroup_size: 128
    .name:           _ZN7rocprim17ROCPRIM_400000_NS6detail17trampoline_kernelINS0_14default_configENS1_38merge_sort_block_merge_config_selectorIiNS0_10empty_typeEEEZZNS1_27merge_sort_block_merge_implIS3_N6thrust23THRUST_200600_302600_NS6detail15normal_iteratorINS9_10device_ptrIiEEEEPS5_m17evens_before_oddsEE10hipError_tT0_T1_T2_jT3_P12ihipStream_tbPNSt15iterator_traitsISI_E10value_typeEPNSO_ISJ_E10value_typeEPSK_NS1_7vsmem_tEENKUlT_SI_SJ_SK_E_clIPiSE_SF_SF_EESH_SX_SI_SJ_SK_EUlSX_E_NS1_11comp_targetILNS1_3genE9ELNS1_11target_archE1100ELNS1_3gpuE3ELNS1_3repE0EEENS1_48merge_mergepath_partition_config_static_selectorELNS0_4arch9wavefront6targetE1EEEvSJ_
    .private_segment_fixed_size: 0
    .sgpr_count:     6
    .sgpr_spill_count: 0
    .symbol:         _ZN7rocprim17ROCPRIM_400000_NS6detail17trampoline_kernelINS0_14default_configENS1_38merge_sort_block_merge_config_selectorIiNS0_10empty_typeEEEZZNS1_27merge_sort_block_merge_implIS3_N6thrust23THRUST_200600_302600_NS6detail15normal_iteratorINS9_10device_ptrIiEEEEPS5_m17evens_before_oddsEE10hipError_tT0_T1_T2_jT3_P12ihipStream_tbPNSt15iterator_traitsISI_E10value_typeEPNSO_ISJ_E10value_typeEPSK_NS1_7vsmem_tEENKUlT_SI_SJ_SK_E_clIPiSE_SF_SF_EESH_SX_SI_SJ_SK_EUlSX_E_NS1_11comp_targetILNS1_3genE9ELNS1_11target_archE1100ELNS1_3gpuE3ELNS1_3repE0EEENS1_48merge_mergepath_partition_config_static_selectorELNS0_4arch9wavefront6targetE1EEEvSJ_.kd
    .uniform_work_group_size: 1
    .uses_dynamic_stack: false
    .vgpr_count:     0
    .vgpr_spill_count: 0
    .wavefront_size: 64
  - .agpr_count:     0
    .args:
      - .offset:         0
        .size:           48
        .value_kind:     by_value
    .group_segment_fixed_size: 0
    .kernarg_segment_align: 8
    .kernarg_segment_size: 48
    .language:       OpenCL C
    .language_version:
      - 2
      - 0
    .max_flat_workgroup_size: 128
    .name:           _ZN7rocprim17ROCPRIM_400000_NS6detail17trampoline_kernelINS0_14default_configENS1_38merge_sort_block_merge_config_selectorIiNS0_10empty_typeEEEZZNS1_27merge_sort_block_merge_implIS3_N6thrust23THRUST_200600_302600_NS6detail15normal_iteratorINS9_10device_ptrIiEEEEPS5_m17evens_before_oddsEE10hipError_tT0_T1_T2_jT3_P12ihipStream_tbPNSt15iterator_traitsISI_E10value_typeEPNSO_ISJ_E10value_typeEPSK_NS1_7vsmem_tEENKUlT_SI_SJ_SK_E_clIPiSE_SF_SF_EESH_SX_SI_SJ_SK_EUlSX_E_NS1_11comp_targetILNS1_3genE8ELNS1_11target_archE1030ELNS1_3gpuE2ELNS1_3repE0EEENS1_48merge_mergepath_partition_config_static_selectorELNS0_4arch9wavefront6targetE1EEEvSJ_
    .private_segment_fixed_size: 0
    .sgpr_count:     6
    .sgpr_spill_count: 0
    .symbol:         _ZN7rocprim17ROCPRIM_400000_NS6detail17trampoline_kernelINS0_14default_configENS1_38merge_sort_block_merge_config_selectorIiNS0_10empty_typeEEEZZNS1_27merge_sort_block_merge_implIS3_N6thrust23THRUST_200600_302600_NS6detail15normal_iteratorINS9_10device_ptrIiEEEEPS5_m17evens_before_oddsEE10hipError_tT0_T1_T2_jT3_P12ihipStream_tbPNSt15iterator_traitsISI_E10value_typeEPNSO_ISJ_E10value_typeEPSK_NS1_7vsmem_tEENKUlT_SI_SJ_SK_E_clIPiSE_SF_SF_EESH_SX_SI_SJ_SK_EUlSX_E_NS1_11comp_targetILNS1_3genE8ELNS1_11target_archE1030ELNS1_3gpuE2ELNS1_3repE0EEENS1_48merge_mergepath_partition_config_static_selectorELNS0_4arch9wavefront6targetE1EEEvSJ_.kd
    .uniform_work_group_size: 1
    .uses_dynamic_stack: false
    .vgpr_count:     0
    .vgpr_spill_count: 0
    .wavefront_size: 64
  - .agpr_count:     0
    .args:
      - .offset:         0
        .size:           72
        .value_kind:     by_value
      - .offset:         72
        .size:           4
        .value_kind:     hidden_block_count_x
      - .offset:         76
        .size:           4
        .value_kind:     hidden_block_count_y
      - .offset:         80
        .size:           4
        .value_kind:     hidden_block_count_z
      - .offset:         84
        .size:           2
        .value_kind:     hidden_group_size_x
      - .offset:         86
        .size:           2
        .value_kind:     hidden_group_size_y
      - .offset:         88
        .size:           2
        .value_kind:     hidden_group_size_z
      - .offset:         90
        .size:           2
        .value_kind:     hidden_remainder_x
      - .offset:         92
        .size:           2
        .value_kind:     hidden_remainder_y
      - .offset:         94
        .size:           2
        .value_kind:     hidden_remainder_z
      - .offset:         112
        .size:           8
        .value_kind:     hidden_global_offset_x
      - .offset:         120
        .size:           8
        .value_kind:     hidden_global_offset_y
      - .offset:         128
        .size:           8
        .value_kind:     hidden_global_offset_z
      - .offset:         136
        .size:           2
        .value_kind:     hidden_grid_dims
    .group_segment_fixed_size: 4224
    .kernarg_segment_align: 8
    .kernarg_segment_size: 328
    .language:       OpenCL C
    .language_version:
      - 2
      - 0
    .max_flat_workgroup_size: 128
    .name:           _ZN7rocprim17ROCPRIM_400000_NS6detail17trampoline_kernelINS0_14default_configENS1_38merge_sort_block_merge_config_selectorIiNS0_10empty_typeEEEZZNS1_27merge_sort_block_merge_implIS3_N6thrust23THRUST_200600_302600_NS6detail15normal_iteratorINS9_10device_ptrIiEEEEPS5_m17evens_before_oddsEE10hipError_tT0_T1_T2_jT3_P12ihipStream_tbPNSt15iterator_traitsISI_E10value_typeEPNSO_ISJ_E10value_typeEPSK_NS1_7vsmem_tEENKUlT_SI_SJ_SK_E_clIPiSE_SF_SF_EESH_SX_SI_SJ_SK_EUlSX_E0_NS1_11comp_targetILNS1_3genE0ELNS1_11target_archE4294967295ELNS1_3gpuE0ELNS1_3repE0EEENS1_38merge_mergepath_config_static_selectorELNS0_4arch9wavefront6targetE1EEEvSJ_
    .private_segment_fixed_size: 0
    .sgpr_count:     37
    .sgpr_spill_count: 0
    .symbol:         _ZN7rocprim17ROCPRIM_400000_NS6detail17trampoline_kernelINS0_14default_configENS1_38merge_sort_block_merge_config_selectorIiNS0_10empty_typeEEEZZNS1_27merge_sort_block_merge_implIS3_N6thrust23THRUST_200600_302600_NS6detail15normal_iteratorINS9_10device_ptrIiEEEEPS5_m17evens_before_oddsEE10hipError_tT0_T1_T2_jT3_P12ihipStream_tbPNSt15iterator_traitsISI_E10value_typeEPNSO_ISJ_E10value_typeEPSK_NS1_7vsmem_tEENKUlT_SI_SJ_SK_E_clIPiSE_SF_SF_EESH_SX_SI_SJ_SK_EUlSX_E0_NS1_11comp_targetILNS1_3genE0ELNS1_11target_archE4294967295ELNS1_3gpuE0ELNS1_3repE0EEENS1_38merge_mergepath_config_static_selectorELNS0_4arch9wavefront6targetE1EEEvSJ_.kd
    .uniform_work_group_size: 1
    .uses_dynamic_stack: false
    .vgpr_count:     26
    .vgpr_spill_count: 0
    .wavefront_size: 64
  - .agpr_count:     0
    .args:
      - .offset:         0
        .size:           72
        .value_kind:     by_value
    .group_segment_fixed_size: 0
    .kernarg_segment_align: 8
    .kernarg_segment_size: 72
    .language:       OpenCL C
    .language_version:
      - 2
      - 0
    .max_flat_workgroup_size: 256
    .name:           _ZN7rocprim17ROCPRIM_400000_NS6detail17trampoline_kernelINS0_14default_configENS1_38merge_sort_block_merge_config_selectorIiNS0_10empty_typeEEEZZNS1_27merge_sort_block_merge_implIS3_N6thrust23THRUST_200600_302600_NS6detail15normal_iteratorINS9_10device_ptrIiEEEEPS5_m17evens_before_oddsEE10hipError_tT0_T1_T2_jT3_P12ihipStream_tbPNSt15iterator_traitsISI_E10value_typeEPNSO_ISJ_E10value_typeEPSK_NS1_7vsmem_tEENKUlT_SI_SJ_SK_E_clIPiSE_SF_SF_EESH_SX_SI_SJ_SK_EUlSX_E0_NS1_11comp_targetILNS1_3genE10ELNS1_11target_archE1201ELNS1_3gpuE5ELNS1_3repE0EEENS1_38merge_mergepath_config_static_selectorELNS0_4arch9wavefront6targetE1EEEvSJ_
    .private_segment_fixed_size: 0
    .sgpr_count:     6
    .sgpr_spill_count: 0
    .symbol:         _ZN7rocprim17ROCPRIM_400000_NS6detail17trampoline_kernelINS0_14default_configENS1_38merge_sort_block_merge_config_selectorIiNS0_10empty_typeEEEZZNS1_27merge_sort_block_merge_implIS3_N6thrust23THRUST_200600_302600_NS6detail15normal_iteratorINS9_10device_ptrIiEEEEPS5_m17evens_before_oddsEE10hipError_tT0_T1_T2_jT3_P12ihipStream_tbPNSt15iterator_traitsISI_E10value_typeEPNSO_ISJ_E10value_typeEPSK_NS1_7vsmem_tEENKUlT_SI_SJ_SK_E_clIPiSE_SF_SF_EESH_SX_SI_SJ_SK_EUlSX_E0_NS1_11comp_targetILNS1_3genE10ELNS1_11target_archE1201ELNS1_3gpuE5ELNS1_3repE0EEENS1_38merge_mergepath_config_static_selectorELNS0_4arch9wavefront6targetE1EEEvSJ_.kd
    .uniform_work_group_size: 1
    .uses_dynamic_stack: false
    .vgpr_count:     0
    .vgpr_spill_count: 0
    .wavefront_size: 64
  - .agpr_count:     0
    .args:
      - .offset:         0
        .size:           72
        .value_kind:     by_value
    .group_segment_fixed_size: 0
    .kernarg_segment_align: 8
    .kernarg_segment_size: 72
    .language:       OpenCL C
    .language_version:
      - 2
      - 0
    .max_flat_workgroup_size: 128
    .name:           _ZN7rocprim17ROCPRIM_400000_NS6detail17trampoline_kernelINS0_14default_configENS1_38merge_sort_block_merge_config_selectorIiNS0_10empty_typeEEEZZNS1_27merge_sort_block_merge_implIS3_N6thrust23THRUST_200600_302600_NS6detail15normal_iteratorINS9_10device_ptrIiEEEEPS5_m17evens_before_oddsEE10hipError_tT0_T1_T2_jT3_P12ihipStream_tbPNSt15iterator_traitsISI_E10value_typeEPNSO_ISJ_E10value_typeEPSK_NS1_7vsmem_tEENKUlT_SI_SJ_SK_E_clIPiSE_SF_SF_EESH_SX_SI_SJ_SK_EUlSX_E0_NS1_11comp_targetILNS1_3genE5ELNS1_11target_archE942ELNS1_3gpuE9ELNS1_3repE0EEENS1_38merge_mergepath_config_static_selectorELNS0_4arch9wavefront6targetE1EEEvSJ_
    .private_segment_fixed_size: 0
    .sgpr_count:     6
    .sgpr_spill_count: 0
    .symbol:         _ZN7rocprim17ROCPRIM_400000_NS6detail17trampoline_kernelINS0_14default_configENS1_38merge_sort_block_merge_config_selectorIiNS0_10empty_typeEEEZZNS1_27merge_sort_block_merge_implIS3_N6thrust23THRUST_200600_302600_NS6detail15normal_iteratorINS9_10device_ptrIiEEEEPS5_m17evens_before_oddsEE10hipError_tT0_T1_T2_jT3_P12ihipStream_tbPNSt15iterator_traitsISI_E10value_typeEPNSO_ISJ_E10value_typeEPSK_NS1_7vsmem_tEENKUlT_SI_SJ_SK_E_clIPiSE_SF_SF_EESH_SX_SI_SJ_SK_EUlSX_E0_NS1_11comp_targetILNS1_3genE5ELNS1_11target_archE942ELNS1_3gpuE9ELNS1_3repE0EEENS1_38merge_mergepath_config_static_selectorELNS0_4arch9wavefront6targetE1EEEvSJ_.kd
    .uniform_work_group_size: 1
    .uses_dynamic_stack: false
    .vgpr_count:     0
    .vgpr_spill_count: 0
    .wavefront_size: 64
  - .agpr_count:     0
    .args:
      - .offset:         0
        .size:           72
        .value_kind:     by_value
    .group_segment_fixed_size: 0
    .kernarg_segment_align: 8
    .kernarg_segment_size: 72
    .language:       OpenCL C
    .language_version:
      - 2
      - 0
    .max_flat_workgroup_size: 128
    .name:           _ZN7rocprim17ROCPRIM_400000_NS6detail17trampoline_kernelINS0_14default_configENS1_38merge_sort_block_merge_config_selectorIiNS0_10empty_typeEEEZZNS1_27merge_sort_block_merge_implIS3_N6thrust23THRUST_200600_302600_NS6detail15normal_iteratorINS9_10device_ptrIiEEEEPS5_m17evens_before_oddsEE10hipError_tT0_T1_T2_jT3_P12ihipStream_tbPNSt15iterator_traitsISI_E10value_typeEPNSO_ISJ_E10value_typeEPSK_NS1_7vsmem_tEENKUlT_SI_SJ_SK_E_clIPiSE_SF_SF_EESH_SX_SI_SJ_SK_EUlSX_E0_NS1_11comp_targetILNS1_3genE4ELNS1_11target_archE910ELNS1_3gpuE8ELNS1_3repE0EEENS1_38merge_mergepath_config_static_selectorELNS0_4arch9wavefront6targetE1EEEvSJ_
    .private_segment_fixed_size: 0
    .sgpr_count:     6
    .sgpr_spill_count: 0
    .symbol:         _ZN7rocprim17ROCPRIM_400000_NS6detail17trampoline_kernelINS0_14default_configENS1_38merge_sort_block_merge_config_selectorIiNS0_10empty_typeEEEZZNS1_27merge_sort_block_merge_implIS3_N6thrust23THRUST_200600_302600_NS6detail15normal_iteratorINS9_10device_ptrIiEEEEPS5_m17evens_before_oddsEE10hipError_tT0_T1_T2_jT3_P12ihipStream_tbPNSt15iterator_traitsISI_E10value_typeEPNSO_ISJ_E10value_typeEPSK_NS1_7vsmem_tEENKUlT_SI_SJ_SK_E_clIPiSE_SF_SF_EESH_SX_SI_SJ_SK_EUlSX_E0_NS1_11comp_targetILNS1_3genE4ELNS1_11target_archE910ELNS1_3gpuE8ELNS1_3repE0EEENS1_38merge_mergepath_config_static_selectorELNS0_4arch9wavefront6targetE1EEEvSJ_.kd
    .uniform_work_group_size: 1
    .uses_dynamic_stack: false
    .vgpr_count:     0
    .vgpr_spill_count: 0
    .wavefront_size: 64
  - .agpr_count:     0
    .args:
      - .offset:         0
        .size:           72
        .value_kind:     by_value
    .group_segment_fixed_size: 0
    .kernarg_segment_align: 8
    .kernarg_segment_size: 72
    .language:       OpenCL C
    .language_version:
      - 2
      - 0
    .max_flat_workgroup_size: 128
    .name:           _ZN7rocprim17ROCPRIM_400000_NS6detail17trampoline_kernelINS0_14default_configENS1_38merge_sort_block_merge_config_selectorIiNS0_10empty_typeEEEZZNS1_27merge_sort_block_merge_implIS3_N6thrust23THRUST_200600_302600_NS6detail15normal_iteratorINS9_10device_ptrIiEEEEPS5_m17evens_before_oddsEE10hipError_tT0_T1_T2_jT3_P12ihipStream_tbPNSt15iterator_traitsISI_E10value_typeEPNSO_ISJ_E10value_typeEPSK_NS1_7vsmem_tEENKUlT_SI_SJ_SK_E_clIPiSE_SF_SF_EESH_SX_SI_SJ_SK_EUlSX_E0_NS1_11comp_targetILNS1_3genE3ELNS1_11target_archE908ELNS1_3gpuE7ELNS1_3repE0EEENS1_38merge_mergepath_config_static_selectorELNS0_4arch9wavefront6targetE1EEEvSJ_
    .private_segment_fixed_size: 0
    .sgpr_count:     6
    .sgpr_spill_count: 0
    .symbol:         _ZN7rocprim17ROCPRIM_400000_NS6detail17trampoline_kernelINS0_14default_configENS1_38merge_sort_block_merge_config_selectorIiNS0_10empty_typeEEEZZNS1_27merge_sort_block_merge_implIS3_N6thrust23THRUST_200600_302600_NS6detail15normal_iteratorINS9_10device_ptrIiEEEEPS5_m17evens_before_oddsEE10hipError_tT0_T1_T2_jT3_P12ihipStream_tbPNSt15iterator_traitsISI_E10value_typeEPNSO_ISJ_E10value_typeEPSK_NS1_7vsmem_tEENKUlT_SI_SJ_SK_E_clIPiSE_SF_SF_EESH_SX_SI_SJ_SK_EUlSX_E0_NS1_11comp_targetILNS1_3genE3ELNS1_11target_archE908ELNS1_3gpuE7ELNS1_3repE0EEENS1_38merge_mergepath_config_static_selectorELNS0_4arch9wavefront6targetE1EEEvSJ_.kd
    .uniform_work_group_size: 1
    .uses_dynamic_stack: false
    .vgpr_count:     0
    .vgpr_spill_count: 0
    .wavefront_size: 64
  - .agpr_count:     0
    .args:
      - .offset:         0
        .size:           72
        .value_kind:     by_value
    .group_segment_fixed_size: 0
    .kernarg_segment_align: 8
    .kernarg_segment_size: 72
    .language:       OpenCL C
    .language_version:
      - 2
      - 0
    .max_flat_workgroup_size: 128
    .name:           _ZN7rocprim17ROCPRIM_400000_NS6detail17trampoline_kernelINS0_14default_configENS1_38merge_sort_block_merge_config_selectorIiNS0_10empty_typeEEEZZNS1_27merge_sort_block_merge_implIS3_N6thrust23THRUST_200600_302600_NS6detail15normal_iteratorINS9_10device_ptrIiEEEEPS5_m17evens_before_oddsEE10hipError_tT0_T1_T2_jT3_P12ihipStream_tbPNSt15iterator_traitsISI_E10value_typeEPNSO_ISJ_E10value_typeEPSK_NS1_7vsmem_tEENKUlT_SI_SJ_SK_E_clIPiSE_SF_SF_EESH_SX_SI_SJ_SK_EUlSX_E0_NS1_11comp_targetILNS1_3genE2ELNS1_11target_archE906ELNS1_3gpuE6ELNS1_3repE0EEENS1_38merge_mergepath_config_static_selectorELNS0_4arch9wavefront6targetE1EEEvSJ_
    .private_segment_fixed_size: 0
    .sgpr_count:     6
    .sgpr_spill_count: 0
    .symbol:         _ZN7rocprim17ROCPRIM_400000_NS6detail17trampoline_kernelINS0_14default_configENS1_38merge_sort_block_merge_config_selectorIiNS0_10empty_typeEEEZZNS1_27merge_sort_block_merge_implIS3_N6thrust23THRUST_200600_302600_NS6detail15normal_iteratorINS9_10device_ptrIiEEEEPS5_m17evens_before_oddsEE10hipError_tT0_T1_T2_jT3_P12ihipStream_tbPNSt15iterator_traitsISI_E10value_typeEPNSO_ISJ_E10value_typeEPSK_NS1_7vsmem_tEENKUlT_SI_SJ_SK_E_clIPiSE_SF_SF_EESH_SX_SI_SJ_SK_EUlSX_E0_NS1_11comp_targetILNS1_3genE2ELNS1_11target_archE906ELNS1_3gpuE6ELNS1_3repE0EEENS1_38merge_mergepath_config_static_selectorELNS0_4arch9wavefront6targetE1EEEvSJ_.kd
    .uniform_work_group_size: 1
    .uses_dynamic_stack: false
    .vgpr_count:     0
    .vgpr_spill_count: 0
    .wavefront_size: 64
  - .agpr_count:     0
    .args:
      - .offset:         0
        .size:           72
        .value_kind:     by_value
    .group_segment_fixed_size: 0
    .kernarg_segment_align: 8
    .kernarg_segment_size: 72
    .language:       OpenCL C
    .language_version:
      - 2
      - 0
    .max_flat_workgroup_size: 256
    .name:           _ZN7rocprim17ROCPRIM_400000_NS6detail17trampoline_kernelINS0_14default_configENS1_38merge_sort_block_merge_config_selectorIiNS0_10empty_typeEEEZZNS1_27merge_sort_block_merge_implIS3_N6thrust23THRUST_200600_302600_NS6detail15normal_iteratorINS9_10device_ptrIiEEEEPS5_m17evens_before_oddsEE10hipError_tT0_T1_T2_jT3_P12ihipStream_tbPNSt15iterator_traitsISI_E10value_typeEPNSO_ISJ_E10value_typeEPSK_NS1_7vsmem_tEENKUlT_SI_SJ_SK_E_clIPiSE_SF_SF_EESH_SX_SI_SJ_SK_EUlSX_E0_NS1_11comp_targetILNS1_3genE9ELNS1_11target_archE1100ELNS1_3gpuE3ELNS1_3repE0EEENS1_38merge_mergepath_config_static_selectorELNS0_4arch9wavefront6targetE1EEEvSJ_
    .private_segment_fixed_size: 0
    .sgpr_count:     6
    .sgpr_spill_count: 0
    .symbol:         _ZN7rocprim17ROCPRIM_400000_NS6detail17trampoline_kernelINS0_14default_configENS1_38merge_sort_block_merge_config_selectorIiNS0_10empty_typeEEEZZNS1_27merge_sort_block_merge_implIS3_N6thrust23THRUST_200600_302600_NS6detail15normal_iteratorINS9_10device_ptrIiEEEEPS5_m17evens_before_oddsEE10hipError_tT0_T1_T2_jT3_P12ihipStream_tbPNSt15iterator_traitsISI_E10value_typeEPNSO_ISJ_E10value_typeEPSK_NS1_7vsmem_tEENKUlT_SI_SJ_SK_E_clIPiSE_SF_SF_EESH_SX_SI_SJ_SK_EUlSX_E0_NS1_11comp_targetILNS1_3genE9ELNS1_11target_archE1100ELNS1_3gpuE3ELNS1_3repE0EEENS1_38merge_mergepath_config_static_selectorELNS0_4arch9wavefront6targetE1EEEvSJ_.kd
    .uniform_work_group_size: 1
    .uses_dynamic_stack: false
    .vgpr_count:     0
    .vgpr_spill_count: 0
    .wavefront_size: 64
  - .agpr_count:     0
    .args:
      - .offset:         0
        .size:           72
        .value_kind:     by_value
    .group_segment_fixed_size: 0
    .kernarg_segment_align: 8
    .kernarg_segment_size: 72
    .language:       OpenCL C
    .language_version:
      - 2
      - 0
    .max_flat_workgroup_size: 512
    .name:           _ZN7rocprim17ROCPRIM_400000_NS6detail17trampoline_kernelINS0_14default_configENS1_38merge_sort_block_merge_config_selectorIiNS0_10empty_typeEEEZZNS1_27merge_sort_block_merge_implIS3_N6thrust23THRUST_200600_302600_NS6detail15normal_iteratorINS9_10device_ptrIiEEEEPS5_m17evens_before_oddsEE10hipError_tT0_T1_T2_jT3_P12ihipStream_tbPNSt15iterator_traitsISI_E10value_typeEPNSO_ISJ_E10value_typeEPSK_NS1_7vsmem_tEENKUlT_SI_SJ_SK_E_clIPiSE_SF_SF_EESH_SX_SI_SJ_SK_EUlSX_E0_NS1_11comp_targetILNS1_3genE8ELNS1_11target_archE1030ELNS1_3gpuE2ELNS1_3repE0EEENS1_38merge_mergepath_config_static_selectorELNS0_4arch9wavefront6targetE1EEEvSJ_
    .private_segment_fixed_size: 0
    .sgpr_count:     6
    .sgpr_spill_count: 0
    .symbol:         _ZN7rocprim17ROCPRIM_400000_NS6detail17trampoline_kernelINS0_14default_configENS1_38merge_sort_block_merge_config_selectorIiNS0_10empty_typeEEEZZNS1_27merge_sort_block_merge_implIS3_N6thrust23THRUST_200600_302600_NS6detail15normal_iteratorINS9_10device_ptrIiEEEEPS5_m17evens_before_oddsEE10hipError_tT0_T1_T2_jT3_P12ihipStream_tbPNSt15iterator_traitsISI_E10value_typeEPNSO_ISJ_E10value_typeEPSK_NS1_7vsmem_tEENKUlT_SI_SJ_SK_E_clIPiSE_SF_SF_EESH_SX_SI_SJ_SK_EUlSX_E0_NS1_11comp_targetILNS1_3genE8ELNS1_11target_archE1030ELNS1_3gpuE2ELNS1_3repE0EEENS1_38merge_mergepath_config_static_selectorELNS0_4arch9wavefront6targetE1EEEvSJ_.kd
    .uniform_work_group_size: 1
    .uses_dynamic_stack: false
    .vgpr_count:     0
    .vgpr_spill_count: 0
    .wavefront_size: 64
  - .agpr_count:     0
    .args:
      - .offset:         0
        .size:           56
        .value_kind:     by_value
    .group_segment_fixed_size: 0
    .kernarg_segment_align: 8
    .kernarg_segment_size: 56
    .language:       OpenCL C
    .language_version:
      - 2
      - 0
    .max_flat_workgroup_size: 256
    .name:           _ZN7rocprim17ROCPRIM_400000_NS6detail17trampoline_kernelINS0_14default_configENS1_38merge_sort_block_merge_config_selectorIiNS0_10empty_typeEEEZZNS1_27merge_sort_block_merge_implIS3_N6thrust23THRUST_200600_302600_NS6detail15normal_iteratorINS9_10device_ptrIiEEEEPS5_m17evens_before_oddsEE10hipError_tT0_T1_T2_jT3_P12ihipStream_tbPNSt15iterator_traitsISI_E10value_typeEPNSO_ISJ_E10value_typeEPSK_NS1_7vsmem_tEENKUlT_SI_SJ_SK_E_clIPiSE_SF_SF_EESH_SX_SI_SJ_SK_EUlSX_E1_NS1_11comp_targetILNS1_3genE0ELNS1_11target_archE4294967295ELNS1_3gpuE0ELNS1_3repE0EEENS1_36merge_oddeven_config_static_selectorELNS0_4arch9wavefront6targetE1EEEvSJ_
    .private_segment_fixed_size: 0
    .sgpr_count:     31
    .sgpr_spill_count: 0
    .symbol:         _ZN7rocprim17ROCPRIM_400000_NS6detail17trampoline_kernelINS0_14default_configENS1_38merge_sort_block_merge_config_selectorIiNS0_10empty_typeEEEZZNS1_27merge_sort_block_merge_implIS3_N6thrust23THRUST_200600_302600_NS6detail15normal_iteratorINS9_10device_ptrIiEEEEPS5_m17evens_before_oddsEE10hipError_tT0_T1_T2_jT3_P12ihipStream_tbPNSt15iterator_traitsISI_E10value_typeEPNSO_ISJ_E10value_typeEPSK_NS1_7vsmem_tEENKUlT_SI_SJ_SK_E_clIPiSE_SF_SF_EESH_SX_SI_SJ_SK_EUlSX_E1_NS1_11comp_targetILNS1_3genE0ELNS1_11target_archE4294967295ELNS1_3gpuE0ELNS1_3repE0EEENS1_36merge_oddeven_config_static_selectorELNS0_4arch9wavefront6targetE1EEEvSJ_.kd
    .uniform_work_group_size: 1
    .uses_dynamic_stack: false
    .vgpr_count:     11
    .vgpr_spill_count: 0
    .wavefront_size: 64
  - .agpr_count:     0
    .args:
      - .offset:         0
        .size:           56
        .value_kind:     by_value
    .group_segment_fixed_size: 0
    .kernarg_segment_align: 8
    .kernarg_segment_size: 56
    .language:       OpenCL C
    .language_version:
      - 2
      - 0
    .max_flat_workgroup_size: 256
    .name:           _ZN7rocprim17ROCPRIM_400000_NS6detail17trampoline_kernelINS0_14default_configENS1_38merge_sort_block_merge_config_selectorIiNS0_10empty_typeEEEZZNS1_27merge_sort_block_merge_implIS3_N6thrust23THRUST_200600_302600_NS6detail15normal_iteratorINS9_10device_ptrIiEEEEPS5_m17evens_before_oddsEE10hipError_tT0_T1_T2_jT3_P12ihipStream_tbPNSt15iterator_traitsISI_E10value_typeEPNSO_ISJ_E10value_typeEPSK_NS1_7vsmem_tEENKUlT_SI_SJ_SK_E_clIPiSE_SF_SF_EESH_SX_SI_SJ_SK_EUlSX_E1_NS1_11comp_targetILNS1_3genE10ELNS1_11target_archE1201ELNS1_3gpuE5ELNS1_3repE0EEENS1_36merge_oddeven_config_static_selectorELNS0_4arch9wavefront6targetE1EEEvSJ_
    .private_segment_fixed_size: 0
    .sgpr_count:     6
    .sgpr_spill_count: 0
    .symbol:         _ZN7rocprim17ROCPRIM_400000_NS6detail17trampoline_kernelINS0_14default_configENS1_38merge_sort_block_merge_config_selectorIiNS0_10empty_typeEEEZZNS1_27merge_sort_block_merge_implIS3_N6thrust23THRUST_200600_302600_NS6detail15normal_iteratorINS9_10device_ptrIiEEEEPS5_m17evens_before_oddsEE10hipError_tT0_T1_T2_jT3_P12ihipStream_tbPNSt15iterator_traitsISI_E10value_typeEPNSO_ISJ_E10value_typeEPSK_NS1_7vsmem_tEENKUlT_SI_SJ_SK_E_clIPiSE_SF_SF_EESH_SX_SI_SJ_SK_EUlSX_E1_NS1_11comp_targetILNS1_3genE10ELNS1_11target_archE1201ELNS1_3gpuE5ELNS1_3repE0EEENS1_36merge_oddeven_config_static_selectorELNS0_4arch9wavefront6targetE1EEEvSJ_.kd
    .uniform_work_group_size: 1
    .uses_dynamic_stack: false
    .vgpr_count:     0
    .vgpr_spill_count: 0
    .wavefront_size: 64
  - .agpr_count:     0
    .args:
      - .offset:         0
        .size:           56
        .value_kind:     by_value
    .group_segment_fixed_size: 0
    .kernarg_segment_align: 8
    .kernarg_segment_size: 56
    .language:       OpenCL C
    .language_version:
      - 2
      - 0
    .max_flat_workgroup_size: 256
    .name:           _ZN7rocprim17ROCPRIM_400000_NS6detail17trampoline_kernelINS0_14default_configENS1_38merge_sort_block_merge_config_selectorIiNS0_10empty_typeEEEZZNS1_27merge_sort_block_merge_implIS3_N6thrust23THRUST_200600_302600_NS6detail15normal_iteratorINS9_10device_ptrIiEEEEPS5_m17evens_before_oddsEE10hipError_tT0_T1_T2_jT3_P12ihipStream_tbPNSt15iterator_traitsISI_E10value_typeEPNSO_ISJ_E10value_typeEPSK_NS1_7vsmem_tEENKUlT_SI_SJ_SK_E_clIPiSE_SF_SF_EESH_SX_SI_SJ_SK_EUlSX_E1_NS1_11comp_targetILNS1_3genE5ELNS1_11target_archE942ELNS1_3gpuE9ELNS1_3repE0EEENS1_36merge_oddeven_config_static_selectorELNS0_4arch9wavefront6targetE1EEEvSJ_
    .private_segment_fixed_size: 0
    .sgpr_count:     6
    .sgpr_spill_count: 0
    .symbol:         _ZN7rocprim17ROCPRIM_400000_NS6detail17trampoline_kernelINS0_14default_configENS1_38merge_sort_block_merge_config_selectorIiNS0_10empty_typeEEEZZNS1_27merge_sort_block_merge_implIS3_N6thrust23THRUST_200600_302600_NS6detail15normal_iteratorINS9_10device_ptrIiEEEEPS5_m17evens_before_oddsEE10hipError_tT0_T1_T2_jT3_P12ihipStream_tbPNSt15iterator_traitsISI_E10value_typeEPNSO_ISJ_E10value_typeEPSK_NS1_7vsmem_tEENKUlT_SI_SJ_SK_E_clIPiSE_SF_SF_EESH_SX_SI_SJ_SK_EUlSX_E1_NS1_11comp_targetILNS1_3genE5ELNS1_11target_archE942ELNS1_3gpuE9ELNS1_3repE0EEENS1_36merge_oddeven_config_static_selectorELNS0_4arch9wavefront6targetE1EEEvSJ_.kd
    .uniform_work_group_size: 1
    .uses_dynamic_stack: false
    .vgpr_count:     0
    .vgpr_spill_count: 0
    .wavefront_size: 64
  - .agpr_count:     0
    .args:
      - .offset:         0
        .size:           56
        .value_kind:     by_value
    .group_segment_fixed_size: 0
    .kernarg_segment_align: 8
    .kernarg_segment_size: 56
    .language:       OpenCL C
    .language_version:
      - 2
      - 0
    .max_flat_workgroup_size: 256
    .name:           _ZN7rocprim17ROCPRIM_400000_NS6detail17trampoline_kernelINS0_14default_configENS1_38merge_sort_block_merge_config_selectorIiNS0_10empty_typeEEEZZNS1_27merge_sort_block_merge_implIS3_N6thrust23THRUST_200600_302600_NS6detail15normal_iteratorINS9_10device_ptrIiEEEEPS5_m17evens_before_oddsEE10hipError_tT0_T1_T2_jT3_P12ihipStream_tbPNSt15iterator_traitsISI_E10value_typeEPNSO_ISJ_E10value_typeEPSK_NS1_7vsmem_tEENKUlT_SI_SJ_SK_E_clIPiSE_SF_SF_EESH_SX_SI_SJ_SK_EUlSX_E1_NS1_11comp_targetILNS1_3genE4ELNS1_11target_archE910ELNS1_3gpuE8ELNS1_3repE0EEENS1_36merge_oddeven_config_static_selectorELNS0_4arch9wavefront6targetE1EEEvSJ_
    .private_segment_fixed_size: 0
    .sgpr_count:     6
    .sgpr_spill_count: 0
    .symbol:         _ZN7rocprim17ROCPRIM_400000_NS6detail17trampoline_kernelINS0_14default_configENS1_38merge_sort_block_merge_config_selectorIiNS0_10empty_typeEEEZZNS1_27merge_sort_block_merge_implIS3_N6thrust23THRUST_200600_302600_NS6detail15normal_iteratorINS9_10device_ptrIiEEEEPS5_m17evens_before_oddsEE10hipError_tT0_T1_T2_jT3_P12ihipStream_tbPNSt15iterator_traitsISI_E10value_typeEPNSO_ISJ_E10value_typeEPSK_NS1_7vsmem_tEENKUlT_SI_SJ_SK_E_clIPiSE_SF_SF_EESH_SX_SI_SJ_SK_EUlSX_E1_NS1_11comp_targetILNS1_3genE4ELNS1_11target_archE910ELNS1_3gpuE8ELNS1_3repE0EEENS1_36merge_oddeven_config_static_selectorELNS0_4arch9wavefront6targetE1EEEvSJ_.kd
    .uniform_work_group_size: 1
    .uses_dynamic_stack: false
    .vgpr_count:     0
    .vgpr_spill_count: 0
    .wavefront_size: 64
  - .agpr_count:     0
    .args:
      - .offset:         0
        .size:           56
        .value_kind:     by_value
    .group_segment_fixed_size: 0
    .kernarg_segment_align: 8
    .kernarg_segment_size: 56
    .language:       OpenCL C
    .language_version:
      - 2
      - 0
    .max_flat_workgroup_size: 256
    .name:           _ZN7rocprim17ROCPRIM_400000_NS6detail17trampoline_kernelINS0_14default_configENS1_38merge_sort_block_merge_config_selectorIiNS0_10empty_typeEEEZZNS1_27merge_sort_block_merge_implIS3_N6thrust23THRUST_200600_302600_NS6detail15normal_iteratorINS9_10device_ptrIiEEEEPS5_m17evens_before_oddsEE10hipError_tT0_T1_T2_jT3_P12ihipStream_tbPNSt15iterator_traitsISI_E10value_typeEPNSO_ISJ_E10value_typeEPSK_NS1_7vsmem_tEENKUlT_SI_SJ_SK_E_clIPiSE_SF_SF_EESH_SX_SI_SJ_SK_EUlSX_E1_NS1_11comp_targetILNS1_3genE3ELNS1_11target_archE908ELNS1_3gpuE7ELNS1_3repE0EEENS1_36merge_oddeven_config_static_selectorELNS0_4arch9wavefront6targetE1EEEvSJ_
    .private_segment_fixed_size: 0
    .sgpr_count:     6
    .sgpr_spill_count: 0
    .symbol:         _ZN7rocprim17ROCPRIM_400000_NS6detail17trampoline_kernelINS0_14default_configENS1_38merge_sort_block_merge_config_selectorIiNS0_10empty_typeEEEZZNS1_27merge_sort_block_merge_implIS3_N6thrust23THRUST_200600_302600_NS6detail15normal_iteratorINS9_10device_ptrIiEEEEPS5_m17evens_before_oddsEE10hipError_tT0_T1_T2_jT3_P12ihipStream_tbPNSt15iterator_traitsISI_E10value_typeEPNSO_ISJ_E10value_typeEPSK_NS1_7vsmem_tEENKUlT_SI_SJ_SK_E_clIPiSE_SF_SF_EESH_SX_SI_SJ_SK_EUlSX_E1_NS1_11comp_targetILNS1_3genE3ELNS1_11target_archE908ELNS1_3gpuE7ELNS1_3repE0EEENS1_36merge_oddeven_config_static_selectorELNS0_4arch9wavefront6targetE1EEEvSJ_.kd
    .uniform_work_group_size: 1
    .uses_dynamic_stack: false
    .vgpr_count:     0
    .vgpr_spill_count: 0
    .wavefront_size: 64
  - .agpr_count:     0
    .args:
      - .offset:         0
        .size:           56
        .value_kind:     by_value
    .group_segment_fixed_size: 0
    .kernarg_segment_align: 8
    .kernarg_segment_size: 56
    .language:       OpenCL C
    .language_version:
      - 2
      - 0
    .max_flat_workgroup_size: 256
    .name:           _ZN7rocprim17ROCPRIM_400000_NS6detail17trampoline_kernelINS0_14default_configENS1_38merge_sort_block_merge_config_selectorIiNS0_10empty_typeEEEZZNS1_27merge_sort_block_merge_implIS3_N6thrust23THRUST_200600_302600_NS6detail15normal_iteratorINS9_10device_ptrIiEEEEPS5_m17evens_before_oddsEE10hipError_tT0_T1_T2_jT3_P12ihipStream_tbPNSt15iterator_traitsISI_E10value_typeEPNSO_ISJ_E10value_typeEPSK_NS1_7vsmem_tEENKUlT_SI_SJ_SK_E_clIPiSE_SF_SF_EESH_SX_SI_SJ_SK_EUlSX_E1_NS1_11comp_targetILNS1_3genE2ELNS1_11target_archE906ELNS1_3gpuE6ELNS1_3repE0EEENS1_36merge_oddeven_config_static_selectorELNS0_4arch9wavefront6targetE1EEEvSJ_
    .private_segment_fixed_size: 0
    .sgpr_count:     6
    .sgpr_spill_count: 0
    .symbol:         _ZN7rocprim17ROCPRIM_400000_NS6detail17trampoline_kernelINS0_14default_configENS1_38merge_sort_block_merge_config_selectorIiNS0_10empty_typeEEEZZNS1_27merge_sort_block_merge_implIS3_N6thrust23THRUST_200600_302600_NS6detail15normal_iteratorINS9_10device_ptrIiEEEEPS5_m17evens_before_oddsEE10hipError_tT0_T1_T2_jT3_P12ihipStream_tbPNSt15iterator_traitsISI_E10value_typeEPNSO_ISJ_E10value_typeEPSK_NS1_7vsmem_tEENKUlT_SI_SJ_SK_E_clIPiSE_SF_SF_EESH_SX_SI_SJ_SK_EUlSX_E1_NS1_11comp_targetILNS1_3genE2ELNS1_11target_archE906ELNS1_3gpuE6ELNS1_3repE0EEENS1_36merge_oddeven_config_static_selectorELNS0_4arch9wavefront6targetE1EEEvSJ_.kd
    .uniform_work_group_size: 1
    .uses_dynamic_stack: false
    .vgpr_count:     0
    .vgpr_spill_count: 0
    .wavefront_size: 64
  - .agpr_count:     0
    .args:
      - .offset:         0
        .size:           56
        .value_kind:     by_value
    .group_segment_fixed_size: 0
    .kernarg_segment_align: 8
    .kernarg_segment_size: 56
    .language:       OpenCL C
    .language_version:
      - 2
      - 0
    .max_flat_workgroup_size: 256
    .name:           _ZN7rocprim17ROCPRIM_400000_NS6detail17trampoline_kernelINS0_14default_configENS1_38merge_sort_block_merge_config_selectorIiNS0_10empty_typeEEEZZNS1_27merge_sort_block_merge_implIS3_N6thrust23THRUST_200600_302600_NS6detail15normal_iteratorINS9_10device_ptrIiEEEEPS5_m17evens_before_oddsEE10hipError_tT0_T1_T2_jT3_P12ihipStream_tbPNSt15iterator_traitsISI_E10value_typeEPNSO_ISJ_E10value_typeEPSK_NS1_7vsmem_tEENKUlT_SI_SJ_SK_E_clIPiSE_SF_SF_EESH_SX_SI_SJ_SK_EUlSX_E1_NS1_11comp_targetILNS1_3genE9ELNS1_11target_archE1100ELNS1_3gpuE3ELNS1_3repE0EEENS1_36merge_oddeven_config_static_selectorELNS0_4arch9wavefront6targetE1EEEvSJ_
    .private_segment_fixed_size: 0
    .sgpr_count:     6
    .sgpr_spill_count: 0
    .symbol:         _ZN7rocprim17ROCPRIM_400000_NS6detail17trampoline_kernelINS0_14default_configENS1_38merge_sort_block_merge_config_selectorIiNS0_10empty_typeEEEZZNS1_27merge_sort_block_merge_implIS3_N6thrust23THRUST_200600_302600_NS6detail15normal_iteratorINS9_10device_ptrIiEEEEPS5_m17evens_before_oddsEE10hipError_tT0_T1_T2_jT3_P12ihipStream_tbPNSt15iterator_traitsISI_E10value_typeEPNSO_ISJ_E10value_typeEPSK_NS1_7vsmem_tEENKUlT_SI_SJ_SK_E_clIPiSE_SF_SF_EESH_SX_SI_SJ_SK_EUlSX_E1_NS1_11comp_targetILNS1_3genE9ELNS1_11target_archE1100ELNS1_3gpuE3ELNS1_3repE0EEENS1_36merge_oddeven_config_static_selectorELNS0_4arch9wavefront6targetE1EEEvSJ_.kd
    .uniform_work_group_size: 1
    .uses_dynamic_stack: false
    .vgpr_count:     0
    .vgpr_spill_count: 0
    .wavefront_size: 64
  - .agpr_count:     0
    .args:
      - .offset:         0
        .size:           56
        .value_kind:     by_value
    .group_segment_fixed_size: 0
    .kernarg_segment_align: 8
    .kernarg_segment_size: 56
    .language:       OpenCL C
    .language_version:
      - 2
      - 0
    .max_flat_workgroup_size: 256
    .name:           _ZN7rocprim17ROCPRIM_400000_NS6detail17trampoline_kernelINS0_14default_configENS1_38merge_sort_block_merge_config_selectorIiNS0_10empty_typeEEEZZNS1_27merge_sort_block_merge_implIS3_N6thrust23THRUST_200600_302600_NS6detail15normal_iteratorINS9_10device_ptrIiEEEEPS5_m17evens_before_oddsEE10hipError_tT0_T1_T2_jT3_P12ihipStream_tbPNSt15iterator_traitsISI_E10value_typeEPNSO_ISJ_E10value_typeEPSK_NS1_7vsmem_tEENKUlT_SI_SJ_SK_E_clIPiSE_SF_SF_EESH_SX_SI_SJ_SK_EUlSX_E1_NS1_11comp_targetILNS1_3genE8ELNS1_11target_archE1030ELNS1_3gpuE2ELNS1_3repE0EEENS1_36merge_oddeven_config_static_selectorELNS0_4arch9wavefront6targetE1EEEvSJ_
    .private_segment_fixed_size: 0
    .sgpr_count:     6
    .sgpr_spill_count: 0
    .symbol:         _ZN7rocprim17ROCPRIM_400000_NS6detail17trampoline_kernelINS0_14default_configENS1_38merge_sort_block_merge_config_selectorIiNS0_10empty_typeEEEZZNS1_27merge_sort_block_merge_implIS3_N6thrust23THRUST_200600_302600_NS6detail15normal_iteratorINS9_10device_ptrIiEEEEPS5_m17evens_before_oddsEE10hipError_tT0_T1_T2_jT3_P12ihipStream_tbPNSt15iterator_traitsISI_E10value_typeEPNSO_ISJ_E10value_typeEPSK_NS1_7vsmem_tEENKUlT_SI_SJ_SK_E_clIPiSE_SF_SF_EESH_SX_SI_SJ_SK_EUlSX_E1_NS1_11comp_targetILNS1_3genE8ELNS1_11target_archE1030ELNS1_3gpuE2ELNS1_3repE0EEENS1_36merge_oddeven_config_static_selectorELNS0_4arch9wavefront6targetE1EEEvSJ_.kd
    .uniform_work_group_size: 1
    .uses_dynamic_stack: false
    .vgpr_count:     0
    .vgpr_spill_count: 0
    .wavefront_size: 64
  - .agpr_count:     0
    .args:
      - .offset:         0
        .size:           48
        .value_kind:     by_value
    .group_segment_fixed_size: 0
    .kernarg_segment_align: 8
    .kernarg_segment_size: 48
    .language:       OpenCL C
    .language_version:
      - 2
      - 0
    .max_flat_workgroup_size: 128
    .name:           _ZN7rocprim17ROCPRIM_400000_NS6detail17trampoline_kernelINS0_14default_configENS1_38merge_sort_block_merge_config_selectorIiNS0_10empty_typeEEEZZNS1_27merge_sort_block_merge_implIS3_N6thrust23THRUST_200600_302600_NS6detail15normal_iteratorINS9_10device_ptrIiEEEEPS5_m17evens_before_oddsEE10hipError_tT0_T1_T2_jT3_P12ihipStream_tbPNSt15iterator_traitsISI_E10value_typeEPNSO_ISJ_E10value_typeEPSK_NS1_7vsmem_tEENKUlT_SI_SJ_SK_E_clISE_PiSF_SF_EESH_SX_SI_SJ_SK_EUlSX_E_NS1_11comp_targetILNS1_3genE0ELNS1_11target_archE4294967295ELNS1_3gpuE0ELNS1_3repE0EEENS1_48merge_mergepath_partition_config_static_selectorELNS0_4arch9wavefront6targetE1EEEvSJ_
    .private_segment_fixed_size: 0
    .sgpr_count:     16
    .sgpr_spill_count: 0
    .symbol:         _ZN7rocprim17ROCPRIM_400000_NS6detail17trampoline_kernelINS0_14default_configENS1_38merge_sort_block_merge_config_selectorIiNS0_10empty_typeEEEZZNS1_27merge_sort_block_merge_implIS3_N6thrust23THRUST_200600_302600_NS6detail15normal_iteratorINS9_10device_ptrIiEEEEPS5_m17evens_before_oddsEE10hipError_tT0_T1_T2_jT3_P12ihipStream_tbPNSt15iterator_traitsISI_E10value_typeEPNSO_ISJ_E10value_typeEPSK_NS1_7vsmem_tEENKUlT_SI_SJ_SK_E_clISE_PiSF_SF_EESH_SX_SI_SJ_SK_EUlSX_E_NS1_11comp_targetILNS1_3genE0ELNS1_11target_archE4294967295ELNS1_3gpuE0ELNS1_3repE0EEENS1_48merge_mergepath_partition_config_static_selectorELNS0_4arch9wavefront6targetE1EEEvSJ_.kd
    .uniform_work_group_size: 1
    .uses_dynamic_stack: false
    .vgpr_count:     20
    .vgpr_spill_count: 0
    .wavefront_size: 64
  - .agpr_count:     0
    .args:
      - .offset:         0
        .size:           48
        .value_kind:     by_value
    .group_segment_fixed_size: 0
    .kernarg_segment_align: 8
    .kernarg_segment_size: 48
    .language:       OpenCL C
    .language_version:
      - 2
      - 0
    .max_flat_workgroup_size: 128
    .name:           _ZN7rocprim17ROCPRIM_400000_NS6detail17trampoline_kernelINS0_14default_configENS1_38merge_sort_block_merge_config_selectorIiNS0_10empty_typeEEEZZNS1_27merge_sort_block_merge_implIS3_N6thrust23THRUST_200600_302600_NS6detail15normal_iteratorINS9_10device_ptrIiEEEEPS5_m17evens_before_oddsEE10hipError_tT0_T1_T2_jT3_P12ihipStream_tbPNSt15iterator_traitsISI_E10value_typeEPNSO_ISJ_E10value_typeEPSK_NS1_7vsmem_tEENKUlT_SI_SJ_SK_E_clISE_PiSF_SF_EESH_SX_SI_SJ_SK_EUlSX_E_NS1_11comp_targetILNS1_3genE10ELNS1_11target_archE1201ELNS1_3gpuE5ELNS1_3repE0EEENS1_48merge_mergepath_partition_config_static_selectorELNS0_4arch9wavefront6targetE1EEEvSJ_
    .private_segment_fixed_size: 0
    .sgpr_count:     6
    .sgpr_spill_count: 0
    .symbol:         _ZN7rocprim17ROCPRIM_400000_NS6detail17trampoline_kernelINS0_14default_configENS1_38merge_sort_block_merge_config_selectorIiNS0_10empty_typeEEEZZNS1_27merge_sort_block_merge_implIS3_N6thrust23THRUST_200600_302600_NS6detail15normal_iteratorINS9_10device_ptrIiEEEEPS5_m17evens_before_oddsEE10hipError_tT0_T1_T2_jT3_P12ihipStream_tbPNSt15iterator_traitsISI_E10value_typeEPNSO_ISJ_E10value_typeEPSK_NS1_7vsmem_tEENKUlT_SI_SJ_SK_E_clISE_PiSF_SF_EESH_SX_SI_SJ_SK_EUlSX_E_NS1_11comp_targetILNS1_3genE10ELNS1_11target_archE1201ELNS1_3gpuE5ELNS1_3repE0EEENS1_48merge_mergepath_partition_config_static_selectorELNS0_4arch9wavefront6targetE1EEEvSJ_.kd
    .uniform_work_group_size: 1
    .uses_dynamic_stack: false
    .vgpr_count:     0
    .vgpr_spill_count: 0
    .wavefront_size: 64
  - .agpr_count:     0
    .args:
      - .offset:         0
        .size:           48
        .value_kind:     by_value
    .group_segment_fixed_size: 0
    .kernarg_segment_align: 8
    .kernarg_segment_size: 48
    .language:       OpenCL C
    .language_version:
      - 2
      - 0
    .max_flat_workgroup_size: 128
    .name:           _ZN7rocprim17ROCPRIM_400000_NS6detail17trampoline_kernelINS0_14default_configENS1_38merge_sort_block_merge_config_selectorIiNS0_10empty_typeEEEZZNS1_27merge_sort_block_merge_implIS3_N6thrust23THRUST_200600_302600_NS6detail15normal_iteratorINS9_10device_ptrIiEEEEPS5_m17evens_before_oddsEE10hipError_tT0_T1_T2_jT3_P12ihipStream_tbPNSt15iterator_traitsISI_E10value_typeEPNSO_ISJ_E10value_typeEPSK_NS1_7vsmem_tEENKUlT_SI_SJ_SK_E_clISE_PiSF_SF_EESH_SX_SI_SJ_SK_EUlSX_E_NS1_11comp_targetILNS1_3genE5ELNS1_11target_archE942ELNS1_3gpuE9ELNS1_3repE0EEENS1_48merge_mergepath_partition_config_static_selectorELNS0_4arch9wavefront6targetE1EEEvSJ_
    .private_segment_fixed_size: 0
    .sgpr_count:     6
    .sgpr_spill_count: 0
    .symbol:         _ZN7rocprim17ROCPRIM_400000_NS6detail17trampoline_kernelINS0_14default_configENS1_38merge_sort_block_merge_config_selectorIiNS0_10empty_typeEEEZZNS1_27merge_sort_block_merge_implIS3_N6thrust23THRUST_200600_302600_NS6detail15normal_iteratorINS9_10device_ptrIiEEEEPS5_m17evens_before_oddsEE10hipError_tT0_T1_T2_jT3_P12ihipStream_tbPNSt15iterator_traitsISI_E10value_typeEPNSO_ISJ_E10value_typeEPSK_NS1_7vsmem_tEENKUlT_SI_SJ_SK_E_clISE_PiSF_SF_EESH_SX_SI_SJ_SK_EUlSX_E_NS1_11comp_targetILNS1_3genE5ELNS1_11target_archE942ELNS1_3gpuE9ELNS1_3repE0EEENS1_48merge_mergepath_partition_config_static_selectorELNS0_4arch9wavefront6targetE1EEEvSJ_.kd
    .uniform_work_group_size: 1
    .uses_dynamic_stack: false
    .vgpr_count:     0
    .vgpr_spill_count: 0
    .wavefront_size: 64
  - .agpr_count:     0
    .args:
      - .offset:         0
        .size:           48
        .value_kind:     by_value
    .group_segment_fixed_size: 0
    .kernarg_segment_align: 8
    .kernarg_segment_size: 48
    .language:       OpenCL C
    .language_version:
      - 2
      - 0
    .max_flat_workgroup_size: 128
    .name:           _ZN7rocprim17ROCPRIM_400000_NS6detail17trampoline_kernelINS0_14default_configENS1_38merge_sort_block_merge_config_selectorIiNS0_10empty_typeEEEZZNS1_27merge_sort_block_merge_implIS3_N6thrust23THRUST_200600_302600_NS6detail15normal_iteratorINS9_10device_ptrIiEEEEPS5_m17evens_before_oddsEE10hipError_tT0_T1_T2_jT3_P12ihipStream_tbPNSt15iterator_traitsISI_E10value_typeEPNSO_ISJ_E10value_typeEPSK_NS1_7vsmem_tEENKUlT_SI_SJ_SK_E_clISE_PiSF_SF_EESH_SX_SI_SJ_SK_EUlSX_E_NS1_11comp_targetILNS1_3genE4ELNS1_11target_archE910ELNS1_3gpuE8ELNS1_3repE0EEENS1_48merge_mergepath_partition_config_static_selectorELNS0_4arch9wavefront6targetE1EEEvSJ_
    .private_segment_fixed_size: 0
    .sgpr_count:     6
    .sgpr_spill_count: 0
    .symbol:         _ZN7rocprim17ROCPRIM_400000_NS6detail17trampoline_kernelINS0_14default_configENS1_38merge_sort_block_merge_config_selectorIiNS0_10empty_typeEEEZZNS1_27merge_sort_block_merge_implIS3_N6thrust23THRUST_200600_302600_NS6detail15normal_iteratorINS9_10device_ptrIiEEEEPS5_m17evens_before_oddsEE10hipError_tT0_T1_T2_jT3_P12ihipStream_tbPNSt15iterator_traitsISI_E10value_typeEPNSO_ISJ_E10value_typeEPSK_NS1_7vsmem_tEENKUlT_SI_SJ_SK_E_clISE_PiSF_SF_EESH_SX_SI_SJ_SK_EUlSX_E_NS1_11comp_targetILNS1_3genE4ELNS1_11target_archE910ELNS1_3gpuE8ELNS1_3repE0EEENS1_48merge_mergepath_partition_config_static_selectorELNS0_4arch9wavefront6targetE1EEEvSJ_.kd
    .uniform_work_group_size: 1
    .uses_dynamic_stack: false
    .vgpr_count:     0
    .vgpr_spill_count: 0
    .wavefront_size: 64
  - .agpr_count:     0
    .args:
      - .offset:         0
        .size:           48
        .value_kind:     by_value
    .group_segment_fixed_size: 0
    .kernarg_segment_align: 8
    .kernarg_segment_size: 48
    .language:       OpenCL C
    .language_version:
      - 2
      - 0
    .max_flat_workgroup_size: 128
    .name:           _ZN7rocprim17ROCPRIM_400000_NS6detail17trampoline_kernelINS0_14default_configENS1_38merge_sort_block_merge_config_selectorIiNS0_10empty_typeEEEZZNS1_27merge_sort_block_merge_implIS3_N6thrust23THRUST_200600_302600_NS6detail15normal_iteratorINS9_10device_ptrIiEEEEPS5_m17evens_before_oddsEE10hipError_tT0_T1_T2_jT3_P12ihipStream_tbPNSt15iterator_traitsISI_E10value_typeEPNSO_ISJ_E10value_typeEPSK_NS1_7vsmem_tEENKUlT_SI_SJ_SK_E_clISE_PiSF_SF_EESH_SX_SI_SJ_SK_EUlSX_E_NS1_11comp_targetILNS1_3genE3ELNS1_11target_archE908ELNS1_3gpuE7ELNS1_3repE0EEENS1_48merge_mergepath_partition_config_static_selectorELNS0_4arch9wavefront6targetE1EEEvSJ_
    .private_segment_fixed_size: 0
    .sgpr_count:     6
    .sgpr_spill_count: 0
    .symbol:         _ZN7rocprim17ROCPRIM_400000_NS6detail17trampoline_kernelINS0_14default_configENS1_38merge_sort_block_merge_config_selectorIiNS0_10empty_typeEEEZZNS1_27merge_sort_block_merge_implIS3_N6thrust23THRUST_200600_302600_NS6detail15normal_iteratorINS9_10device_ptrIiEEEEPS5_m17evens_before_oddsEE10hipError_tT0_T1_T2_jT3_P12ihipStream_tbPNSt15iterator_traitsISI_E10value_typeEPNSO_ISJ_E10value_typeEPSK_NS1_7vsmem_tEENKUlT_SI_SJ_SK_E_clISE_PiSF_SF_EESH_SX_SI_SJ_SK_EUlSX_E_NS1_11comp_targetILNS1_3genE3ELNS1_11target_archE908ELNS1_3gpuE7ELNS1_3repE0EEENS1_48merge_mergepath_partition_config_static_selectorELNS0_4arch9wavefront6targetE1EEEvSJ_.kd
    .uniform_work_group_size: 1
    .uses_dynamic_stack: false
    .vgpr_count:     0
    .vgpr_spill_count: 0
    .wavefront_size: 64
  - .agpr_count:     0
    .args:
      - .offset:         0
        .size:           48
        .value_kind:     by_value
    .group_segment_fixed_size: 0
    .kernarg_segment_align: 8
    .kernarg_segment_size: 48
    .language:       OpenCL C
    .language_version:
      - 2
      - 0
    .max_flat_workgroup_size: 128
    .name:           _ZN7rocprim17ROCPRIM_400000_NS6detail17trampoline_kernelINS0_14default_configENS1_38merge_sort_block_merge_config_selectorIiNS0_10empty_typeEEEZZNS1_27merge_sort_block_merge_implIS3_N6thrust23THRUST_200600_302600_NS6detail15normal_iteratorINS9_10device_ptrIiEEEEPS5_m17evens_before_oddsEE10hipError_tT0_T1_T2_jT3_P12ihipStream_tbPNSt15iterator_traitsISI_E10value_typeEPNSO_ISJ_E10value_typeEPSK_NS1_7vsmem_tEENKUlT_SI_SJ_SK_E_clISE_PiSF_SF_EESH_SX_SI_SJ_SK_EUlSX_E_NS1_11comp_targetILNS1_3genE2ELNS1_11target_archE906ELNS1_3gpuE6ELNS1_3repE0EEENS1_48merge_mergepath_partition_config_static_selectorELNS0_4arch9wavefront6targetE1EEEvSJ_
    .private_segment_fixed_size: 0
    .sgpr_count:     6
    .sgpr_spill_count: 0
    .symbol:         _ZN7rocprim17ROCPRIM_400000_NS6detail17trampoline_kernelINS0_14default_configENS1_38merge_sort_block_merge_config_selectorIiNS0_10empty_typeEEEZZNS1_27merge_sort_block_merge_implIS3_N6thrust23THRUST_200600_302600_NS6detail15normal_iteratorINS9_10device_ptrIiEEEEPS5_m17evens_before_oddsEE10hipError_tT0_T1_T2_jT3_P12ihipStream_tbPNSt15iterator_traitsISI_E10value_typeEPNSO_ISJ_E10value_typeEPSK_NS1_7vsmem_tEENKUlT_SI_SJ_SK_E_clISE_PiSF_SF_EESH_SX_SI_SJ_SK_EUlSX_E_NS1_11comp_targetILNS1_3genE2ELNS1_11target_archE906ELNS1_3gpuE6ELNS1_3repE0EEENS1_48merge_mergepath_partition_config_static_selectorELNS0_4arch9wavefront6targetE1EEEvSJ_.kd
    .uniform_work_group_size: 1
    .uses_dynamic_stack: false
    .vgpr_count:     0
    .vgpr_spill_count: 0
    .wavefront_size: 64
  - .agpr_count:     0
    .args:
      - .offset:         0
        .size:           48
        .value_kind:     by_value
    .group_segment_fixed_size: 0
    .kernarg_segment_align: 8
    .kernarg_segment_size: 48
    .language:       OpenCL C
    .language_version:
      - 2
      - 0
    .max_flat_workgroup_size: 128
    .name:           _ZN7rocprim17ROCPRIM_400000_NS6detail17trampoline_kernelINS0_14default_configENS1_38merge_sort_block_merge_config_selectorIiNS0_10empty_typeEEEZZNS1_27merge_sort_block_merge_implIS3_N6thrust23THRUST_200600_302600_NS6detail15normal_iteratorINS9_10device_ptrIiEEEEPS5_m17evens_before_oddsEE10hipError_tT0_T1_T2_jT3_P12ihipStream_tbPNSt15iterator_traitsISI_E10value_typeEPNSO_ISJ_E10value_typeEPSK_NS1_7vsmem_tEENKUlT_SI_SJ_SK_E_clISE_PiSF_SF_EESH_SX_SI_SJ_SK_EUlSX_E_NS1_11comp_targetILNS1_3genE9ELNS1_11target_archE1100ELNS1_3gpuE3ELNS1_3repE0EEENS1_48merge_mergepath_partition_config_static_selectorELNS0_4arch9wavefront6targetE1EEEvSJ_
    .private_segment_fixed_size: 0
    .sgpr_count:     6
    .sgpr_spill_count: 0
    .symbol:         _ZN7rocprim17ROCPRIM_400000_NS6detail17trampoline_kernelINS0_14default_configENS1_38merge_sort_block_merge_config_selectorIiNS0_10empty_typeEEEZZNS1_27merge_sort_block_merge_implIS3_N6thrust23THRUST_200600_302600_NS6detail15normal_iteratorINS9_10device_ptrIiEEEEPS5_m17evens_before_oddsEE10hipError_tT0_T1_T2_jT3_P12ihipStream_tbPNSt15iterator_traitsISI_E10value_typeEPNSO_ISJ_E10value_typeEPSK_NS1_7vsmem_tEENKUlT_SI_SJ_SK_E_clISE_PiSF_SF_EESH_SX_SI_SJ_SK_EUlSX_E_NS1_11comp_targetILNS1_3genE9ELNS1_11target_archE1100ELNS1_3gpuE3ELNS1_3repE0EEENS1_48merge_mergepath_partition_config_static_selectorELNS0_4arch9wavefront6targetE1EEEvSJ_.kd
    .uniform_work_group_size: 1
    .uses_dynamic_stack: false
    .vgpr_count:     0
    .vgpr_spill_count: 0
    .wavefront_size: 64
  - .agpr_count:     0
    .args:
      - .offset:         0
        .size:           48
        .value_kind:     by_value
    .group_segment_fixed_size: 0
    .kernarg_segment_align: 8
    .kernarg_segment_size: 48
    .language:       OpenCL C
    .language_version:
      - 2
      - 0
    .max_flat_workgroup_size: 128
    .name:           _ZN7rocprim17ROCPRIM_400000_NS6detail17trampoline_kernelINS0_14default_configENS1_38merge_sort_block_merge_config_selectorIiNS0_10empty_typeEEEZZNS1_27merge_sort_block_merge_implIS3_N6thrust23THRUST_200600_302600_NS6detail15normal_iteratorINS9_10device_ptrIiEEEEPS5_m17evens_before_oddsEE10hipError_tT0_T1_T2_jT3_P12ihipStream_tbPNSt15iterator_traitsISI_E10value_typeEPNSO_ISJ_E10value_typeEPSK_NS1_7vsmem_tEENKUlT_SI_SJ_SK_E_clISE_PiSF_SF_EESH_SX_SI_SJ_SK_EUlSX_E_NS1_11comp_targetILNS1_3genE8ELNS1_11target_archE1030ELNS1_3gpuE2ELNS1_3repE0EEENS1_48merge_mergepath_partition_config_static_selectorELNS0_4arch9wavefront6targetE1EEEvSJ_
    .private_segment_fixed_size: 0
    .sgpr_count:     6
    .sgpr_spill_count: 0
    .symbol:         _ZN7rocprim17ROCPRIM_400000_NS6detail17trampoline_kernelINS0_14default_configENS1_38merge_sort_block_merge_config_selectorIiNS0_10empty_typeEEEZZNS1_27merge_sort_block_merge_implIS3_N6thrust23THRUST_200600_302600_NS6detail15normal_iteratorINS9_10device_ptrIiEEEEPS5_m17evens_before_oddsEE10hipError_tT0_T1_T2_jT3_P12ihipStream_tbPNSt15iterator_traitsISI_E10value_typeEPNSO_ISJ_E10value_typeEPSK_NS1_7vsmem_tEENKUlT_SI_SJ_SK_E_clISE_PiSF_SF_EESH_SX_SI_SJ_SK_EUlSX_E_NS1_11comp_targetILNS1_3genE8ELNS1_11target_archE1030ELNS1_3gpuE2ELNS1_3repE0EEENS1_48merge_mergepath_partition_config_static_selectorELNS0_4arch9wavefront6targetE1EEEvSJ_.kd
    .uniform_work_group_size: 1
    .uses_dynamic_stack: false
    .vgpr_count:     0
    .vgpr_spill_count: 0
    .wavefront_size: 64
  - .agpr_count:     0
    .args:
      - .offset:         0
        .size:           72
        .value_kind:     by_value
      - .offset:         72
        .size:           4
        .value_kind:     hidden_block_count_x
      - .offset:         76
        .size:           4
        .value_kind:     hidden_block_count_y
      - .offset:         80
        .size:           4
        .value_kind:     hidden_block_count_z
      - .offset:         84
        .size:           2
        .value_kind:     hidden_group_size_x
      - .offset:         86
        .size:           2
        .value_kind:     hidden_group_size_y
      - .offset:         88
        .size:           2
        .value_kind:     hidden_group_size_z
      - .offset:         90
        .size:           2
        .value_kind:     hidden_remainder_x
      - .offset:         92
        .size:           2
        .value_kind:     hidden_remainder_y
      - .offset:         94
        .size:           2
        .value_kind:     hidden_remainder_z
      - .offset:         112
        .size:           8
        .value_kind:     hidden_global_offset_x
      - .offset:         120
        .size:           8
        .value_kind:     hidden_global_offset_y
      - .offset:         128
        .size:           8
        .value_kind:     hidden_global_offset_z
      - .offset:         136
        .size:           2
        .value_kind:     hidden_grid_dims
    .group_segment_fixed_size: 4224
    .kernarg_segment_align: 8
    .kernarg_segment_size: 328
    .language:       OpenCL C
    .language_version:
      - 2
      - 0
    .max_flat_workgroup_size: 128
    .name:           _ZN7rocprim17ROCPRIM_400000_NS6detail17trampoline_kernelINS0_14default_configENS1_38merge_sort_block_merge_config_selectorIiNS0_10empty_typeEEEZZNS1_27merge_sort_block_merge_implIS3_N6thrust23THRUST_200600_302600_NS6detail15normal_iteratorINS9_10device_ptrIiEEEEPS5_m17evens_before_oddsEE10hipError_tT0_T1_T2_jT3_P12ihipStream_tbPNSt15iterator_traitsISI_E10value_typeEPNSO_ISJ_E10value_typeEPSK_NS1_7vsmem_tEENKUlT_SI_SJ_SK_E_clISE_PiSF_SF_EESH_SX_SI_SJ_SK_EUlSX_E0_NS1_11comp_targetILNS1_3genE0ELNS1_11target_archE4294967295ELNS1_3gpuE0ELNS1_3repE0EEENS1_38merge_mergepath_config_static_selectorELNS0_4arch9wavefront6targetE1EEEvSJ_
    .private_segment_fixed_size: 0
    .sgpr_count:     37
    .sgpr_spill_count: 0
    .symbol:         _ZN7rocprim17ROCPRIM_400000_NS6detail17trampoline_kernelINS0_14default_configENS1_38merge_sort_block_merge_config_selectorIiNS0_10empty_typeEEEZZNS1_27merge_sort_block_merge_implIS3_N6thrust23THRUST_200600_302600_NS6detail15normal_iteratorINS9_10device_ptrIiEEEEPS5_m17evens_before_oddsEE10hipError_tT0_T1_T2_jT3_P12ihipStream_tbPNSt15iterator_traitsISI_E10value_typeEPNSO_ISJ_E10value_typeEPSK_NS1_7vsmem_tEENKUlT_SI_SJ_SK_E_clISE_PiSF_SF_EESH_SX_SI_SJ_SK_EUlSX_E0_NS1_11comp_targetILNS1_3genE0ELNS1_11target_archE4294967295ELNS1_3gpuE0ELNS1_3repE0EEENS1_38merge_mergepath_config_static_selectorELNS0_4arch9wavefront6targetE1EEEvSJ_.kd
    .uniform_work_group_size: 1
    .uses_dynamic_stack: false
    .vgpr_count:     26
    .vgpr_spill_count: 0
    .wavefront_size: 64
  - .agpr_count:     0
    .args:
      - .offset:         0
        .size:           72
        .value_kind:     by_value
    .group_segment_fixed_size: 0
    .kernarg_segment_align: 8
    .kernarg_segment_size: 72
    .language:       OpenCL C
    .language_version:
      - 2
      - 0
    .max_flat_workgroup_size: 256
    .name:           _ZN7rocprim17ROCPRIM_400000_NS6detail17trampoline_kernelINS0_14default_configENS1_38merge_sort_block_merge_config_selectorIiNS0_10empty_typeEEEZZNS1_27merge_sort_block_merge_implIS3_N6thrust23THRUST_200600_302600_NS6detail15normal_iteratorINS9_10device_ptrIiEEEEPS5_m17evens_before_oddsEE10hipError_tT0_T1_T2_jT3_P12ihipStream_tbPNSt15iterator_traitsISI_E10value_typeEPNSO_ISJ_E10value_typeEPSK_NS1_7vsmem_tEENKUlT_SI_SJ_SK_E_clISE_PiSF_SF_EESH_SX_SI_SJ_SK_EUlSX_E0_NS1_11comp_targetILNS1_3genE10ELNS1_11target_archE1201ELNS1_3gpuE5ELNS1_3repE0EEENS1_38merge_mergepath_config_static_selectorELNS0_4arch9wavefront6targetE1EEEvSJ_
    .private_segment_fixed_size: 0
    .sgpr_count:     6
    .sgpr_spill_count: 0
    .symbol:         _ZN7rocprim17ROCPRIM_400000_NS6detail17trampoline_kernelINS0_14default_configENS1_38merge_sort_block_merge_config_selectorIiNS0_10empty_typeEEEZZNS1_27merge_sort_block_merge_implIS3_N6thrust23THRUST_200600_302600_NS6detail15normal_iteratorINS9_10device_ptrIiEEEEPS5_m17evens_before_oddsEE10hipError_tT0_T1_T2_jT3_P12ihipStream_tbPNSt15iterator_traitsISI_E10value_typeEPNSO_ISJ_E10value_typeEPSK_NS1_7vsmem_tEENKUlT_SI_SJ_SK_E_clISE_PiSF_SF_EESH_SX_SI_SJ_SK_EUlSX_E0_NS1_11comp_targetILNS1_3genE10ELNS1_11target_archE1201ELNS1_3gpuE5ELNS1_3repE0EEENS1_38merge_mergepath_config_static_selectorELNS0_4arch9wavefront6targetE1EEEvSJ_.kd
    .uniform_work_group_size: 1
    .uses_dynamic_stack: false
    .vgpr_count:     0
    .vgpr_spill_count: 0
    .wavefront_size: 64
  - .agpr_count:     0
    .args:
      - .offset:         0
        .size:           72
        .value_kind:     by_value
    .group_segment_fixed_size: 0
    .kernarg_segment_align: 8
    .kernarg_segment_size: 72
    .language:       OpenCL C
    .language_version:
      - 2
      - 0
    .max_flat_workgroup_size: 128
    .name:           _ZN7rocprim17ROCPRIM_400000_NS6detail17trampoline_kernelINS0_14default_configENS1_38merge_sort_block_merge_config_selectorIiNS0_10empty_typeEEEZZNS1_27merge_sort_block_merge_implIS3_N6thrust23THRUST_200600_302600_NS6detail15normal_iteratorINS9_10device_ptrIiEEEEPS5_m17evens_before_oddsEE10hipError_tT0_T1_T2_jT3_P12ihipStream_tbPNSt15iterator_traitsISI_E10value_typeEPNSO_ISJ_E10value_typeEPSK_NS1_7vsmem_tEENKUlT_SI_SJ_SK_E_clISE_PiSF_SF_EESH_SX_SI_SJ_SK_EUlSX_E0_NS1_11comp_targetILNS1_3genE5ELNS1_11target_archE942ELNS1_3gpuE9ELNS1_3repE0EEENS1_38merge_mergepath_config_static_selectorELNS0_4arch9wavefront6targetE1EEEvSJ_
    .private_segment_fixed_size: 0
    .sgpr_count:     6
    .sgpr_spill_count: 0
    .symbol:         _ZN7rocprim17ROCPRIM_400000_NS6detail17trampoline_kernelINS0_14default_configENS1_38merge_sort_block_merge_config_selectorIiNS0_10empty_typeEEEZZNS1_27merge_sort_block_merge_implIS3_N6thrust23THRUST_200600_302600_NS6detail15normal_iteratorINS9_10device_ptrIiEEEEPS5_m17evens_before_oddsEE10hipError_tT0_T1_T2_jT3_P12ihipStream_tbPNSt15iterator_traitsISI_E10value_typeEPNSO_ISJ_E10value_typeEPSK_NS1_7vsmem_tEENKUlT_SI_SJ_SK_E_clISE_PiSF_SF_EESH_SX_SI_SJ_SK_EUlSX_E0_NS1_11comp_targetILNS1_3genE5ELNS1_11target_archE942ELNS1_3gpuE9ELNS1_3repE0EEENS1_38merge_mergepath_config_static_selectorELNS0_4arch9wavefront6targetE1EEEvSJ_.kd
    .uniform_work_group_size: 1
    .uses_dynamic_stack: false
    .vgpr_count:     0
    .vgpr_spill_count: 0
    .wavefront_size: 64
  - .agpr_count:     0
    .args:
      - .offset:         0
        .size:           72
        .value_kind:     by_value
    .group_segment_fixed_size: 0
    .kernarg_segment_align: 8
    .kernarg_segment_size: 72
    .language:       OpenCL C
    .language_version:
      - 2
      - 0
    .max_flat_workgroup_size: 128
    .name:           _ZN7rocprim17ROCPRIM_400000_NS6detail17trampoline_kernelINS0_14default_configENS1_38merge_sort_block_merge_config_selectorIiNS0_10empty_typeEEEZZNS1_27merge_sort_block_merge_implIS3_N6thrust23THRUST_200600_302600_NS6detail15normal_iteratorINS9_10device_ptrIiEEEEPS5_m17evens_before_oddsEE10hipError_tT0_T1_T2_jT3_P12ihipStream_tbPNSt15iterator_traitsISI_E10value_typeEPNSO_ISJ_E10value_typeEPSK_NS1_7vsmem_tEENKUlT_SI_SJ_SK_E_clISE_PiSF_SF_EESH_SX_SI_SJ_SK_EUlSX_E0_NS1_11comp_targetILNS1_3genE4ELNS1_11target_archE910ELNS1_3gpuE8ELNS1_3repE0EEENS1_38merge_mergepath_config_static_selectorELNS0_4arch9wavefront6targetE1EEEvSJ_
    .private_segment_fixed_size: 0
    .sgpr_count:     6
    .sgpr_spill_count: 0
    .symbol:         _ZN7rocprim17ROCPRIM_400000_NS6detail17trampoline_kernelINS0_14default_configENS1_38merge_sort_block_merge_config_selectorIiNS0_10empty_typeEEEZZNS1_27merge_sort_block_merge_implIS3_N6thrust23THRUST_200600_302600_NS6detail15normal_iteratorINS9_10device_ptrIiEEEEPS5_m17evens_before_oddsEE10hipError_tT0_T1_T2_jT3_P12ihipStream_tbPNSt15iterator_traitsISI_E10value_typeEPNSO_ISJ_E10value_typeEPSK_NS1_7vsmem_tEENKUlT_SI_SJ_SK_E_clISE_PiSF_SF_EESH_SX_SI_SJ_SK_EUlSX_E0_NS1_11comp_targetILNS1_3genE4ELNS1_11target_archE910ELNS1_3gpuE8ELNS1_3repE0EEENS1_38merge_mergepath_config_static_selectorELNS0_4arch9wavefront6targetE1EEEvSJ_.kd
    .uniform_work_group_size: 1
    .uses_dynamic_stack: false
    .vgpr_count:     0
    .vgpr_spill_count: 0
    .wavefront_size: 64
  - .agpr_count:     0
    .args:
      - .offset:         0
        .size:           72
        .value_kind:     by_value
    .group_segment_fixed_size: 0
    .kernarg_segment_align: 8
    .kernarg_segment_size: 72
    .language:       OpenCL C
    .language_version:
      - 2
      - 0
    .max_flat_workgroup_size: 128
    .name:           _ZN7rocprim17ROCPRIM_400000_NS6detail17trampoline_kernelINS0_14default_configENS1_38merge_sort_block_merge_config_selectorIiNS0_10empty_typeEEEZZNS1_27merge_sort_block_merge_implIS3_N6thrust23THRUST_200600_302600_NS6detail15normal_iteratorINS9_10device_ptrIiEEEEPS5_m17evens_before_oddsEE10hipError_tT0_T1_T2_jT3_P12ihipStream_tbPNSt15iterator_traitsISI_E10value_typeEPNSO_ISJ_E10value_typeEPSK_NS1_7vsmem_tEENKUlT_SI_SJ_SK_E_clISE_PiSF_SF_EESH_SX_SI_SJ_SK_EUlSX_E0_NS1_11comp_targetILNS1_3genE3ELNS1_11target_archE908ELNS1_3gpuE7ELNS1_3repE0EEENS1_38merge_mergepath_config_static_selectorELNS0_4arch9wavefront6targetE1EEEvSJ_
    .private_segment_fixed_size: 0
    .sgpr_count:     6
    .sgpr_spill_count: 0
    .symbol:         _ZN7rocprim17ROCPRIM_400000_NS6detail17trampoline_kernelINS0_14default_configENS1_38merge_sort_block_merge_config_selectorIiNS0_10empty_typeEEEZZNS1_27merge_sort_block_merge_implIS3_N6thrust23THRUST_200600_302600_NS6detail15normal_iteratorINS9_10device_ptrIiEEEEPS5_m17evens_before_oddsEE10hipError_tT0_T1_T2_jT3_P12ihipStream_tbPNSt15iterator_traitsISI_E10value_typeEPNSO_ISJ_E10value_typeEPSK_NS1_7vsmem_tEENKUlT_SI_SJ_SK_E_clISE_PiSF_SF_EESH_SX_SI_SJ_SK_EUlSX_E0_NS1_11comp_targetILNS1_3genE3ELNS1_11target_archE908ELNS1_3gpuE7ELNS1_3repE0EEENS1_38merge_mergepath_config_static_selectorELNS0_4arch9wavefront6targetE1EEEvSJ_.kd
    .uniform_work_group_size: 1
    .uses_dynamic_stack: false
    .vgpr_count:     0
    .vgpr_spill_count: 0
    .wavefront_size: 64
  - .agpr_count:     0
    .args:
      - .offset:         0
        .size:           72
        .value_kind:     by_value
    .group_segment_fixed_size: 0
    .kernarg_segment_align: 8
    .kernarg_segment_size: 72
    .language:       OpenCL C
    .language_version:
      - 2
      - 0
    .max_flat_workgroup_size: 128
    .name:           _ZN7rocprim17ROCPRIM_400000_NS6detail17trampoline_kernelINS0_14default_configENS1_38merge_sort_block_merge_config_selectorIiNS0_10empty_typeEEEZZNS1_27merge_sort_block_merge_implIS3_N6thrust23THRUST_200600_302600_NS6detail15normal_iteratorINS9_10device_ptrIiEEEEPS5_m17evens_before_oddsEE10hipError_tT0_T1_T2_jT3_P12ihipStream_tbPNSt15iterator_traitsISI_E10value_typeEPNSO_ISJ_E10value_typeEPSK_NS1_7vsmem_tEENKUlT_SI_SJ_SK_E_clISE_PiSF_SF_EESH_SX_SI_SJ_SK_EUlSX_E0_NS1_11comp_targetILNS1_3genE2ELNS1_11target_archE906ELNS1_3gpuE6ELNS1_3repE0EEENS1_38merge_mergepath_config_static_selectorELNS0_4arch9wavefront6targetE1EEEvSJ_
    .private_segment_fixed_size: 0
    .sgpr_count:     6
    .sgpr_spill_count: 0
    .symbol:         _ZN7rocprim17ROCPRIM_400000_NS6detail17trampoline_kernelINS0_14default_configENS1_38merge_sort_block_merge_config_selectorIiNS0_10empty_typeEEEZZNS1_27merge_sort_block_merge_implIS3_N6thrust23THRUST_200600_302600_NS6detail15normal_iteratorINS9_10device_ptrIiEEEEPS5_m17evens_before_oddsEE10hipError_tT0_T1_T2_jT3_P12ihipStream_tbPNSt15iterator_traitsISI_E10value_typeEPNSO_ISJ_E10value_typeEPSK_NS1_7vsmem_tEENKUlT_SI_SJ_SK_E_clISE_PiSF_SF_EESH_SX_SI_SJ_SK_EUlSX_E0_NS1_11comp_targetILNS1_3genE2ELNS1_11target_archE906ELNS1_3gpuE6ELNS1_3repE0EEENS1_38merge_mergepath_config_static_selectorELNS0_4arch9wavefront6targetE1EEEvSJ_.kd
    .uniform_work_group_size: 1
    .uses_dynamic_stack: false
    .vgpr_count:     0
    .vgpr_spill_count: 0
    .wavefront_size: 64
  - .agpr_count:     0
    .args:
      - .offset:         0
        .size:           72
        .value_kind:     by_value
    .group_segment_fixed_size: 0
    .kernarg_segment_align: 8
    .kernarg_segment_size: 72
    .language:       OpenCL C
    .language_version:
      - 2
      - 0
    .max_flat_workgroup_size: 256
    .name:           _ZN7rocprim17ROCPRIM_400000_NS6detail17trampoline_kernelINS0_14default_configENS1_38merge_sort_block_merge_config_selectorIiNS0_10empty_typeEEEZZNS1_27merge_sort_block_merge_implIS3_N6thrust23THRUST_200600_302600_NS6detail15normal_iteratorINS9_10device_ptrIiEEEEPS5_m17evens_before_oddsEE10hipError_tT0_T1_T2_jT3_P12ihipStream_tbPNSt15iterator_traitsISI_E10value_typeEPNSO_ISJ_E10value_typeEPSK_NS1_7vsmem_tEENKUlT_SI_SJ_SK_E_clISE_PiSF_SF_EESH_SX_SI_SJ_SK_EUlSX_E0_NS1_11comp_targetILNS1_3genE9ELNS1_11target_archE1100ELNS1_3gpuE3ELNS1_3repE0EEENS1_38merge_mergepath_config_static_selectorELNS0_4arch9wavefront6targetE1EEEvSJ_
    .private_segment_fixed_size: 0
    .sgpr_count:     6
    .sgpr_spill_count: 0
    .symbol:         _ZN7rocprim17ROCPRIM_400000_NS6detail17trampoline_kernelINS0_14default_configENS1_38merge_sort_block_merge_config_selectorIiNS0_10empty_typeEEEZZNS1_27merge_sort_block_merge_implIS3_N6thrust23THRUST_200600_302600_NS6detail15normal_iteratorINS9_10device_ptrIiEEEEPS5_m17evens_before_oddsEE10hipError_tT0_T1_T2_jT3_P12ihipStream_tbPNSt15iterator_traitsISI_E10value_typeEPNSO_ISJ_E10value_typeEPSK_NS1_7vsmem_tEENKUlT_SI_SJ_SK_E_clISE_PiSF_SF_EESH_SX_SI_SJ_SK_EUlSX_E0_NS1_11comp_targetILNS1_3genE9ELNS1_11target_archE1100ELNS1_3gpuE3ELNS1_3repE0EEENS1_38merge_mergepath_config_static_selectorELNS0_4arch9wavefront6targetE1EEEvSJ_.kd
    .uniform_work_group_size: 1
    .uses_dynamic_stack: false
    .vgpr_count:     0
    .vgpr_spill_count: 0
    .wavefront_size: 64
  - .agpr_count:     0
    .args:
      - .offset:         0
        .size:           72
        .value_kind:     by_value
    .group_segment_fixed_size: 0
    .kernarg_segment_align: 8
    .kernarg_segment_size: 72
    .language:       OpenCL C
    .language_version:
      - 2
      - 0
    .max_flat_workgroup_size: 512
    .name:           _ZN7rocprim17ROCPRIM_400000_NS6detail17trampoline_kernelINS0_14default_configENS1_38merge_sort_block_merge_config_selectorIiNS0_10empty_typeEEEZZNS1_27merge_sort_block_merge_implIS3_N6thrust23THRUST_200600_302600_NS6detail15normal_iteratorINS9_10device_ptrIiEEEEPS5_m17evens_before_oddsEE10hipError_tT0_T1_T2_jT3_P12ihipStream_tbPNSt15iterator_traitsISI_E10value_typeEPNSO_ISJ_E10value_typeEPSK_NS1_7vsmem_tEENKUlT_SI_SJ_SK_E_clISE_PiSF_SF_EESH_SX_SI_SJ_SK_EUlSX_E0_NS1_11comp_targetILNS1_3genE8ELNS1_11target_archE1030ELNS1_3gpuE2ELNS1_3repE0EEENS1_38merge_mergepath_config_static_selectorELNS0_4arch9wavefront6targetE1EEEvSJ_
    .private_segment_fixed_size: 0
    .sgpr_count:     6
    .sgpr_spill_count: 0
    .symbol:         _ZN7rocprim17ROCPRIM_400000_NS6detail17trampoline_kernelINS0_14default_configENS1_38merge_sort_block_merge_config_selectorIiNS0_10empty_typeEEEZZNS1_27merge_sort_block_merge_implIS3_N6thrust23THRUST_200600_302600_NS6detail15normal_iteratorINS9_10device_ptrIiEEEEPS5_m17evens_before_oddsEE10hipError_tT0_T1_T2_jT3_P12ihipStream_tbPNSt15iterator_traitsISI_E10value_typeEPNSO_ISJ_E10value_typeEPSK_NS1_7vsmem_tEENKUlT_SI_SJ_SK_E_clISE_PiSF_SF_EESH_SX_SI_SJ_SK_EUlSX_E0_NS1_11comp_targetILNS1_3genE8ELNS1_11target_archE1030ELNS1_3gpuE2ELNS1_3repE0EEENS1_38merge_mergepath_config_static_selectorELNS0_4arch9wavefront6targetE1EEEvSJ_.kd
    .uniform_work_group_size: 1
    .uses_dynamic_stack: false
    .vgpr_count:     0
    .vgpr_spill_count: 0
    .wavefront_size: 64
  - .agpr_count:     0
    .args:
      - .offset:         0
        .size:           56
        .value_kind:     by_value
    .group_segment_fixed_size: 0
    .kernarg_segment_align: 8
    .kernarg_segment_size: 56
    .language:       OpenCL C
    .language_version:
      - 2
      - 0
    .max_flat_workgroup_size: 256
    .name:           _ZN7rocprim17ROCPRIM_400000_NS6detail17trampoline_kernelINS0_14default_configENS1_38merge_sort_block_merge_config_selectorIiNS0_10empty_typeEEEZZNS1_27merge_sort_block_merge_implIS3_N6thrust23THRUST_200600_302600_NS6detail15normal_iteratorINS9_10device_ptrIiEEEEPS5_m17evens_before_oddsEE10hipError_tT0_T1_T2_jT3_P12ihipStream_tbPNSt15iterator_traitsISI_E10value_typeEPNSO_ISJ_E10value_typeEPSK_NS1_7vsmem_tEENKUlT_SI_SJ_SK_E_clISE_PiSF_SF_EESH_SX_SI_SJ_SK_EUlSX_E1_NS1_11comp_targetILNS1_3genE0ELNS1_11target_archE4294967295ELNS1_3gpuE0ELNS1_3repE0EEENS1_36merge_oddeven_config_static_selectorELNS0_4arch9wavefront6targetE1EEEvSJ_
    .private_segment_fixed_size: 0
    .sgpr_count:     31
    .sgpr_spill_count: 0
    .symbol:         _ZN7rocprim17ROCPRIM_400000_NS6detail17trampoline_kernelINS0_14default_configENS1_38merge_sort_block_merge_config_selectorIiNS0_10empty_typeEEEZZNS1_27merge_sort_block_merge_implIS3_N6thrust23THRUST_200600_302600_NS6detail15normal_iteratorINS9_10device_ptrIiEEEEPS5_m17evens_before_oddsEE10hipError_tT0_T1_T2_jT3_P12ihipStream_tbPNSt15iterator_traitsISI_E10value_typeEPNSO_ISJ_E10value_typeEPSK_NS1_7vsmem_tEENKUlT_SI_SJ_SK_E_clISE_PiSF_SF_EESH_SX_SI_SJ_SK_EUlSX_E1_NS1_11comp_targetILNS1_3genE0ELNS1_11target_archE4294967295ELNS1_3gpuE0ELNS1_3repE0EEENS1_36merge_oddeven_config_static_selectorELNS0_4arch9wavefront6targetE1EEEvSJ_.kd
    .uniform_work_group_size: 1
    .uses_dynamic_stack: false
    .vgpr_count:     11
    .vgpr_spill_count: 0
    .wavefront_size: 64
  - .agpr_count:     0
    .args:
      - .offset:         0
        .size:           56
        .value_kind:     by_value
    .group_segment_fixed_size: 0
    .kernarg_segment_align: 8
    .kernarg_segment_size: 56
    .language:       OpenCL C
    .language_version:
      - 2
      - 0
    .max_flat_workgroup_size: 256
    .name:           _ZN7rocprim17ROCPRIM_400000_NS6detail17trampoline_kernelINS0_14default_configENS1_38merge_sort_block_merge_config_selectorIiNS0_10empty_typeEEEZZNS1_27merge_sort_block_merge_implIS3_N6thrust23THRUST_200600_302600_NS6detail15normal_iteratorINS9_10device_ptrIiEEEEPS5_m17evens_before_oddsEE10hipError_tT0_T1_T2_jT3_P12ihipStream_tbPNSt15iterator_traitsISI_E10value_typeEPNSO_ISJ_E10value_typeEPSK_NS1_7vsmem_tEENKUlT_SI_SJ_SK_E_clISE_PiSF_SF_EESH_SX_SI_SJ_SK_EUlSX_E1_NS1_11comp_targetILNS1_3genE10ELNS1_11target_archE1201ELNS1_3gpuE5ELNS1_3repE0EEENS1_36merge_oddeven_config_static_selectorELNS0_4arch9wavefront6targetE1EEEvSJ_
    .private_segment_fixed_size: 0
    .sgpr_count:     6
    .sgpr_spill_count: 0
    .symbol:         _ZN7rocprim17ROCPRIM_400000_NS6detail17trampoline_kernelINS0_14default_configENS1_38merge_sort_block_merge_config_selectorIiNS0_10empty_typeEEEZZNS1_27merge_sort_block_merge_implIS3_N6thrust23THRUST_200600_302600_NS6detail15normal_iteratorINS9_10device_ptrIiEEEEPS5_m17evens_before_oddsEE10hipError_tT0_T1_T2_jT3_P12ihipStream_tbPNSt15iterator_traitsISI_E10value_typeEPNSO_ISJ_E10value_typeEPSK_NS1_7vsmem_tEENKUlT_SI_SJ_SK_E_clISE_PiSF_SF_EESH_SX_SI_SJ_SK_EUlSX_E1_NS1_11comp_targetILNS1_3genE10ELNS1_11target_archE1201ELNS1_3gpuE5ELNS1_3repE0EEENS1_36merge_oddeven_config_static_selectorELNS0_4arch9wavefront6targetE1EEEvSJ_.kd
    .uniform_work_group_size: 1
    .uses_dynamic_stack: false
    .vgpr_count:     0
    .vgpr_spill_count: 0
    .wavefront_size: 64
  - .agpr_count:     0
    .args:
      - .offset:         0
        .size:           56
        .value_kind:     by_value
    .group_segment_fixed_size: 0
    .kernarg_segment_align: 8
    .kernarg_segment_size: 56
    .language:       OpenCL C
    .language_version:
      - 2
      - 0
    .max_flat_workgroup_size: 256
    .name:           _ZN7rocprim17ROCPRIM_400000_NS6detail17trampoline_kernelINS0_14default_configENS1_38merge_sort_block_merge_config_selectorIiNS0_10empty_typeEEEZZNS1_27merge_sort_block_merge_implIS3_N6thrust23THRUST_200600_302600_NS6detail15normal_iteratorINS9_10device_ptrIiEEEEPS5_m17evens_before_oddsEE10hipError_tT0_T1_T2_jT3_P12ihipStream_tbPNSt15iterator_traitsISI_E10value_typeEPNSO_ISJ_E10value_typeEPSK_NS1_7vsmem_tEENKUlT_SI_SJ_SK_E_clISE_PiSF_SF_EESH_SX_SI_SJ_SK_EUlSX_E1_NS1_11comp_targetILNS1_3genE5ELNS1_11target_archE942ELNS1_3gpuE9ELNS1_3repE0EEENS1_36merge_oddeven_config_static_selectorELNS0_4arch9wavefront6targetE1EEEvSJ_
    .private_segment_fixed_size: 0
    .sgpr_count:     6
    .sgpr_spill_count: 0
    .symbol:         _ZN7rocprim17ROCPRIM_400000_NS6detail17trampoline_kernelINS0_14default_configENS1_38merge_sort_block_merge_config_selectorIiNS0_10empty_typeEEEZZNS1_27merge_sort_block_merge_implIS3_N6thrust23THRUST_200600_302600_NS6detail15normal_iteratorINS9_10device_ptrIiEEEEPS5_m17evens_before_oddsEE10hipError_tT0_T1_T2_jT3_P12ihipStream_tbPNSt15iterator_traitsISI_E10value_typeEPNSO_ISJ_E10value_typeEPSK_NS1_7vsmem_tEENKUlT_SI_SJ_SK_E_clISE_PiSF_SF_EESH_SX_SI_SJ_SK_EUlSX_E1_NS1_11comp_targetILNS1_3genE5ELNS1_11target_archE942ELNS1_3gpuE9ELNS1_3repE0EEENS1_36merge_oddeven_config_static_selectorELNS0_4arch9wavefront6targetE1EEEvSJ_.kd
    .uniform_work_group_size: 1
    .uses_dynamic_stack: false
    .vgpr_count:     0
    .vgpr_spill_count: 0
    .wavefront_size: 64
  - .agpr_count:     0
    .args:
      - .offset:         0
        .size:           56
        .value_kind:     by_value
    .group_segment_fixed_size: 0
    .kernarg_segment_align: 8
    .kernarg_segment_size: 56
    .language:       OpenCL C
    .language_version:
      - 2
      - 0
    .max_flat_workgroup_size: 256
    .name:           _ZN7rocprim17ROCPRIM_400000_NS6detail17trampoline_kernelINS0_14default_configENS1_38merge_sort_block_merge_config_selectorIiNS0_10empty_typeEEEZZNS1_27merge_sort_block_merge_implIS3_N6thrust23THRUST_200600_302600_NS6detail15normal_iteratorINS9_10device_ptrIiEEEEPS5_m17evens_before_oddsEE10hipError_tT0_T1_T2_jT3_P12ihipStream_tbPNSt15iterator_traitsISI_E10value_typeEPNSO_ISJ_E10value_typeEPSK_NS1_7vsmem_tEENKUlT_SI_SJ_SK_E_clISE_PiSF_SF_EESH_SX_SI_SJ_SK_EUlSX_E1_NS1_11comp_targetILNS1_3genE4ELNS1_11target_archE910ELNS1_3gpuE8ELNS1_3repE0EEENS1_36merge_oddeven_config_static_selectorELNS0_4arch9wavefront6targetE1EEEvSJ_
    .private_segment_fixed_size: 0
    .sgpr_count:     6
    .sgpr_spill_count: 0
    .symbol:         _ZN7rocprim17ROCPRIM_400000_NS6detail17trampoline_kernelINS0_14default_configENS1_38merge_sort_block_merge_config_selectorIiNS0_10empty_typeEEEZZNS1_27merge_sort_block_merge_implIS3_N6thrust23THRUST_200600_302600_NS6detail15normal_iteratorINS9_10device_ptrIiEEEEPS5_m17evens_before_oddsEE10hipError_tT0_T1_T2_jT3_P12ihipStream_tbPNSt15iterator_traitsISI_E10value_typeEPNSO_ISJ_E10value_typeEPSK_NS1_7vsmem_tEENKUlT_SI_SJ_SK_E_clISE_PiSF_SF_EESH_SX_SI_SJ_SK_EUlSX_E1_NS1_11comp_targetILNS1_3genE4ELNS1_11target_archE910ELNS1_3gpuE8ELNS1_3repE0EEENS1_36merge_oddeven_config_static_selectorELNS0_4arch9wavefront6targetE1EEEvSJ_.kd
    .uniform_work_group_size: 1
    .uses_dynamic_stack: false
    .vgpr_count:     0
    .vgpr_spill_count: 0
    .wavefront_size: 64
  - .agpr_count:     0
    .args:
      - .offset:         0
        .size:           56
        .value_kind:     by_value
    .group_segment_fixed_size: 0
    .kernarg_segment_align: 8
    .kernarg_segment_size: 56
    .language:       OpenCL C
    .language_version:
      - 2
      - 0
    .max_flat_workgroup_size: 256
    .name:           _ZN7rocprim17ROCPRIM_400000_NS6detail17trampoline_kernelINS0_14default_configENS1_38merge_sort_block_merge_config_selectorIiNS0_10empty_typeEEEZZNS1_27merge_sort_block_merge_implIS3_N6thrust23THRUST_200600_302600_NS6detail15normal_iteratorINS9_10device_ptrIiEEEEPS5_m17evens_before_oddsEE10hipError_tT0_T1_T2_jT3_P12ihipStream_tbPNSt15iterator_traitsISI_E10value_typeEPNSO_ISJ_E10value_typeEPSK_NS1_7vsmem_tEENKUlT_SI_SJ_SK_E_clISE_PiSF_SF_EESH_SX_SI_SJ_SK_EUlSX_E1_NS1_11comp_targetILNS1_3genE3ELNS1_11target_archE908ELNS1_3gpuE7ELNS1_3repE0EEENS1_36merge_oddeven_config_static_selectorELNS0_4arch9wavefront6targetE1EEEvSJ_
    .private_segment_fixed_size: 0
    .sgpr_count:     6
    .sgpr_spill_count: 0
    .symbol:         _ZN7rocprim17ROCPRIM_400000_NS6detail17trampoline_kernelINS0_14default_configENS1_38merge_sort_block_merge_config_selectorIiNS0_10empty_typeEEEZZNS1_27merge_sort_block_merge_implIS3_N6thrust23THRUST_200600_302600_NS6detail15normal_iteratorINS9_10device_ptrIiEEEEPS5_m17evens_before_oddsEE10hipError_tT0_T1_T2_jT3_P12ihipStream_tbPNSt15iterator_traitsISI_E10value_typeEPNSO_ISJ_E10value_typeEPSK_NS1_7vsmem_tEENKUlT_SI_SJ_SK_E_clISE_PiSF_SF_EESH_SX_SI_SJ_SK_EUlSX_E1_NS1_11comp_targetILNS1_3genE3ELNS1_11target_archE908ELNS1_3gpuE7ELNS1_3repE0EEENS1_36merge_oddeven_config_static_selectorELNS0_4arch9wavefront6targetE1EEEvSJ_.kd
    .uniform_work_group_size: 1
    .uses_dynamic_stack: false
    .vgpr_count:     0
    .vgpr_spill_count: 0
    .wavefront_size: 64
  - .agpr_count:     0
    .args:
      - .offset:         0
        .size:           56
        .value_kind:     by_value
    .group_segment_fixed_size: 0
    .kernarg_segment_align: 8
    .kernarg_segment_size: 56
    .language:       OpenCL C
    .language_version:
      - 2
      - 0
    .max_flat_workgroup_size: 256
    .name:           _ZN7rocprim17ROCPRIM_400000_NS6detail17trampoline_kernelINS0_14default_configENS1_38merge_sort_block_merge_config_selectorIiNS0_10empty_typeEEEZZNS1_27merge_sort_block_merge_implIS3_N6thrust23THRUST_200600_302600_NS6detail15normal_iteratorINS9_10device_ptrIiEEEEPS5_m17evens_before_oddsEE10hipError_tT0_T1_T2_jT3_P12ihipStream_tbPNSt15iterator_traitsISI_E10value_typeEPNSO_ISJ_E10value_typeEPSK_NS1_7vsmem_tEENKUlT_SI_SJ_SK_E_clISE_PiSF_SF_EESH_SX_SI_SJ_SK_EUlSX_E1_NS1_11comp_targetILNS1_3genE2ELNS1_11target_archE906ELNS1_3gpuE6ELNS1_3repE0EEENS1_36merge_oddeven_config_static_selectorELNS0_4arch9wavefront6targetE1EEEvSJ_
    .private_segment_fixed_size: 0
    .sgpr_count:     6
    .sgpr_spill_count: 0
    .symbol:         _ZN7rocprim17ROCPRIM_400000_NS6detail17trampoline_kernelINS0_14default_configENS1_38merge_sort_block_merge_config_selectorIiNS0_10empty_typeEEEZZNS1_27merge_sort_block_merge_implIS3_N6thrust23THRUST_200600_302600_NS6detail15normal_iteratorINS9_10device_ptrIiEEEEPS5_m17evens_before_oddsEE10hipError_tT0_T1_T2_jT3_P12ihipStream_tbPNSt15iterator_traitsISI_E10value_typeEPNSO_ISJ_E10value_typeEPSK_NS1_7vsmem_tEENKUlT_SI_SJ_SK_E_clISE_PiSF_SF_EESH_SX_SI_SJ_SK_EUlSX_E1_NS1_11comp_targetILNS1_3genE2ELNS1_11target_archE906ELNS1_3gpuE6ELNS1_3repE0EEENS1_36merge_oddeven_config_static_selectorELNS0_4arch9wavefront6targetE1EEEvSJ_.kd
    .uniform_work_group_size: 1
    .uses_dynamic_stack: false
    .vgpr_count:     0
    .vgpr_spill_count: 0
    .wavefront_size: 64
  - .agpr_count:     0
    .args:
      - .offset:         0
        .size:           56
        .value_kind:     by_value
    .group_segment_fixed_size: 0
    .kernarg_segment_align: 8
    .kernarg_segment_size: 56
    .language:       OpenCL C
    .language_version:
      - 2
      - 0
    .max_flat_workgroup_size: 256
    .name:           _ZN7rocprim17ROCPRIM_400000_NS6detail17trampoline_kernelINS0_14default_configENS1_38merge_sort_block_merge_config_selectorIiNS0_10empty_typeEEEZZNS1_27merge_sort_block_merge_implIS3_N6thrust23THRUST_200600_302600_NS6detail15normal_iteratorINS9_10device_ptrIiEEEEPS5_m17evens_before_oddsEE10hipError_tT0_T1_T2_jT3_P12ihipStream_tbPNSt15iterator_traitsISI_E10value_typeEPNSO_ISJ_E10value_typeEPSK_NS1_7vsmem_tEENKUlT_SI_SJ_SK_E_clISE_PiSF_SF_EESH_SX_SI_SJ_SK_EUlSX_E1_NS1_11comp_targetILNS1_3genE9ELNS1_11target_archE1100ELNS1_3gpuE3ELNS1_3repE0EEENS1_36merge_oddeven_config_static_selectorELNS0_4arch9wavefront6targetE1EEEvSJ_
    .private_segment_fixed_size: 0
    .sgpr_count:     6
    .sgpr_spill_count: 0
    .symbol:         _ZN7rocprim17ROCPRIM_400000_NS6detail17trampoline_kernelINS0_14default_configENS1_38merge_sort_block_merge_config_selectorIiNS0_10empty_typeEEEZZNS1_27merge_sort_block_merge_implIS3_N6thrust23THRUST_200600_302600_NS6detail15normal_iteratorINS9_10device_ptrIiEEEEPS5_m17evens_before_oddsEE10hipError_tT0_T1_T2_jT3_P12ihipStream_tbPNSt15iterator_traitsISI_E10value_typeEPNSO_ISJ_E10value_typeEPSK_NS1_7vsmem_tEENKUlT_SI_SJ_SK_E_clISE_PiSF_SF_EESH_SX_SI_SJ_SK_EUlSX_E1_NS1_11comp_targetILNS1_3genE9ELNS1_11target_archE1100ELNS1_3gpuE3ELNS1_3repE0EEENS1_36merge_oddeven_config_static_selectorELNS0_4arch9wavefront6targetE1EEEvSJ_.kd
    .uniform_work_group_size: 1
    .uses_dynamic_stack: false
    .vgpr_count:     0
    .vgpr_spill_count: 0
    .wavefront_size: 64
  - .agpr_count:     0
    .args:
      - .offset:         0
        .size:           56
        .value_kind:     by_value
    .group_segment_fixed_size: 0
    .kernarg_segment_align: 8
    .kernarg_segment_size: 56
    .language:       OpenCL C
    .language_version:
      - 2
      - 0
    .max_flat_workgroup_size: 256
    .name:           _ZN7rocprim17ROCPRIM_400000_NS6detail17trampoline_kernelINS0_14default_configENS1_38merge_sort_block_merge_config_selectorIiNS0_10empty_typeEEEZZNS1_27merge_sort_block_merge_implIS3_N6thrust23THRUST_200600_302600_NS6detail15normal_iteratorINS9_10device_ptrIiEEEEPS5_m17evens_before_oddsEE10hipError_tT0_T1_T2_jT3_P12ihipStream_tbPNSt15iterator_traitsISI_E10value_typeEPNSO_ISJ_E10value_typeEPSK_NS1_7vsmem_tEENKUlT_SI_SJ_SK_E_clISE_PiSF_SF_EESH_SX_SI_SJ_SK_EUlSX_E1_NS1_11comp_targetILNS1_3genE8ELNS1_11target_archE1030ELNS1_3gpuE2ELNS1_3repE0EEENS1_36merge_oddeven_config_static_selectorELNS0_4arch9wavefront6targetE1EEEvSJ_
    .private_segment_fixed_size: 0
    .sgpr_count:     6
    .sgpr_spill_count: 0
    .symbol:         _ZN7rocprim17ROCPRIM_400000_NS6detail17trampoline_kernelINS0_14default_configENS1_38merge_sort_block_merge_config_selectorIiNS0_10empty_typeEEEZZNS1_27merge_sort_block_merge_implIS3_N6thrust23THRUST_200600_302600_NS6detail15normal_iteratorINS9_10device_ptrIiEEEEPS5_m17evens_before_oddsEE10hipError_tT0_T1_T2_jT3_P12ihipStream_tbPNSt15iterator_traitsISI_E10value_typeEPNSO_ISJ_E10value_typeEPSK_NS1_7vsmem_tEENKUlT_SI_SJ_SK_E_clISE_PiSF_SF_EESH_SX_SI_SJ_SK_EUlSX_E1_NS1_11comp_targetILNS1_3genE8ELNS1_11target_archE1030ELNS1_3gpuE2ELNS1_3repE0EEENS1_36merge_oddeven_config_static_selectorELNS0_4arch9wavefront6targetE1EEEvSJ_.kd
    .uniform_work_group_size: 1
    .uses_dynamic_stack: false
    .vgpr_count:     0
    .vgpr_spill_count: 0
    .wavefront_size: 64
  - .agpr_count:     0
    .args:
      - .offset:         0
        .size:           16
        .value_kind:     by_value
      - .offset:         16
        .size:           8
        .value_kind:     by_value
      - .offset:         24
        .size:           8
        .value_kind:     by_value
    .group_segment_fixed_size: 0
    .kernarg_segment_align: 8
    .kernarg_segment_size: 32
    .language:       OpenCL C
    .language_version:
      - 2
      - 0
    .max_flat_workgroup_size: 256
    .name:           _ZN6thrust23THRUST_200600_302600_NS11hip_rocprim14__parallel_for6kernelILj256ENS1_20__uninitialized_fill7functorINS0_10device_ptrIfEEfEEmLj1EEEvT0_T1_SA_
    .private_segment_fixed_size: 0
    .sgpr_count:     22
    .sgpr_spill_count: 0
    .symbol:         _ZN6thrust23THRUST_200600_302600_NS11hip_rocprim14__parallel_for6kernelILj256ENS1_20__uninitialized_fill7functorINS0_10device_ptrIfEEfEEmLj1EEEvT0_T1_SA_.kd
    .uniform_work_group_size: 1
    .uses_dynamic_stack: false
    .vgpr_count:     4
    .vgpr_spill_count: 0
    .wavefront_size: 64
  - .agpr_count:     0
    .args:
      - .offset:         0
        .size:           48
        .value_kind:     by_value
      - .offset:         48
        .size:           4
        .value_kind:     hidden_block_count_x
      - .offset:         52
        .size:           4
        .value_kind:     hidden_block_count_y
      - .offset:         56
        .size:           4
        .value_kind:     hidden_block_count_z
      - .offset:         60
        .size:           2
        .value_kind:     hidden_group_size_x
      - .offset:         62
        .size:           2
        .value_kind:     hidden_group_size_y
      - .offset:         64
        .size:           2
        .value_kind:     hidden_group_size_z
      - .offset:         66
        .size:           2
        .value_kind:     hidden_remainder_x
      - .offset:         68
        .size:           2
        .value_kind:     hidden_remainder_y
      - .offset:         70
        .size:           2
        .value_kind:     hidden_remainder_z
      - .offset:         88
        .size:           8
        .value_kind:     hidden_global_offset_x
      - .offset:         96
        .size:           8
        .value_kind:     hidden_global_offset_y
      - .offset:         104
        .size:           8
        .value_kind:     hidden_global_offset_z
      - .offset:         112
        .size:           2
        .value_kind:     hidden_grid_dims
    .group_segment_fixed_size: 4112
    .kernarg_segment_align: 8
    .kernarg_segment_size: 304
    .language:       OpenCL C
    .language_version:
      - 2
      - 0
    .max_flat_workgroup_size: 256
    .name:           _ZN7rocprim17ROCPRIM_400000_NS6detail17trampoline_kernelINS0_13kernel_configILj256ELj4ELj4294967295EEENS1_37radix_sort_block_sort_config_selectorIfNS0_10empty_typeEEEZNS1_21radix_sort_block_sortIS4_Lb0EN6thrust23THRUST_200600_302600_NS6detail15normal_iteratorINSA_10device_ptrIfEEEESF_PS6_SG_NS0_19identity_decomposerEEE10hipError_tT1_T2_T3_T4_jRjT5_jjP12ihipStream_tbEUlT_E_NS1_11comp_targetILNS1_3genE0ELNS1_11target_archE4294967295ELNS1_3gpuE0ELNS1_3repE0EEENS1_44radix_sort_block_sort_config_static_selectorELNS0_4arch9wavefront6targetE1EEEvSJ_
    .private_segment_fixed_size: 0
    .sgpr_count:     50
    .sgpr_spill_count: 0
    .symbol:         _ZN7rocprim17ROCPRIM_400000_NS6detail17trampoline_kernelINS0_13kernel_configILj256ELj4ELj4294967295EEENS1_37radix_sort_block_sort_config_selectorIfNS0_10empty_typeEEEZNS1_21radix_sort_block_sortIS4_Lb0EN6thrust23THRUST_200600_302600_NS6detail15normal_iteratorINSA_10device_ptrIfEEEESF_PS6_SG_NS0_19identity_decomposerEEE10hipError_tT1_T2_T3_T4_jRjT5_jjP12ihipStream_tbEUlT_E_NS1_11comp_targetILNS1_3genE0ELNS1_11target_archE4294967295ELNS1_3gpuE0ELNS1_3repE0EEENS1_44radix_sort_block_sort_config_static_selectorELNS0_4arch9wavefront6targetE1EEEvSJ_.kd
    .uniform_work_group_size: 1
    .uses_dynamic_stack: false
    .vgpr_count:     37
    .vgpr_spill_count: 0
    .wavefront_size: 64
  - .agpr_count:     0
    .args:
      - .offset:         0
        .size:           48
        .value_kind:     by_value
    .group_segment_fixed_size: 0
    .kernarg_segment_align: 8
    .kernarg_segment_size: 48
    .language:       OpenCL C
    .language_version:
      - 2
      - 0
    .max_flat_workgroup_size: 256
    .name:           _ZN7rocprim17ROCPRIM_400000_NS6detail17trampoline_kernelINS0_13kernel_configILj256ELj4ELj4294967295EEENS1_37radix_sort_block_sort_config_selectorIfNS0_10empty_typeEEEZNS1_21radix_sort_block_sortIS4_Lb0EN6thrust23THRUST_200600_302600_NS6detail15normal_iteratorINSA_10device_ptrIfEEEESF_PS6_SG_NS0_19identity_decomposerEEE10hipError_tT1_T2_T3_T4_jRjT5_jjP12ihipStream_tbEUlT_E_NS1_11comp_targetILNS1_3genE5ELNS1_11target_archE942ELNS1_3gpuE9ELNS1_3repE0EEENS1_44radix_sort_block_sort_config_static_selectorELNS0_4arch9wavefront6targetE1EEEvSJ_
    .private_segment_fixed_size: 0
    .sgpr_count:     6
    .sgpr_spill_count: 0
    .symbol:         _ZN7rocprim17ROCPRIM_400000_NS6detail17trampoline_kernelINS0_13kernel_configILj256ELj4ELj4294967295EEENS1_37radix_sort_block_sort_config_selectorIfNS0_10empty_typeEEEZNS1_21radix_sort_block_sortIS4_Lb0EN6thrust23THRUST_200600_302600_NS6detail15normal_iteratorINSA_10device_ptrIfEEEESF_PS6_SG_NS0_19identity_decomposerEEE10hipError_tT1_T2_T3_T4_jRjT5_jjP12ihipStream_tbEUlT_E_NS1_11comp_targetILNS1_3genE5ELNS1_11target_archE942ELNS1_3gpuE9ELNS1_3repE0EEENS1_44radix_sort_block_sort_config_static_selectorELNS0_4arch9wavefront6targetE1EEEvSJ_.kd
    .uniform_work_group_size: 1
    .uses_dynamic_stack: false
    .vgpr_count:     0
    .vgpr_spill_count: 0
    .wavefront_size: 64
  - .agpr_count:     0
    .args:
      - .offset:         0
        .size:           48
        .value_kind:     by_value
    .group_segment_fixed_size: 0
    .kernarg_segment_align: 8
    .kernarg_segment_size: 48
    .language:       OpenCL C
    .language_version:
      - 2
      - 0
    .max_flat_workgroup_size: 256
    .name:           _ZN7rocprim17ROCPRIM_400000_NS6detail17trampoline_kernelINS0_13kernel_configILj256ELj4ELj4294967295EEENS1_37radix_sort_block_sort_config_selectorIfNS0_10empty_typeEEEZNS1_21radix_sort_block_sortIS4_Lb0EN6thrust23THRUST_200600_302600_NS6detail15normal_iteratorINSA_10device_ptrIfEEEESF_PS6_SG_NS0_19identity_decomposerEEE10hipError_tT1_T2_T3_T4_jRjT5_jjP12ihipStream_tbEUlT_E_NS1_11comp_targetILNS1_3genE4ELNS1_11target_archE910ELNS1_3gpuE8ELNS1_3repE0EEENS1_44radix_sort_block_sort_config_static_selectorELNS0_4arch9wavefront6targetE1EEEvSJ_
    .private_segment_fixed_size: 0
    .sgpr_count:     6
    .sgpr_spill_count: 0
    .symbol:         _ZN7rocprim17ROCPRIM_400000_NS6detail17trampoline_kernelINS0_13kernel_configILj256ELj4ELj4294967295EEENS1_37radix_sort_block_sort_config_selectorIfNS0_10empty_typeEEEZNS1_21radix_sort_block_sortIS4_Lb0EN6thrust23THRUST_200600_302600_NS6detail15normal_iteratorINSA_10device_ptrIfEEEESF_PS6_SG_NS0_19identity_decomposerEEE10hipError_tT1_T2_T3_T4_jRjT5_jjP12ihipStream_tbEUlT_E_NS1_11comp_targetILNS1_3genE4ELNS1_11target_archE910ELNS1_3gpuE8ELNS1_3repE0EEENS1_44radix_sort_block_sort_config_static_selectorELNS0_4arch9wavefront6targetE1EEEvSJ_.kd
    .uniform_work_group_size: 1
    .uses_dynamic_stack: false
    .vgpr_count:     0
    .vgpr_spill_count: 0
    .wavefront_size: 64
  - .agpr_count:     0
    .args:
      - .offset:         0
        .size:           48
        .value_kind:     by_value
    .group_segment_fixed_size: 0
    .kernarg_segment_align: 8
    .kernarg_segment_size: 48
    .language:       OpenCL C
    .language_version:
      - 2
      - 0
    .max_flat_workgroup_size: 256
    .name:           _ZN7rocprim17ROCPRIM_400000_NS6detail17trampoline_kernelINS0_13kernel_configILj256ELj4ELj4294967295EEENS1_37radix_sort_block_sort_config_selectorIfNS0_10empty_typeEEEZNS1_21radix_sort_block_sortIS4_Lb0EN6thrust23THRUST_200600_302600_NS6detail15normal_iteratorINSA_10device_ptrIfEEEESF_PS6_SG_NS0_19identity_decomposerEEE10hipError_tT1_T2_T3_T4_jRjT5_jjP12ihipStream_tbEUlT_E_NS1_11comp_targetILNS1_3genE3ELNS1_11target_archE908ELNS1_3gpuE7ELNS1_3repE0EEENS1_44radix_sort_block_sort_config_static_selectorELNS0_4arch9wavefront6targetE1EEEvSJ_
    .private_segment_fixed_size: 0
    .sgpr_count:     6
    .sgpr_spill_count: 0
    .symbol:         _ZN7rocprim17ROCPRIM_400000_NS6detail17trampoline_kernelINS0_13kernel_configILj256ELj4ELj4294967295EEENS1_37radix_sort_block_sort_config_selectorIfNS0_10empty_typeEEEZNS1_21radix_sort_block_sortIS4_Lb0EN6thrust23THRUST_200600_302600_NS6detail15normal_iteratorINSA_10device_ptrIfEEEESF_PS6_SG_NS0_19identity_decomposerEEE10hipError_tT1_T2_T3_T4_jRjT5_jjP12ihipStream_tbEUlT_E_NS1_11comp_targetILNS1_3genE3ELNS1_11target_archE908ELNS1_3gpuE7ELNS1_3repE0EEENS1_44radix_sort_block_sort_config_static_selectorELNS0_4arch9wavefront6targetE1EEEvSJ_.kd
    .uniform_work_group_size: 1
    .uses_dynamic_stack: false
    .vgpr_count:     0
    .vgpr_spill_count: 0
    .wavefront_size: 64
  - .agpr_count:     0
    .args:
      - .offset:         0
        .size:           48
        .value_kind:     by_value
    .group_segment_fixed_size: 0
    .kernarg_segment_align: 8
    .kernarg_segment_size: 48
    .language:       OpenCL C
    .language_version:
      - 2
      - 0
    .max_flat_workgroup_size: 256
    .name:           _ZN7rocprim17ROCPRIM_400000_NS6detail17trampoline_kernelINS0_13kernel_configILj256ELj4ELj4294967295EEENS1_37radix_sort_block_sort_config_selectorIfNS0_10empty_typeEEEZNS1_21radix_sort_block_sortIS4_Lb0EN6thrust23THRUST_200600_302600_NS6detail15normal_iteratorINSA_10device_ptrIfEEEESF_PS6_SG_NS0_19identity_decomposerEEE10hipError_tT1_T2_T3_T4_jRjT5_jjP12ihipStream_tbEUlT_E_NS1_11comp_targetILNS1_3genE2ELNS1_11target_archE906ELNS1_3gpuE6ELNS1_3repE0EEENS1_44radix_sort_block_sort_config_static_selectorELNS0_4arch9wavefront6targetE1EEEvSJ_
    .private_segment_fixed_size: 0
    .sgpr_count:     6
    .sgpr_spill_count: 0
    .symbol:         _ZN7rocprim17ROCPRIM_400000_NS6detail17trampoline_kernelINS0_13kernel_configILj256ELj4ELj4294967295EEENS1_37radix_sort_block_sort_config_selectorIfNS0_10empty_typeEEEZNS1_21radix_sort_block_sortIS4_Lb0EN6thrust23THRUST_200600_302600_NS6detail15normal_iteratorINSA_10device_ptrIfEEEESF_PS6_SG_NS0_19identity_decomposerEEE10hipError_tT1_T2_T3_T4_jRjT5_jjP12ihipStream_tbEUlT_E_NS1_11comp_targetILNS1_3genE2ELNS1_11target_archE906ELNS1_3gpuE6ELNS1_3repE0EEENS1_44radix_sort_block_sort_config_static_selectorELNS0_4arch9wavefront6targetE1EEEvSJ_.kd
    .uniform_work_group_size: 1
    .uses_dynamic_stack: false
    .vgpr_count:     0
    .vgpr_spill_count: 0
    .wavefront_size: 64
  - .agpr_count:     0
    .args:
      - .offset:         0
        .size:           48
        .value_kind:     by_value
    .group_segment_fixed_size: 0
    .kernarg_segment_align: 8
    .kernarg_segment_size: 48
    .language:       OpenCL C
    .language_version:
      - 2
      - 0
    .max_flat_workgroup_size: 256
    .name:           _ZN7rocprim17ROCPRIM_400000_NS6detail17trampoline_kernelINS0_13kernel_configILj256ELj4ELj4294967295EEENS1_37radix_sort_block_sort_config_selectorIfNS0_10empty_typeEEEZNS1_21radix_sort_block_sortIS4_Lb0EN6thrust23THRUST_200600_302600_NS6detail15normal_iteratorINSA_10device_ptrIfEEEESF_PS6_SG_NS0_19identity_decomposerEEE10hipError_tT1_T2_T3_T4_jRjT5_jjP12ihipStream_tbEUlT_E_NS1_11comp_targetILNS1_3genE10ELNS1_11target_archE1201ELNS1_3gpuE5ELNS1_3repE0EEENS1_44radix_sort_block_sort_config_static_selectorELNS0_4arch9wavefront6targetE1EEEvSJ_
    .private_segment_fixed_size: 0
    .sgpr_count:     6
    .sgpr_spill_count: 0
    .symbol:         _ZN7rocprim17ROCPRIM_400000_NS6detail17trampoline_kernelINS0_13kernel_configILj256ELj4ELj4294967295EEENS1_37radix_sort_block_sort_config_selectorIfNS0_10empty_typeEEEZNS1_21radix_sort_block_sortIS4_Lb0EN6thrust23THRUST_200600_302600_NS6detail15normal_iteratorINSA_10device_ptrIfEEEESF_PS6_SG_NS0_19identity_decomposerEEE10hipError_tT1_T2_T3_T4_jRjT5_jjP12ihipStream_tbEUlT_E_NS1_11comp_targetILNS1_3genE10ELNS1_11target_archE1201ELNS1_3gpuE5ELNS1_3repE0EEENS1_44radix_sort_block_sort_config_static_selectorELNS0_4arch9wavefront6targetE1EEEvSJ_.kd
    .uniform_work_group_size: 1
    .uses_dynamic_stack: false
    .vgpr_count:     0
    .vgpr_spill_count: 0
    .wavefront_size: 64
  - .agpr_count:     0
    .args:
      - .offset:         0
        .size:           48
        .value_kind:     by_value
    .group_segment_fixed_size: 0
    .kernarg_segment_align: 8
    .kernarg_segment_size: 48
    .language:       OpenCL C
    .language_version:
      - 2
      - 0
    .max_flat_workgroup_size: 256
    .name:           _ZN7rocprim17ROCPRIM_400000_NS6detail17trampoline_kernelINS0_13kernel_configILj256ELj4ELj4294967295EEENS1_37radix_sort_block_sort_config_selectorIfNS0_10empty_typeEEEZNS1_21radix_sort_block_sortIS4_Lb0EN6thrust23THRUST_200600_302600_NS6detail15normal_iteratorINSA_10device_ptrIfEEEESF_PS6_SG_NS0_19identity_decomposerEEE10hipError_tT1_T2_T3_T4_jRjT5_jjP12ihipStream_tbEUlT_E_NS1_11comp_targetILNS1_3genE10ELNS1_11target_archE1200ELNS1_3gpuE4ELNS1_3repE0EEENS1_44radix_sort_block_sort_config_static_selectorELNS0_4arch9wavefront6targetE1EEEvSJ_
    .private_segment_fixed_size: 0
    .sgpr_count:     6
    .sgpr_spill_count: 0
    .symbol:         _ZN7rocprim17ROCPRIM_400000_NS6detail17trampoline_kernelINS0_13kernel_configILj256ELj4ELj4294967295EEENS1_37radix_sort_block_sort_config_selectorIfNS0_10empty_typeEEEZNS1_21radix_sort_block_sortIS4_Lb0EN6thrust23THRUST_200600_302600_NS6detail15normal_iteratorINSA_10device_ptrIfEEEESF_PS6_SG_NS0_19identity_decomposerEEE10hipError_tT1_T2_T3_T4_jRjT5_jjP12ihipStream_tbEUlT_E_NS1_11comp_targetILNS1_3genE10ELNS1_11target_archE1200ELNS1_3gpuE4ELNS1_3repE0EEENS1_44radix_sort_block_sort_config_static_selectorELNS0_4arch9wavefront6targetE1EEEvSJ_.kd
    .uniform_work_group_size: 1
    .uses_dynamic_stack: false
    .vgpr_count:     0
    .vgpr_spill_count: 0
    .wavefront_size: 64
  - .agpr_count:     0
    .args:
      - .offset:         0
        .size:           48
        .value_kind:     by_value
    .group_segment_fixed_size: 0
    .kernarg_segment_align: 8
    .kernarg_segment_size: 48
    .language:       OpenCL C
    .language_version:
      - 2
      - 0
    .max_flat_workgroup_size: 256
    .name:           _ZN7rocprim17ROCPRIM_400000_NS6detail17trampoline_kernelINS0_13kernel_configILj256ELj4ELj4294967295EEENS1_37radix_sort_block_sort_config_selectorIfNS0_10empty_typeEEEZNS1_21radix_sort_block_sortIS4_Lb0EN6thrust23THRUST_200600_302600_NS6detail15normal_iteratorINSA_10device_ptrIfEEEESF_PS6_SG_NS0_19identity_decomposerEEE10hipError_tT1_T2_T3_T4_jRjT5_jjP12ihipStream_tbEUlT_E_NS1_11comp_targetILNS1_3genE9ELNS1_11target_archE1100ELNS1_3gpuE3ELNS1_3repE0EEENS1_44radix_sort_block_sort_config_static_selectorELNS0_4arch9wavefront6targetE1EEEvSJ_
    .private_segment_fixed_size: 0
    .sgpr_count:     6
    .sgpr_spill_count: 0
    .symbol:         _ZN7rocprim17ROCPRIM_400000_NS6detail17trampoline_kernelINS0_13kernel_configILj256ELj4ELj4294967295EEENS1_37radix_sort_block_sort_config_selectorIfNS0_10empty_typeEEEZNS1_21radix_sort_block_sortIS4_Lb0EN6thrust23THRUST_200600_302600_NS6detail15normal_iteratorINSA_10device_ptrIfEEEESF_PS6_SG_NS0_19identity_decomposerEEE10hipError_tT1_T2_T3_T4_jRjT5_jjP12ihipStream_tbEUlT_E_NS1_11comp_targetILNS1_3genE9ELNS1_11target_archE1100ELNS1_3gpuE3ELNS1_3repE0EEENS1_44radix_sort_block_sort_config_static_selectorELNS0_4arch9wavefront6targetE1EEEvSJ_.kd
    .uniform_work_group_size: 1
    .uses_dynamic_stack: false
    .vgpr_count:     0
    .vgpr_spill_count: 0
    .wavefront_size: 64
  - .agpr_count:     0
    .args:
      - .offset:         0
        .size:           48
        .value_kind:     by_value
    .group_segment_fixed_size: 0
    .kernarg_segment_align: 8
    .kernarg_segment_size: 48
    .language:       OpenCL C
    .language_version:
      - 2
      - 0
    .max_flat_workgroup_size: 256
    .name:           _ZN7rocprim17ROCPRIM_400000_NS6detail17trampoline_kernelINS0_13kernel_configILj256ELj4ELj4294967295EEENS1_37radix_sort_block_sort_config_selectorIfNS0_10empty_typeEEEZNS1_21radix_sort_block_sortIS4_Lb0EN6thrust23THRUST_200600_302600_NS6detail15normal_iteratorINSA_10device_ptrIfEEEESF_PS6_SG_NS0_19identity_decomposerEEE10hipError_tT1_T2_T3_T4_jRjT5_jjP12ihipStream_tbEUlT_E_NS1_11comp_targetILNS1_3genE8ELNS1_11target_archE1030ELNS1_3gpuE2ELNS1_3repE0EEENS1_44radix_sort_block_sort_config_static_selectorELNS0_4arch9wavefront6targetE1EEEvSJ_
    .private_segment_fixed_size: 0
    .sgpr_count:     6
    .sgpr_spill_count: 0
    .symbol:         _ZN7rocprim17ROCPRIM_400000_NS6detail17trampoline_kernelINS0_13kernel_configILj256ELj4ELj4294967295EEENS1_37radix_sort_block_sort_config_selectorIfNS0_10empty_typeEEEZNS1_21radix_sort_block_sortIS4_Lb0EN6thrust23THRUST_200600_302600_NS6detail15normal_iteratorINSA_10device_ptrIfEEEESF_PS6_SG_NS0_19identity_decomposerEEE10hipError_tT1_T2_T3_T4_jRjT5_jjP12ihipStream_tbEUlT_E_NS1_11comp_targetILNS1_3genE8ELNS1_11target_archE1030ELNS1_3gpuE2ELNS1_3repE0EEENS1_44radix_sort_block_sort_config_static_selectorELNS0_4arch9wavefront6targetE1EEEvSJ_.kd
    .uniform_work_group_size: 1
    .uses_dynamic_stack: false
    .vgpr_count:     0
    .vgpr_spill_count: 0
    .wavefront_size: 64
  - .agpr_count:     0
    .args:           []
    .group_segment_fixed_size: 0
    .kernarg_segment_align: 4
    .kernarg_segment_size: 0
    .language:       OpenCL C
    .language_version:
      - 2
      - 0
    .max_flat_workgroup_size: 1024
    .name:           _ZN7rocprim17ROCPRIM_400000_NS6detail44device_merge_sort_compile_time_verifier_archINS1_11comp_targetILNS1_3genE0ELNS1_11target_archE4294967295ELNS1_3gpuE0ELNS1_3repE0EEES8_NS1_28merge_sort_block_sort_configILj256ELj4ELNS0_20block_sort_algorithmE0EEENS0_14default_configENS1_37merge_sort_block_sort_config_selectorIfNS0_10empty_typeEEENS1_38merge_sort_block_merge_config_selectorIfSE_EEEEvv
    .private_segment_fixed_size: 0
    .sgpr_count:     6
    .sgpr_spill_count: 0
    .symbol:         _ZN7rocprim17ROCPRIM_400000_NS6detail44device_merge_sort_compile_time_verifier_archINS1_11comp_targetILNS1_3genE0ELNS1_11target_archE4294967295ELNS1_3gpuE0ELNS1_3repE0EEES8_NS1_28merge_sort_block_sort_configILj256ELj4ELNS0_20block_sort_algorithmE0EEENS0_14default_configENS1_37merge_sort_block_sort_config_selectorIfNS0_10empty_typeEEENS1_38merge_sort_block_merge_config_selectorIfSE_EEEEvv.kd
    .uniform_work_group_size: 1
    .uses_dynamic_stack: false
    .vgpr_count:     0
    .vgpr_spill_count: 0
    .wavefront_size: 64
  - .agpr_count:     0
    .args:           []
    .group_segment_fixed_size: 0
    .kernarg_segment_align: 4
    .kernarg_segment_size: 0
    .language:       OpenCL C
    .language_version:
      - 2
      - 0
    .max_flat_workgroup_size: 1024
    .name:           _ZN7rocprim17ROCPRIM_400000_NS6detail44device_merge_sort_compile_time_verifier_archINS1_11comp_targetILNS1_3genE5ELNS1_11target_archE942ELNS1_3gpuE9ELNS1_3repE0EEES8_NS1_28merge_sort_block_sort_configILj256ELj4ELNS0_20block_sort_algorithmE0EEENS0_14default_configENS1_37merge_sort_block_sort_config_selectorIfNS0_10empty_typeEEENS1_38merge_sort_block_merge_config_selectorIfSE_EEEEvv
    .private_segment_fixed_size: 0
    .sgpr_count:     6
    .sgpr_spill_count: 0
    .symbol:         _ZN7rocprim17ROCPRIM_400000_NS6detail44device_merge_sort_compile_time_verifier_archINS1_11comp_targetILNS1_3genE5ELNS1_11target_archE942ELNS1_3gpuE9ELNS1_3repE0EEES8_NS1_28merge_sort_block_sort_configILj256ELj4ELNS0_20block_sort_algorithmE0EEENS0_14default_configENS1_37merge_sort_block_sort_config_selectorIfNS0_10empty_typeEEENS1_38merge_sort_block_merge_config_selectorIfSE_EEEEvv.kd
    .uniform_work_group_size: 1
    .uses_dynamic_stack: false
    .vgpr_count:     0
    .vgpr_spill_count: 0
    .wavefront_size: 64
  - .agpr_count:     0
    .args:           []
    .group_segment_fixed_size: 0
    .kernarg_segment_align: 4
    .kernarg_segment_size: 0
    .language:       OpenCL C
    .language_version:
      - 2
      - 0
    .max_flat_workgroup_size: 1024
    .name:           _ZN7rocprim17ROCPRIM_400000_NS6detail44device_merge_sort_compile_time_verifier_archINS1_11comp_targetILNS1_3genE4ELNS1_11target_archE910ELNS1_3gpuE8ELNS1_3repE0EEES8_NS1_28merge_sort_block_sort_configILj256ELj4ELNS0_20block_sort_algorithmE0EEENS0_14default_configENS1_37merge_sort_block_sort_config_selectorIfNS0_10empty_typeEEENS1_38merge_sort_block_merge_config_selectorIfSE_EEEEvv
    .private_segment_fixed_size: 0
    .sgpr_count:     6
    .sgpr_spill_count: 0
    .symbol:         _ZN7rocprim17ROCPRIM_400000_NS6detail44device_merge_sort_compile_time_verifier_archINS1_11comp_targetILNS1_3genE4ELNS1_11target_archE910ELNS1_3gpuE8ELNS1_3repE0EEES8_NS1_28merge_sort_block_sort_configILj256ELj4ELNS0_20block_sort_algorithmE0EEENS0_14default_configENS1_37merge_sort_block_sort_config_selectorIfNS0_10empty_typeEEENS1_38merge_sort_block_merge_config_selectorIfSE_EEEEvv.kd
    .uniform_work_group_size: 1
    .uses_dynamic_stack: false
    .vgpr_count:     0
    .vgpr_spill_count: 0
    .wavefront_size: 64
  - .agpr_count:     0
    .args:           []
    .group_segment_fixed_size: 0
    .kernarg_segment_align: 4
    .kernarg_segment_size: 0
    .language:       OpenCL C
    .language_version:
      - 2
      - 0
    .max_flat_workgroup_size: 1024
    .name:           _ZN7rocprim17ROCPRIM_400000_NS6detail44device_merge_sort_compile_time_verifier_archINS1_11comp_targetILNS1_3genE3ELNS1_11target_archE908ELNS1_3gpuE7ELNS1_3repE0EEES8_NS1_28merge_sort_block_sort_configILj256ELj4ELNS0_20block_sort_algorithmE0EEENS0_14default_configENS1_37merge_sort_block_sort_config_selectorIfNS0_10empty_typeEEENS1_38merge_sort_block_merge_config_selectorIfSE_EEEEvv
    .private_segment_fixed_size: 0
    .sgpr_count:     6
    .sgpr_spill_count: 0
    .symbol:         _ZN7rocprim17ROCPRIM_400000_NS6detail44device_merge_sort_compile_time_verifier_archINS1_11comp_targetILNS1_3genE3ELNS1_11target_archE908ELNS1_3gpuE7ELNS1_3repE0EEES8_NS1_28merge_sort_block_sort_configILj256ELj4ELNS0_20block_sort_algorithmE0EEENS0_14default_configENS1_37merge_sort_block_sort_config_selectorIfNS0_10empty_typeEEENS1_38merge_sort_block_merge_config_selectorIfSE_EEEEvv.kd
    .uniform_work_group_size: 1
    .uses_dynamic_stack: false
    .vgpr_count:     0
    .vgpr_spill_count: 0
    .wavefront_size: 64
  - .agpr_count:     0
    .args:           []
    .group_segment_fixed_size: 0
    .kernarg_segment_align: 4
    .kernarg_segment_size: 0
    .language:       OpenCL C
    .language_version:
      - 2
      - 0
    .max_flat_workgroup_size: 1024
    .name:           _ZN7rocprim17ROCPRIM_400000_NS6detail44device_merge_sort_compile_time_verifier_archINS1_11comp_targetILNS1_3genE2ELNS1_11target_archE906ELNS1_3gpuE6ELNS1_3repE0EEES8_NS1_28merge_sort_block_sort_configILj256ELj4ELNS0_20block_sort_algorithmE0EEENS0_14default_configENS1_37merge_sort_block_sort_config_selectorIfNS0_10empty_typeEEENS1_38merge_sort_block_merge_config_selectorIfSE_EEEEvv
    .private_segment_fixed_size: 0
    .sgpr_count:     6
    .sgpr_spill_count: 0
    .symbol:         _ZN7rocprim17ROCPRIM_400000_NS6detail44device_merge_sort_compile_time_verifier_archINS1_11comp_targetILNS1_3genE2ELNS1_11target_archE906ELNS1_3gpuE6ELNS1_3repE0EEES8_NS1_28merge_sort_block_sort_configILj256ELj4ELNS0_20block_sort_algorithmE0EEENS0_14default_configENS1_37merge_sort_block_sort_config_selectorIfNS0_10empty_typeEEENS1_38merge_sort_block_merge_config_selectorIfSE_EEEEvv.kd
    .uniform_work_group_size: 1
    .uses_dynamic_stack: false
    .vgpr_count:     0
    .vgpr_spill_count: 0
    .wavefront_size: 64
  - .agpr_count:     0
    .args:           []
    .group_segment_fixed_size: 0
    .kernarg_segment_align: 4
    .kernarg_segment_size: 0
    .language:       OpenCL C
    .language_version:
      - 2
      - 0
    .max_flat_workgroup_size: 1024
    .name:           _ZN7rocprim17ROCPRIM_400000_NS6detail44device_merge_sort_compile_time_verifier_archINS1_11comp_targetILNS1_3genE10ELNS1_11target_archE1201ELNS1_3gpuE5ELNS1_3repE0EEES8_NS1_28merge_sort_block_sort_configILj256ELj4ELNS0_20block_sort_algorithmE0EEENS0_14default_configENS1_37merge_sort_block_sort_config_selectorIfNS0_10empty_typeEEENS1_38merge_sort_block_merge_config_selectorIfSE_EEEEvv
    .private_segment_fixed_size: 0
    .sgpr_count:     6
    .sgpr_spill_count: 0
    .symbol:         _ZN7rocprim17ROCPRIM_400000_NS6detail44device_merge_sort_compile_time_verifier_archINS1_11comp_targetILNS1_3genE10ELNS1_11target_archE1201ELNS1_3gpuE5ELNS1_3repE0EEES8_NS1_28merge_sort_block_sort_configILj256ELj4ELNS0_20block_sort_algorithmE0EEENS0_14default_configENS1_37merge_sort_block_sort_config_selectorIfNS0_10empty_typeEEENS1_38merge_sort_block_merge_config_selectorIfSE_EEEEvv.kd
    .uniform_work_group_size: 1
    .uses_dynamic_stack: false
    .vgpr_count:     0
    .vgpr_spill_count: 0
    .wavefront_size: 64
  - .agpr_count:     0
    .args:           []
    .group_segment_fixed_size: 0
    .kernarg_segment_align: 4
    .kernarg_segment_size: 0
    .language:       OpenCL C
    .language_version:
      - 2
      - 0
    .max_flat_workgroup_size: 1024
    .name:           _ZN7rocprim17ROCPRIM_400000_NS6detail44device_merge_sort_compile_time_verifier_archINS1_11comp_targetILNS1_3genE10ELNS1_11target_archE1200ELNS1_3gpuE4ELNS1_3repE0EEENS3_ILS4_10ELS5_1201ELS6_5ELS7_0EEENS1_28merge_sort_block_sort_configILj256ELj4ELNS0_20block_sort_algorithmE0EEENS0_14default_configENS1_37merge_sort_block_sort_config_selectorIfNS0_10empty_typeEEENS1_38merge_sort_block_merge_config_selectorIfSF_EEEEvv
    .private_segment_fixed_size: 0
    .sgpr_count:     6
    .sgpr_spill_count: 0
    .symbol:         _ZN7rocprim17ROCPRIM_400000_NS6detail44device_merge_sort_compile_time_verifier_archINS1_11comp_targetILNS1_3genE10ELNS1_11target_archE1200ELNS1_3gpuE4ELNS1_3repE0EEENS3_ILS4_10ELS5_1201ELS6_5ELS7_0EEENS1_28merge_sort_block_sort_configILj256ELj4ELNS0_20block_sort_algorithmE0EEENS0_14default_configENS1_37merge_sort_block_sort_config_selectorIfNS0_10empty_typeEEENS1_38merge_sort_block_merge_config_selectorIfSF_EEEEvv.kd
    .uniform_work_group_size: 1
    .uses_dynamic_stack: false
    .vgpr_count:     0
    .vgpr_spill_count: 0
    .wavefront_size: 64
  - .agpr_count:     0
    .args:           []
    .group_segment_fixed_size: 0
    .kernarg_segment_align: 4
    .kernarg_segment_size: 0
    .language:       OpenCL C
    .language_version:
      - 2
      - 0
    .max_flat_workgroup_size: 1024
    .name:           _ZN7rocprim17ROCPRIM_400000_NS6detail44device_merge_sort_compile_time_verifier_archINS1_11comp_targetILNS1_3genE9ELNS1_11target_archE1100ELNS1_3gpuE3ELNS1_3repE0EEES8_NS1_28merge_sort_block_sort_configILj256ELj4ELNS0_20block_sort_algorithmE0EEENS0_14default_configENS1_37merge_sort_block_sort_config_selectorIfNS0_10empty_typeEEENS1_38merge_sort_block_merge_config_selectorIfSE_EEEEvv
    .private_segment_fixed_size: 0
    .sgpr_count:     6
    .sgpr_spill_count: 0
    .symbol:         _ZN7rocprim17ROCPRIM_400000_NS6detail44device_merge_sort_compile_time_verifier_archINS1_11comp_targetILNS1_3genE9ELNS1_11target_archE1100ELNS1_3gpuE3ELNS1_3repE0EEES8_NS1_28merge_sort_block_sort_configILj256ELj4ELNS0_20block_sort_algorithmE0EEENS0_14default_configENS1_37merge_sort_block_sort_config_selectorIfNS0_10empty_typeEEENS1_38merge_sort_block_merge_config_selectorIfSE_EEEEvv.kd
    .uniform_work_group_size: 1
    .uses_dynamic_stack: false
    .vgpr_count:     0
    .vgpr_spill_count: 0
    .wavefront_size: 64
  - .agpr_count:     0
    .args:           []
    .group_segment_fixed_size: 0
    .kernarg_segment_align: 4
    .kernarg_segment_size: 0
    .language:       OpenCL C
    .language_version:
      - 2
      - 0
    .max_flat_workgroup_size: 1024
    .name:           _ZN7rocprim17ROCPRIM_400000_NS6detail44device_merge_sort_compile_time_verifier_archINS1_11comp_targetILNS1_3genE8ELNS1_11target_archE1030ELNS1_3gpuE2ELNS1_3repE0EEES8_NS1_28merge_sort_block_sort_configILj256ELj4ELNS0_20block_sort_algorithmE0EEENS0_14default_configENS1_37merge_sort_block_sort_config_selectorIfNS0_10empty_typeEEENS1_38merge_sort_block_merge_config_selectorIfSE_EEEEvv
    .private_segment_fixed_size: 0
    .sgpr_count:     6
    .sgpr_spill_count: 0
    .symbol:         _ZN7rocprim17ROCPRIM_400000_NS6detail44device_merge_sort_compile_time_verifier_archINS1_11comp_targetILNS1_3genE8ELNS1_11target_archE1030ELNS1_3gpuE2ELNS1_3repE0EEES8_NS1_28merge_sort_block_sort_configILj256ELj4ELNS0_20block_sort_algorithmE0EEENS0_14default_configENS1_37merge_sort_block_sort_config_selectorIfNS0_10empty_typeEEENS1_38merge_sort_block_merge_config_selectorIfSE_EEEEvv.kd
    .uniform_work_group_size: 1
    .uses_dynamic_stack: false
    .vgpr_count:     0
    .vgpr_spill_count: 0
    .wavefront_size: 64
  - .agpr_count:     0
    .args:
      - .offset:         0
        .size:           40
        .value_kind:     by_value
    .group_segment_fixed_size: 0
    .kernarg_segment_align: 8
    .kernarg_segment_size: 40
    .language:       OpenCL C
    .language_version:
      - 2
      - 0
    .max_flat_workgroup_size: 128
    .name:           _ZN7rocprim17ROCPRIM_400000_NS6detail17trampoline_kernelINS0_14default_configENS1_38merge_sort_block_merge_config_selectorIfNS0_10empty_typeEEEZZNS1_27merge_sort_block_merge_implIS3_N6thrust23THRUST_200600_302600_NS6detail15normal_iteratorINS9_10device_ptrIfEEEEPS5_jNS1_19radix_merge_compareILb0ELb0EfNS0_19identity_decomposerEEEEE10hipError_tT0_T1_T2_jT3_P12ihipStream_tbPNSt15iterator_traitsISK_E10value_typeEPNSQ_ISL_E10value_typeEPSM_NS1_7vsmem_tEENKUlT_SK_SL_SM_E_clIPfSE_SF_SF_EESJ_SZ_SK_SL_SM_EUlSZ_E_NS1_11comp_targetILNS1_3genE0ELNS1_11target_archE4294967295ELNS1_3gpuE0ELNS1_3repE0EEENS1_48merge_mergepath_partition_config_static_selectorELNS0_4arch9wavefront6targetE1EEEvSL_
    .private_segment_fixed_size: 0
    .sgpr_count:     14
    .sgpr_spill_count: 0
    .symbol:         _ZN7rocprim17ROCPRIM_400000_NS6detail17trampoline_kernelINS0_14default_configENS1_38merge_sort_block_merge_config_selectorIfNS0_10empty_typeEEEZZNS1_27merge_sort_block_merge_implIS3_N6thrust23THRUST_200600_302600_NS6detail15normal_iteratorINS9_10device_ptrIfEEEEPS5_jNS1_19radix_merge_compareILb0ELb0EfNS0_19identity_decomposerEEEEE10hipError_tT0_T1_T2_jT3_P12ihipStream_tbPNSt15iterator_traitsISK_E10value_typeEPNSQ_ISL_E10value_typeEPSM_NS1_7vsmem_tEENKUlT_SK_SL_SM_E_clIPfSE_SF_SF_EESJ_SZ_SK_SL_SM_EUlSZ_E_NS1_11comp_targetILNS1_3genE0ELNS1_11target_archE4294967295ELNS1_3gpuE0ELNS1_3repE0EEENS1_48merge_mergepath_partition_config_static_selectorELNS0_4arch9wavefront6targetE1EEEvSL_.kd
    .uniform_work_group_size: 1
    .uses_dynamic_stack: false
    .vgpr_count:     18
    .vgpr_spill_count: 0
    .wavefront_size: 64
  - .agpr_count:     0
    .args:
      - .offset:         0
        .size:           40
        .value_kind:     by_value
    .group_segment_fixed_size: 0
    .kernarg_segment_align: 8
    .kernarg_segment_size: 40
    .language:       OpenCL C
    .language_version:
      - 2
      - 0
    .max_flat_workgroup_size: 128
    .name:           _ZN7rocprim17ROCPRIM_400000_NS6detail17trampoline_kernelINS0_14default_configENS1_38merge_sort_block_merge_config_selectorIfNS0_10empty_typeEEEZZNS1_27merge_sort_block_merge_implIS3_N6thrust23THRUST_200600_302600_NS6detail15normal_iteratorINS9_10device_ptrIfEEEEPS5_jNS1_19radix_merge_compareILb0ELb0EfNS0_19identity_decomposerEEEEE10hipError_tT0_T1_T2_jT3_P12ihipStream_tbPNSt15iterator_traitsISK_E10value_typeEPNSQ_ISL_E10value_typeEPSM_NS1_7vsmem_tEENKUlT_SK_SL_SM_E_clIPfSE_SF_SF_EESJ_SZ_SK_SL_SM_EUlSZ_E_NS1_11comp_targetILNS1_3genE10ELNS1_11target_archE1201ELNS1_3gpuE5ELNS1_3repE0EEENS1_48merge_mergepath_partition_config_static_selectorELNS0_4arch9wavefront6targetE1EEEvSL_
    .private_segment_fixed_size: 0
    .sgpr_count:     6
    .sgpr_spill_count: 0
    .symbol:         _ZN7rocprim17ROCPRIM_400000_NS6detail17trampoline_kernelINS0_14default_configENS1_38merge_sort_block_merge_config_selectorIfNS0_10empty_typeEEEZZNS1_27merge_sort_block_merge_implIS3_N6thrust23THRUST_200600_302600_NS6detail15normal_iteratorINS9_10device_ptrIfEEEEPS5_jNS1_19radix_merge_compareILb0ELb0EfNS0_19identity_decomposerEEEEE10hipError_tT0_T1_T2_jT3_P12ihipStream_tbPNSt15iterator_traitsISK_E10value_typeEPNSQ_ISL_E10value_typeEPSM_NS1_7vsmem_tEENKUlT_SK_SL_SM_E_clIPfSE_SF_SF_EESJ_SZ_SK_SL_SM_EUlSZ_E_NS1_11comp_targetILNS1_3genE10ELNS1_11target_archE1201ELNS1_3gpuE5ELNS1_3repE0EEENS1_48merge_mergepath_partition_config_static_selectorELNS0_4arch9wavefront6targetE1EEEvSL_.kd
    .uniform_work_group_size: 1
    .uses_dynamic_stack: false
    .vgpr_count:     0
    .vgpr_spill_count: 0
    .wavefront_size: 64
  - .agpr_count:     0
    .args:
      - .offset:         0
        .size:           40
        .value_kind:     by_value
    .group_segment_fixed_size: 0
    .kernarg_segment_align: 8
    .kernarg_segment_size: 40
    .language:       OpenCL C
    .language_version:
      - 2
      - 0
    .max_flat_workgroup_size: 128
    .name:           _ZN7rocprim17ROCPRIM_400000_NS6detail17trampoline_kernelINS0_14default_configENS1_38merge_sort_block_merge_config_selectorIfNS0_10empty_typeEEEZZNS1_27merge_sort_block_merge_implIS3_N6thrust23THRUST_200600_302600_NS6detail15normal_iteratorINS9_10device_ptrIfEEEEPS5_jNS1_19radix_merge_compareILb0ELb0EfNS0_19identity_decomposerEEEEE10hipError_tT0_T1_T2_jT3_P12ihipStream_tbPNSt15iterator_traitsISK_E10value_typeEPNSQ_ISL_E10value_typeEPSM_NS1_7vsmem_tEENKUlT_SK_SL_SM_E_clIPfSE_SF_SF_EESJ_SZ_SK_SL_SM_EUlSZ_E_NS1_11comp_targetILNS1_3genE5ELNS1_11target_archE942ELNS1_3gpuE9ELNS1_3repE0EEENS1_48merge_mergepath_partition_config_static_selectorELNS0_4arch9wavefront6targetE1EEEvSL_
    .private_segment_fixed_size: 0
    .sgpr_count:     6
    .sgpr_spill_count: 0
    .symbol:         _ZN7rocprim17ROCPRIM_400000_NS6detail17trampoline_kernelINS0_14default_configENS1_38merge_sort_block_merge_config_selectorIfNS0_10empty_typeEEEZZNS1_27merge_sort_block_merge_implIS3_N6thrust23THRUST_200600_302600_NS6detail15normal_iteratorINS9_10device_ptrIfEEEEPS5_jNS1_19radix_merge_compareILb0ELb0EfNS0_19identity_decomposerEEEEE10hipError_tT0_T1_T2_jT3_P12ihipStream_tbPNSt15iterator_traitsISK_E10value_typeEPNSQ_ISL_E10value_typeEPSM_NS1_7vsmem_tEENKUlT_SK_SL_SM_E_clIPfSE_SF_SF_EESJ_SZ_SK_SL_SM_EUlSZ_E_NS1_11comp_targetILNS1_3genE5ELNS1_11target_archE942ELNS1_3gpuE9ELNS1_3repE0EEENS1_48merge_mergepath_partition_config_static_selectorELNS0_4arch9wavefront6targetE1EEEvSL_.kd
    .uniform_work_group_size: 1
    .uses_dynamic_stack: false
    .vgpr_count:     0
    .vgpr_spill_count: 0
    .wavefront_size: 64
  - .agpr_count:     0
    .args:
      - .offset:         0
        .size:           40
        .value_kind:     by_value
    .group_segment_fixed_size: 0
    .kernarg_segment_align: 8
    .kernarg_segment_size: 40
    .language:       OpenCL C
    .language_version:
      - 2
      - 0
    .max_flat_workgroup_size: 128
    .name:           _ZN7rocprim17ROCPRIM_400000_NS6detail17trampoline_kernelINS0_14default_configENS1_38merge_sort_block_merge_config_selectorIfNS0_10empty_typeEEEZZNS1_27merge_sort_block_merge_implIS3_N6thrust23THRUST_200600_302600_NS6detail15normal_iteratorINS9_10device_ptrIfEEEEPS5_jNS1_19radix_merge_compareILb0ELb0EfNS0_19identity_decomposerEEEEE10hipError_tT0_T1_T2_jT3_P12ihipStream_tbPNSt15iterator_traitsISK_E10value_typeEPNSQ_ISL_E10value_typeEPSM_NS1_7vsmem_tEENKUlT_SK_SL_SM_E_clIPfSE_SF_SF_EESJ_SZ_SK_SL_SM_EUlSZ_E_NS1_11comp_targetILNS1_3genE4ELNS1_11target_archE910ELNS1_3gpuE8ELNS1_3repE0EEENS1_48merge_mergepath_partition_config_static_selectorELNS0_4arch9wavefront6targetE1EEEvSL_
    .private_segment_fixed_size: 0
    .sgpr_count:     6
    .sgpr_spill_count: 0
    .symbol:         _ZN7rocprim17ROCPRIM_400000_NS6detail17trampoline_kernelINS0_14default_configENS1_38merge_sort_block_merge_config_selectorIfNS0_10empty_typeEEEZZNS1_27merge_sort_block_merge_implIS3_N6thrust23THRUST_200600_302600_NS6detail15normal_iteratorINS9_10device_ptrIfEEEEPS5_jNS1_19radix_merge_compareILb0ELb0EfNS0_19identity_decomposerEEEEE10hipError_tT0_T1_T2_jT3_P12ihipStream_tbPNSt15iterator_traitsISK_E10value_typeEPNSQ_ISL_E10value_typeEPSM_NS1_7vsmem_tEENKUlT_SK_SL_SM_E_clIPfSE_SF_SF_EESJ_SZ_SK_SL_SM_EUlSZ_E_NS1_11comp_targetILNS1_3genE4ELNS1_11target_archE910ELNS1_3gpuE8ELNS1_3repE0EEENS1_48merge_mergepath_partition_config_static_selectorELNS0_4arch9wavefront6targetE1EEEvSL_.kd
    .uniform_work_group_size: 1
    .uses_dynamic_stack: false
    .vgpr_count:     0
    .vgpr_spill_count: 0
    .wavefront_size: 64
  - .agpr_count:     0
    .args:
      - .offset:         0
        .size:           40
        .value_kind:     by_value
    .group_segment_fixed_size: 0
    .kernarg_segment_align: 8
    .kernarg_segment_size: 40
    .language:       OpenCL C
    .language_version:
      - 2
      - 0
    .max_flat_workgroup_size: 128
    .name:           _ZN7rocprim17ROCPRIM_400000_NS6detail17trampoline_kernelINS0_14default_configENS1_38merge_sort_block_merge_config_selectorIfNS0_10empty_typeEEEZZNS1_27merge_sort_block_merge_implIS3_N6thrust23THRUST_200600_302600_NS6detail15normal_iteratorINS9_10device_ptrIfEEEEPS5_jNS1_19radix_merge_compareILb0ELb0EfNS0_19identity_decomposerEEEEE10hipError_tT0_T1_T2_jT3_P12ihipStream_tbPNSt15iterator_traitsISK_E10value_typeEPNSQ_ISL_E10value_typeEPSM_NS1_7vsmem_tEENKUlT_SK_SL_SM_E_clIPfSE_SF_SF_EESJ_SZ_SK_SL_SM_EUlSZ_E_NS1_11comp_targetILNS1_3genE3ELNS1_11target_archE908ELNS1_3gpuE7ELNS1_3repE0EEENS1_48merge_mergepath_partition_config_static_selectorELNS0_4arch9wavefront6targetE1EEEvSL_
    .private_segment_fixed_size: 0
    .sgpr_count:     6
    .sgpr_spill_count: 0
    .symbol:         _ZN7rocprim17ROCPRIM_400000_NS6detail17trampoline_kernelINS0_14default_configENS1_38merge_sort_block_merge_config_selectorIfNS0_10empty_typeEEEZZNS1_27merge_sort_block_merge_implIS3_N6thrust23THRUST_200600_302600_NS6detail15normal_iteratorINS9_10device_ptrIfEEEEPS5_jNS1_19radix_merge_compareILb0ELb0EfNS0_19identity_decomposerEEEEE10hipError_tT0_T1_T2_jT3_P12ihipStream_tbPNSt15iterator_traitsISK_E10value_typeEPNSQ_ISL_E10value_typeEPSM_NS1_7vsmem_tEENKUlT_SK_SL_SM_E_clIPfSE_SF_SF_EESJ_SZ_SK_SL_SM_EUlSZ_E_NS1_11comp_targetILNS1_3genE3ELNS1_11target_archE908ELNS1_3gpuE7ELNS1_3repE0EEENS1_48merge_mergepath_partition_config_static_selectorELNS0_4arch9wavefront6targetE1EEEvSL_.kd
    .uniform_work_group_size: 1
    .uses_dynamic_stack: false
    .vgpr_count:     0
    .vgpr_spill_count: 0
    .wavefront_size: 64
  - .agpr_count:     0
    .args:
      - .offset:         0
        .size:           40
        .value_kind:     by_value
    .group_segment_fixed_size: 0
    .kernarg_segment_align: 8
    .kernarg_segment_size: 40
    .language:       OpenCL C
    .language_version:
      - 2
      - 0
    .max_flat_workgroup_size: 128
    .name:           _ZN7rocprim17ROCPRIM_400000_NS6detail17trampoline_kernelINS0_14default_configENS1_38merge_sort_block_merge_config_selectorIfNS0_10empty_typeEEEZZNS1_27merge_sort_block_merge_implIS3_N6thrust23THRUST_200600_302600_NS6detail15normal_iteratorINS9_10device_ptrIfEEEEPS5_jNS1_19radix_merge_compareILb0ELb0EfNS0_19identity_decomposerEEEEE10hipError_tT0_T1_T2_jT3_P12ihipStream_tbPNSt15iterator_traitsISK_E10value_typeEPNSQ_ISL_E10value_typeEPSM_NS1_7vsmem_tEENKUlT_SK_SL_SM_E_clIPfSE_SF_SF_EESJ_SZ_SK_SL_SM_EUlSZ_E_NS1_11comp_targetILNS1_3genE2ELNS1_11target_archE906ELNS1_3gpuE6ELNS1_3repE0EEENS1_48merge_mergepath_partition_config_static_selectorELNS0_4arch9wavefront6targetE1EEEvSL_
    .private_segment_fixed_size: 0
    .sgpr_count:     6
    .sgpr_spill_count: 0
    .symbol:         _ZN7rocprim17ROCPRIM_400000_NS6detail17trampoline_kernelINS0_14default_configENS1_38merge_sort_block_merge_config_selectorIfNS0_10empty_typeEEEZZNS1_27merge_sort_block_merge_implIS3_N6thrust23THRUST_200600_302600_NS6detail15normal_iteratorINS9_10device_ptrIfEEEEPS5_jNS1_19radix_merge_compareILb0ELb0EfNS0_19identity_decomposerEEEEE10hipError_tT0_T1_T2_jT3_P12ihipStream_tbPNSt15iterator_traitsISK_E10value_typeEPNSQ_ISL_E10value_typeEPSM_NS1_7vsmem_tEENKUlT_SK_SL_SM_E_clIPfSE_SF_SF_EESJ_SZ_SK_SL_SM_EUlSZ_E_NS1_11comp_targetILNS1_3genE2ELNS1_11target_archE906ELNS1_3gpuE6ELNS1_3repE0EEENS1_48merge_mergepath_partition_config_static_selectorELNS0_4arch9wavefront6targetE1EEEvSL_.kd
    .uniform_work_group_size: 1
    .uses_dynamic_stack: false
    .vgpr_count:     0
    .vgpr_spill_count: 0
    .wavefront_size: 64
  - .agpr_count:     0
    .args:
      - .offset:         0
        .size:           40
        .value_kind:     by_value
    .group_segment_fixed_size: 0
    .kernarg_segment_align: 8
    .kernarg_segment_size: 40
    .language:       OpenCL C
    .language_version:
      - 2
      - 0
    .max_flat_workgroup_size: 128
    .name:           _ZN7rocprim17ROCPRIM_400000_NS6detail17trampoline_kernelINS0_14default_configENS1_38merge_sort_block_merge_config_selectorIfNS0_10empty_typeEEEZZNS1_27merge_sort_block_merge_implIS3_N6thrust23THRUST_200600_302600_NS6detail15normal_iteratorINS9_10device_ptrIfEEEEPS5_jNS1_19radix_merge_compareILb0ELb0EfNS0_19identity_decomposerEEEEE10hipError_tT0_T1_T2_jT3_P12ihipStream_tbPNSt15iterator_traitsISK_E10value_typeEPNSQ_ISL_E10value_typeEPSM_NS1_7vsmem_tEENKUlT_SK_SL_SM_E_clIPfSE_SF_SF_EESJ_SZ_SK_SL_SM_EUlSZ_E_NS1_11comp_targetILNS1_3genE9ELNS1_11target_archE1100ELNS1_3gpuE3ELNS1_3repE0EEENS1_48merge_mergepath_partition_config_static_selectorELNS0_4arch9wavefront6targetE1EEEvSL_
    .private_segment_fixed_size: 0
    .sgpr_count:     6
    .sgpr_spill_count: 0
    .symbol:         _ZN7rocprim17ROCPRIM_400000_NS6detail17trampoline_kernelINS0_14default_configENS1_38merge_sort_block_merge_config_selectorIfNS0_10empty_typeEEEZZNS1_27merge_sort_block_merge_implIS3_N6thrust23THRUST_200600_302600_NS6detail15normal_iteratorINS9_10device_ptrIfEEEEPS5_jNS1_19radix_merge_compareILb0ELb0EfNS0_19identity_decomposerEEEEE10hipError_tT0_T1_T2_jT3_P12ihipStream_tbPNSt15iterator_traitsISK_E10value_typeEPNSQ_ISL_E10value_typeEPSM_NS1_7vsmem_tEENKUlT_SK_SL_SM_E_clIPfSE_SF_SF_EESJ_SZ_SK_SL_SM_EUlSZ_E_NS1_11comp_targetILNS1_3genE9ELNS1_11target_archE1100ELNS1_3gpuE3ELNS1_3repE0EEENS1_48merge_mergepath_partition_config_static_selectorELNS0_4arch9wavefront6targetE1EEEvSL_.kd
    .uniform_work_group_size: 1
    .uses_dynamic_stack: false
    .vgpr_count:     0
    .vgpr_spill_count: 0
    .wavefront_size: 64
  - .agpr_count:     0
    .args:
      - .offset:         0
        .size:           40
        .value_kind:     by_value
    .group_segment_fixed_size: 0
    .kernarg_segment_align: 8
    .kernarg_segment_size: 40
    .language:       OpenCL C
    .language_version:
      - 2
      - 0
    .max_flat_workgroup_size: 128
    .name:           _ZN7rocprim17ROCPRIM_400000_NS6detail17trampoline_kernelINS0_14default_configENS1_38merge_sort_block_merge_config_selectorIfNS0_10empty_typeEEEZZNS1_27merge_sort_block_merge_implIS3_N6thrust23THRUST_200600_302600_NS6detail15normal_iteratorINS9_10device_ptrIfEEEEPS5_jNS1_19radix_merge_compareILb0ELb0EfNS0_19identity_decomposerEEEEE10hipError_tT0_T1_T2_jT3_P12ihipStream_tbPNSt15iterator_traitsISK_E10value_typeEPNSQ_ISL_E10value_typeEPSM_NS1_7vsmem_tEENKUlT_SK_SL_SM_E_clIPfSE_SF_SF_EESJ_SZ_SK_SL_SM_EUlSZ_E_NS1_11comp_targetILNS1_3genE8ELNS1_11target_archE1030ELNS1_3gpuE2ELNS1_3repE0EEENS1_48merge_mergepath_partition_config_static_selectorELNS0_4arch9wavefront6targetE1EEEvSL_
    .private_segment_fixed_size: 0
    .sgpr_count:     6
    .sgpr_spill_count: 0
    .symbol:         _ZN7rocprim17ROCPRIM_400000_NS6detail17trampoline_kernelINS0_14default_configENS1_38merge_sort_block_merge_config_selectorIfNS0_10empty_typeEEEZZNS1_27merge_sort_block_merge_implIS3_N6thrust23THRUST_200600_302600_NS6detail15normal_iteratorINS9_10device_ptrIfEEEEPS5_jNS1_19radix_merge_compareILb0ELb0EfNS0_19identity_decomposerEEEEE10hipError_tT0_T1_T2_jT3_P12ihipStream_tbPNSt15iterator_traitsISK_E10value_typeEPNSQ_ISL_E10value_typeEPSM_NS1_7vsmem_tEENKUlT_SK_SL_SM_E_clIPfSE_SF_SF_EESJ_SZ_SK_SL_SM_EUlSZ_E_NS1_11comp_targetILNS1_3genE8ELNS1_11target_archE1030ELNS1_3gpuE2ELNS1_3repE0EEENS1_48merge_mergepath_partition_config_static_selectorELNS0_4arch9wavefront6targetE1EEEvSL_.kd
    .uniform_work_group_size: 1
    .uses_dynamic_stack: false
    .vgpr_count:     0
    .vgpr_spill_count: 0
    .wavefront_size: 64
  - .agpr_count:     0
    .args:
      - .offset:         0
        .size:           64
        .value_kind:     by_value
      - .offset:         64
        .size:           4
        .value_kind:     hidden_block_count_x
      - .offset:         68
        .size:           4
        .value_kind:     hidden_block_count_y
      - .offset:         72
        .size:           4
        .value_kind:     hidden_block_count_z
      - .offset:         76
        .size:           2
        .value_kind:     hidden_group_size_x
      - .offset:         78
        .size:           2
        .value_kind:     hidden_group_size_y
      - .offset:         80
        .size:           2
        .value_kind:     hidden_group_size_z
      - .offset:         82
        .size:           2
        .value_kind:     hidden_remainder_x
      - .offset:         84
        .size:           2
        .value_kind:     hidden_remainder_y
      - .offset:         86
        .size:           2
        .value_kind:     hidden_remainder_z
      - .offset:         104
        .size:           8
        .value_kind:     hidden_global_offset_x
      - .offset:         112
        .size:           8
        .value_kind:     hidden_global_offset_y
      - .offset:         120
        .size:           8
        .value_kind:     hidden_global_offset_z
      - .offset:         128
        .size:           2
        .value_kind:     hidden_grid_dims
    .group_segment_fixed_size: 4224
    .kernarg_segment_align: 8
    .kernarg_segment_size: 320
    .language:       OpenCL C
    .language_version:
      - 2
      - 0
    .max_flat_workgroup_size: 128
    .name:           _ZN7rocprim17ROCPRIM_400000_NS6detail17trampoline_kernelINS0_14default_configENS1_38merge_sort_block_merge_config_selectorIfNS0_10empty_typeEEEZZNS1_27merge_sort_block_merge_implIS3_N6thrust23THRUST_200600_302600_NS6detail15normal_iteratorINS9_10device_ptrIfEEEEPS5_jNS1_19radix_merge_compareILb0ELb0EfNS0_19identity_decomposerEEEEE10hipError_tT0_T1_T2_jT3_P12ihipStream_tbPNSt15iterator_traitsISK_E10value_typeEPNSQ_ISL_E10value_typeEPSM_NS1_7vsmem_tEENKUlT_SK_SL_SM_E_clIPfSE_SF_SF_EESJ_SZ_SK_SL_SM_EUlSZ_E0_NS1_11comp_targetILNS1_3genE0ELNS1_11target_archE4294967295ELNS1_3gpuE0ELNS1_3repE0EEENS1_38merge_mergepath_config_static_selectorELNS0_4arch9wavefront6targetE1EEEvSL_
    .private_segment_fixed_size: 0
    .sgpr_count:     34
    .sgpr_spill_count: 0
    .symbol:         _ZN7rocprim17ROCPRIM_400000_NS6detail17trampoline_kernelINS0_14default_configENS1_38merge_sort_block_merge_config_selectorIfNS0_10empty_typeEEEZZNS1_27merge_sort_block_merge_implIS3_N6thrust23THRUST_200600_302600_NS6detail15normal_iteratorINS9_10device_ptrIfEEEEPS5_jNS1_19radix_merge_compareILb0ELb0EfNS0_19identity_decomposerEEEEE10hipError_tT0_T1_T2_jT3_P12ihipStream_tbPNSt15iterator_traitsISK_E10value_typeEPNSQ_ISL_E10value_typeEPSM_NS1_7vsmem_tEENKUlT_SK_SL_SM_E_clIPfSE_SF_SF_EESJ_SZ_SK_SL_SM_EUlSZ_E0_NS1_11comp_targetILNS1_3genE0ELNS1_11target_archE4294967295ELNS1_3gpuE0ELNS1_3repE0EEENS1_38merge_mergepath_config_static_selectorELNS0_4arch9wavefront6targetE1EEEvSL_.kd
    .uniform_work_group_size: 1
    .uses_dynamic_stack: false
    .vgpr_count:     26
    .vgpr_spill_count: 0
    .wavefront_size: 64
  - .agpr_count:     0
    .args:
      - .offset:         0
        .size:           64
        .value_kind:     by_value
    .group_segment_fixed_size: 0
    .kernarg_segment_align: 8
    .kernarg_segment_size: 64
    .language:       OpenCL C
    .language_version:
      - 2
      - 0
    .max_flat_workgroup_size: 256
    .name:           _ZN7rocprim17ROCPRIM_400000_NS6detail17trampoline_kernelINS0_14default_configENS1_38merge_sort_block_merge_config_selectorIfNS0_10empty_typeEEEZZNS1_27merge_sort_block_merge_implIS3_N6thrust23THRUST_200600_302600_NS6detail15normal_iteratorINS9_10device_ptrIfEEEEPS5_jNS1_19radix_merge_compareILb0ELb0EfNS0_19identity_decomposerEEEEE10hipError_tT0_T1_T2_jT3_P12ihipStream_tbPNSt15iterator_traitsISK_E10value_typeEPNSQ_ISL_E10value_typeEPSM_NS1_7vsmem_tEENKUlT_SK_SL_SM_E_clIPfSE_SF_SF_EESJ_SZ_SK_SL_SM_EUlSZ_E0_NS1_11comp_targetILNS1_3genE10ELNS1_11target_archE1201ELNS1_3gpuE5ELNS1_3repE0EEENS1_38merge_mergepath_config_static_selectorELNS0_4arch9wavefront6targetE1EEEvSL_
    .private_segment_fixed_size: 0
    .sgpr_count:     6
    .sgpr_spill_count: 0
    .symbol:         _ZN7rocprim17ROCPRIM_400000_NS6detail17trampoline_kernelINS0_14default_configENS1_38merge_sort_block_merge_config_selectorIfNS0_10empty_typeEEEZZNS1_27merge_sort_block_merge_implIS3_N6thrust23THRUST_200600_302600_NS6detail15normal_iteratorINS9_10device_ptrIfEEEEPS5_jNS1_19radix_merge_compareILb0ELb0EfNS0_19identity_decomposerEEEEE10hipError_tT0_T1_T2_jT3_P12ihipStream_tbPNSt15iterator_traitsISK_E10value_typeEPNSQ_ISL_E10value_typeEPSM_NS1_7vsmem_tEENKUlT_SK_SL_SM_E_clIPfSE_SF_SF_EESJ_SZ_SK_SL_SM_EUlSZ_E0_NS1_11comp_targetILNS1_3genE10ELNS1_11target_archE1201ELNS1_3gpuE5ELNS1_3repE0EEENS1_38merge_mergepath_config_static_selectorELNS0_4arch9wavefront6targetE1EEEvSL_.kd
    .uniform_work_group_size: 1
    .uses_dynamic_stack: false
    .vgpr_count:     0
    .vgpr_spill_count: 0
    .wavefront_size: 64
  - .agpr_count:     0
    .args:
      - .offset:         0
        .size:           64
        .value_kind:     by_value
    .group_segment_fixed_size: 0
    .kernarg_segment_align: 8
    .kernarg_segment_size: 64
    .language:       OpenCL C
    .language_version:
      - 2
      - 0
    .max_flat_workgroup_size: 128
    .name:           _ZN7rocprim17ROCPRIM_400000_NS6detail17trampoline_kernelINS0_14default_configENS1_38merge_sort_block_merge_config_selectorIfNS0_10empty_typeEEEZZNS1_27merge_sort_block_merge_implIS3_N6thrust23THRUST_200600_302600_NS6detail15normal_iteratorINS9_10device_ptrIfEEEEPS5_jNS1_19radix_merge_compareILb0ELb0EfNS0_19identity_decomposerEEEEE10hipError_tT0_T1_T2_jT3_P12ihipStream_tbPNSt15iterator_traitsISK_E10value_typeEPNSQ_ISL_E10value_typeEPSM_NS1_7vsmem_tEENKUlT_SK_SL_SM_E_clIPfSE_SF_SF_EESJ_SZ_SK_SL_SM_EUlSZ_E0_NS1_11comp_targetILNS1_3genE5ELNS1_11target_archE942ELNS1_3gpuE9ELNS1_3repE0EEENS1_38merge_mergepath_config_static_selectorELNS0_4arch9wavefront6targetE1EEEvSL_
    .private_segment_fixed_size: 0
    .sgpr_count:     6
    .sgpr_spill_count: 0
    .symbol:         _ZN7rocprim17ROCPRIM_400000_NS6detail17trampoline_kernelINS0_14default_configENS1_38merge_sort_block_merge_config_selectorIfNS0_10empty_typeEEEZZNS1_27merge_sort_block_merge_implIS3_N6thrust23THRUST_200600_302600_NS6detail15normal_iteratorINS9_10device_ptrIfEEEEPS5_jNS1_19radix_merge_compareILb0ELb0EfNS0_19identity_decomposerEEEEE10hipError_tT0_T1_T2_jT3_P12ihipStream_tbPNSt15iterator_traitsISK_E10value_typeEPNSQ_ISL_E10value_typeEPSM_NS1_7vsmem_tEENKUlT_SK_SL_SM_E_clIPfSE_SF_SF_EESJ_SZ_SK_SL_SM_EUlSZ_E0_NS1_11comp_targetILNS1_3genE5ELNS1_11target_archE942ELNS1_3gpuE9ELNS1_3repE0EEENS1_38merge_mergepath_config_static_selectorELNS0_4arch9wavefront6targetE1EEEvSL_.kd
    .uniform_work_group_size: 1
    .uses_dynamic_stack: false
    .vgpr_count:     0
    .vgpr_spill_count: 0
    .wavefront_size: 64
  - .agpr_count:     0
    .args:
      - .offset:         0
        .size:           64
        .value_kind:     by_value
    .group_segment_fixed_size: 0
    .kernarg_segment_align: 8
    .kernarg_segment_size: 64
    .language:       OpenCL C
    .language_version:
      - 2
      - 0
    .max_flat_workgroup_size: 128
    .name:           _ZN7rocprim17ROCPRIM_400000_NS6detail17trampoline_kernelINS0_14default_configENS1_38merge_sort_block_merge_config_selectorIfNS0_10empty_typeEEEZZNS1_27merge_sort_block_merge_implIS3_N6thrust23THRUST_200600_302600_NS6detail15normal_iteratorINS9_10device_ptrIfEEEEPS5_jNS1_19radix_merge_compareILb0ELb0EfNS0_19identity_decomposerEEEEE10hipError_tT0_T1_T2_jT3_P12ihipStream_tbPNSt15iterator_traitsISK_E10value_typeEPNSQ_ISL_E10value_typeEPSM_NS1_7vsmem_tEENKUlT_SK_SL_SM_E_clIPfSE_SF_SF_EESJ_SZ_SK_SL_SM_EUlSZ_E0_NS1_11comp_targetILNS1_3genE4ELNS1_11target_archE910ELNS1_3gpuE8ELNS1_3repE0EEENS1_38merge_mergepath_config_static_selectorELNS0_4arch9wavefront6targetE1EEEvSL_
    .private_segment_fixed_size: 0
    .sgpr_count:     6
    .sgpr_spill_count: 0
    .symbol:         _ZN7rocprim17ROCPRIM_400000_NS6detail17trampoline_kernelINS0_14default_configENS1_38merge_sort_block_merge_config_selectorIfNS0_10empty_typeEEEZZNS1_27merge_sort_block_merge_implIS3_N6thrust23THRUST_200600_302600_NS6detail15normal_iteratorINS9_10device_ptrIfEEEEPS5_jNS1_19radix_merge_compareILb0ELb0EfNS0_19identity_decomposerEEEEE10hipError_tT0_T1_T2_jT3_P12ihipStream_tbPNSt15iterator_traitsISK_E10value_typeEPNSQ_ISL_E10value_typeEPSM_NS1_7vsmem_tEENKUlT_SK_SL_SM_E_clIPfSE_SF_SF_EESJ_SZ_SK_SL_SM_EUlSZ_E0_NS1_11comp_targetILNS1_3genE4ELNS1_11target_archE910ELNS1_3gpuE8ELNS1_3repE0EEENS1_38merge_mergepath_config_static_selectorELNS0_4arch9wavefront6targetE1EEEvSL_.kd
    .uniform_work_group_size: 1
    .uses_dynamic_stack: false
    .vgpr_count:     0
    .vgpr_spill_count: 0
    .wavefront_size: 64
  - .agpr_count:     0
    .args:
      - .offset:         0
        .size:           64
        .value_kind:     by_value
    .group_segment_fixed_size: 0
    .kernarg_segment_align: 8
    .kernarg_segment_size: 64
    .language:       OpenCL C
    .language_version:
      - 2
      - 0
    .max_flat_workgroup_size: 128
    .name:           _ZN7rocprim17ROCPRIM_400000_NS6detail17trampoline_kernelINS0_14default_configENS1_38merge_sort_block_merge_config_selectorIfNS0_10empty_typeEEEZZNS1_27merge_sort_block_merge_implIS3_N6thrust23THRUST_200600_302600_NS6detail15normal_iteratorINS9_10device_ptrIfEEEEPS5_jNS1_19radix_merge_compareILb0ELb0EfNS0_19identity_decomposerEEEEE10hipError_tT0_T1_T2_jT3_P12ihipStream_tbPNSt15iterator_traitsISK_E10value_typeEPNSQ_ISL_E10value_typeEPSM_NS1_7vsmem_tEENKUlT_SK_SL_SM_E_clIPfSE_SF_SF_EESJ_SZ_SK_SL_SM_EUlSZ_E0_NS1_11comp_targetILNS1_3genE3ELNS1_11target_archE908ELNS1_3gpuE7ELNS1_3repE0EEENS1_38merge_mergepath_config_static_selectorELNS0_4arch9wavefront6targetE1EEEvSL_
    .private_segment_fixed_size: 0
    .sgpr_count:     6
    .sgpr_spill_count: 0
    .symbol:         _ZN7rocprim17ROCPRIM_400000_NS6detail17trampoline_kernelINS0_14default_configENS1_38merge_sort_block_merge_config_selectorIfNS0_10empty_typeEEEZZNS1_27merge_sort_block_merge_implIS3_N6thrust23THRUST_200600_302600_NS6detail15normal_iteratorINS9_10device_ptrIfEEEEPS5_jNS1_19radix_merge_compareILb0ELb0EfNS0_19identity_decomposerEEEEE10hipError_tT0_T1_T2_jT3_P12ihipStream_tbPNSt15iterator_traitsISK_E10value_typeEPNSQ_ISL_E10value_typeEPSM_NS1_7vsmem_tEENKUlT_SK_SL_SM_E_clIPfSE_SF_SF_EESJ_SZ_SK_SL_SM_EUlSZ_E0_NS1_11comp_targetILNS1_3genE3ELNS1_11target_archE908ELNS1_3gpuE7ELNS1_3repE0EEENS1_38merge_mergepath_config_static_selectorELNS0_4arch9wavefront6targetE1EEEvSL_.kd
    .uniform_work_group_size: 1
    .uses_dynamic_stack: false
    .vgpr_count:     0
    .vgpr_spill_count: 0
    .wavefront_size: 64
  - .agpr_count:     0
    .args:
      - .offset:         0
        .size:           64
        .value_kind:     by_value
    .group_segment_fixed_size: 0
    .kernarg_segment_align: 8
    .kernarg_segment_size: 64
    .language:       OpenCL C
    .language_version:
      - 2
      - 0
    .max_flat_workgroup_size: 128
    .name:           _ZN7rocprim17ROCPRIM_400000_NS6detail17trampoline_kernelINS0_14default_configENS1_38merge_sort_block_merge_config_selectorIfNS0_10empty_typeEEEZZNS1_27merge_sort_block_merge_implIS3_N6thrust23THRUST_200600_302600_NS6detail15normal_iteratorINS9_10device_ptrIfEEEEPS5_jNS1_19radix_merge_compareILb0ELb0EfNS0_19identity_decomposerEEEEE10hipError_tT0_T1_T2_jT3_P12ihipStream_tbPNSt15iterator_traitsISK_E10value_typeEPNSQ_ISL_E10value_typeEPSM_NS1_7vsmem_tEENKUlT_SK_SL_SM_E_clIPfSE_SF_SF_EESJ_SZ_SK_SL_SM_EUlSZ_E0_NS1_11comp_targetILNS1_3genE2ELNS1_11target_archE906ELNS1_3gpuE6ELNS1_3repE0EEENS1_38merge_mergepath_config_static_selectorELNS0_4arch9wavefront6targetE1EEEvSL_
    .private_segment_fixed_size: 0
    .sgpr_count:     6
    .sgpr_spill_count: 0
    .symbol:         _ZN7rocprim17ROCPRIM_400000_NS6detail17trampoline_kernelINS0_14default_configENS1_38merge_sort_block_merge_config_selectorIfNS0_10empty_typeEEEZZNS1_27merge_sort_block_merge_implIS3_N6thrust23THRUST_200600_302600_NS6detail15normal_iteratorINS9_10device_ptrIfEEEEPS5_jNS1_19radix_merge_compareILb0ELb0EfNS0_19identity_decomposerEEEEE10hipError_tT0_T1_T2_jT3_P12ihipStream_tbPNSt15iterator_traitsISK_E10value_typeEPNSQ_ISL_E10value_typeEPSM_NS1_7vsmem_tEENKUlT_SK_SL_SM_E_clIPfSE_SF_SF_EESJ_SZ_SK_SL_SM_EUlSZ_E0_NS1_11comp_targetILNS1_3genE2ELNS1_11target_archE906ELNS1_3gpuE6ELNS1_3repE0EEENS1_38merge_mergepath_config_static_selectorELNS0_4arch9wavefront6targetE1EEEvSL_.kd
    .uniform_work_group_size: 1
    .uses_dynamic_stack: false
    .vgpr_count:     0
    .vgpr_spill_count: 0
    .wavefront_size: 64
  - .agpr_count:     0
    .args:
      - .offset:         0
        .size:           64
        .value_kind:     by_value
    .group_segment_fixed_size: 0
    .kernarg_segment_align: 8
    .kernarg_segment_size: 64
    .language:       OpenCL C
    .language_version:
      - 2
      - 0
    .max_flat_workgroup_size: 256
    .name:           _ZN7rocprim17ROCPRIM_400000_NS6detail17trampoline_kernelINS0_14default_configENS1_38merge_sort_block_merge_config_selectorIfNS0_10empty_typeEEEZZNS1_27merge_sort_block_merge_implIS3_N6thrust23THRUST_200600_302600_NS6detail15normal_iteratorINS9_10device_ptrIfEEEEPS5_jNS1_19radix_merge_compareILb0ELb0EfNS0_19identity_decomposerEEEEE10hipError_tT0_T1_T2_jT3_P12ihipStream_tbPNSt15iterator_traitsISK_E10value_typeEPNSQ_ISL_E10value_typeEPSM_NS1_7vsmem_tEENKUlT_SK_SL_SM_E_clIPfSE_SF_SF_EESJ_SZ_SK_SL_SM_EUlSZ_E0_NS1_11comp_targetILNS1_3genE9ELNS1_11target_archE1100ELNS1_3gpuE3ELNS1_3repE0EEENS1_38merge_mergepath_config_static_selectorELNS0_4arch9wavefront6targetE1EEEvSL_
    .private_segment_fixed_size: 0
    .sgpr_count:     6
    .sgpr_spill_count: 0
    .symbol:         _ZN7rocprim17ROCPRIM_400000_NS6detail17trampoline_kernelINS0_14default_configENS1_38merge_sort_block_merge_config_selectorIfNS0_10empty_typeEEEZZNS1_27merge_sort_block_merge_implIS3_N6thrust23THRUST_200600_302600_NS6detail15normal_iteratorINS9_10device_ptrIfEEEEPS5_jNS1_19radix_merge_compareILb0ELb0EfNS0_19identity_decomposerEEEEE10hipError_tT0_T1_T2_jT3_P12ihipStream_tbPNSt15iterator_traitsISK_E10value_typeEPNSQ_ISL_E10value_typeEPSM_NS1_7vsmem_tEENKUlT_SK_SL_SM_E_clIPfSE_SF_SF_EESJ_SZ_SK_SL_SM_EUlSZ_E0_NS1_11comp_targetILNS1_3genE9ELNS1_11target_archE1100ELNS1_3gpuE3ELNS1_3repE0EEENS1_38merge_mergepath_config_static_selectorELNS0_4arch9wavefront6targetE1EEEvSL_.kd
    .uniform_work_group_size: 1
    .uses_dynamic_stack: false
    .vgpr_count:     0
    .vgpr_spill_count: 0
    .wavefront_size: 64
  - .agpr_count:     0
    .args:
      - .offset:         0
        .size:           64
        .value_kind:     by_value
    .group_segment_fixed_size: 0
    .kernarg_segment_align: 8
    .kernarg_segment_size: 64
    .language:       OpenCL C
    .language_version:
      - 2
      - 0
    .max_flat_workgroup_size: 512
    .name:           _ZN7rocprim17ROCPRIM_400000_NS6detail17trampoline_kernelINS0_14default_configENS1_38merge_sort_block_merge_config_selectorIfNS0_10empty_typeEEEZZNS1_27merge_sort_block_merge_implIS3_N6thrust23THRUST_200600_302600_NS6detail15normal_iteratorINS9_10device_ptrIfEEEEPS5_jNS1_19radix_merge_compareILb0ELb0EfNS0_19identity_decomposerEEEEE10hipError_tT0_T1_T2_jT3_P12ihipStream_tbPNSt15iterator_traitsISK_E10value_typeEPNSQ_ISL_E10value_typeEPSM_NS1_7vsmem_tEENKUlT_SK_SL_SM_E_clIPfSE_SF_SF_EESJ_SZ_SK_SL_SM_EUlSZ_E0_NS1_11comp_targetILNS1_3genE8ELNS1_11target_archE1030ELNS1_3gpuE2ELNS1_3repE0EEENS1_38merge_mergepath_config_static_selectorELNS0_4arch9wavefront6targetE1EEEvSL_
    .private_segment_fixed_size: 0
    .sgpr_count:     6
    .sgpr_spill_count: 0
    .symbol:         _ZN7rocprim17ROCPRIM_400000_NS6detail17trampoline_kernelINS0_14default_configENS1_38merge_sort_block_merge_config_selectorIfNS0_10empty_typeEEEZZNS1_27merge_sort_block_merge_implIS3_N6thrust23THRUST_200600_302600_NS6detail15normal_iteratorINS9_10device_ptrIfEEEEPS5_jNS1_19radix_merge_compareILb0ELb0EfNS0_19identity_decomposerEEEEE10hipError_tT0_T1_T2_jT3_P12ihipStream_tbPNSt15iterator_traitsISK_E10value_typeEPNSQ_ISL_E10value_typeEPSM_NS1_7vsmem_tEENKUlT_SK_SL_SM_E_clIPfSE_SF_SF_EESJ_SZ_SK_SL_SM_EUlSZ_E0_NS1_11comp_targetILNS1_3genE8ELNS1_11target_archE1030ELNS1_3gpuE2ELNS1_3repE0EEENS1_38merge_mergepath_config_static_selectorELNS0_4arch9wavefront6targetE1EEEvSL_.kd
    .uniform_work_group_size: 1
    .uses_dynamic_stack: false
    .vgpr_count:     0
    .vgpr_spill_count: 0
    .wavefront_size: 64
  - .agpr_count:     0
    .args:
      - .offset:         0
        .size:           48
        .value_kind:     by_value
    .group_segment_fixed_size: 0
    .kernarg_segment_align: 8
    .kernarg_segment_size: 48
    .language:       OpenCL C
    .language_version:
      - 2
      - 0
    .max_flat_workgroup_size: 256
    .name:           _ZN7rocprim17ROCPRIM_400000_NS6detail17trampoline_kernelINS0_14default_configENS1_38merge_sort_block_merge_config_selectorIfNS0_10empty_typeEEEZZNS1_27merge_sort_block_merge_implIS3_N6thrust23THRUST_200600_302600_NS6detail15normal_iteratorINS9_10device_ptrIfEEEEPS5_jNS1_19radix_merge_compareILb0ELb0EfNS0_19identity_decomposerEEEEE10hipError_tT0_T1_T2_jT3_P12ihipStream_tbPNSt15iterator_traitsISK_E10value_typeEPNSQ_ISL_E10value_typeEPSM_NS1_7vsmem_tEENKUlT_SK_SL_SM_E_clIPfSE_SF_SF_EESJ_SZ_SK_SL_SM_EUlSZ_E1_NS1_11comp_targetILNS1_3genE0ELNS1_11target_archE4294967295ELNS1_3gpuE0ELNS1_3repE0EEENS1_36merge_oddeven_config_static_selectorELNS0_4arch9wavefront6targetE1EEEvSL_
    .private_segment_fixed_size: 0
    .sgpr_count:     25
    .sgpr_spill_count: 0
    .symbol:         _ZN7rocprim17ROCPRIM_400000_NS6detail17trampoline_kernelINS0_14default_configENS1_38merge_sort_block_merge_config_selectorIfNS0_10empty_typeEEEZZNS1_27merge_sort_block_merge_implIS3_N6thrust23THRUST_200600_302600_NS6detail15normal_iteratorINS9_10device_ptrIfEEEEPS5_jNS1_19radix_merge_compareILb0ELb0EfNS0_19identity_decomposerEEEEE10hipError_tT0_T1_T2_jT3_P12ihipStream_tbPNSt15iterator_traitsISK_E10value_typeEPNSQ_ISL_E10value_typeEPSM_NS1_7vsmem_tEENKUlT_SK_SL_SM_E_clIPfSE_SF_SF_EESJ_SZ_SK_SL_SM_EUlSZ_E1_NS1_11comp_targetILNS1_3genE0ELNS1_11target_archE4294967295ELNS1_3gpuE0ELNS1_3repE0EEENS1_36merge_oddeven_config_static_selectorELNS0_4arch9wavefront6targetE1EEEvSL_.kd
    .uniform_work_group_size: 1
    .uses_dynamic_stack: false
    .vgpr_count:     10
    .vgpr_spill_count: 0
    .wavefront_size: 64
  - .agpr_count:     0
    .args:
      - .offset:         0
        .size:           48
        .value_kind:     by_value
    .group_segment_fixed_size: 0
    .kernarg_segment_align: 8
    .kernarg_segment_size: 48
    .language:       OpenCL C
    .language_version:
      - 2
      - 0
    .max_flat_workgroup_size: 256
    .name:           _ZN7rocprim17ROCPRIM_400000_NS6detail17trampoline_kernelINS0_14default_configENS1_38merge_sort_block_merge_config_selectorIfNS0_10empty_typeEEEZZNS1_27merge_sort_block_merge_implIS3_N6thrust23THRUST_200600_302600_NS6detail15normal_iteratorINS9_10device_ptrIfEEEEPS5_jNS1_19radix_merge_compareILb0ELb0EfNS0_19identity_decomposerEEEEE10hipError_tT0_T1_T2_jT3_P12ihipStream_tbPNSt15iterator_traitsISK_E10value_typeEPNSQ_ISL_E10value_typeEPSM_NS1_7vsmem_tEENKUlT_SK_SL_SM_E_clIPfSE_SF_SF_EESJ_SZ_SK_SL_SM_EUlSZ_E1_NS1_11comp_targetILNS1_3genE10ELNS1_11target_archE1201ELNS1_3gpuE5ELNS1_3repE0EEENS1_36merge_oddeven_config_static_selectorELNS0_4arch9wavefront6targetE1EEEvSL_
    .private_segment_fixed_size: 0
    .sgpr_count:     6
    .sgpr_spill_count: 0
    .symbol:         _ZN7rocprim17ROCPRIM_400000_NS6detail17trampoline_kernelINS0_14default_configENS1_38merge_sort_block_merge_config_selectorIfNS0_10empty_typeEEEZZNS1_27merge_sort_block_merge_implIS3_N6thrust23THRUST_200600_302600_NS6detail15normal_iteratorINS9_10device_ptrIfEEEEPS5_jNS1_19radix_merge_compareILb0ELb0EfNS0_19identity_decomposerEEEEE10hipError_tT0_T1_T2_jT3_P12ihipStream_tbPNSt15iterator_traitsISK_E10value_typeEPNSQ_ISL_E10value_typeEPSM_NS1_7vsmem_tEENKUlT_SK_SL_SM_E_clIPfSE_SF_SF_EESJ_SZ_SK_SL_SM_EUlSZ_E1_NS1_11comp_targetILNS1_3genE10ELNS1_11target_archE1201ELNS1_3gpuE5ELNS1_3repE0EEENS1_36merge_oddeven_config_static_selectorELNS0_4arch9wavefront6targetE1EEEvSL_.kd
    .uniform_work_group_size: 1
    .uses_dynamic_stack: false
    .vgpr_count:     0
    .vgpr_spill_count: 0
    .wavefront_size: 64
  - .agpr_count:     0
    .args:
      - .offset:         0
        .size:           48
        .value_kind:     by_value
    .group_segment_fixed_size: 0
    .kernarg_segment_align: 8
    .kernarg_segment_size: 48
    .language:       OpenCL C
    .language_version:
      - 2
      - 0
    .max_flat_workgroup_size: 256
    .name:           _ZN7rocprim17ROCPRIM_400000_NS6detail17trampoline_kernelINS0_14default_configENS1_38merge_sort_block_merge_config_selectorIfNS0_10empty_typeEEEZZNS1_27merge_sort_block_merge_implIS3_N6thrust23THRUST_200600_302600_NS6detail15normal_iteratorINS9_10device_ptrIfEEEEPS5_jNS1_19radix_merge_compareILb0ELb0EfNS0_19identity_decomposerEEEEE10hipError_tT0_T1_T2_jT3_P12ihipStream_tbPNSt15iterator_traitsISK_E10value_typeEPNSQ_ISL_E10value_typeEPSM_NS1_7vsmem_tEENKUlT_SK_SL_SM_E_clIPfSE_SF_SF_EESJ_SZ_SK_SL_SM_EUlSZ_E1_NS1_11comp_targetILNS1_3genE5ELNS1_11target_archE942ELNS1_3gpuE9ELNS1_3repE0EEENS1_36merge_oddeven_config_static_selectorELNS0_4arch9wavefront6targetE1EEEvSL_
    .private_segment_fixed_size: 0
    .sgpr_count:     6
    .sgpr_spill_count: 0
    .symbol:         _ZN7rocprim17ROCPRIM_400000_NS6detail17trampoline_kernelINS0_14default_configENS1_38merge_sort_block_merge_config_selectorIfNS0_10empty_typeEEEZZNS1_27merge_sort_block_merge_implIS3_N6thrust23THRUST_200600_302600_NS6detail15normal_iteratorINS9_10device_ptrIfEEEEPS5_jNS1_19radix_merge_compareILb0ELb0EfNS0_19identity_decomposerEEEEE10hipError_tT0_T1_T2_jT3_P12ihipStream_tbPNSt15iterator_traitsISK_E10value_typeEPNSQ_ISL_E10value_typeEPSM_NS1_7vsmem_tEENKUlT_SK_SL_SM_E_clIPfSE_SF_SF_EESJ_SZ_SK_SL_SM_EUlSZ_E1_NS1_11comp_targetILNS1_3genE5ELNS1_11target_archE942ELNS1_3gpuE9ELNS1_3repE0EEENS1_36merge_oddeven_config_static_selectorELNS0_4arch9wavefront6targetE1EEEvSL_.kd
    .uniform_work_group_size: 1
    .uses_dynamic_stack: false
    .vgpr_count:     0
    .vgpr_spill_count: 0
    .wavefront_size: 64
  - .agpr_count:     0
    .args:
      - .offset:         0
        .size:           48
        .value_kind:     by_value
    .group_segment_fixed_size: 0
    .kernarg_segment_align: 8
    .kernarg_segment_size: 48
    .language:       OpenCL C
    .language_version:
      - 2
      - 0
    .max_flat_workgroup_size: 256
    .name:           _ZN7rocprim17ROCPRIM_400000_NS6detail17trampoline_kernelINS0_14default_configENS1_38merge_sort_block_merge_config_selectorIfNS0_10empty_typeEEEZZNS1_27merge_sort_block_merge_implIS3_N6thrust23THRUST_200600_302600_NS6detail15normal_iteratorINS9_10device_ptrIfEEEEPS5_jNS1_19radix_merge_compareILb0ELb0EfNS0_19identity_decomposerEEEEE10hipError_tT0_T1_T2_jT3_P12ihipStream_tbPNSt15iterator_traitsISK_E10value_typeEPNSQ_ISL_E10value_typeEPSM_NS1_7vsmem_tEENKUlT_SK_SL_SM_E_clIPfSE_SF_SF_EESJ_SZ_SK_SL_SM_EUlSZ_E1_NS1_11comp_targetILNS1_3genE4ELNS1_11target_archE910ELNS1_3gpuE8ELNS1_3repE0EEENS1_36merge_oddeven_config_static_selectorELNS0_4arch9wavefront6targetE1EEEvSL_
    .private_segment_fixed_size: 0
    .sgpr_count:     6
    .sgpr_spill_count: 0
    .symbol:         _ZN7rocprim17ROCPRIM_400000_NS6detail17trampoline_kernelINS0_14default_configENS1_38merge_sort_block_merge_config_selectorIfNS0_10empty_typeEEEZZNS1_27merge_sort_block_merge_implIS3_N6thrust23THRUST_200600_302600_NS6detail15normal_iteratorINS9_10device_ptrIfEEEEPS5_jNS1_19radix_merge_compareILb0ELb0EfNS0_19identity_decomposerEEEEE10hipError_tT0_T1_T2_jT3_P12ihipStream_tbPNSt15iterator_traitsISK_E10value_typeEPNSQ_ISL_E10value_typeEPSM_NS1_7vsmem_tEENKUlT_SK_SL_SM_E_clIPfSE_SF_SF_EESJ_SZ_SK_SL_SM_EUlSZ_E1_NS1_11comp_targetILNS1_3genE4ELNS1_11target_archE910ELNS1_3gpuE8ELNS1_3repE0EEENS1_36merge_oddeven_config_static_selectorELNS0_4arch9wavefront6targetE1EEEvSL_.kd
    .uniform_work_group_size: 1
    .uses_dynamic_stack: false
    .vgpr_count:     0
    .vgpr_spill_count: 0
    .wavefront_size: 64
  - .agpr_count:     0
    .args:
      - .offset:         0
        .size:           48
        .value_kind:     by_value
    .group_segment_fixed_size: 0
    .kernarg_segment_align: 8
    .kernarg_segment_size: 48
    .language:       OpenCL C
    .language_version:
      - 2
      - 0
    .max_flat_workgroup_size: 256
    .name:           _ZN7rocprim17ROCPRIM_400000_NS6detail17trampoline_kernelINS0_14default_configENS1_38merge_sort_block_merge_config_selectorIfNS0_10empty_typeEEEZZNS1_27merge_sort_block_merge_implIS3_N6thrust23THRUST_200600_302600_NS6detail15normal_iteratorINS9_10device_ptrIfEEEEPS5_jNS1_19radix_merge_compareILb0ELb0EfNS0_19identity_decomposerEEEEE10hipError_tT0_T1_T2_jT3_P12ihipStream_tbPNSt15iterator_traitsISK_E10value_typeEPNSQ_ISL_E10value_typeEPSM_NS1_7vsmem_tEENKUlT_SK_SL_SM_E_clIPfSE_SF_SF_EESJ_SZ_SK_SL_SM_EUlSZ_E1_NS1_11comp_targetILNS1_3genE3ELNS1_11target_archE908ELNS1_3gpuE7ELNS1_3repE0EEENS1_36merge_oddeven_config_static_selectorELNS0_4arch9wavefront6targetE1EEEvSL_
    .private_segment_fixed_size: 0
    .sgpr_count:     6
    .sgpr_spill_count: 0
    .symbol:         _ZN7rocprim17ROCPRIM_400000_NS6detail17trampoline_kernelINS0_14default_configENS1_38merge_sort_block_merge_config_selectorIfNS0_10empty_typeEEEZZNS1_27merge_sort_block_merge_implIS3_N6thrust23THRUST_200600_302600_NS6detail15normal_iteratorINS9_10device_ptrIfEEEEPS5_jNS1_19radix_merge_compareILb0ELb0EfNS0_19identity_decomposerEEEEE10hipError_tT0_T1_T2_jT3_P12ihipStream_tbPNSt15iterator_traitsISK_E10value_typeEPNSQ_ISL_E10value_typeEPSM_NS1_7vsmem_tEENKUlT_SK_SL_SM_E_clIPfSE_SF_SF_EESJ_SZ_SK_SL_SM_EUlSZ_E1_NS1_11comp_targetILNS1_3genE3ELNS1_11target_archE908ELNS1_3gpuE7ELNS1_3repE0EEENS1_36merge_oddeven_config_static_selectorELNS0_4arch9wavefront6targetE1EEEvSL_.kd
    .uniform_work_group_size: 1
    .uses_dynamic_stack: false
    .vgpr_count:     0
    .vgpr_spill_count: 0
    .wavefront_size: 64
  - .agpr_count:     0
    .args:
      - .offset:         0
        .size:           48
        .value_kind:     by_value
    .group_segment_fixed_size: 0
    .kernarg_segment_align: 8
    .kernarg_segment_size: 48
    .language:       OpenCL C
    .language_version:
      - 2
      - 0
    .max_flat_workgroup_size: 256
    .name:           _ZN7rocprim17ROCPRIM_400000_NS6detail17trampoline_kernelINS0_14default_configENS1_38merge_sort_block_merge_config_selectorIfNS0_10empty_typeEEEZZNS1_27merge_sort_block_merge_implIS3_N6thrust23THRUST_200600_302600_NS6detail15normal_iteratorINS9_10device_ptrIfEEEEPS5_jNS1_19radix_merge_compareILb0ELb0EfNS0_19identity_decomposerEEEEE10hipError_tT0_T1_T2_jT3_P12ihipStream_tbPNSt15iterator_traitsISK_E10value_typeEPNSQ_ISL_E10value_typeEPSM_NS1_7vsmem_tEENKUlT_SK_SL_SM_E_clIPfSE_SF_SF_EESJ_SZ_SK_SL_SM_EUlSZ_E1_NS1_11comp_targetILNS1_3genE2ELNS1_11target_archE906ELNS1_3gpuE6ELNS1_3repE0EEENS1_36merge_oddeven_config_static_selectorELNS0_4arch9wavefront6targetE1EEEvSL_
    .private_segment_fixed_size: 0
    .sgpr_count:     6
    .sgpr_spill_count: 0
    .symbol:         _ZN7rocprim17ROCPRIM_400000_NS6detail17trampoline_kernelINS0_14default_configENS1_38merge_sort_block_merge_config_selectorIfNS0_10empty_typeEEEZZNS1_27merge_sort_block_merge_implIS3_N6thrust23THRUST_200600_302600_NS6detail15normal_iteratorINS9_10device_ptrIfEEEEPS5_jNS1_19radix_merge_compareILb0ELb0EfNS0_19identity_decomposerEEEEE10hipError_tT0_T1_T2_jT3_P12ihipStream_tbPNSt15iterator_traitsISK_E10value_typeEPNSQ_ISL_E10value_typeEPSM_NS1_7vsmem_tEENKUlT_SK_SL_SM_E_clIPfSE_SF_SF_EESJ_SZ_SK_SL_SM_EUlSZ_E1_NS1_11comp_targetILNS1_3genE2ELNS1_11target_archE906ELNS1_3gpuE6ELNS1_3repE0EEENS1_36merge_oddeven_config_static_selectorELNS0_4arch9wavefront6targetE1EEEvSL_.kd
    .uniform_work_group_size: 1
    .uses_dynamic_stack: false
    .vgpr_count:     0
    .vgpr_spill_count: 0
    .wavefront_size: 64
  - .agpr_count:     0
    .args:
      - .offset:         0
        .size:           48
        .value_kind:     by_value
    .group_segment_fixed_size: 0
    .kernarg_segment_align: 8
    .kernarg_segment_size: 48
    .language:       OpenCL C
    .language_version:
      - 2
      - 0
    .max_flat_workgroup_size: 256
    .name:           _ZN7rocprim17ROCPRIM_400000_NS6detail17trampoline_kernelINS0_14default_configENS1_38merge_sort_block_merge_config_selectorIfNS0_10empty_typeEEEZZNS1_27merge_sort_block_merge_implIS3_N6thrust23THRUST_200600_302600_NS6detail15normal_iteratorINS9_10device_ptrIfEEEEPS5_jNS1_19radix_merge_compareILb0ELb0EfNS0_19identity_decomposerEEEEE10hipError_tT0_T1_T2_jT3_P12ihipStream_tbPNSt15iterator_traitsISK_E10value_typeEPNSQ_ISL_E10value_typeEPSM_NS1_7vsmem_tEENKUlT_SK_SL_SM_E_clIPfSE_SF_SF_EESJ_SZ_SK_SL_SM_EUlSZ_E1_NS1_11comp_targetILNS1_3genE9ELNS1_11target_archE1100ELNS1_3gpuE3ELNS1_3repE0EEENS1_36merge_oddeven_config_static_selectorELNS0_4arch9wavefront6targetE1EEEvSL_
    .private_segment_fixed_size: 0
    .sgpr_count:     6
    .sgpr_spill_count: 0
    .symbol:         _ZN7rocprim17ROCPRIM_400000_NS6detail17trampoline_kernelINS0_14default_configENS1_38merge_sort_block_merge_config_selectorIfNS0_10empty_typeEEEZZNS1_27merge_sort_block_merge_implIS3_N6thrust23THRUST_200600_302600_NS6detail15normal_iteratorINS9_10device_ptrIfEEEEPS5_jNS1_19radix_merge_compareILb0ELb0EfNS0_19identity_decomposerEEEEE10hipError_tT0_T1_T2_jT3_P12ihipStream_tbPNSt15iterator_traitsISK_E10value_typeEPNSQ_ISL_E10value_typeEPSM_NS1_7vsmem_tEENKUlT_SK_SL_SM_E_clIPfSE_SF_SF_EESJ_SZ_SK_SL_SM_EUlSZ_E1_NS1_11comp_targetILNS1_3genE9ELNS1_11target_archE1100ELNS1_3gpuE3ELNS1_3repE0EEENS1_36merge_oddeven_config_static_selectorELNS0_4arch9wavefront6targetE1EEEvSL_.kd
    .uniform_work_group_size: 1
    .uses_dynamic_stack: false
    .vgpr_count:     0
    .vgpr_spill_count: 0
    .wavefront_size: 64
  - .agpr_count:     0
    .args:
      - .offset:         0
        .size:           48
        .value_kind:     by_value
    .group_segment_fixed_size: 0
    .kernarg_segment_align: 8
    .kernarg_segment_size: 48
    .language:       OpenCL C
    .language_version:
      - 2
      - 0
    .max_flat_workgroup_size: 256
    .name:           _ZN7rocprim17ROCPRIM_400000_NS6detail17trampoline_kernelINS0_14default_configENS1_38merge_sort_block_merge_config_selectorIfNS0_10empty_typeEEEZZNS1_27merge_sort_block_merge_implIS3_N6thrust23THRUST_200600_302600_NS6detail15normal_iteratorINS9_10device_ptrIfEEEEPS5_jNS1_19radix_merge_compareILb0ELb0EfNS0_19identity_decomposerEEEEE10hipError_tT0_T1_T2_jT3_P12ihipStream_tbPNSt15iterator_traitsISK_E10value_typeEPNSQ_ISL_E10value_typeEPSM_NS1_7vsmem_tEENKUlT_SK_SL_SM_E_clIPfSE_SF_SF_EESJ_SZ_SK_SL_SM_EUlSZ_E1_NS1_11comp_targetILNS1_3genE8ELNS1_11target_archE1030ELNS1_3gpuE2ELNS1_3repE0EEENS1_36merge_oddeven_config_static_selectorELNS0_4arch9wavefront6targetE1EEEvSL_
    .private_segment_fixed_size: 0
    .sgpr_count:     6
    .sgpr_spill_count: 0
    .symbol:         _ZN7rocprim17ROCPRIM_400000_NS6detail17trampoline_kernelINS0_14default_configENS1_38merge_sort_block_merge_config_selectorIfNS0_10empty_typeEEEZZNS1_27merge_sort_block_merge_implIS3_N6thrust23THRUST_200600_302600_NS6detail15normal_iteratorINS9_10device_ptrIfEEEEPS5_jNS1_19radix_merge_compareILb0ELb0EfNS0_19identity_decomposerEEEEE10hipError_tT0_T1_T2_jT3_P12ihipStream_tbPNSt15iterator_traitsISK_E10value_typeEPNSQ_ISL_E10value_typeEPSM_NS1_7vsmem_tEENKUlT_SK_SL_SM_E_clIPfSE_SF_SF_EESJ_SZ_SK_SL_SM_EUlSZ_E1_NS1_11comp_targetILNS1_3genE8ELNS1_11target_archE1030ELNS1_3gpuE2ELNS1_3repE0EEENS1_36merge_oddeven_config_static_selectorELNS0_4arch9wavefront6targetE1EEEvSL_.kd
    .uniform_work_group_size: 1
    .uses_dynamic_stack: false
    .vgpr_count:     0
    .vgpr_spill_count: 0
    .wavefront_size: 64
  - .agpr_count:     0
    .args:
      - .offset:         0
        .size:           40
        .value_kind:     by_value
    .group_segment_fixed_size: 0
    .kernarg_segment_align: 8
    .kernarg_segment_size: 40
    .language:       OpenCL C
    .language_version:
      - 2
      - 0
    .max_flat_workgroup_size: 128
    .name:           _ZN7rocprim17ROCPRIM_400000_NS6detail17trampoline_kernelINS0_14default_configENS1_38merge_sort_block_merge_config_selectorIfNS0_10empty_typeEEEZZNS1_27merge_sort_block_merge_implIS3_N6thrust23THRUST_200600_302600_NS6detail15normal_iteratorINS9_10device_ptrIfEEEEPS5_jNS1_19radix_merge_compareILb0ELb0EfNS0_19identity_decomposerEEEEE10hipError_tT0_T1_T2_jT3_P12ihipStream_tbPNSt15iterator_traitsISK_E10value_typeEPNSQ_ISL_E10value_typeEPSM_NS1_7vsmem_tEENKUlT_SK_SL_SM_E_clISE_PfSF_SF_EESJ_SZ_SK_SL_SM_EUlSZ_E_NS1_11comp_targetILNS1_3genE0ELNS1_11target_archE4294967295ELNS1_3gpuE0ELNS1_3repE0EEENS1_48merge_mergepath_partition_config_static_selectorELNS0_4arch9wavefront6targetE1EEEvSL_
    .private_segment_fixed_size: 0
    .sgpr_count:     14
    .sgpr_spill_count: 0
    .symbol:         _ZN7rocprim17ROCPRIM_400000_NS6detail17trampoline_kernelINS0_14default_configENS1_38merge_sort_block_merge_config_selectorIfNS0_10empty_typeEEEZZNS1_27merge_sort_block_merge_implIS3_N6thrust23THRUST_200600_302600_NS6detail15normal_iteratorINS9_10device_ptrIfEEEEPS5_jNS1_19radix_merge_compareILb0ELb0EfNS0_19identity_decomposerEEEEE10hipError_tT0_T1_T2_jT3_P12ihipStream_tbPNSt15iterator_traitsISK_E10value_typeEPNSQ_ISL_E10value_typeEPSM_NS1_7vsmem_tEENKUlT_SK_SL_SM_E_clISE_PfSF_SF_EESJ_SZ_SK_SL_SM_EUlSZ_E_NS1_11comp_targetILNS1_3genE0ELNS1_11target_archE4294967295ELNS1_3gpuE0ELNS1_3repE0EEENS1_48merge_mergepath_partition_config_static_selectorELNS0_4arch9wavefront6targetE1EEEvSL_.kd
    .uniform_work_group_size: 1
    .uses_dynamic_stack: false
    .vgpr_count:     18
    .vgpr_spill_count: 0
    .wavefront_size: 64
  - .agpr_count:     0
    .args:
      - .offset:         0
        .size:           40
        .value_kind:     by_value
    .group_segment_fixed_size: 0
    .kernarg_segment_align: 8
    .kernarg_segment_size: 40
    .language:       OpenCL C
    .language_version:
      - 2
      - 0
    .max_flat_workgroup_size: 128
    .name:           _ZN7rocprim17ROCPRIM_400000_NS6detail17trampoline_kernelINS0_14default_configENS1_38merge_sort_block_merge_config_selectorIfNS0_10empty_typeEEEZZNS1_27merge_sort_block_merge_implIS3_N6thrust23THRUST_200600_302600_NS6detail15normal_iteratorINS9_10device_ptrIfEEEEPS5_jNS1_19radix_merge_compareILb0ELb0EfNS0_19identity_decomposerEEEEE10hipError_tT0_T1_T2_jT3_P12ihipStream_tbPNSt15iterator_traitsISK_E10value_typeEPNSQ_ISL_E10value_typeEPSM_NS1_7vsmem_tEENKUlT_SK_SL_SM_E_clISE_PfSF_SF_EESJ_SZ_SK_SL_SM_EUlSZ_E_NS1_11comp_targetILNS1_3genE10ELNS1_11target_archE1201ELNS1_3gpuE5ELNS1_3repE0EEENS1_48merge_mergepath_partition_config_static_selectorELNS0_4arch9wavefront6targetE1EEEvSL_
    .private_segment_fixed_size: 0
    .sgpr_count:     6
    .sgpr_spill_count: 0
    .symbol:         _ZN7rocprim17ROCPRIM_400000_NS6detail17trampoline_kernelINS0_14default_configENS1_38merge_sort_block_merge_config_selectorIfNS0_10empty_typeEEEZZNS1_27merge_sort_block_merge_implIS3_N6thrust23THRUST_200600_302600_NS6detail15normal_iteratorINS9_10device_ptrIfEEEEPS5_jNS1_19radix_merge_compareILb0ELb0EfNS0_19identity_decomposerEEEEE10hipError_tT0_T1_T2_jT3_P12ihipStream_tbPNSt15iterator_traitsISK_E10value_typeEPNSQ_ISL_E10value_typeEPSM_NS1_7vsmem_tEENKUlT_SK_SL_SM_E_clISE_PfSF_SF_EESJ_SZ_SK_SL_SM_EUlSZ_E_NS1_11comp_targetILNS1_3genE10ELNS1_11target_archE1201ELNS1_3gpuE5ELNS1_3repE0EEENS1_48merge_mergepath_partition_config_static_selectorELNS0_4arch9wavefront6targetE1EEEvSL_.kd
    .uniform_work_group_size: 1
    .uses_dynamic_stack: false
    .vgpr_count:     0
    .vgpr_spill_count: 0
    .wavefront_size: 64
  - .agpr_count:     0
    .args:
      - .offset:         0
        .size:           40
        .value_kind:     by_value
    .group_segment_fixed_size: 0
    .kernarg_segment_align: 8
    .kernarg_segment_size: 40
    .language:       OpenCL C
    .language_version:
      - 2
      - 0
    .max_flat_workgroup_size: 128
    .name:           _ZN7rocprim17ROCPRIM_400000_NS6detail17trampoline_kernelINS0_14default_configENS1_38merge_sort_block_merge_config_selectorIfNS0_10empty_typeEEEZZNS1_27merge_sort_block_merge_implIS3_N6thrust23THRUST_200600_302600_NS6detail15normal_iteratorINS9_10device_ptrIfEEEEPS5_jNS1_19radix_merge_compareILb0ELb0EfNS0_19identity_decomposerEEEEE10hipError_tT0_T1_T2_jT3_P12ihipStream_tbPNSt15iterator_traitsISK_E10value_typeEPNSQ_ISL_E10value_typeEPSM_NS1_7vsmem_tEENKUlT_SK_SL_SM_E_clISE_PfSF_SF_EESJ_SZ_SK_SL_SM_EUlSZ_E_NS1_11comp_targetILNS1_3genE5ELNS1_11target_archE942ELNS1_3gpuE9ELNS1_3repE0EEENS1_48merge_mergepath_partition_config_static_selectorELNS0_4arch9wavefront6targetE1EEEvSL_
    .private_segment_fixed_size: 0
    .sgpr_count:     6
    .sgpr_spill_count: 0
    .symbol:         _ZN7rocprim17ROCPRIM_400000_NS6detail17trampoline_kernelINS0_14default_configENS1_38merge_sort_block_merge_config_selectorIfNS0_10empty_typeEEEZZNS1_27merge_sort_block_merge_implIS3_N6thrust23THRUST_200600_302600_NS6detail15normal_iteratorINS9_10device_ptrIfEEEEPS5_jNS1_19radix_merge_compareILb0ELb0EfNS0_19identity_decomposerEEEEE10hipError_tT0_T1_T2_jT3_P12ihipStream_tbPNSt15iterator_traitsISK_E10value_typeEPNSQ_ISL_E10value_typeEPSM_NS1_7vsmem_tEENKUlT_SK_SL_SM_E_clISE_PfSF_SF_EESJ_SZ_SK_SL_SM_EUlSZ_E_NS1_11comp_targetILNS1_3genE5ELNS1_11target_archE942ELNS1_3gpuE9ELNS1_3repE0EEENS1_48merge_mergepath_partition_config_static_selectorELNS0_4arch9wavefront6targetE1EEEvSL_.kd
    .uniform_work_group_size: 1
    .uses_dynamic_stack: false
    .vgpr_count:     0
    .vgpr_spill_count: 0
    .wavefront_size: 64
  - .agpr_count:     0
    .args:
      - .offset:         0
        .size:           40
        .value_kind:     by_value
    .group_segment_fixed_size: 0
    .kernarg_segment_align: 8
    .kernarg_segment_size: 40
    .language:       OpenCL C
    .language_version:
      - 2
      - 0
    .max_flat_workgroup_size: 128
    .name:           _ZN7rocprim17ROCPRIM_400000_NS6detail17trampoline_kernelINS0_14default_configENS1_38merge_sort_block_merge_config_selectorIfNS0_10empty_typeEEEZZNS1_27merge_sort_block_merge_implIS3_N6thrust23THRUST_200600_302600_NS6detail15normal_iteratorINS9_10device_ptrIfEEEEPS5_jNS1_19radix_merge_compareILb0ELb0EfNS0_19identity_decomposerEEEEE10hipError_tT0_T1_T2_jT3_P12ihipStream_tbPNSt15iterator_traitsISK_E10value_typeEPNSQ_ISL_E10value_typeEPSM_NS1_7vsmem_tEENKUlT_SK_SL_SM_E_clISE_PfSF_SF_EESJ_SZ_SK_SL_SM_EUlSZ_E_NS1_11comp_targetILNS1_3genE4ELNS1_11target_archE910ELNS1_3gpuE8ELNS1_3repE0EEENS1_48merge_mergepath_partition_config_static_selectorELNS0_4arch9wavefront6targetE1EEEvSL_
    .private_segment_fixed_size: 0
    .sgpr_count:     6
    .sgpr_spill_count: 0
    .symbol:         _ZN7rocprim17ROCPRIM_400000_NS6detail17trampoline_kernelINS0_14default_configENS1_38merge_sort_block_merge_config_selectorIfNS0_10empty_typeEEEZZNS1_27merge_sort_block_merge_implIS3_N6thrust23THRUST_200600_302600_NS6detail15normal_iteratorINS9_10device_ptrIfEEEEPS5_jNS1_19radix_merge_compareILb0ELb0EfNS0_19identity_decomposerEEEEE10hipError_tT0_T1_T2_jT3_P12ihipStream_tbPNSt15iterator_traitsISK_E10value_typeEPNSQ_ISL_E10value_typeEPSM_NS1_7vsmem_tEENKUlT_SK_SL_SM_E_clISE_PfSF_SF_EESJ_SZ_SK_SL_SM_EUlSZ_E_NS1_11comp_targetILNS1_3genE4ELNS1_11target_archE910ELNS1_3gpuE8ELNS1_3repE0EEENS1_48merge_mergepath_partition_config_static_selectorELNS0_4arch9wavefront6targetE1EEEvSL_.kd
    .uniform_work_group_size: 1
    .uses_dynamic_stack: false
    .vgpr_count:     0
    .vgpr_spill_count: 0
    .wavefront_size: 64
  - .agpr_count:     0
    .args:
      - .offset:         0
        .size:           40
        .value_kind:     by_value
    .group_segment_fixed_size: 0
    .kernarg_segment_align: 8
    .kernarg_segment_size: 40
    .language:       OpenCL C
    .language_version:
      - 2
      - 0
    .max_flat_workgroup_size: 128
    .name:           _ZN7rocprim17ROCPRIM_400000_NS6detail17trampoline_kernelINS0_14default_configENS1_38merge_sort_block_merge_config_selectorIfNS0_10empty_typeEEEZZNS1_27merge_sort_block_merge_implIS3_N6thrust23THRUST_200600_302600_NS6detail15normal_iteratorINS9_10device_ptrIfEEEEPS5_jNS1_19radix_merge_compareILb0ELb0EfNS0_19identity_decomposerEEEEE10hipError_tT0_T1_T2_jT3_P12ihipStream_tbPNSt15iterator_traitsISK_E10value_typeEPNSQ_ISL_E10value_typeEPSM_NS1_7vsmem_tEENKUlT_SK_SL_SM_E_clISE_PfSF_SF_EESJ_SZ_SK_SL_SM_EUlSZ_E_NS1_11comp_targetILNS1_3genE3ELNS1_11target_archE908ELNS1_3gpuE7ELNS1_3repE0EEENS1_48merge_mergepath_partition_config_static_selectorELNS0_4arch9wavefront6targetE1EEEvSL_
    .private_segment_fixed_size: 0
    .sgpr_count:     6
    .sgpr_spill_count: 0
    .symbol:         _ZN7rocprim17ROCPRIM_400000_NS6detail17trampoline_kernelINS0_14default_configENS1_38merge_sort_block_merge_config_selectorIfNS0_10empty_typeEEEZZNS1_27merge_sort_block_merge_implIS3_N6thrust23THRUST_200600_302600_NS6detail15normal_iteratorINS9_10device_ptrIfEEEEPS5_jNS1_19radix_merge_compareILb0ELb0EfNS0_19identity_decomposerEEEEE10hipError_tT0_T1_T2_jT3_P12ihipStream_tbPNSt15iterator_traitsISK_E10value_typeEPNSQ_ISL_E10value_typeEPSM_NS1_7vsmem_tEENKUlT_SK_SL_SM_E_clISE_PfSF_SF_EESJ_SZ_SK_SL_SM_EUlSZ_E_NS1_11comp_targetILNS1_3genE3ELNS1_11target_archE908ELNS1_3gpuE7ELNS1_3repE0EEENS1_48merge_mergepath_partition_config_static_selectorELNS0_4arch9wavefront6targetE1EEEvSL_.kd
    .uniform_work_group_size: 1
    .uses_dynamic_stack: false
    .vgpr_count:     0
    .vgpr_spill_count: 0
    .wavefront_size: 64
  - .agpr_count:     0
    .args:
      - .offset:         0
        .size:           40
        .value_kind:     by_value
    .group_segment_fixed_size: 0
    .kernarg_segment_align: 8
    .kernarg_segment_size: 40
    .language:       OpenCL C
    .language_version:
      - 2
      - 0
    .max_flat_workgroup_size: 128
    .name:           _ZN7rocprim17ROCPRIM_400000_NS6detail17trampoline_kernelINS0_14default_configENS1_38merge_sort_block_merge_config_selectorIfNS0_10empty_typeEEEZZNS1_27merge_sort_block_merge_implIS3_N6thrust23THRUST_200600_302600_NS6detail15normal_iteratorINS9_10device_ptrIfEEEEPS5_jNS1_19radix_merge_compareILb0ELb0EfNS0_19identity_decomposerEEEEE10hipError_tT0_T1_T2_jT3_P12ihipStream_tbPNSt15iterator_traitsISK_E10value_typeEPNSQ_ISL_E10value_typeEPSM_NS1_7vsmem_tEENKUlT_SK_SL_SM_E_clISE_PfSF_SF_EESJ_SZ_SK_SL_SM_EUlSZ_E_NS1_11comp_targetILNS1_3genE2ELNS1_11target_archE906ELNS1_3gpuE6ELNS1_3repE0EEENS1_48merge_mergepath_partition_config_static_selectorELNS0_4arch9wavefront6targetE1EEEvSL_
    .private_segment_fixed_size: 0
    .sgpr_count:     6
    .sgpr_spill_count: 0
    .symbol:         _ZN7rocprim17ROCPRIM_400000_NS6detail17trampoline_kernelINS0_14default_configENS1_38merge_sort_block_merge_config_selectorIfNS0_10empty_typeEEEZZNS1_27merge_sort_block_merge_implIS3_N6thrust23THRUST_200600_302600_NS6detail15normal_iteratorINS9_10device_ptrIfEEEEPS5_jNS1_19radix_merge_compareILb0ELb0EfNS0_19identity_decomposerEEEEE10hipError_tT0_T1_T2_jT3_P12ihipStream_tbPNSt15iterator_traitsISK_E10value_typeEPNSQ_ISL_E10value_typeEPSM_NS1_7vsmem_tEENKUlT_SK_SL_SM_E_clISE_PfSF_SF_EESJ_SZ_SK_SL_SM_EUlSZ_E_NS1_11comp_targetILNS1_3genE2ELNS1_11target_archE906ELNS1_3gpuE6ELNS1_3repE0EEENS1_48merge_mergepath_partition_config_static_selectorELNS0_4arch9wavefront6targetE1EEEvSL_.kd
    .uniform_work_group_size: 1
    .uses_dynamic_stack: false
    .vgpr_count:     0
    .vgpr_spill_count: 0
    .wavefront_size: 64
  - .agpr_count:     0
    .args:
      - .offset:         0
        .size:           40
        .value_kind:     by_value
    .group_segment_fixed_size: 0
    .kernarg_segment_align: 8
    .kernarg_segment_size: 40
    .language:       OpenCL C
    .language_version:
      - 2
      - 0
    .max_flat_workgroup_size: 128
    .name:           _ZN7rocprim17ROCPRIM_400000_NS6detail17trampoline_kernelINS0_14default_configENS1_38merge_sort_block_merge_config_selectorIfNS0_10empty_typeEEEZZNS1_27merge_sort_block_merge_implIS3_N6thrust23THRUST_200600_302600_NS6detail15normal_iteratorINS9_10device_ptrIfEEEEPS5_jNS1_19radix_merge_compareILb0ELb0EfNS0_19identity_decomposerEEEEE10hipError_tT0_T1_T2_jT3_P12ihipStream_tbPNSt15iterator_traitsISK_E10value_typeEPNSQ_ISL_E10value_typeEPSM_NS1_7vsmem_tEENKUlT_SK_SL_SM_E_clISE_PfSF_SF_EESJ_SZ_SK_SL_SM_EUlSZ_E_NS1_11comp_targetILNS1_3genE9ELNS1_11target_archE1100ELNS1_3gpuE3ELNS1_3repE0EEENS1_48merge_mergepath_partition_config_static_selectorELNS0_4arch9wavefront6targetE1EEEvSL_
    .private_segment_fixed_size: 0
    .sgpr_count:     6
    .sgpr_spill_count: 0
    .symbol:         _ZN7rocprim17ROCPRIM_400000_NS6detail17trampoline_kernelINS0_14default_configENS1_38merge_sort_block_merge_config_selectorIfNS0_10empty_typeEEEZZNS1_27merge_sort_block_merge_implIS3_N6thrust23THRUST_200600_302600_NS6detail15normal_iteratorINS9_10device_ptrIfEEEEPS5_jNS1_19radix_merge_compareILb0ELb0EfNS0_19identity_decomposerEEEEE10hipError_tT0_T1_T2_jT3_P12ihipStream_tbPNSt15iterator_traitsISK_E10value_typeEPNSQ_ISL_E10value_typeEPSM_NS1_7vsmem_tEENKUlT_SK_SL_SM_E_clISE_PfSF_SF_EESJ_SZ_SK_SL_SM_EUlSZ_E_NS1_11comp_targetILNS1_3genE9ELNS1_11target_archE1100ELNS1_3gpuE3ELNS1_3repE0EEENS1_48merge_mergepath_partition_config_static_selectorELNS0_4arch9wavefront6targetE1EEEvSL_.kd
    .uniform_work_group_size: 1
    .uses_dynamic_stack: false
    .vgpr_count:     0
    .vgpr_spill_count: 0
    .wavefront_size: 64
  - .agpr_count:     0
    .args:
      - .offset:         0
        .size:           40
        .value_kind:     by_value
    .group_segment_fixed_size: 0
    .kernarg_segment_align: 8
    .kernarg_segment_size: 40
    .language:       OpenCL C
    .language_version:
      - 2
      - 0
    .max_flat_workgroup_size: 128
    .name:           _ZN7rocprim17ROCPRIM_400000_NS6detail17trampoline_kernelINS0_14default_configENS1_38merge_sort_block_merge_config_selectorIfNS0_10empty_typeEEEZZNS1_27merge_sort_block_merge_implIS3_N6thrust23THRUST_200600_302600_NS6detail15normal_iteratorINS9_10device_ptrIfEEEEPS5_jNS1_19radix_merge_compareILb0ELb0EfNS0_19identity_decomposerEEEEE10hipError_tT0_T1_T2_jT3_P12ihipStream_tbPNSt15iterator_traitsISK_E10value_typeEPNSQ_ISL_E10value_typeEPSM_NS1_7vsmem_tEENKUlT_SK_SL_SM_E_clISE_PfSF_SF_EESJ_SZ_SK_SL_SM_EUlSZ_E_NS1_11comp_targetILNS1_3genE8ELNS1_11target_archE1030ELNS1_3gpuE2ELNS1_3repE0EEENS1_48merge_mergepath_partition_config_static_selectorELNS0_4arch9wavefront6targetE1EEEvSL_
    .private_segment_fixed_size: 0
    .sgpr_count:     6
    .sgpr_spill_count: 0
    .symbol:         _ZN7rocprim17ROCPRIM_400000_NS6detail17trampoline_kernelINS0_14default_configENS1_38merge_sort_block_merge_config_selectorIfNS0_10empty_typeEEEZZNS1_27merge_sort_block_merge_implIS3_N6thrust23THRUST_200600_302600_NS6detail15normal_iteratorINS9_10device_ptrIfEEEEPS5_jNS1_19radix_merge_compareILb0ELb0EfNS0_19identity_decomposerEEEEE10hipError_tT0_T1_T2_jT3_P12ihipStream_tbPNSt15iterator_traitsISK_E10value_typeEPNSQ_ISL_E10value_typeEPSM_NS1_7vsmem_tEENKUlT_SK_SL_SM_E_clISE_PfSF_SF_EESJ_SZ_SK_SL_SM_EUlSZ_E_NS1_11comp_targetILNS1_3genE8ELNS1_11target_archE1030ELNS1_3gpuE2ELNS1_3repE0EEENS1_48merge_mergepath_partition_config_static_selectorELNS0_4arch9wavefront6targetE1EEEvSL_.kd
    .uniform_work_group_size: 1
    .uses_dynamic_stack: false
    .vgpr_count:     0
    .vgpr_spill_count: 0
    .wavefront_size: 64
  - .agpr_count:     0
    .args:
      - .offset:         0
        .size:           64
        .value_kind:     by_value
      - .offset:         64
        .size:           4
        .value_kind:     hidden_block_count_x
      - .offset:         68
        .size:           4
        .value_kind:     hidden_block_count_y
      - .offset:         72
        .size:           4
        .value_kind:     hidden_block_count_z
      - .offset:         76
        .size:           2
        .value_kind:     hidden_group_size_x
      - .offset:         78
        .size:           2
        .value_kind:     hidden_group_size_y
      - .offset:         80
        .size:           2
        .value_kind:     hidden_group_size_z
      - .offset:         82
        .size:           2
        .value_kind:     hidden_remainder_x
      - .offset:         84
        .size:           2
        .value_kind:     hidden_remainder_y
      - .offset:         86
        .size:           2
        .value_kind:     hidden_remainder_z
      - .offset:         104
        .size:           8
        .value_kind:     hidden_global_offset_x
      - .offset:         112
        .size:           8
        .value_kind:     hidden_global_offset_y
      - .offset:         120
        .size:           8
        .value_kind:     hidden_global_offset_z
      - .offset:         128
        .size:           2
        .value_kind:     hidden_grid_dims
    .group_segment_fixed_size: 4224
    .kernarg_segment_align: 8
    .kernarg_segment_size: 320
    .language:       OpenCL C
    .language_version:
      - 2
      - 0
    .max_flat_workgroup_size: 128
    .name:           _ZN7rocprim17ROCPRIM_400000_NS6detail17trampoline_kernelINS0_14default_configENS1_38merge_sort_block_merge_config_selectorIfNS0_10empty_typeEEEZZNS1_27merge_sort_block_merge_implIS3_N6thrust23THRUST_200600_302600_NS6detail15normal_iteratorINS9_10device_ptrIfEEEEPS5_jNS1_19radix_merge_compareILb0ELb0EfNS0_19identity_decomposerEEEEE10hipError_tT0_T1_T2_jT3_P12ihipStream_tbPNSt15iterator_traitsISK_E10value_typeEPNSQ_ISL_E10value_typeEPSM_NS1_7vsmem_tEENKUlT_SK_SL_SM_E_clISE_PfSF_SF_EESJ_SZ_SK_SL_SM_EUlSZ_E0_NS1_11comp_targetILNS1_3genE0ELNS1_11target_archE4294967295ELNS1_3gpuE0ELNS1_3repE0EEENS1_38merge_mergepath_config_static_selectorELNS0_4arch9wavefront6targetE1EEEvSL_
    .private_segment_fixed_size: 0
    .sgpr_count:     34
    .sgpr_spill_count: 0
    .symbol:         _ZN7rocprim17ROCPRIM_400000_NS6detail17trampoline_kernelINS0_14default_configENS1_38merge_sort_block_merge_config_selectorIfNS0_10empty_typeEEEZZNS1_27merge_sort_block_merge_implIS3_N6thrust23THRUST_200600_302600_NS6detail15normal_iteratorINS9_10device_ptrIfEEEEPS5_jNS1_19radix_merge_compareILb0ELb0EfNS0_19identity_decomposerEEEEE10hipError_tT0_T1_T2_jT3_P12ihipStream_tbPNSt15iterator_traitsISK_E10value_typeEPNSQ_ISL_E10value_typeEPSM_NS1_7vsmem_tEENKUlT_SK_SL_SM_E_clISE_PfSF_SF_EESJ_SZ_SK_SL_SM_EUlSZ_E0_NS1_11comp_targetILNS1_3genE0ELNS1_11target_archE4294967295ELNS1_3gpuE0ELNS1_3repE0EEENS1_38merge_mergepath_config_static_selectorELNS0_4arch9wavefront6targetE1EEEvSL_.kd
    .uniform_work_group_size: 1
    .uses_dynamic_stack: false
    .vgpr_count:     26
    .vgpr_spill_count: 0
    .wavefront_size: 64
  - .agpr_count:     0
    .args:
      - .offset:         0
        .size:           64
        .value_kind:     by_value
    .group_segment_fixed_size: 0
    .kernarg_segment_align: 8
    .kernarg_segment_size: 64
    .language:       OpenCL C
    .language_version:
      - 2
      - 0
    .max_flat_workgroup_size: 256
    .name:           _ZN7rocprim17ROCPRIM_400000_NS6detail17trampoline_kernelINS0_14default_configENS1_38merge_sort_block_merge_config_selectorIfNS0_10empty_typeEEEZZNS1_27merge_sort_block_merge_implIS3_N6thrust23THRUST_200600_302600_NS6detail15normal_iteratorINS9_10device_ptrIfEEEEPS5_jNS1_19radix_merge_compareILb0ELb0EfNS0_19identity_decomposerEEEEE10hipError_tT0_T1_T2_jT3_P12ihipStream_tbPNSt15iterator_traitsISK_E10value_typeEPNSQ_ISL_E10value_typeEPSM_NS1_7vsmem_tEENKUlT_SK_SL_SM_E_clISE_PfSF_SF_EESJ_SZ_SK_SL_SM_EUlSZ_E0_NS1_11comp_targetILNS1_3genE10ELNS1_11target_archE1201ELNS1_3gpuE5ELNS1_3repE0EEENS1_38merge_mergepath_config_static_selectorELNS0_4arch9wavefront6targetE1EEEvSL_
    .private_segment_fixed_size: 0
    .sgpr_count:     6
    .sgpr_spill_count: 0
    .symbol:         _ZN7rocprim17ROCPRIM_400000_NS6detail17trampoline_kernelINS0_14default_configENS1_38merge_sort_block_merge_config_selectorIfNS0_10empty_typeEEEZZNS1_27merge_sort_block_merge_implIS3_N6thrust23THRUST_200600_302600_NS6detail15normal_iteratorINS9_10device_ptrIfEEEEPS5_jNS1_19radix_merge_compareILb0ELb0EfNS0_19identity_decomposerEEEEE10hipError_tT0_T1_T2_jT3_P12ihipStream_tbPNSt15iterator_traitsISK_E10value_typeEPNSQ_ISL_E10value_typeEPSM_NS1_7vsmem_tEENKUlT_SK_SL_SM_E_clISE_PfSF_SF_EESJ_SZ_SK_SL_SM_EUlSZ_E0_NS1_11comp_targetILNS1_3genE10ELNS1_11target_archE1201ELNS1_3gpuE5ELNS1_3repE0EEENS1_38merge_mergepath_config_static_selectorELNS0_4arch9wavefront6targetE1EEEvSL_.kd
    .uniform_work_group_size: 1
    .uses_dynamic_stack: false
    .vgpr_count:     0
    .vgpr_spill_count: 0
    .wavefront_size: 64
  - .agpr_count:     0
    .args:
      - .offset:         0
        .size:           64
        .value_kind:     by_value
    .group_segment_fixed_size: 0
    .kernarg_segment_align: 8
    .kernarg_segment_size: 64
    .language:       OpenCL C
    .language_version:
      - 2
      - 0
    .max_flat_workgroup_size: 128
    .name:           _ZN7rocprim17ROCPRIM_400000_NS6detail17trampoline_kernelINS0_14default_configENS1_38merge_sort_block_merge_config_selectorIfNS0_10empty_typeEEEZZNS1_27merge_sort_block_merge_implIS3_N6thrust23THRUST_200600_302600_NS6detail15normal_iteratorINS9_10device_ptrIfEEEEPS5_jNS1_19radix_merge_compareILb0ELb0EfNS0_19identity_decomposerEEEEE10hipError_tT0_T1_T2_jT3_P12ihipStream_tbPNSt15iterator_traitsISK_E10value_typeEPNSQ_ISL_E10value_typeEPSM_NS1_7vsmem_tEENKUlT_SK_SL_SM_E_clISE_PfSF_SF_EESJ_SZ_SK_SL_SM_EUlSZ_E0_NS1_11comp_targetILNS1_3genE5ELNS1_11target_archE942ELNS1_3gpuE9ELNS1_3repE0EEENS1_38merge_mergepath_config_static_selectorELNS0_4arch9wavefront6targetE1EEEvSL_
    .private_segment_fixed_size: 0
    .sgpr_count:     6
    .sgpr_spill_count: 0
    .symbol:         _ZN7rocprim17ROCPRIM_400000_NS6detail17trampoline_kernelINS0_14default_configENS1_38merge_sort_block_merge_config_selectorIfNS0_10empty_typeEEEZZNS1_27merge_sort_block_merge_implIS3_N6thrust23THRUST_200600_302600_NS6detail15normal_iteratorINS9_10device_ptrIfEEEEPS5_jNS1_19radix_merge_compareILb0ELb0EfNS0_19identity_decomposerEEEEE10hipError_tT0_T1_T2_jT3_P12ihipStream_tbPNSt15iterator_traitsISK_E10value_typeEPNSQ_ISL_E10value_typeEPSM_NS1_7vsmem_tEENKUlT_SK_SL_SM_E_clISE_PfSF_SF_EESJ_SZ_SK_SL_SM_EUlSZ_E0_NS1_11comp_targetILNS1_3genE5ELNS1_11target_archE942ELNS1_3gpuE9ELNS1_3repE0EEENS1_38merge_mergepath_config_static_selectorELNS0_4arch9wavefront6targetE1EEEvSL_.kd
    .uniform_work_group_size: 1
    .uses_dynamic_stack: false
    .vgpr_count:     0
    .vgpr_spill_count: 0
    .wavefront_size: 64
  - .agpr_count:     0
    .args:
      - .offset:         0
        .size:           64
        .value_kind:     by_value
    .group_segment_fixed_size: 0
    .kernarg_segment_align: 8
    .kernarg_segment_size: 64
    .language:       OpenCL C
    .language_version:
      - 2
      - 0
    .max_flat_workgroup_size: 128
    .name:           _ZN7rocprim17ROCPRIM_400000_NS6detail17trampoline_kernelINS0_14default_configENS1_38merge_sort_block_merge_config_selectorIfNS0_10empty_typeEEEZZNS1_27merge_sort_block_merge_implIS3_N6thrust23THRUST_200600_302600_NS6detail15normal_iteratorINS9_10device_ptrIfEEEEPS5_jNS1_19radix_merge_compareILb0ELb0EfNS0_19identity_decomposerEEEEE10hipError_tT0_T1_T2_jT3_P12ihipStream_tbPNSt15iterator_traitsISK_E10value_typeEPNSQ_ISL_E10value_typeEPSM_NS1_7vsmem_tEENKUlT_SK_SL_SM_E_clISE_PfSF_SF_EESJ_SZ_SK_SL_SM_EUlSZ_E0_NS1_11comp_targetILNS1_3genE4ELNS1_11target_archE910ELNS1_3gpuE8ELNS1_3repE0EEENS1_38merge_mergepath_config_static_selectorELNS0_4arch9wavefront6targetE1EEEvSL_
    .private_segment_fixed_size: 0
    .sgpr_count:     6
    .sgpr_spill_count: 0
    .symbol:         _ZN7rocprim17ROCPRIM_400000_NS6detail17trampoline_kernelINS0_14default_configENS1_38merge_sort_block_merge_config_selectorIfNS0_10empty_typeEEEZZNS1_27merge_sort_block_merge_implIS3_N6thrust23THRUST_200600_302600_NS6detail15normal_iteratorINS9_10device_ptrIfEEEEPS5_jNS1_19radix_merge_compareILb0ELb0EfNS0_19identity_decomposerEEEEE10hipError_tT0_T1_T2_jT3_P12ihipStream_tbPNSt15iterator_traitsISK_E10value_typeEPNSQ_ISL_E10value_typeEPSM_NS1_7vsmem_tEENKUlT_SK_SL_SM_E_clISE_PfSF_SF_EESJ_SZ_SK_SL_SM_EUlSZ_E0_NS1_11comp_targetILNS1_3genE4ELNS1_11target_archE910ELNS1_3gpuE8ELNS1_3repE0EEENS1_38merge_mergepath_config_static_selectorELNS0_4arch9wavefront6targetE1EEEvSL_.kd
    .uniform_work_group_size: 1
    .uses_dynamic_stack: false
    .vgpr_count:     0
    .vgpr_spill_count: 0
    .wavefront_size: 64
  - .agpr_count:     0
    .args:
      - .offset:         0
        .size:           64
        .value_kind:     by_value
    .group_segment_fixed_size: 0
    .kernarg_segment_align: 8
    .kernarg_segment_size: 64
    .language:       OpenCL C
    .language_version:
      - 2
      - 0
    .max_flat_workgroup_size: 128
    .name:           _ZN7rocprim17ROCPRIM_400000_NS6detail17trampoline_kernelINS0_14default_configENS1_38merge_sort_block_merge_config_selectorIfNS0_10empty_typeEEEZZNS1_27merge_sort_block_merge_implIS3_N6thrust23THRUST_200600_302600_NS6detail15normal_iteratorINS9_10device_ptrIfEEEEPS5_jNS1_19radix_merge_compareILb0ELb0EfNS0_19identity_decomposerEEEEE10hipError_tT0_T1_T2_jT3_P12ihipStream_tbPNSt15iterator_traitsISK_E10value_typeEPNSQ_ISL_E10value_typeEPSM_NS1_7vsmem_tEENKUlT_SK_SL_SM_E_clISE_PfSF_SF_EESJ_SZ_SK_SL_SM_EUlSZ_E0_NS1_11comp_targetILNS1_3genE3ELNS1_11target_archE908ELNS1_3gpuE7ELNS1_3repE0EEENS1_38merge_mergepath_config_static_selectorELNS0_4arch9wavefront6targetE1EEEvSL_
    .private_segment_fixed_size: 0
    .sgpr_count:     6
    .sgpr_spill_count: 0
    .symbol:         _ZN7rocprim17ROCPRIM_400000_NS6detail17trampoline_kernelINS0_14default_configENS1_38merge_sort_block_merge_config_selectorIfNS0_10empty_typeEEEZZNS1_27merge_sort_block_merge_implIS3_N6thrust23THRUST_200600_302600_NS6detail15normal_iteratorINS9_10device_ptrIfEEEEPS5_jNS1_19radix_merge_compareILb0ELb0EfNS0_19identity_decomposerEEEEE10hipError_tT0_T1_T2_jT3_P12ihipStream_tbPNSt15iterator_traitsISK_E10value_typeEPNSQ_ISL_E10value_typeEPSM_NS1_7vsmem_tEENKUlT_SK_SL_SM_E_clISE_PfSF_SF_EESJ_SZ_SK_SL_SM_EUlSZ_E0_NS1_11comp_targetILNS1_3genE3ELNS1_11target_archE908ELNS1_3gpuE7ELNS1_3repE0EEENS1_38merge_mergepath_config_static_selectorELNS0_4arch9wavefront6targetE1EEEvSL_.kd
    .uniform_work_group_size: 1
    .uses_dynamic_stack: false
    .vgpr_count:     0
    .vgpr_spill_count: 0
    .wavefront_size: 64
  - .agpr_count:     0
    .args:
      - .offset:         0
        .size:           64
        .value_kind:     by_value
    .group_segment_fixed_size: 0
    .kernarg_segment_align: 8
    .kernarg_segment_size: 64
    .language:       OpenCL C
    .language_version:
      - 2
      - 0
    .max_flat_workgroup_size: 128
    .name:           _ZN7rocprim17ROCPRIM_400000_NS6detail17trampoline_kernelINS0_14default_configENS1_38merge_sort_block_merge_config_selectorIfNS0_10empty_typeEEEZZNS1_27merge_sort_block_merge_implIS3_N6thrust23THRUST_200600_302600_NS6detail15normal_iteratorINS9_10device_ptrIfEEEEPS5_jNS1_19radix_merge_compareILb0ELb0EfNS0_19identity_decomposerEEEEE10hipError_tT0_T1_T2_jT3_P12ihipStream_tbPNSt15iterator_traitsISK_E10value_typeEPNSQ_ISL_E10value_typeEPSM_NS1_7vsmem_tEENKUlT_SK_SL_SM_E_clISE_PfSF_SF_EESJ_SZ_SK_SL_SM_EUlSZ_E0_NS1_11comp_targetILNS1_3genE2ELNS1_11target_archE906ELNS1_3gpuE6ELNS1_3repE0EEENS1_38merge_mergepath_config_static_selectorELNS0_4arch9wavefront6targetE1EEEvSL_
    .private_segment_fixed_size: 0
    .sgpr_count:     6
    .sgpr_spill_count: 0
    .symbol:         _ZN7rocprim17ROCPRIM_400000_NS6detail17trampoline_kernelINS0_14default_configENS1_38merge_sort_block_merge_config_selectorIfNS0_10empty_typeEEEZZNS1_27merge_sort_block_merge_implIS3_N6thrust23THRUST_200600_302600_NS6detail15normal_iteratorINS9_10device_ptrIfEEEEPS5_jNS1_19radix_merge_compareILb0ELb0EfNS0_19identity_decomposerEEEEE10hipError_tT0_T1_T2_jT3_P12ihipStream_tbPNSt15iterator_traitsISK_E10value_typeEPNSQ_ISL_E10value_typeEPSM_NS1_7vsmem_tEENKUlT_SK_SL_SM_E_clISE_PfSF_SF_EESJ_SZ_SK_SL_SM_EUlSZ_E0_NS1_11comp_targetILNS1_3genE2ELNS1_11target_archE906ELNS1_3gpuE6ELNS1_3repE0EEENS1_38merge_mergepath_config_static_selectorELNS0_4arch9wavefront6targetE1EEEvSL_.kd
    .uniform_work_group_size: 1
    .uses_dynamic_stack: false
    .vgpr_count:     0
    .vgpr_spill_count: 0
    .wavefront_size: 64
  - .agpr_count:     0
    .args:
      - .offset:         0
        .size:           64
        .value_kind:     by_value
    .group_segment_fixed_size: 0
    .kernarg_segment_align: 8
    .kernarg_segment_size: 64
    .language:       OpenCL C
    .language_version:
      - 2
      - 0
    .max_flat_workgroup_size: 256
    .name:           _ZN7rocprim17ROCPRIM_400000_NS6detail17trampoline_kernelINS0_14default_configENS1_38merge_sort_block_merge_config_selectorIfNS0_10empty_typeEEEZZNS1_27merge_sort_block_merge_implIS3_N6thrust23THRUST_200600_302600_NS6detail15normal_iteratorINS9_10device_ptrIfEEEEPS5_jNS1_19radix_merge_compareILb0ELb0EfNS0_19identity_decomposerEEEEE10hipError_tT0_T1_T2_jT3_P12ihipStream_tbPNSt15iterator_traitsISK_E10value_typeEPNSQ_ISL_E10value_typeEPSM_NS1_7vsmem_tEENKUlT_SK_SL_SM_E_clISE_PfSF_SF_EESJ_SZ_SK_SL_SM_EUlSZ_E0_NS1_11comp_targetILNS1_3genE9ELNS1_11target_archE1100ELNS1_3gpuE3ELNS1_3repE0EEENS1_38merge_mergepath_config_static_selectorELNS0_4arch9wavefront6targetE1EEEvSL_
    .private_segment_fixed_size: 0
    .sgpr_count:     6
    .sgpr_spill_count: 0
    .symbol:         _ZN7rocprim17ROCPRIM_400000_NS6detail17trampoline_kernelINS0_14default_configENS1_38merge_sort_block_merge_config_selectorIfNS0_10empty_typeEEEZZNS1_27merge_sort_block_merge_implIS3_N6thrust23THRUST_200600_302600_NS6detail15normal_iteratorINS9_10device_ptrIfEEEEPS5_jNS1_19radix_merge_compareILb0ELb0EfNS0_19identity_decomposerEEEEE10hipError_tT0_T1_T2_jT3_P12ihipStream_tbPNSt15iterator_traitsISK_E10value_typeEPNSQ_ISL_E10value_typeEPSM_NS1_7vsmem_tEENKUlT_SK_SL_SM_E_clISE_PfSF_SF_EESJ_SZ_SK_SL_SM_EUlSZ_E0_NS1_11comp_targetILNS1_3genE9ELNS1_11target_archE1100ELNS1_3gpuE3ELNS1_3repE0EEENS1_38merge_mergepath_config_static_selectorELNS0_4arch9wavefront6targetE1EEEvSL_.kd
    .uniform_work_group_size: 1
    .uses_dynamic_stack: false
    .vgpr_count:     0
    .vgpr_spill_count: 0
    .wavefront_size: 64
  - .agpr_count:     0
    .args:
      - .offset:         0
        .size:           64
        .value_kind:     by_value
    .group_segment_fixed_size: 0
    .kernarg_segment_align: 8
    .kernarg_segment_size: 64
    .language:       OpenCL C
    .language_version:
      - 2
      - 0
    .max_flat_workgroup_size: 512
    .name:           _ZN7rocprim17ROCPRIM_400000_NS6detail17trampoline_kernelINS0_14default_configENS1_38merge_sort_block_merge_config_selectorIfNS0_10empty_typeEEEZZNS1_27merge_sort_block_merge_implIS3_N6thrust23THRUST_200600_302600_NS6detail15normal_iteratorINS9_10device_ptrIfEEEEPS5_jNS1_19radix_merge_compareILb0ELb0EfNS0_19identity_decomposerEEEEE10hipError_tT0_T1_T2_jT3_P12ihipStream_tbPNSt15iterator_traitsISK_E10value_typeEPNSQ_ISL_E10value_typeEPSM_NS1_7vsmem_tEENKUlT_SK_SL_SM_E_clISE_PfSF_SF_EESJ_SZ_SK_SL_SM_EUlSZ_E0_NS1_11comp_targetILNS1_3genE8ELNS1_11target_archE1030ELNS1_3gpuE2ELNS1_3repE0EEENS1_38merge_mergepath_config_static_selectorELNS0_4arch9wavefront6targetE1EEEvSL_
    .private_segment_fixed_size: 0
    .sgpr_count:     6
    .sgpr_spill_count: 0
    .symbol:         _ZN7rocprim17ROCPRIM_400000_NS6detail17trampoline_kernelINS0_14default_configENS1_38merge_sort_block_merge_config_selectorIfNS0_10empty_typeEEEZZNS1_27merge_sort_block_merge_implIS3_N6thrust23THRUST_200600_302600_NS6detail15normal_iteratorINS9_10device_ptrIfEEEEPS5_jNS1_19radix_merge_compareILb0ELb0EfNS0_19identity_decomposerEEEEE10hipError_tT0_T1_T2_jT3_P12ihipStream_tbPNSt15iterator_traitsISK_E10value_typeEPNSQ_ISL_E10value_typeEPSM_NS1_7vsmem_tEENKUlT_SK_SL_SM_E_clISE_PfSF_SF_EESJ_SZ_SK_SL_SM_EUlSZ_E0_NS1_11comp_targetILNS1_3genE8ELNS1_11target_archE1030ELNS1_3gpuE2ELNS1_3repE0EEENS1_38merge_mergepath_config_static_selectorELNS0_4arch9wavefront6targetE1EEEvSL_.kd
    .uniform_work_group_size: 1
    .uses_dynamic_stack: false
    .vgpr_count:     0
    .vgpr_spill_count: 0
    .wavefront_size: 64
  - .agpr_count:     0
    .args:
      - .offset:         0
        .size:           48
        .value_kind:     by_value
    .group_segment_fixed_size: 0
    .kernarg_segment_align: 8
    .kernarg_segment_size: 48
    .language:       OpenCL C
    .language_version:
      - 2
      - 0
    .max_flat_workgroup_size: 256
    .name:           _ZN7rocprim17ROCPRIM_400000_NS6detail17trampoline_kernelINS0_14default_configENS1_38merge_sort_block_merge_config_selectorIfNS0_10empty_typeEEEZZNS1_27merge_sort_block_merge_implIS3_N6thrust23THRUST_200600_302600_NS6detail15normal_iteratorINS9_10device_ptrIfEEEEPS5_jNS1_19radix_merge_compareILb0ELb0EfNS0_19identity_decomposerEEEEE10hipError_tT0_T1_T2_jT3_P12ihipStream_tbPNSt15iterator_traitsISK_E10value_typeEPNSQ_ISL_E10value_typeEPSM_NS1_7vsmem_tEENKUlT_SK_SL_SM_E_clISE_PfSF_SF_EESJ_SZ_SK_SL_SM_EUlSZ_E1_NS1_11comp_targetILNS1_3genE0ELNS1_11target_archE4294967295ELNS1_3gpuE0ELNS1_3repE0EEENS1_36merge_oddeven_config_static_selectorELNS0_4arch9wavefront6targetE1EEEvSL_
    .private_segment_fixed_size: 0
    .sgpr_count:     25
    .sgpr_spill_count: 0
    .symbol:         _ZN7rocprim17ROCPRIM_400000_NS6detail17trampoline_kernelINS0_14default_configENS1_38merge_sort_block_merge_config_selectorIfNS0_10empty_typeEEEZZNS1_27merge_sort_block_merge_implIS3_N6thrust23THRUST_200600_302600_NS6detail15normal_iteratorINS9_10device_ptrIfEEEEPS5_jNS1_19radix_merge_compareILb0ELb0EfNS0_19identity_decomposerEEEEE10hipError_tT0_T1_T2_jT3_P12ihipStream_tbPNSt15iterator_traitsISK_E10value_typeEPNSQ_ISL_E10value_typeEPSM_NS1_7vsmem_tEENKUlT_SK_SL_SM_E_clISE_PfSF_SF_EESJ_SZ_SK_SL_SM_EUlSZ_E1_NS1_11comp_targetILNS1_3genE0ELNS1_11target_archE4294967295ELNS1_3gpuE0ELNS1_3repE0EEENS1_36merge_oddeven_config_static_selectorELNS0_4arch9wavefront6targetE1EEEvSL_.kd
    .uniform_work_group_size: 1
    .uses_dynamic_stack: false
    .vgpr_count:     10
    .vgpr_spill_count: 0
    .wavefront_size: 64
  - .agpr_count:     0
    .args:
      - .offset:         0
        .size:           48
        .value_kind:     by_value
    .group_segment_fixed_size: 0
    .kernarg_segment_align: 8
    .kernarg_segment_size: 48
    .language:       OpenCL C
    .language_version:
      - 2
      - 0
    .max_flat_workgroup_size: 256
    .name:           _ZN7rocprim17ROCPRIM_400000_NS6detail17trampoline_kernelINS0_14default_configENS1_38merge_sort_block_merge_config_selectorIfNS0_10empty_typeEEEZZNS1_27merge_sort_block_merge_implIS3_N6thrust23THRUST_200600_302600_NS6detail15normal_iteratorINS9_10device_ptrIfEEEEPS5_jNS1_19radix_merge_compareILb0ELb0EfNS0_19identity_decomposerEEEEE10hipError_tT0_T1_T2_jT3_P12ihipStream_tbPNSt15iterator_traitsISK_E10value_typeEPNSQ_ISL_E10value_typeEPSM_NS1_7vsmem_tEENKUlT_SK_SL_SM_E_clISE_PfSF_SF_EESJ_SZ_SK_SL_SM_EUlSZ_E1_NS1_11comp_targetILNS1_3genE10ELNS1_11target_archE1201ELNS1_3gpuE5ELNS1_3repE0EEENS1_36merge_oddeven_config_static_selectorELNS0_4arch9wavefront6targetE1EEEvSL_
    .private_segment_fixed_size: 0
    .sgpr_count:     6
    .sgpr_spill_count: 0
    .symbol:         _ZN7rocprim17ROCPRIM_400000_NS6detail17trampoline_kernelINS0_14default_configENS1_38merge_sort_block_merge_config_selectorIfNS0_10empty_typeEEEZZNS1_27merge_sort_block_merge_implIS3_N6thrust23THRUST_200600_302600_NS6detail15normal_iteratorINS9_10device_ptrIfEEEEPS5_jNS1_19radix_merge_compareILb0ELb0EfNS0_19identity_decomposerEEEEE10hipError_tT0_T1_T2_jT3_P12ihipStream_tbPNSt15iterator_traitsISK_E10value_typeEPNSQ_ISL_E10value_typeEPSM_NS1_7vsmem_tEENKUlT_SK_SL_SM_E_clISE_PfSF_SF_EESJ_SZ_SK_SL_SM_EUlSZ_E1_NS1_11comp_targetILNS1_3genE10ELNS1_11target_archE1201ELNS1_3gpuE5ELNS1_3repE0EEENS1_36merge_oddeven_config_static_selectorELNS0_4arch9wavefront6targetE1EEEvSL_.kd
    .uniform_work_group_size: 1
    .uses_dynamic_stack: false
    .vgpr_count:     0
    .vgpr_spill_count: 0
    .wavefront_size: 64
  - .agpr_count:     0
    .args:
      - .offset:         0
        .size:           48
        .value_kind:     by_value
    .group_segment_fixed_size: 0
    .kernarg_segment_align: 8
    .kernarg_segment_size: 48
    .language:       OpenCL C
    .language_version:
      - 2
      - 0
    .max_flat_workgroup_size: 256
    .name:           _ZN7rocprim17ROCPRIM_400000_NS6detail17trampoline_kernelINS0_14default_configENS1_38merge_sort_block_merge_config_selectorIfNS0_10empty_typeEEEZZNS1_27merge_sort_block_merge_implIS3_N6thrust23THRUST_200600_302600_NS6detail15normal_iteratorINS9_10device_ptrIfEEEEPS5_jNS1_19radix_merge_compareILb0ELb0EfNS0_19identity_decomposerEEEEE10hipError_tT0_T1_T2_jT3_P12ihipStream_tbPNSt15iterator_traitsISK_E10value_typeEPNSQ_ISL_E10value_typeEPSM_NS1_7vsmem_tEENKUlT_SK_SL_SM_E_clISE_PfSF_SF_EESJ_SZ_SK_SL_SM_EUlSZ_E1_NS1_11comp_targetILNS1_3genE5ELNS1_11target_archE942ELNS1_3gpuE9ELNS1_3repE0EEENS1_36merge_oddeven_config_static_selectorELNS0_4arch9wavefront6targetE1EEEvSL_
    .private_segment_fixed_size: 0
    .sgpr_count:     6
    .sgpr_spill_count: 0
    .symbol:         _ZN7rocprim17ROCPRIM_400000_NS6detail17trampoline_kernelINS0_14default_configENS1_38merge_sort_block_merge_config_selectorIfNS0_10empty_typeEEEZZNS1_27merge_sort_block_merge_implIS3_N6thrust23THRUST_200600_302600_NS6detail15normal_iteratorINS9_10device_ptrIfEEEEPS5_jNS1_19radix_merge_compareILb0ELb0EfNS0_19identity_decomposerEEEEE10hipError_tT0_T1_T2_jT3_P12ihipStream_tbPNSt15iterator_traitsISK_E10value_typeEPNSQ_ISL_E10value_typeEPSM_NS1_7vsmem_tEENKUlT_SK_SL_SM_E_clISE_PfSF_SF_EESJ_SZ_SK_SL_SM_EUlSZ_E1_NS1_11comp_targetILNS1_3genE5ELNS1_11target_archE942ELNS1_3gpuE9ELNS1_3repE0EEENS1_36merge_oddeven_config_static_selectorELNS0_4arch9wavefront6targetE1EEEvSL_.kd
    .uniform_work_group_size: 1
    .uses_dynamic_stack: false
    .vgpr_count:     0
    .vgpr_spill_count: 0
    .wavefront_size: 64
  - .agpr_count:     0
    .args:
      - .offset:         0
        .size:           48
        .value_kind:     by_value
    .group_segment_fixed_size: 0
    .kernarg_segment_align: 8
    .kernarg_segment_size: 48
    .language:       OpenCL C
    .language_version:
      - 2
      - 0
    .max_flat_workgroup_size: 256
    .name:           _ZN7rocprim17ROCPRIM_400000_NS6detail17trampoline_kernelINS0_14default_configENS1_38merge_sort_block_merge_config_selectorIfNS0_10empty_typeEEEZZNS1_27merge_sort_block_merge_implIS3_N6thrust23THRUST_200600_302600_NS6detail15normal_iteratorINS9_10device_ptrIfEEEEPS5_jNS1_19radix_merge_compareILb0ELb0EfNS0_19identity_decomposerEEEEE10hipError_tT0_T1_T2_jT3_P12ihipStream_tbPNSt15iterator_traitsISK_E10value_typeEPNSQ_ISL_E10value_typeEPSM_NS1_7vsmem_tEENKUlT_SK_SL_SM_E_clISE_PfSF_SF_EESJ_SZ_SK_SL_SM_EUlSZ_E1_NS1_11comp_targetILNS1_3genE4ELNS1_11target_archE910ELNS1_3gpuE8ELNS1_3repE0EEENS1_36merge_oddeven_config_static_selectorELNS0_4arch9wavefront6targetE1EEEvSL_
    .private_segment_fixed_size: 0
    .sgpr_count:     6
    .sgpr_spill_count: 0
    .symbol:         _ZN7rocprim17ROCPRIM_400000_NS6detail17trampoline_kernelINS0_14default_configENS1_38merge_sort_block_merge_config_selectorIfNS0_10empty_typeEEEZZNS1_27merge_sort_block_merge_implIS3_N6thrust23THRUST_200600_302600_NS6detail15normal_iteratorINS9_10device_ptrIfEEEEPS5_jNS1_19radix_merge_compareILb0ELb0EfNS0_19identity_decomposerEEEEE10hipError_tT0_T1_T2_jT3_P12ihipStream_tbPNSt15iterator_traitsISK_E10value_typeEPNSQ_ISL_E10value_typeEPSM_NS1_7vsmem_tEENKUlT_SK_SL_SM_E_clISE_PfSF_SF_EESJ_SZ_SK_SL_SM_EUlSZ_E1_NS1_11comp_targetILNS1_3genE4ELNS1_11target_archE910ELNS1_3gpuE8ELNS1_3repE0EEENS1_36merge_oddeven_config_static_selectorELNS0_4arch9wavefront6targetE1EEEvSL_.kd
    .uniform_work_group_size: 1
    .uses_dynamic_stack: false
    .vgpr_count:     0
    .vgpr_spill_count: 0
    .wavefront_size: 64
  - .agpr_count:     0
    .args:
      - .offset:         0
        .size:           48
        .value_kind:     by_value
    .group_segment_fixed_size: 0
    .kernarg_segment_align: 8
    .kernarg_segment_size: 48
    .language:       OpenCL C
    .language_version:
      - 2
      - 0
    .max_flat_workgroup_size: 256
    .name:           _ZN7rocprim17ROCPRIM_400000_NS6detail17trampoline_kernelINS0_14default_configENS1_38merge_sort_block_merge_config_selectorIfNS0_10empty_typeEEEZZNS1_27merge_sort_block_merge_implIS3_N6thrust23THRUST_200600_302600_NS6detail15normal_iteratorINS9_10device_ptrIfEEEEPS5_jNS1_19radix_merge_compareILb0ELb0EfNS0_19identity_decomposerEEEEE10hipError_tT0_T1_T2_jT3_P12ihipStream_tbPNSt15iterator_traitsISK_E10value_typeEPNSQ_ISL_E10value_typeEPSM_NS1_7vsmem_tEENKUlT_SK_SL_SM_E_clISE_PfSF_SF_EESJ_SZ_SK_SL_SM_EUlSZ_E1_NS1_11comp_targetILNS1_3genE3ELNS1_11target_archE908ELNS1_3gpuE7ELNS1_3repE0EEENS1_36merge_oddeven_config_static_selectorELNS0_4arch9wavefront6targetE1EEEvSL_
    .private_segment_fixed_size: 0
    .sgpr_count:     6
    .sgpr_spill_count: 0
    .symbol:         _ZN7rocprim17ROCPRIM_400000_NS6detail17trampoline_kernelINS0_14default_configENS1_38merge_sort_block_merge_config_selectorIfNS0_10empty_typeEEEZZNS1_27merge_sort_block_merge_implIS3_N6thrust23THRUST_200600_302600_NS6detail15normal_iteratorINS9_10device_ptrIfEEEEPS5_jNS1_19radix_merge_compareILb0ELb0EfNS0_19identity_decomposerEEEEE10hipError_tT0_T1_T2_jT3_P12ihipStream_tbPNSt15iterator_traitsISK_E10value_typeEPNSQ_ISL_E10value_typeEPSM_NS1_7vsmem_tEENKUlT_SK_SL_SM_E_clISE_PfSF_SF_EESJ_SZ_SK_SL_SM_EUlSZ_E1_NS1_11comp_targetILNS1_3genE3ELNS1_11target_archE908ELNS1_3gpuE7ELNS1_3repE0EEENS1_36merge_oddeven_config_static_selectorELNS0_4arch9wavefront6targetE1EEEvSL_.kd
    .uniform_work_group_size: 1
    .uses_dynamic_stack: false
    .vgpr_count:     0
    .vgpr_spill_count: 0
    .wavefront_size: 64
  - .agpr_count:     0
    .args:
      - .offset:         0
        .size:           48
        .value_kind:     by_value
    .group_segment_fixed_size: 0
    .kernarg_segment_align: 8
    .kernarg_segment_size: 48
    .language:       OpenCL C
    .language_version:
      - 2
      - 0
    .max_flat_workgroup_size: 256
    .name:           _ZN7rocprim17ROCPRIM_400000_NS6detail17trampoline_kernelINS0_14default_configENS1_38merge_sort_block_merge_config_selectorIfNS0_10empty_typeEEEZZNS1_27merge_sort_block_merge_implIS3_N6thrust23THRUST_200600_302600_NS6detail15normal_iteratorINS9_10device_ptrIfEEEEPS5_jNS1_19radix_merge_compareILb0ELb0EfNS0_19identity_decomposerEEEEE10hipError_tT0_T1_T2_jT3_P12ihipStream_tbPNSt15iterator_traitsISK_E10value_typeEPNSQ_ISL_E10value_typeEPSM_NS1_7vsmem_tEENKUlT_SK_SL_SM_E_clISE_PfSF_SF_EESJ_SZ_SK_SL_SM_EUlSZ_E1_NS1_11comp_targetILNS1_3genE2ELNS1_11target_archE906ELNS1_3gpuE6ELNS1_3repE0EEENS1_36merge_oddeven_config_static_selectorELNS0_4arch9wavefront6targetE1EEEvSL_
    .private_segment_fixed_size: 0
    .sgpr_count:     6
    .sgpr_spill_count: 0
    .symbol:         _ZN7rocprim17ROCPRIM_400000_NS6detail17trampoline_kernelINS0_14default_configENS1_38merge_sort_block_merge_config_selectorIfNS0_10empty_typeEEEZZNS1_27merge_sort_block_merge_implIS3_N6thrust23THRUST_200600_302600_NS6detail15normal_iteratorINS9_10device_ptrIfEEEEPS5_jNS1_19radix_merge_compareILb0ELb0EfNS0_19identity_decomposerEEEEE10hipError_tT0_T1_T2_jT3_P12ihipStream_tbPNSt15iterator_traitsISK_E10value_typeEPNSQ_ISL_E10value_typeEPSM_NS1_7vsmem_tEENKUlT_SK_SL_SM_E_clISE_PfSF_SF_EESJ_SZ_SK_SL_SM_EUlSZ_E1_NS1_11comp_targetILNS1_3genE2ELNS1_11target_archE906ELNS1_3gpuE6ELNS1_3repE0EEENS1_36merge_oddeven_config_static_selectorELNS0_4arch9wavefront6targetE1EEEvSL_.kd
    .uniform_work_group_size: 1
    .uses_dynamic_stack: false
    .vgpr_count:     0
    .vgpr_spill_count: 0
    .wavefront_size: 64
  - .agpr_count:     0
    .args:
      - .offset:         0
        .size:           48
        .value_kind:     by_value
    .group_segment_fixed_size: 0
    .kernarg_segment_align: 8
    .kernarg_segment_size: 48
    .language:       OpenCL C
    .language_version:
      - 2
      - 0
    .max_flat_workgroup_size: 256
    .name:           _ZN7rocprim17ROCPRIM_400000_NS6detail17trampoline_kernelINS0_14default_configENS1_38merge_sort_block_merge_config_selectorIfNS0_10empty_typeEEEZZNS1_27merge_sort_block_merge_implIS3_N6thrust23THRUST_200600_302600_NS6detail15normal_iteratorINS9_10device_ptrIfEEEEPS5_jNS1_19radix_merge_compareILb0ELb0EfNS0_19identity_decomposerEEEEE10hipError_tT0_T1_T2_jT3_P12ihipStream_tbPNSt15iterator_traitsISK_E10value_typeEPNSQ_ISL_E10value_typeEPSM_NS1_7vsmem_tEENKUlT_SK_SL_SM_E_clISE_PfSF_SF_EESJ_SZ_SK_SL_SM_EUlSZ_E1_NS1_11comp_targetILNS1_3genE9ELNS1_11target_archE1100ELNS1_3gpuE3ELNS1_3repE0EEENS1_36merge_oddeven_config_static_selectorELNS0_4arch9wavefront6targetE1EEEvSL_
    .private_segment_fixed_size: 0
    .sgpr_count:     6
    .sgpr_spill_count: 0
    .symbol:         _ZN7rocprim17ROCPRIM_400000_NS6detail17trampoline_kernelINS0_14default_configENS1_38merge_sort_block_merge_config_selectorIfNS0_10empty_typeEEEZZNS1_27merge_sort_block_merge_implIS3_N6thrust23THRUST_200600_302600_NS6detail15normal_iteratorINS9_10device_ptrIfEEEEPS5_jNS1_19radix_merge_compareILb0ELb0EfNS0_19identity_decomposerEEEEE10hipError_tT0_T1_T2_jT3_P12ihipStream_tbPNSt15iterator_traitsISK_E10value_typeEPNSQ_ISL_E10value_typeEPSM_NS1_7vsmem_tEENKUlT_SK_SL_SM_E_clISE_PfSF_SF_EESJ_SZ_SK_SL_SM_EUlSZ_E1_NS1_11comp_targetILNS1_3genE9ELNS1_11target_archE1100ELNS1_3gpuE3ELNS1_3repE0EEENS1_36merge_oddeven_config_static_selectorELNS0_4arch9wavefront6targetE1EEEvSL_.kd
    .uniform_work_group_size: 1
    .uses_dynamic_stack: false
    .vgpr_count:     0
    .vgpr_spill_count: 0
    .wavefront_size: 64
  - .agpr_count:     0
    .args:
      - .offset:         0
        .size:           48
        .value_kind:     by_value
    .group_segment_fixed_size: 0
    .kernarg_segment_align: 8
    .kernarg_segment_size: 48
    .language:       OpenCL C
    .language_version:
      - 2
      - 0
    .max_flat_workgroup_size: 256
    .name:           _ZN7rocprim17ROCPRIM_400000_NS6detail17trampoline_kernelINS0_14default_configENS1_38merge_sort_block_merge_config_selectorIfNS0_10empty_typeEEEZZNS1_27merge_sort_block_merge_implIS3_N6thrust23THRUST_200600_302600_NS6detail15normal_iteratorINS9_10device_ptrIfEEEEPS5_jNS1_19radix_merge_compareILb0ELb0EfNS0_19identity_decomposerEEEEE10hipError_tT0_T1_T2_jT3_P12ihipStream_tbPNSt15iterator_traitsISK_E10value_typeEPNSQ_ISL_E10value_typeEPSM_NS1_7vsmem_tEENKUlT_SK_SL_SM_E_clISE_PfSF_SF_EESJ_SZ_SK_SL_SM_EUlSZ_E1_NS1_11comp_targetILNS1_3genE8ELNS1_11target_archE1030ELNS1_3gpuE2ELNS1_3repE0EEENS1_36merge_oddeven_config_static_selectorELNS0_4arch9wavefront6targetE1EEEvSL_
    .private_segment_fixed_size: 0
    .sgpr_count:     6
    .sgpr_spill_count: 0
    .symbol:         _ZN7rocprim17ROCPRIM_400000_NS6detail17trampoline_kernelINS0_14default_configENS1_38merge_sort_block_merge_config_selectorIfNS0_10empty_typeEEEZZNS1_27merge_sort_block_merge_implIS3_N6thrust23THRUST_200600_302600_NS6detail15normal_iteratorINS9_10device_ptrIfEEEEPS5_jNS1_19radix_merge_compareILb0ELb0EfNS0_19identity_decomposerEEEEE10hipError_tT0_T1_T2_jT3_P12ihipStream_tbPNSt15iterator_traitsISK_E10value_typeEPNSQ_ISL_E10value_typeEPSM_NS1_7vsmem_tEENKUlT_SK_SL_SM_E_clISE_PfSF_SF_EESJ_SZ_SK_SL_SM_EUlSZ_E1_NS1_11comp_targetILNS1_3genE8ELNS1_11target_archE1030ELNS1_3gpuE2ELNS1_3repE0EEENS1_36merge_oddeven_config_static_selectorELNS0_4arch9wavefront6targetE1EEEvSL_.kd
    .uniform_work_group_size: 1
    .uses_dynamic_stack: false
    .vgpr_count:     0
    .vgpr_spill_count: 0
    .wavefront_size: 64
  - .agpr_count:     0
    .args:
      - .offset:         0
        .size:           40
        .value_kind:     by_value
      - .offset:         40
        .size:           4
        .value_kind:     hidden_block_count_x
      - .offset:         44
        .size:           4
        .value_kind:     hidden_block_count_y
      - .offset:         48
        .size:           4
        .value_kind:     hidden_block_count_z
      - .offset:         52
        .size:           2
        .value_kind:     hidden_group_size_x
      - .offset:         54
        .size:           2
        .value_kind:     hidden_group_size_y
      - .offset:         56
        .size:           2
        .value_kind:     hidden_group_size_z
      - .offset:         58
        .size:           2
        .value_kind:     hidden_remainder_x
      - .offset:         60
        .size:           2
        .value_kind:     hidden_remainder_y
      - .offset:         62
        .size:           2
        .value_kind:     hidden_remainder_z
      - .offset:         80
        .size:           8
        .value_kind:     hidden_global_offset_x
      - .offset:         88
        .size:           8
        .value_kind:     hidden_global_offset_y
      - .offset:         96
        .size:           8
        .value_kind:     hidden_global_offset_z
      - .offset:         104
        .size:           2
        .value_kind:     hidden_grid_dims
    .group_segment_fixed_size: 0
    .kernarg_segment_align: 8
    .kernarg_segment_size: 296
    .language:       OpenCL C
    .language_version:
      - 2
      - 0
    .max_flat_workgroup_size: 128
    .name:           _ZN7rocprim17ROCPRIM_400000_NS6detail17trampoline_kernelINS0_14default_configENS1_25transform_config_selectorIfLb0EEEZNS1_14transform_implILb0ES3_S5_PfN6thrust23THRUST_200600_302600_NS6detail15normal_iteratorINS9_10device_ptrIfEEEENS0_8identityIfEEEE10hipError_tT2_T3_mT4_P12ihipStream_tbEUlT_E_NS1_11comp_targetILNS1_3genE0ELNS1_11target_archE4294967295ELNS1_3gpuE0ELNS1_3repE0EEENS1_30default_config_static_selectorELNS0_4arch9wavefront6targetE1EEEvT1_
    .private_segment_fixed_size: 0
    .sgpr_count:     22
    .sgpr_spill_count: 0
    .symbol:         _ZN7rocprim17ROCPRIM_400000_NS6detail17trampoline_kernelINS0_14default_configENS1_25transform_config_selectorIfLb0EEEZNS1_14transform_implILb0ES3_S5_PfN6thrust23THRUST_200600_302600_NS6detail15normal_iteratorINS9_10device_ptrIfEEEENS0_8identityIfEEEE10hipError_tT2_T3_mT4_P12ihipStream_tbEUlT_E_NS1_11comp_targetILNS1_3genE0ELNS1_11target_archE4294967295ELNS1_3gpuE0ELNS1_3repE0EEENS1_30default_config_static_selectorELNS0_4arch9wavefront6targetE1EEEvT1_.kd
    .uniform_work_group_size: 1
    .uses_dynamic_stack: false
    .vgpr_count:     7
    .vgpr_spill_count: 0
    .wavefront_size: 64
  - .agpr_count:     0
    .args:
      - .offset:         0
        .size:           40
        .value_kind:     by_value
    .group_segment_fixed_size: 0
    .kernarg_segment_align: 8
    .kernarg_segment_size: 40
    .language:       OpenCL C
    .language_version:
      - 2
      - 0
    .max_flat_workgroup_size: 256
    .name:           _ZN7rocprim17ROCPRIM_400000_NS6detail17trampoline_kernelINS0_14default_configENS1_25transform_config_selectorIfLb0EEEZNS1_14transform_implILb0ES3_S5_PfN6thrust23THRUST_200600_302600_NS6detail15normal_iteratorINS9_10device_ptrIfEEEENS0_8identityIfEEEE10hipError_tT2_T3_mT4_P12ihipStream_tbEUlT_E_NS1_11comp_targetILNS1_3genE5ELNS1_11target_archE942ELNS1_3gpuE9ELNS1_3repE0EEENS1_30default_config_static_selectorELNS0_4arch9wavefront6targetE1EEEvT1_
    .private_segment_fixed_size: 0
    .sgpr_count:     6
    .sgpr_spill_count: 0
    .symbol:         _ZN7rocprim17ROCPRIM_400000_NS6detail17trampoline_kernelINS0_14default_configENS1_25transform_config_selectorIfLb0EEEZNS1_14transform_implILb0ES3_S5_PfN6thrust23THRUST_200600_302600_NS6detail15normal_iteratorINS9_10device_ptrIfEEEENS0_8identityIfEEEE10hipError_tT2_T3_mT4_P12ihipStream_tbEUlT_E_NS1_11comp_targetILNS1_3genE5ELNS1_11target_archE942ELNS1_3gpuE9ELNS1_3repE0EEENS1_30default_config_static_selectorELNS0_4arch9wavefront6targetE1EEEvT1_.kd
    .uniform_work_group_size: 1
    .uses_dynamic_stack: false
    .vgpr_count:     0
    .vgpr_spill_count: 0
    .wavefront_size: 64
  - .agpr_count:     0
    .args:
      - .offset:         0
        .size:           40
        .value_kind:     by_value
    .group_segment_fixed_size: 0
    .kernarg_segment_align: 8
    .kernarg_segment_size: 40
    .language:       OpenCL C
    .language_version:
      - 2
      - 0
    .max_flat_workgroup_size: 1024
    .name:           _ZN7rocprim17ROCPRIM_400000_NS6detail17trampoline_kernelINS0_14default_configENS1_25transform_config_selectorIfLb0EEEZNS1_14transform_implILb0ES3_S5_PfN6thrust23THRUST_200600_302600_NS6detail15normal_iteratorINS9_10device_ptrIfEEEENS0_8identityIfEEEE10hipError_tT2_T3_mT4_P12ihipStream_tbEUlT_E_NS1_11comp_targetILNS1_3genE4ELNS1_11target_archE910ELNS1_3gpuE8ELNS1_3repE0EEENS1_30default_config_static_selectorELNS0_4arch9wavefront6targetE1EEEvT1_
    .private_segment_fixed_size: 0
    .sgpr_count:     6
    .sgpr_spill_count: 0
    .symbol:         _ZN7rocprim17ROCPRIM_400000_NS6detail17trampoline_kernelINS0_14default_configENS1_25transform_config_selectorIfLb0EEEZNS1_14transform_implILb0ES3_S5_PfN6thrust23THRUST_200600_302600_NS6detail15normal_iteratorINS9_10device_ptrIfEEEENS0_8identityIfEEEE10hipError_tT2_T3_mT4_P12ihipStream_tbEUlT_E_NS1_11comp_targetILNS1_3genE4ELNS1_11target_archE910ELNS1_3gpuE8ELNS1_3repE0EEENS1_30default_config_static_selectorELNS0_4arch9wavefront6targetE1EEEvT1_.kd
    .uniform_work_group_size: 1
    .uses_dynamic_stack: false
    .vgpr_count:     0
    .vgpr_spill_count: 0
    .wavefront_size: 64
  - .agpr_count:     0
    .args:
      - .offset:         0
        .size:           40
        .value_kind:     by_value
    .group_segment_fixed_size: 0
    .kernarg_segment_align: 8
    .kernarg_segment_size: 40
    .language:       OpenCL C
    .language_version:
      - 2
      - 0
    .max_flat_workgroup_size: 128
    .name:           _ZN7rocprim17ROCPRIM_400000_NS6detail17trampoline_kernelINS0_14default_configENS1_25transform_config_selectorIfLb0EEEZNS1_14transform_implILb0ES3_S5_PfN6thrust23THRUST_200600_302600_NS6detail15normal_iteratorINS9_10device_ptrIfEEEENS0_8identityIfEEEE10hipError_tT2_T3_mT4_P12ihipStream_tbEUlT_E_NS1_11comp_targetILNS1_3genE3ELNS1_11target_archE908ELNS1_3gpuE7ELNS1_3repE0EEENS1_30default_config_static_selectorELNS0_4arch9wavefront6targetE1EEEvT1_
    .private_segment_fixed_size: 0
    .sgpr_count:     6
    .sgpr_spill_count: 0
    .symbol:         _ZN7rocprim17ROCPRIM_400000_NS6detail17trampoline_kernelINS0_14default_configENS1_25transform_config_selectorIfLb0EEEZNS1_14transform_implILb0ES3_S5_PfN6thrust23THRUST_200600_302600_NS6detail15normal_iteratorINS9_10device_ptrIfEEEENS0_8identityIfEEEE10hipError_tT2_T3_mT4_P12ihipStream_tbEUlT_E_NS1_11comp_targetILNS1_3genE3ELNS1_11target_archE908ELNS1_3gpuE7ELNS1_3repE0EEENS1_30default_config_static_selectorELNS0_4arch9wavefront6targetE1EEEvT1_.kd
    .uniform_work_group_size: 1
    .uses_dynamic_stack: false
    .vgpr_count:     0
    .vgpr_spill_count: 0
    .wavefront_size: 64
  - .agpr_count:     0
    .args:
      - .offset:         0
        .size:           40
        .value_kind:     by_value
    .group_segment_fixed_size: 0
    .kernarg_segment_align: 8
    .kernarg_segment_size: 40
    .language:       OpenCL C
    .language_version:
      - 2
      - 0
    .max_flat_workgroup_size: 1024
    .name:           _ZN7rocprim17ROCPRIM_400000_NS6detail17trampoline_kernelINS0_14default_configENS1_25transform_config_selectorIfLb0EEEZNS1_14transform_implILb0ES3_S5_PfN6thrust23THRUST_200600_302600_NS6detail15normal_iteratorINS9_10device_ptrIfEEEENS0_8identityIfEEEE10hipError_tT2_T3_mT4_P12ihipStream_tbEUlT_E_NS1_11comp_targetILNS1_3genE2ELNS1_11target_archE906ELNS1_3gpuE6ELNS1_3repE0EEENS1_30default_config_static_selectorELNS0_4arch9wavefront6targetE1EEEvT1_
    .private_segment_fixed_size: 0
    .sgpr_count:     6
    .sgpr_spill_count: 0
    .symbol:         _ZN7rocprim17ROCPRIM_400000_NS6detail17trampoline_kernelINS0_14default_configENS1_25transform_config_selectorIfLb0EEEZNS1_14transform_implILb0ES3_S5_PfN6thrust23THRUST_200600_302600_NS6detail15normal_iteratorINS9_10device_ptrIfEEEENS0_8identityIfEEEE10hipError_tT2_T3_mT4_P12ihipStream_tbEUlT_E_NS1_11comp_targetILNS1_3genE2ELNS1_11target_archE906ELNS1_3gpuE6ELNS1_3repE0EEENS1_30default_config_static_selectorELNS0_4arch9wavefront6targetE1EEEvT1_.kd
    .uniform_work_group_size: 1
    .uses_dynamic_stack: false
    .vgpr_count:     0
    .vgpr_spill_count: 0
    .wavefront_size: 64
  - .agpr_count:     0
    .args:
      - .offset:         0
        .size:           40
        .value_kind:     by_value
    .group_segment_fixed_size: 0
    .kernarg_segment_align: 8
    .kernarg_segment_size: 40
    .language:       OpenCL C
    .language_version:
      - 2
      - 0
    .max_flat_workgroup_size: 512
    .name:           _ZN7rocprim17ROCPRIM_400000_NS6detail17trampoline_kernelINS0_14default_configENS1_25transform_config_selectorIfLb0EEEZNS1_14transform_implILb0ES3_S5_PfN6thrust23THRUST_200600_302600_NS6detail15normal_iteratorINS9_10device_ptrIfEEEENS0_8identityIfEEEE10hipError_tT2_T3_mT4_P12ihipStream_tbEUlT_E_NS1_11comp_targetILNS1_3genE10ELNS1_11target_archE1201ELNS1_3gpuE5ELNS1_3repE0EEENS1_30default_config_static_selectorELNS0_4arch9wavefront6targetE1EEEvT1_
    .private_segment_fixed_size: 0
    .sgpr_count:     6
    .sgpr_spill_count: 0
    .symbol:         _ZN7rocprim17ROCPRIM_400000_NS6detail17trampoline_kernelINS0_14default_configENS1_25transform_config_selectorIfLb0EEEZNS1_14transform_implILb0ES3_S5_PfN6thrust23THRUST_200600_302600_NS6detail15normal_iteratorINS9_10device_ptrIfEEEENS0_8identityIfEEEE10hipError_tT2_T3_mT4_P12ihipStream_tbEUlT_E_NS1_11comp_targetILNS1_3genE10ELNS1_11target_archE1201ELNS1_3gpuE5ELNS1_3repE0EEENS1_30default_config_static_selectorELNS0_4arch9wavefront6targetE1EEEvT1_.kd
    .uniform_work_group_size: 1
    .uses_dynamic_stack: false
    .vgpr_count:     0
    .vgpr_spill_count: 0
    .wavefront_size: 64
  - .agpr_count:     0
    .args:
      - .offset:         0
        .size:           40
        .value_kind:     by_value
    .group_segment_fixed_size: 0
    .kernarg_segment_align: 8
    .kernarg_segment_size: 40
    .language:       OpenCL C
    .language_version:
      - 2
      - 0
    .max_flat_workgroup_size: 512
    .name:           _ZN7rocprim17ROCPRIM_400000_NS6detail17trampoline_kernelINS0_14default_configENS1_25transform_config_selectorIfLb0EEEZNS1_14transform_implILb0ES3_S5_PfN6thrust23THRUST_200600_302600_NS6detail15normal_iteratorINS9_10device_ptrIfEEEENS0_8identityIfEEEE10hipError_tT2_T3_mT4_P12ihipStream_tbEUlT_E_NS1_11comp_targetILNS1_3genE10ELNS1_11target_archE1200ELNS1_3gpuE4ELNS1_3repE0EEENS1_30default_config_static_selectorELNS0_4arch9wavefront6targetE1EEEvT1_
    .private_segment_fixed_size: 0
    .sgpr_count:     6
    .sgpr_spill_count: 0
    .symbol:         _ZN7rocprim17ROCPRIM_400000_NS6detail17trampoline_kernelINS0_14default_configENS1_25transform_config_selectorIfLb0EEEZNS1_14transform_implILb0ES3_S5_PfN6thrust23THRUST_200600_302600_NS6detail15normal_iteratorINS9_10device_ptrIfEEEENS0_8identityIfEEEE10hipError_tT2_T3_mT4_P12ihipStream_tbEUlT_E_NS1_11comp_targetILNS1_3genE10ELNS1_11target_archE1200ELNS1_3gpuE4ELNS1_3repE0EEENS1_30default_config_static_selectorELNS0_4arch9wavefront6targetE1EEEvT1_.kd
    .uniform_work_group_size: 1
    .uses_dynamic_stack: false
    .vgpr_count:     0
    .vgpr_spill_count: 0
    .wavefront_size: 64
  - .agpr_count:     0
    .args:
      - .offset:         0
        .size:           40
        .value_kind:     by_value
    .group_segment_fixed_size: 0
    .kernarg_segment_align: 8
    .kernarg_segment_size: 40
    .language:       OpenCL C
    .language_version:
      - 2
      - 0
    .max_flat_workgroup_size: 1024
    .name:           _ZN7rocprim17ROCPRIM_400000_NS6detail17trampoline_kernelINS0_14default_configENS1_25transform_config_selectorIfLb0EEEZNS1_14transform_implILb0ES3_S5_PfN6thrust23THRUST_200600_302600_NS6detail15normal_iteratorINS9_10device_ptrIfEEEENS0_8identityIfEEEE10hipError_tT2_T3_mT4_P12ihipStream_tbEUlT_E_NS1_11comp_targetILNS1_3genE9ELNS1_11target_archE1100ELNS1_3gpuE3ELNS1_3repE0EEENS1_30default_config_static_selectorELNS0_4arch9wavefront6targetE1EEEvT1_
    .private_segment_fixed_size: 0
    .sgpr_count:     6
    .sgpr_spill_count: 0
    .symbol:         _ZN7rocprim17ROCPRIM_400000_NS6detail17trampoline_kernelINS0_14default_configENS1_25transform_config_selectorIfLb0EEEZNS1_14transform_implILb0ES3_S5_PfN6thrust23THRUST_200600_302600_NS6detail15normal_iteratorINS9_10device_ptrIfEEEENS0_8identityIfEEEE10hipError_tT2_T3_mT4_P12ihipStream_tbEUlT_E_NS1_11comp_targetILNS1_3genE9ELNS1_11target_archE1100ELNS1_3gpuE3ELNS1_3repE0EEENS1_30default_config_static_selectorELNS0_4arch9wavefront6targetE1EEEvT1_.kd
    .uniform_work_group_size: 1
    .uses_dynamic_stack: false
    .vgpr_count:     0
    .vgpr_spill_count: 0
    .wavefront_size: 64
  - .agpr_count:     0
    .args:
      - .offset:         0
        .size:           40
        .value_kind:     by_value
    .group_segment_fixed_size: 0
    .kernarg_segment_align: 8
    .kernarg_segment_size: 40
    .language:       OpenCL C
    .language_version:
      - 2
      - 0
    .max_flat_workgroup_size: 256
    .name:           _ZN7rocprim17ROCPRIM_400000_NS6detail17trampoline_kernelINS0_14default_configENS1_25transform_config_selectorIfLb0EEEZNS1_14transform_implILb0ES3_S5_PfN6thrust23THRUST_200600_302600_NS6detail15normal_iteratorINS9_10device_ptrIfEEEENS0_8identityIfEEEE10hipError_tT2_T3_mT4_P12ihipStream_tbEUlT_E_NS1_11comp_targetILNS1_3genE8ELNS1_11target_archE1030ELNS1_3gpuE2ELNS1_3repE0EEENS1_30default_config_static_selectorELNS0_4arch9wavefront6targetE1EEEvT1_
    .private_segment_fixed_size: 0
    .sgpr_count:     6
    .sgpr_spill_count: 0
    .symbol:         _ZN7rocprim17ROCPRIM_400000_NS6detail17trampoline_kernelINS0_14default_configENS1_25transform_config_selectorIfLb0EEEZNS1_14transform_implILb0ES3_S5_PfN6thrust23THRUST_200600_302600_NS6detail15normal_iteratorINS9_10device_ptrIfEEEENS0_8identityIfEEEE10hipError_tT2_T3_mT4_P12ihipStream_tbEUlT_E_NS1_11comp_targetILNS1_3genE8ELNS1_11target_archE1030ELNS1_3gpuE2ELNS1_3repE0EEENS1_30default_config_static_selectorELNS0_4arch9wavefront6targetE1EEEvT1_.kd
    .uniform_work_group_size: 1
    .uses_dynamic_stack: false
    .vgpr_count:     0
    .vgpr_spill_count: 0
    .wavefront_size: 64
  - .agpr_count:     0
    .args:
      - .offset:         0
        .size:           40
        .value_kind:     by_value
    .group_segment_fixed_size: 0
    .kernarg_segment_align: 8
    .kernarg_segment_size: 40
    .language:       OpenCL C
    .language_version:
      - 2
      - 0
    .max_flat_workgroup_size: 512
    .name:           _ZN7rocprim17ROCPRIM_400000_NS6detail17trampoline_kernelINS0_14default_configENS1_35radix_sort_onesweep_config_selectorIfNS0_10empty_typeEEEZNS1_34radix_sort_onesweep_global_offsetsIS3_Lb0EN6thrust23THRUST_200600_302600_NS6detail15normal_iteratorINS9_10device_ptrIfEEEEPS5_jNS0_19identity_decomposerEEE10hipError_tT1_T2_PT3_SK_jT4_jjP12ihipStream_tbEUlT_E_NS1_11comp_targetILNS1_3genE0ELNS1_11target_archE4294967295ELNS1_3gpuE0ELNS1_3repE0EEENS1_52radix_sort_onesweep_histogram_config_static_selectorELNS0_4arch9wavefront6targetE1EEEvSI_
    .private_segment_fixed_size: 0
    .sgpr_count:     6
    .sgpr_spill_count: 0
    .symbol:         _ZN7rocprim17ROCPRIM_400000_NS6detail17trampoline_kernelINS0_14default_configENS1_35radix_sort_onesweep_config_selectorIfNS0_10empty_typeEEEZNS1_34radix_sort_onesweep_global_offsetsIS3_Lb0EN6thrust23THRUST_200600_302600_NS6detail15normal_iteratorINS9_10device_ptrIfEEEEPS5_jNS0_19identity_decomposerEEE10hipError_tT1_T2_PT3_SK_jT4_jjP12ihipStream_tbEUlT_E_NS1_11comp_targetILNS1_3genE0ELNS1_11target_archE4294967295ELNS1_3gpuE0ELNS1_3repE0EEENS1_52radix_sort_onesweep_histogram_config_static_selectorELNS0_4arch9wavefront6targetE1EEEvSI_.kd
    .uniform_work_group_size: 1
    .uses_dynamic_stack: false
    .vgpr_count:     0
    .vgpr_spill_count: 0
    .wavefront_size: 64
  - .agpr_count:     0
    .args:
      - .offset:         0
        .size:           40
        .value_kind:     by_value
    .group_segment_fixed_size: 16384
    .kernarg_segment_align: 8
    .kernarg_segment_size: 40
    .language:       OpenCL C
    .language_version:
      - 2
      - 0
    .max_flat_workgroup_size: 1024
    .name:           _ZN7rocprim17ROCPRIM_400000_NS6detail17trampoline_kernelINS0_14default_configENS1_35radix_sort_onesweep_config_selectorIfNS0_10empty_typeEEEZNS1_34radix_sort_onesweep_global_offsetsIS3_Lb0EN6thrust23THRUST_200600_302600_NS6detail15normal_iteratorINS9_10device_ptrIfEEEEPS5_jNS0_19identity_decomposerEEE10hipError_tT1_T2_PT3_SK_jT4_jjP12ihipStream_tbEUlT_E_NS1_11comp_targetILNS1_3genE6ELNS1_11target_archE950ELNS1_3gpuE13ELNS1_3repE0EEENS1_52radix_sort_onesweep_histogram_config_static_selectorELNS0_4arch9wavefront6targetE1EEEvSI_
    .private_segment_fixed_size: 0
    .sgpr_count:     25
    .sgpr_spill_count: 0
    .symbol:         _ZN7rocprim17ROCPRIM_400000_NS6detail17trampoline_kernelINS0_14default_configENS1_35radix_sort_onesweep_config_selectorIfNS0_10empty_typeEEEZNS1_34radix_sort_onesweep_global_offsetsIS3_Lb0EN6thrust23THRUST_200600_302600_NS6detail15normal_iteratorINS9_10device_ptrIfEEEEPS5_jNS0_19identity_decomposerEEE10hipError_tT1_T2_PT3_SK_jT4_jjP12ihipStream_tbEUlT_E_NS1_11comp_targetILNS1_3genE6ELNS1_11target_archE950ELNS1_3gpuE13ELNS1_3repE0EEENS1_52radix_sort_onesweep_histogram_config_static_selectorELNS0_4arch9wavefront6targetE1EEEvSI_.kd
    .uniform_work_group_size: 1
    .uses_dynamic_stack: false
    .vgpr_count:     22
    .vgpr_spill_count: 0
    .wavefront_size: 64
  - .agpr_count:     0
    .args:
      - .offset:         0
        .size:           40
        .value_kind:     by_value
    .group_segment_fixed_size: 0
    .kernarg_segment_align: 8
    .kernarg_segment_size: 40
    .language:       OpenCL C
    .language_version:
      - 2
      - 0
    .max_flat_workgroup_size: 1024
    .name:           _ZN7rocprim17ROCPRIM_400000_NS6detail17trampoline_kernelINS0_14default_configENS1_35radix_sort_onesweep_config_selectorIfNS0_10empty_typeEEEZNS1_34radix_sort_onesweep_global_offsetsIS3_Lb0EN6thrust23THRUST_200600_302600_NS6detail15normal_iteratorINS9_10device_ptrIfEEEEPS5_jNS0_19identity_decomposerEEE10hipError_tT1_T2_PT3_SK_jT4_jjP12ihipStream_tbEUlT_E_NS1_11comp_targetILNS1_3genE5ELNS1_11target_archE942ELNS1_3gpuE9ELNS1_3repE0EEENS1_52radix_sort_onesweep_histogram_config_static_selectorELNS0_4arch9wavefront6targetE1EEEvSI_
    .private_segment_fixed_size: 0
    .sgpr_count:     6
    .sgpr_spill_count: 0
    .symbol:         _ZN7rocprim17ROCPRIM_400000_NS6detail17trampoline_kernelINS0_14default_configENS1_35radix_sort_onesweep_config_selectorIfNS0_10empty_typeEEEZNS1_34radix_sort_onesweep_global_offsetsIS3_Lb0EN6thrust23THRUST_200600_302600_NS6detail15normal_iteratorINS9_10device_ptrIfEEEEPS5_jNS0_19identity_decomposerEEE10hipError_tT1_T2_PT3_SK_jT4_jjP12ihipStream_tbEUlT_E_NS1_11comp_targetILNS1_3genE5ELNS1_11target_archE942ELNS1_3gpuE9ELNS1_3repE0EEENS1_52radix_sort_onesweep_histogram_config_static_selectorELNS0_4arch9wavefront6targetE1EEEvSI_.kd
    .uniform_work_group_size: 1
    .uses_dynamic_stack: false
    .vgpr_count:     0
    .vgpr_spill_count: 0
    .wavefront_size: 64
  - .agpr_count:     0
    .args:
      - .offset:         0
        .size:           40
        .value_kind:     by_value
    .group_segment_fixed_size: 0
    .kernarg_segment_align: 8
    .kernarg_segment_size: 40
    .language:       OpenCL C
    .language_version:
      - 2
      - 0
    .max_flat_workgroup_size: 512
    .name:           _ZN7rocprim17ROCPRIM_400000_NS6detail17trampoline_kernelINS0_14default_configENS1_35radix_sort_onesweep_config_selectorIfNS0_10empty_typeEEEZNS1_34radix_sort_onesweep_global_offsetsIS3_Lb0EN6thrust23THRUST_200600_302600_NS6detail15normal_iteratorINS9_10device_ptrIfEEEEPS5_jNS0_19identity_decomposerEEE10hipError_tT1_T2_PT3_SK_jT4_jjP12ihipStream_tbEUlT_E_NS1_11comp_targetILNS1_3genE2ELNS1_11target_archE906ELNS1_3gpuE6ELNS1_3repE0EEENS1_52radix_sort_onesweep_histogram_config_static_selectorELNS0_4arch9wavefront6targetE1EEEvSI_
    .private_segment_fixed_size: 0
    .sgpr_count:     6
    .sgpr_spill_count: 0
    .symbol:         _ZN7rocprim17ROCPRIM_400000_NS6detail17trampoline_kernelINS0_14default_configENS1_35radix_sort_onesweep_config_selectorIfNS0_10empty_typeEEEZNS1_34radix_sort_onesweep_global_offsetsIS3_Lb0EN6thrust23THRUST_200600_302600_NS6detail15normal_iteratorINS9_10device_ptrIfEEEEPS5_jNS0_19identity_decomposerEEE10hipError_tT1_T2_PT3_SK_jT4_jjP12ihipStream_tbEUlT_E_NS1_11comp_targetILNS1_3genE2ELNS1_11target_archE906ELNS1_3gpuE6ELNS1_3repE0EEENS1_52radix_sort_onesweep_histogram_config_static_selectorELNS0_4arch9wavefront6targetE1EEEvSI_.kd
    .uniform_work_group_size: 1
    .uses_dynamic_stack: false
    .vgpr_count:     0
    .vgpr_spill_count: 0
    .wavefront_size: 64
  - .agpr_count:     0
    .args:
      - .offset:         0
        .size:           40
        .value_kind:     by_value
    .group_segment_fixed_size: 0
    .kernarg_segment_align: 8
    .kernarg_segment_size: 40
    .language:       OpenCL C
    .language_version:
      - 2
      - 0
    .max_flat_workgroup_size: 1024
    .name:           _ZN7rocprim17ROCPRIM_400000_NS6detail17trampoline_kernelINS0_14default_configENS1_35radix_sort_onesweep_config_selectorIfNS0_10empty_typeEEEZNS1_34radix_sort_onesweep_global_offsetsIS3_Lb0EN6thrust23THRUST_200600_302600_NS6detail15normal_iteratorINS9_10device_ptrIfEEEEPS5_jNS0_19identity_decomposerEEE10hipError_tT1_T2_PT3_SK_jT4_jjP12ihipStream_tbEUlT_E_NS1_11comp_targetILNS1_3genE4ELNS1_11target_archE910ELNS1_3gpuE8ELNS1_3repE0EEENS1_52radix_sort_onesweep_histogram_config_static_selectorELNS0_4arch9wavefront6targetE1EEEvSI_
    .private_segment_fixed_size: 0
    .sgpr_count:     6
    .sgpr_spill_count: 0
    .symbol:         _ZN7rocprim17ROCPRIM_400000_NS6detail17trampoline_kernelINS0_14default_configENS1_35radix_sort_onesweep_config_selectorIfNS0_10empty_typeEEEZNS1_34radix_sort_onesweep_global_offsetsIS3_Lb0EN6thrust23THRUST_200600_302600_NS6detail15normal_iteratorINS9_10device_ptrIfEEEEPS5_jNS0_19identity_decomposerEEE10hipError_tT1_T2_PT3_SK_jT4_jjP12ihipStream_tbEUlT_E_NS1_11comp_targetILNS1_3genE4ELNS1_11target_archE910ELNS1_3gpuE8ELNS1_3repE0EEENS1_52radix_sort_onesweep_histogram_config_static_selectorELNS0_4arch9wavefront6targetE1EEEvSI_.kd
    .uniform_work_group_size: 1
    .uses_dynamic_stack: false
    .vgpr_count:     0
    .vgpr_spill_count: 0
    .wavefront_size: 64
  - .agpr_count:     0
    .args:
      - .offset:         0
        .size:           40
        .value_kind:     by_value
    .group_segment_fixed_size: 0
    .kernarg_segment_align: 8
    .kernarg_segment_size: 40
    .language:       OpenCL C
    .language_version:
      - 2
      - 0
    .max_flat_workgroup_size: 512
    .name:           _ZN7rocprim17ROCPRIM_400000_NS6detail17trampoline_kernelINS0_14default_configENS1_35radix_sort_onesweep_config_selectorIfNS0_10empty_typeEEEZNS1_34radix_sort_onesweep_global_offsetsIS3_Lb0EN6thrust23THRUST_200600_302600_NS6detail15normal_iteratorINS9_10device_ptrIfEEEEPS5_jNS0_19identity_decomposerEEE10hipError_tT1_T2_PT3_SK_jT4_jjP12ihipStream_tbEUlT_E_NS1_11comp_targetILNS1_3genE3ELNS1_11target_archE908ELNS1_3gpuE7ELNS1_3repE0EEENS1_52radix_sort_onesweep_histogram_config_static_selectorELNS0_4arch9wavefront6targetE1EEEvSI_
    .private_segment_fixed_size: 0
    .sgpr_count:     6
    .sgpr_spill_count: 0
    .symbol:         _ZN7rocprim17ROCPRIM_400000_NS6detail17trampoline_kernelINS0_14default_configENS1_35radix_sort_onesweep_config_selectorIfNS0_10empty_typeEEEZNS1_34radix_sort_onesweep_global_offsetsIS3_Lb0EN6thrust23THRUST_200600_302600_NS6detail15normal_iteratorINS9_10device_ptrIfEEEEPS5_jNS0_19identity_decomposerEEE10hipError_tT1_T2_PT3_SK_jT4_jjP12ihipStream_tbEUlT_E_NS1_11comp_targetILNS1_3genE3ELNS1_11target_archE908ELNS1_3gpuE7ELNS1_3repE0EEENS1_52radix_sort_onesweep_histogram_config_static_selectorELNS0_4arch9wavefront6targetE1EEEvSI_.kd
    .uniform_work_group_size: 1
    .uses_dynamic_stack: false
    .vgpr_count:     0
    .vgpr_spill_count: 0
    .wavefront_size: 64
  - .agpr_count:     0
    .args:
      - .offset:         0
        .size:           40
        .value_kind:     by_value
    .group_segment_fixed_size: 0
    .kernarg_segment_align: 8
    .kernarg_segment_size: 40
    .language:       OpenCL C
    .language_version:
      - 2
      - 0
    .max_flat_workgroup_size: 512
    .name:           _ZN7rocprim17ROCPRIM_400000_NS6detail17trampoline_kernelINS0_14default_configENS1_35radix_sort_onesweep_config_selectorIfNS0_10empty_typeEEEZNS1_34radix_sort_onesweep_global_offsetsIS3_Lb0EN6thrust23THRUST_200600_302600_NS6detail15normal_iteratorINS9_10device_ptrIfEEEEPS5_jNS0_19identity_decomposerEEE10hipError_tT1_T2_PT3_SK_jT4_jjP12ihipStream_tbEUlT_E_NS1_11comp_targetILNS1_3genE10ELNS1_11target_archE1201ELNS1_3gpuE5ELNS1_3repE0EEENS1_52radix_sort_onesweep_histogram_config_static_selectorELNS0_4arch9wavefront6targetE1EEEvSI_
    .private_segment_fixed_size: 0
    .sgpr_count:     6
    .sgpr_spill_count: 0
    .symbol:         _ZN7rocprim17ROCPRIM_400000_NS6detail17trampoline_kernelINS0_14default_configENS1_35radix_sort_onesweep_config_selectorIfNS0_10empty_typeEEEZNS1_34radix_sort_onesweep_global_offsetsIS3_Lb0EN6thrust23THRUST_200600_302600_NS6detail15normal_iteratorINS9_10device_ptrIfEEEEPS5_jNS0_19identity_decomposerEEE10hipError_tT1_T2_PT3_SK_jT4_jjP12ihipStream_tbEUlT_E_NS1_11comp_targetILNS1_3genE10ELNS1_11target_archE1201ELNS1_3gpuE5ELNS1_3repE0EEENS1_52radix_sort_onesweep_histogram_config_static_selectorELNS0_4arch9wavefront6targetE1EEEvSI_.kd
    .uniform_work_group_size: 1
    .uses_dynamic_stack: false
    .vgpr_count:     0
    .vgpr_spill_count: 0
    .wavefront_size: 64
  - .agpr_count:     0
    .args:
      - .offset:         0
        .size:           40
        .value_kind:     by_value
    .group_segment_fixed_size: 0
    .kernarg_segment_align: 8
    .kernarg_segment_size: 40
    .language:       OpenCL C
    .language_version:
      - 2
      - 0
    .max_flat_workgroup_size: 1024
    .name:           _ZN7rocprim17ROCPRIM_400000_NS6detail17trampoline_kernelINS0_14default_configENS1_35radix_sort_onesweep_config_selectorIfNS0_10empty_typeEEEZNS1_34radix_sort_onesweep_global_offsetsIS3_Lb0EN6thrust23THRUST_200600_302600_NS6detail15normal_iteratorINS9_10device_ptrIfEEEEPS5_jNS0_19identity_decomposerEEE10hipError_tT1_T2_PT3_SK_jT4_jjP12ihipStream_tbEUlT_E_NS1_11comp_targetILNS1_3genE9ELNS1_11target_archE1100ELNS1_3gpuE3ELNS1_3repE0EEENS1_52radix_sort_onesweep_histogram_config_static_selectorELNS0_4arch9wavefront6targetE1EEEvSI_
    .private_segment_fixed_size: 0
    .sgpr_count:     6
    .sgpr_spill_count: 0
    .symbol:         _ZN7rocprim17ROCPRIM_400000_NS6detail17trampoline_kernelINS0_14default_configENS1_35radix_sort_onesweep_config_selectorIfNS0_10empty_typeEEEZNS1_34radix_sort_onesweep_global_offsetsIS3_Lb0EN6thrust23THRUST_200600_302600_NS6detail15normal_iteratorINS9_10device_ptrIfEEEEPS5_jNS0_19identity_decomposerEEE10hipError_tT1_T2_PT3_SK_jT4_jjP12ihipStream_tbEUlT_E_NS1_11comp_targetILNS1_3genE9ELNS1_11target_archE1100ELNS1_3gpuE3ELNS1_3repE0EEENS1_52radix_sort_onesweep_histogram_config_static_selectorELNS0_4arch9wavefront6targetE1EEEvSI_.kd
    .uniform_work_group_size: 1
    .uses_dynamic_stack: false
    .vgpr_count:     0
    .vgpr_spill_count: 0
    .wavefront_size: 64
  - .agpr_count:     0
    .args:
      - .offset:         0
        .size:           40
        .value_kind:     by_value
    .group_segment_fixed_size: 0
    .kernarg_segment_align: 8
    .kernarg_segment_size: 40
    .language:       OpenCL C
    .language_version:
      - 2
      - 0
    .max_flat_workgroup_size: 1024
    .name:           _ZN7rocprim17ROCPRIM_400000_NS6detail17trampoline_kernelINS0_14default_configENS1_35radix_sort_onesweep_config_selectorIfNS0_10empty_typeEEEZNS1_34radix_sort_onesweep_global_offsetsIS3_Lb0EN6thrust23THRUST_200600_302600_NS6detail15normal_iteratorINS9_10device_ptrIfEEEEPS5_jNS0_19identity_decomposerEEE10hipError_tT1_T2_PT3_SK_jT4_jjP12ihipStream_tbEUlT_E_NS1_11comp_targetILNS1_3genE8ELNS1_11target_archE1030ELNS1_3gpuE2ELNS1_3repE0EEENS1_52radix_sort_onesweep_histogram_config_static_selectorELNS0_4arch9wavefront6targetE1EEEvSI_
    .private_segment_fixed_size: 0
    .sgpr_count:     6
    .sgpr_spill_count: 0
    .symbol:         _ZN7rocprim17ROCPRIM_400000_NS6detail17trampoline_kernelINS0_14default_configENS1_35radix_sort_onesweep_config_selectorIfNS0_10empty_typeEEEZNS1_34radix_sort_onesweep_global_offsetsIS3_Lb0EN6thrust23THRUST_200600_302600_NS6detail15normal_iteratorINS9_10device_ptrIfEEEEPS5_jNS0_19identity_decomposerEEE10hipError_tT1_T2_PT3_SK_jT4_jjP12ihipStream_tbEUlT_E_NS1_11comp_targetILNS1_3genE8ELNS1_11target_archE1030ELNS1_3gpuE2ELNS1_3repE0EEENS1_52radix_sort_onesweep_histogram_config_static_selectorELNS0_4arch9wavefront6targetE1EEEvSI_.kd
    .uniform_work_group_size: 1
    .uses_dynamic_stack: false
    .vgpr_count:     0
    .vgpr_spill_count: 0
    .wavefront_size: 64
  - .agpr_count:     0
    .args:
      - .address_space:  global
        .offset:         0
        .size:           8
        .value_kind:     global_buffer
    .group_segment_fixed_size: 0
    .kernarg_segment_align: 8
    .kernarg_segment_size: 8
    .language:       OpenCL C
    .language_version:
      - 2
      - 0
    .max_flat_workgroup_size: 512
    .name:           _ZN7rocprim17ROCPRIM_400000_NS6detail17trampoline_kernelINS0_14default_configENS1_35radix_sort_onesweep_config_selectorIfNS0_10empty_typeEEEZNS1_34radix_sort_onesweep_global_offsetsIS3_Lb0EN6thrust23THRUST_200600_302600_NS6detail15normal_iteratorINS9_10device_ptrIfEEEEPS5_jNS0_19identity_decomposerEEE10hipError_tT1_T2_PT3_SK_jT4_jjP12ihipStream_tbEUlT_E0_NS1_11comp_targetILNS1_3genE0ELNS1_11target_archE4294967295ELNS1_3gpuE0ELNS1_3repE0EEENS1_52radix_sort_onesweep_histogram_config_static_selectorELNS0_4arch9wavefront6targetE1EEEvSI_
    .private_segment_fixed_size: 0
    .sgpr_count:     6
    .sgpr_spill_count: 0
    .symbol:         _ZN7rocprim17ROCPRIM_400000_NS6detail17trampoline_kernelINS0_14default_configENS1_35radix_sort_onesweep_config_selectorIfNS0_10empty_typeEEEZNS1_34radix_sort_onesweep_global_offsetsIS3_Lb0EN6thrust23THRUST_200600_302600_NS6detail15normal_iteratorINS9_10device_ptrIfEEEEPS5_jNS0_19identity_decomposerEEE10hipError_tT1_T2_PT3_SK_jT4_jjP12ihipStream_tbEUlT_E0_NS1_11comp_targetILNS1_3genE0ELNS1_11target_archE4294967295ELNS1_3gpuE0ELNS1_3repE0EEENS1_52radix_sort_onesweep_histogram_config_static_selectorELNS0_4arch9wavefront6targetE1EEEvSI_.kd
    .uniform_work_group_size: 1
    .uses_dynamic_stack: false
    .vgpr_count:     0
    .vgpr_spill_count: 0
    .wavefront_size: 64
  - .agpr_count:     0
    .args:
      - .address_space:  global
        .offset:         0
        .size:           8
        .value_kind:     global_buffer
    .group_segment_fixed_size: 64
    .kernarg_segment_align: 8
    .kernarg_segment_size: 8
    .language:       OpenCL C
    .language_version:
      - 2
      - 0
    .max_flat_workgroup_size: 1024
    .name:           _ZN7rocprim17ROCPRIM_400000_NS6detail17trampoline_kernelINS0_14default_configENS1_35radix_sort_onesweep_config_selectorIfNS0_10empty_typeEEEZNS1_34radix_sort_onesweep_global_offsetsIS3_Lb0EN6thrust23THRUST_200600_302600_NS6detail15normal_iteratorINS9_10device_ptrIfEEEEPS5_jNS0_19identity_decomposerEEE10hipError_tT1_T2_PT3_SK_jT4_jjP12ihipStream_tbEUlT_E0_NS1_11comp_targetILNS1_3genE6ELNS1_11target_archE950ELNS1_3gpuE13ELNS1_3repE0EEENS1_52radix_sort_onesweep_histogram_config_static_selectorELNS0_4arch9wavefront6targetE1EEEvSI_
    .private_segment_fixed_size: 0
    .sgpr_count:     20
    .sgpr_spill_count: 0
    .symbol:         _ZN7rocprim17ROCPRIM_400000_NS6detail17trampoline_kernelINS0_14default_configENS1_35radix_sort_onesweep_config_selectorIfNS0_10empty_typeEEEZNS1_34radix_sort_onesweep_global_offsetsIS3_Lb0EN6thrust23THRUST_200600_302600_NS6detail15normal_iteratorINS9_10device_ptrIfEEEEPS5_jNS0_19identity_decomposerEEE10hipError_tT1_T2_PT3_SK_jT4_jjP12ihipStream_tbEUlT_E0_NS1_11comp_targetILNS1_3genE6ELNS1_11target_archE950ELNS1_3gpuE13ELNS1_3repE0EEENS1_52radix_sort_onesweep_histogram_config_static_selectorELNS0_4arch9wavefront6targetE1EEEvSI_.kd
    .uniform_work_group_size: 1
    .uses_dynamic_stack: false
    .vgpr_count:     7
    .vgpr_spill_count: 0
    .wavefront_size: 64
  - .agpr_count:     0
    .args:
      - .address_space:  global
        .offset:         0
        .size:           8
        .value_kind:     global_buffer
    .group_segment_fixed_size: 0
    .kernarg_segment_align: 8
    .kernarg_segment_size: 8
    .language:       OpenCL C
    .language_version:
      - 2
      - 0
    .max_flat_workgroup_size: 1024
    .name:           _ZN7rocprim17ROCPRIM_400000_NS6detail17trampoline_kernelINS0_14default_configENS1_35radix_sort_onesweep_config_selectorIfNS0_10empty_typeEEEZNS1_34radix_sort_onesweep_global_offsetsIS3_Lb0EN6thrust23THRUST_200600_302600_NS6detail15normal_iteratorINS9_10device_ptrIfEEEEPS5_jNS0_19identity_decomposerEEE10hipError_tT1_T2_PT3_SK_jT4_jjP12ihipStream_tbEUlT_E0_NS1_11comp_targetILNS1_3genE5ELNS1_11target_archE942ELNS1_3gpuE9ELNS1_3repE0EEENS1_52radix_sort_onesweep_histogram_config_static_selectorELNS0_4arch9wavefront6targetE1EEEvSI_
    .private_segment_fixed_size: 0
    .sgpr_count:     6
    .sgpr_spill_count: 0
    .symbol:         _ZN7rocprim17ROCPRIM_400000_NS6detail17trampoline_kernelINS0_14default_configENS1_35radix_sort_onesweep_config_selectorIfNS0_10empty_typeEEEZNS1_34radix_sort_onesweep_global_offsetsIS3_Lb0EN6thrust23THRUST_200600_302600_NS6detail15normal_iteratorINS9_10device_ptrIfEEEEPS5_jNS0_19identity_decomposerEEE10hipError_tT1_T2_PT3_SK_jT4_jjP12ihipStream_tbEUlT_E0_NS1_11comp_targetILNS1_3genE5ELNS1_11target_archE942ELNS1_3gpuE9ELNS1_3repE0EEENS1_52radix_sort_onesweep_histogram_config_static_selectorELNS0_4arch9wavefront6targetE1EEEvSI_.kd
    .uniform_work_group_size: 1
    .uses_dynamic_stack: false
    .vgpr_count:     0
    .vgpr_spill_count: 0
    .wavefront_size: 64
  - .agpr_count:     0
    .args:
      - .address_space:  global
        .offset:         0
        .size:           8
        .value_kind:     global_buffer
    .group_segment_fixed_size: 0
    .kernarg_segment_align: 8
    .kernarg_segment_size: 8
    .language:       OpenCL C
    .language_version:
      - 2
      - 0
    .max_flat_workgroup_size: 512
    .name:           _ZN7rocprim17ROCPRIM_400000_NS6detail17trampoline_kernelINS0_14default_configENS1_35radix_sort_onesweep_config_selectorIfNS0_10empty_typeEEEZNS1_34radix_sort_onesweep_global_offsetsIS3_Lb0EN6thrust23THRUST_200600_302600_NS6detail15normal_iteratorINS9_10device_ptrIfEEEEPS5_jNS0_19identity_decomposerEEE10hipError_tT1_T2_PT3_SK_jT4_jjP12ihipStream_tbEUlT_E0_NS1_11comp_targetILNS1_3genE2ELNS1_11target_archE906ELNS1_3gpuE6ELNS1_3repE0EEENS1_52radix_sort_onesweep_histogram_config_static_selectorELNS0_4arch9wavefront6targetE1EEEvSI_
    .private_segment_fixed_size: 0
    .sgpr_count:     6
    .sgpr_spill_count: 0
    .symbol:         _ZN7rocprim17ROCPRIM_400000_NS6detail17trampoline_kernelINS0_14default_configENS1_35radix_sort_onesweep_config_selectorIfNS0_10empty_typeEEEZNS1_34radix_sort_onesweep_global_offsetsIS3_Lb0EN6thrust23THRUST_200600_302600_NS6detail15normal_iteratorINS9_10device_ptrIfEEEEPS5_jNS0_19identity_decomposerEEE10hipError_tT1_T2_PT3_SK_jT4_jjP12ihipStream_tbEUlT_E0_NS1_11comp_targetILNS1_3genE2ELNS1_11target_archE906ELNS1_3gpuE6ELNS1_3repE0EEENS1_52radix_sort_onesweep_histogram_config_static_selectorELNS0_4arch9wavefront6targetE1EEEvSI_.kd
    .uniform_work_group_size: 1
    .uses_dynamic_stack: false
    .vgpr_count:     0
    .vgpr_spill_count: 0
    .wavefront_size: 64
  - .agpr_count:     0
    .args:
      - .address_space:  global
        .offset:         0
        .size:           8
        .value_kind:     global_buffer
    .group_segment_fixed_size: 0
    .kernarg_segment_align: 8
    .kernarg_segment_size: 8
    .language:       OpenCL C
    .language_version:
      - 2
      - 0
    .max_flat_workgroup_size: 1024
    .name:           _ZN7rocprim17ROCPRIM_400000_NS6detail17trampoline_kernelINS0_14default_configENS1_35radix_sort_onesweep_config_selectorIfNS0_10empty_typeEEEZNS1_34radix_sort_onesweep_global_offsetsIS3_Lb0EN6thrust23THRUST_200600_302600_NS6detail15normal_iteratorINS9_10device_ptrIfEEEEPS5_jNS0_19identity_decomposerEEE10hipError_tT1_T2_PT3_SK_jT4_jjP12ihipStream_tbEUlT_E0_NS1_11comp_targetILNS1_3genE4ELNS1_11target_archE910ELNS1_3gpuE8ELNS1_3repE0EEENS1_52radix_sort_onesweep_histogram_config_static_selectorELNS0_4arch9wavefront6targetE1EEEvSI_
    .private_segment_fixed_size: 0
    .sgpr_count:     6
    .sgpr_spill_count: 0
    .symbol:         _ZN7rocprim17ROCPRIM_400000_NS6detail17trampoline_kernelINS0_14default_configENS1_35radix_sort_onesweep_config_selectorIfNS0_10empty_typeEEEZNS1_34radix_sort_onesweep_global_offsetsIS3_Lb0EN6thrust23THRUST_200600_302600_NS6detail15normal_iteratorINS9_10device_ptrIfEEEEPS5_jNS0_19identity_decomposerEEE10hipError_tT1_T2_PT3_SK_jT4_jjP12ihipStream_tbEUlT_E0_NS1_11comp_targetILNS1_3genE4ELNS1_11target_archE910ELNS1_3gpuE8ELNS1_3repE0EEENS1_52radix_sort_onesweep_histogram_config_static_selectorELNS0_4arch9wavefront6targetE1EEEvSI_.kd
    .uniform_work_group_size: 1
    .uses_dynamic_stack: false
    .vgpr_count:     0
    .vgpr_spill_count: 0
    .wavefront_size: 64
  - .agpr_count:     0
    .args:
      - .address_space:  global
        .offset:         0
        .size:           8
        .value_kind:     global_buffer
    .group_segment_fixed_size: 0
    .kernarg_segment_align: 8
    .kernarg_segment_size: 8
    .language:       OpenCL C
    .language_version:
      - 2
      - 0
    .max_flat_workgroup_size: 512
    .name:           _ZN7rocprim17ROCPRIM_400000_NS6detail17trampoline_kernelINS0_14default_configENS1_35radix_sort_onesweep_config_selectorIfNS0_10empty_typeEEEZNS1_34radix_sort_onesweep_global_offsetsIS3_Lb0EN6thrust23THRUST_200600_302600_NS6detail15normal_iteratorINS9_10device_ptrIfEEEEPS5_jNS0_19identity_decomposerEEE10hipError_tT1_T2_PT3_SK_jT4_jjP12ihipStream_tbEUlT_E0_NS1_11comp_targetILNS1_3genE3ELNS1_11target_archE908ELNS1_3gpuE7ELNS1_3repE0EEENS1_52radix_sort_onesweep_histogram_config_static_selectorELNS0_4arch9wavefront6targetE1EEEvSI_
    .private_segment_fixed_size: 0
    .sgpr_count:     6
    .sgpr_spill_count: 0
    .symbol:         _ZN7rocprim17ROCPRIM_400000_NS6detail17trampoline_kernelINS0_14default_configENS1_35radix_sort_onesweep_config_selectorIfNS0_10empty_typeEEEZNS1_34radix_sort_onesweep_global_offsetsIS3_Lb0EN6thrust23THRUST_200600_302600_NS6detail15normal_iteratorINS9_10device_ptrIfEEEEPS5_jNS0_19identity_decomposerEEE10hipError_tT1_T2_PT3_SK_jT4_jjP12ihipStream_tbEUlT_E0_NS1_11comp_targetILNS1_3genE3ELNS1_11target_archE908ELNS1_3gpuE7ELNS1_3repE0EEENS1_52radix_sort_onesweep_histogram_config_static_selectorELNS0_4arch9wavefront6targetE1EEEvSI_.kd
    .uniform_work_group_size: 1
    .uses_dynamic_stack: false
    .vgpr_count:     0
    .vgpr_spill_count: 0
    .wavefront_size: 64
  - .agpr_count:     0
    .args:
      - .address_space:  global
        .offset:         0
        .size:           8
        .value_kind:     global_buffer
    .group_segment_fixed_size: 0
    .kernarg_segment_align: 8
    .kernarg_segment_size: 8
    .language:       OpenCL C
    .language_version:
      - 2
      - 0
    .max_flat_workgroup_size: 512
    .name:           _ZN7rocprim17ROCPRIM_400000_NS6detail17trampoline_kernelINS0_14default_configENS1_35radix_sort_onesweep_config_selectorIfNS0_10empty_typeEEEZNS1_34radix_sort_onesweep_global_offsetsIS3_Lb0EN6thrust23THRUST_200600_302600_NS6detail15normal_iteratorINS9_10device_ptrIfEEEEPS5_jNS0_19identity_decomposerEEE10hipError_tT1_T2_PT3_SK_jT4_jjP12ihipStream_tbEUlT_E0_NS1_11comp_targetILNS1_3genE10ELNS1_11target_archE1201ELNS1_3gpuE5ELNS1_3repE0EEENS1_52radix_sort_onesweep_histogram_config_static_selectorELNS0_4arch9wavefront6targetE1EEEvSI_
    .private_segment_fixed_size: 0
    .sgpr_count:     6
    .sgpr_spill_count: 0
    .symbol:         _ZN7rocprim17ROCPRIM_400000_NS6detail17trampoline_kernelINS0_14default_configENS1_35radix_sort_onesweep_config_selectorIfNS0_10empty_typeEEEZNS1_34radix_sort_onesweep_global_offsetsIS3_Lb0EN6thrust23THRUST_200600_302600_NS6detail15normal_iteratorINS9_10device_ptrIfEEEEPS5_jNS0_19identity_decomposerEEE10hipError_tT1_T2_PT3_SK_jT4_jjP12ihipStream_tbEUlT_E0_NS1_11comp_targetILNS1_3genE10ELNS1_11target_archE1201ELNS1_3gpuE5ELNS1_3repE0EEENS1_52radix_sort_onesweep_histogram_config_static_selectorELNS0_4arch9wavefront6targetE1EEEvSI_.kd
    .uniform_work_group_size: 1
    .uses_dynamic_stack: false
    .vgpr_count:     0
    .vgpr_spill_count: 0
    .wavefront_size: 64
  - .agpr_count:     0
    .args:
      - .address_space:  global
        .offset:         0
        .size:           8
        .value_kind:     global_buffer
    .group_segment_fixed_size: 0
    .kernarg_segment_align: 8
    .kernarg_segment_size: 8
    .language:       OpenCL C
    .language_version:
      - 2
      - 0
    .max_flat_workgroup_size: 1024
    .name:           _ZN7rocprim17ROCPRIM_400000_NS6detail17trampoline_kernelINS0_14default_configENS1_35radix_sort_onesweep_config_selectorIfNS0_10empty_typeEEEZNS1_34radix_sort_onesweep_global_offsetsIS3_Lb0EN6thrust23THRUST_200600_302600_NS6detail15normal_iteratorINS9_10device_ptrIfEEEEPS5_jNS0_19identity_decomposerEEE10hipError_tT1_T2_PT3_SK_jT4_jjP12ihipStream_tbEUlT_E0_NS1_11comp_targetILNS1_3genE9ELNS1_11target_archE1100ELNS1_3gpuE3ELNS1_3repE0EEENS1_52radix_sort_onesweep_histogram_config_static_selectorELNS0_4arch9wavefront6targetE1EEEvSI_
    .private_segment_fixed_size: 0
    .sgpr_count:     6
    .sgpr_spill_count: 0
    .symbol:         _ZN7rocprim17ROCPRIM_400000_NS6detail17trampoline_kernelINS0_14default_configENS1_35radix_sort_onesweep_config_selectorIfNS0_10empty_typeEEEZNS1_34radix_sort_onesweep_global_offsetsIS3_Lb0EN6thrust23THRUST_200600_302600_NS6detail15normal_iteratorINS9_10device_ptrIfEEEEPS5_jNS0_19identity_decomposerEEE10hipError_tT1_T2_PT3_SK_jT4_jjP12ihipStream_tbEUlT_E0_NS1_11comp_targetILNS1_3genE9ELNS1_11target_archE1100ELNS1_3gpuE3ELNS1_3repE0EEENS1_52radix_sort_onesweep_histogram_config_static_selectorELNS0_4arch9wavefront6targetE1EEEvSI_.kd
    .uniform_work_group_size: 1
    .uses_dynamic_stack: false
    .vgpr_count:     0
    .vgpr_spill_count: 0
    .wavefront_size: 64
  - .agpr_count:     0
    .args:
      - .address_space:  global
        .offset:         0
        .size:           8
        .value_kind:     global_buffer
    .group_segment_fixed_size: 0
    .kernarg_segment_align: 8
    .kernarg_segment_size: 8
    .language:       OpenCL C
    .language_version:
      - 2
      - 0
    .max_flat_workgroup_size: 1024
    .name:           _ZN7rocprim17ROCPRIM_400000_NS6detail17trampoline_kernelINS0_14default_configENS1_35radix_sort_onesweep_config_selectorIfNS0_10empty_typeEEEZNS1_34radix_sort_onesweep_global_offsetsIS3_Lb0EN6thrust23THRUST_200600_302600_NS6detail15normal_iteratorINS9_10device_ptrIfEEEEPS5_jNS0_19identity_decomposerEEE10hipError_tT1_T2_PT3_SK_jT4_jjP12ihipStream_tbEUlT_E0_NS1_11comp_targetILNS1_3genE8ELNS1_11target_archE1030ELNS1_3gpuE2ELNS1_3repE0EEENS1_52radix_sort_onesweep_histogram_config_static_selectorELNS0_4arch9wavefront6targetE1EEEvSI_
    .private_segment_fixed_size: 0
    .sgpr_count:     6
    .sgpr_spill_count: 0
    .symbol:         _ZN7rocprim17ROCPRIM_400000_NS6detail17trampoline_kernelINS0_14default_configENS1_35radix_sort_onesweep_config_selectorIfNS0_10empty_typeEEEZNS1_34radix_sort_onesweep_global_offsetsIS3_Lb0EN6thrust23THRUST_200600_302600_NS6detail15normal_iteratorINS9_10device_ptrIfEEEEPS5_jNS0_19identity_decomposerEEE10hipError_tT1_T2_PT3_SK_jT4_jjP12ihipStream_tbEUlT_E0_NS1_11comp_targetILNS1_3genE8ELNS1_11target_archE1030ELNS1_3gpuE2ELNS1_3repE0EEENS1_52radix_sort_onesweep_histogram_config_static_selectorELNS0_4arch9wavefront6targetE1EEEvSI_.kd
    .uniform_work_group_size: 1
    .uses_dynamic_stack: false
    .vgpr_count:     0
    .vgpr_spill_count: 0
    .wavefront_size: 64
  - .agpr_count:     0
    .args:
      - .offset:         0
        .size:           40
        .value_kind:     by_value
      - .offset:         40
        .size:           4
        .value_kind:     hidden_block_count_x
      - .offset:         44
        .size:           4
        .value_kind:     hidden_block_count_y
      - .offset:         48
        .size:           4
        .value_kind:     hidden_block_count_z
      - .offset:         52
        .size:           2
        .value_kind:     hidden_group_size_x
      - .offset:         54
        .size:           2
        .value_kind:     hidden_group_size_y
      - .offset:         56
        .size:           2
        .value_kind:     hidden_group_size_z
      - .offset:         58
        .size:           2
        .value_kind:     hidden_remainder_x
      - .offset:         60
        .size:           2
        .value_kind:     hidden_remainder_y
      - .offset:         62
        .size:           2
        .value_kind:     hidden_remainder_z
      - .offset:         80
        .size:           8
        .value_kind:     hidden_global_offset_x
      - .offset:         88
        .size:           8
        .value_kind:     hidden_global_offset_y
      - .offset:         96
        .size:           8
        .value_kind:     hidden_global_offset_z
      - .offset:         104
        .size:           2
        .value_kind:     hidden_grid_dims
    .group_segment_fixed_size: 0
    .kernarg_segment_align: 8
    .kernarg_segment_size: 296
    .language:       OpenCL C
    .language_version:
      - 2
      - 0
    .max_flat_workgroup_size: 128
    .name:           _ZN7rocprim17ROCPRIM_400000_NS6detail17trampoline_kernelINS0_14default_configENS1_25transform_config_selectorIfLb0EEEZNS1_14transform_implILb0ES3_S5_N6thrust23THRUST_200600_302600_NS6detail15normal_iteratorINS8_10device_ptrIfEEEEPfNS0_8identityIfEEEE10hipError_tT2_T3_mT4_P12ihipStream_tbEUlT_E_NS1_11comp_targetILNS1_3genE0ELNS1_11target_archE4294967295ELNS1_3gpuE0ELNS1_3repE0EEENS1_30default_config_static_selectorELNS0_4arch9wavefront6targetE1EEEvT1_
    .private_segment_fixed_size: 0
    .sgpr_count:     22
    .sgpr_spill_count: 0
    .symbol:         _ZN7rocprim17ROCPRIM_400000_NS6detail17trampoline_kernelINS0_14default_configENS1_25transform_config_selectorIfLb0EEEZNS1_14transform_implILb0ES3_S5_N6thrust23THRUST_200600_302600_NS6detail15normal_iteratorINS8_10device_ptrIfEEEEPfNS0_8identityIfEEEE10hipError_tT2_T3_mT4_P12ihipStream_tbEUlT_E_NS1_11comp_targetILNS1_3genE0ELNS1_11target_archE4294967295ELNS1_3gpuE0ELNS1_3repE0EEENS1_30default_config_static_selectorELNS0_4arch9wavefront6targetE1EEEvT1_.kd
    .uniform_work_group_size: 1
    .uses_dynamic_stack: false
    .vgpr_count:     7
    .vgpr_spill_count: 0
    .wavefront_size: 64
  - .agpr_count:     0
    .args:
      - .offset:         0
        .size:           40
        .value_kind:     by_value
    .group_segment_fixed_size: 0
    .kernarg_segment_align: 8
    .kernarg_segment_size: 40
    .language:       OpenCL C
    .language_version:
      - 2
      - 0
    .max_flat_workgroup_size: 256
    .name:           _ZN7rocprim17ROCPRIM_400000_NS6detail17trampoline_kernelINS0_14default_configENS1_25transform_config_selectorIfLb0EEEZNS1_14transform_implILb0ES3_S5_N6thrust23THRUST_200600_302600_NS6detail15normal_iteratorINS8_10device_ptrIfEEEEPfNS0_8identityIfEEEE10hipError_tT2_T3_mT4_P12ihipStream_tbEUlT_E_NS1_11comp_targetILNS1_3genE5ELNS1_11target_archE942ELNS1_3gpuE9ELNS1_3repE0EEENS1_30default_config_static_selectorELNS0_4arch9wavefront6targetE1EEEvT1_
    .private_segment_fixed_size: 0
    .sgpr_count:     6
    .sgpr_spill_count: 0
    .symbol:         _ZN7rocprim17ROCPRIM_400000_NS6detail17trampoline_kernelINS0_14default_configENS1_25transform_config_selectorIfLb0EEEZNS1_14transform_implILb0ES3_S5_N6thrust23THRUST_200600_302600_NS6detail15normal_iteratorINS8_10device_ptrIfEEEEPfNS0_8identityIfEEEE10hipError_tT2_T3_mT4_P12ihipStream_tbEUlT_E_NS1_11comp_targetILNS1_3genE5ELNS1_11target_archE942ELNS1_3gpuE9ELNS1_3repE0EEENS1_30default_config_static_selectorELNS0_4arch9wavefront6targetE1EEEvT1_.kd
    .uniform_work_group_size: 1
    .uses_dynamic_stack: false
    .vgpr_count:     0
    .vgpr_spill_count: 0
    .wavefront_size: 64
  - .agpr_count:     0
    .args:
      - .offset:         0
        .size:           40
        .value_kind:     by_value
    .group_segment_fixed_size: 0
    .kernarg_segment_align: 8
    .kernarg_segment_size: 40
    .language:       OpenCL C
    .language_version:
      - 2
      - 0
    .max_flat_workgroup_size: 1024
    .name:           _ZN7rocprim17ROCPRIM_400000_NS6detail17trampoline_kernelINS0_14default_configENS1_25transform_config_selectorIfLb0EEEZNS1_14transform_implILb0ES3_S5_N6thrust23THRUST_200600_302600_NS6detail15normal_iteratorINS8_10device_ptrIfEEEEPfNS0_8identityIfEEEE10hipError_tT2_T3_mT4_P12ihipStream_tbEUlT_E_NS1_11comp_targetILNS1_3genE4ELNS1_11target_archE910ELNS1_3gpuE8ELNS1_3repE0EEENS1_30default_config_static_selectorELNS0_4arch9wavefront6targetE1EEEvT1_
    .private_segment_fixed_size: 0
    .sgpr_count:     6
    .sgpr_spill_count: 0
    .symbol:         _ZN7rocprim17ROCPRIM_400000_NS6detail17trampoline_kernelINS0_14default_configENS1_25transform_config_selectorIfLb0EEEZNS1_14transform_implILb0ES3_S5_N6thrust23THRUST_200600_302600_NS6detail15normal_iteratorINS8_10device_ptrIfEEEEPfNS0_8identityIfEEEE10hipError_tT2_T3_mT4_P12ihipStream_tbEUlT_E_NS1_11comp_targetILNS1_3genE4ELNS1_11target_archE910ELNS1_3gpuE8ELNS1_3repE0EEENS1_30default_config_static_selectorELNS0_4arch9wavefront6targetE1EEEvT1_.kd
    .uniform_work_group_size: 1
    .uses_dynamic_stack: false
    .vgpr_count:     0
    .vgpr_spill_count: 0
    .wavefront_size: 64
  - .agpr_count:     0
    .args:
      - .offset:         0
        .size:           40
        .value_kind:     by_value
    .group_segment_fixed_size: 0
    .kernarg_segment_align: 8
    .kernarg_segment_size: 40
    .language:       OpenCL C
    .language_version:
      - 2
      - 0
    .max_flat_workgroup_size: 128
    .name:           _ZN7rocprim17ROCPRIM_400000_NS6detail17trampoline_kernelINS0_14default_configENS1_25transform_config_selectorIfLb0EEEZNS1_14transform_implILb0ES3_S5_N6thrust23THRUST_200600_302600_NS6detail15normal_iteratorINS8_10device_ptrIfEEEEPfNS0_8identityIfEEEE10hipError_tT2_T3_mT4_P12ihipStream_tbEUlT_E_NS1_11comp_targetILNS1_3genE3ELNS1_11target_archE908ELNS1_3gpuE7ELNS1_3repE0EEENS1_30default_config_static_selectorELNS0_4arch9wavefront6targetE1EEEvT1_
    .private_segment_fixed_size: 0
    .sgpr_count:     6
    .sgpr_spill_count: 0
    .symbol:         _ZN7rocprim17ROCPRIM_400000_NS6detail17trampoline_kernelINS0_14default_configENS1_25transform_config_selectorIfLb0EEEZNS1_14transform_implILb0ES3_S5_N6thrust23THRUST_200600_302600_NS6detail15normal_iteratorINS8_10device_ptrIfEEEEPfNS0_8identityIfEEEE10hipError_tT2_T3_mT4_P12ihipStream_tbEUlT_E_NS1_11comp_targetILNS1_3genE3ELNS1_11target_archE908ELNS1_3gpuE7ELNS1_3repE0EEENS1_30default_config_static_selectorELNS0_4arch9wavefront6targetE1EEEvT1_.kd
    .uniform_work_group_size: 1
    .uses_dynamic_stack: false
    .vgpr_count:     0
    .vgpr_spill_count: 0
    .wavefront_size: 64
  - .agpr_count:     0
    .args:
      - .offset:         0
        .size:           40
        .value_kind:     by_value
    .group_segment_fixed_size: 0
    .kernarg_segment_align: 8
    .kernarg_segment_size: 40
    .language:       OpenCL C
    .language_version:
      - 2
      - 0
    .max_flat_workgroup_size: 1024
    .name:           _ZN7rocprim17ROCPRIM_400000_NS6detail17trampoline_kernelINS0_14default_configENS1_25transform_config_selectorIfLb0EEEZNS1_14transform_implILb0ES3_S5_N6thrust23THRUST_200600_302600_NS6detail15normal_iteratorINS8_10device_ptrIfEEEEPfNS0_8identityIfEEEE10hipError_tT2_T3_mT4_P12ihipStream_tbEUlT_E_NS1_11comp_targetILNS1_3genE2ELNS1_11target_archE906ELNS1_3gpuE6ELNS1_3repE0EEENS1_30default_config_static_selectorELNS0_4arch9wavefront6targetE1EEEvT1_
    .private_segment_fixed_size: 0
    .sgpr_count:     6
    .sgpr_spill_count: 0
    .symbol:         _ZN7rocprim17ROCPRIM_400000_NS6detail17trampoline_kernelINS0_14default_configENS1_25transform_config_selectorIfLb0EEEZNS1_14transform_implILb0ES3_S5_N6thrust23THRUST_200600_302600_NS6detail15normal_iteratorINS8_10device_ptrIfEEEEPfNS0_8identityIfEEEE10hipError_tT2_T3_mT4_P12ihipStream_tbEUlT_E_NS1_11comp_targetILNS1_3genE2ELNS1_11target_archE906ELNS1_3gpuE6ELNS1_3repE0EEENS1_30default_config_static_selectorELNS0_4arch9wavefront6targetE1EEEvT1_.kd
    .uniform_work_group_size: 1
    .uses_dynamic_stack: false
    .vgpr_count:     0
    .vgpr_spill_count: 0
    .wavefront_size: 64
  - .agpr_count:     0
    .args:
      - .offset:         0
        .size:           40
        .value_kind:     by_value
    .group_segment_fixed_size: 0
    .kernarg_segment_align: 8
    .kernarg_segment_size: 40
    .language:       OpenCL C
    .language_version:
      - 2
      - 0
    .max_flat_workgroup_size: 512
    .name:           _ZN7rocprim17ROCPRIM_400000_NS6detail17trampoline_kernelINS0_14default_configENS1_25transform_config_selectorIfLb0EEEZNS1_14transform_implILb0ES3_S5_N6thrust23THRUST_200600_302600_NS6detail15normal_iteratorINS8_10device_ptrIfEEEEPfNS0_8identityIfEEEE10hipError_tT2_T3_mT4_P12ihipStream_tbEUlT_E_NS1_11comp_targetILNS1_3genE10ELNS1_11target_archE1201ELNS1_3gpuE5ELNS1_3repE0EEENS1_30default_config_static_selectorELNS0_4arch9wavefront6targetE1EEEvT1_
    .private_segment_fixed_size: 0
    .sgpr_count:     6
    .sgpr_spill_count: 0
    .symbol:         _ZN7rocprim17ROCPRIM_400000_NS6detail17trampoline_kernelINS0_14default_configENS1_25transform_config_selectorIfLb0EEEZNS1_14transform_implILb0ES3_S5_N6thrust23THRUST_200600_302600_NS6detail15normal_iteratorINS8_10device_ptrIfEEEEPfNS0_8identityIfEEEE10hipError_tT2_T3_mT4_P12ihipStream_tbEUlT_E_NS1_11comp_targetILNS1_3genE10ELNS1_11target_archE1201ELNS1_3gpuE5ELNS1_3repE0EEENS1_30default_config_static_selectorELNS0_4arch9wavefront6targetE1EEEvT1_.kd
    .uniform_work_group_size: 1
    .uses_dynamic_stack: false
    .vgpr_count:     0
    .vgpr_spill_count: 0
    .wavefront_size: 64
  - .agpr_count:     0
    .args:
      - .offset:         0
        .size:           40
        .value_kind:     by_value
    .group_segment_fixed_size: 0
    .kernarg_segment_align: 8
    .kernarg_segment_size: 40
    .language:       OpenCL C
    .language_version:
      - 2
      - 0
    .max_flat_workgroup_size: 512
    .name:           _ZN7rocprim17ROCPRIM_400000_NS6detail17trampoline_kernelINS0_14default_configENS1_25transform_config_selectorIfLb0EEEZNS1_14transform_implILb0ES3_S5_N6thrust23THRUST_200600_302600_NS6detail15normal_iteratorINS8_10device_ptrIfEEEEPfNS0_8identityIfEEEE10hipError_tT2_T3_mT4_P12ihipStream_tbEUlT_E_NS1_11comp_targetILNS1_3genE10ELNS1_11target_archE1200ELNS1_3gpuE4ELNS1_3repE0EEENS1_30default_config_static_selectorELNS0_4arch9wavefront6targetE1EEEvT1_
    .private_segment_fixed_size: 0
    .sgpr_count:     6
    .sgpr_spill_count: 0
    .symbol:         _ZN7rocprim17ROCPRIM_400000_NS6detail17trampoline_kernelINS0_14default_configENS1_25transform_config_selectorIfLb0EEEZNS1_14transform_implILb0ES3_S5_N6thrust23THRUST_200600_302600_NS6detail15normal_iteratorINS8_10device_ptrIfEEEEPfNS0_8identityIfEEEE10hipError_tT2_T3_mT4_P12ihipStream_tbEUlT_E_NS1_11comp_targetILNS1_3genE10ELNS1_11target_archE1200ELNS1_3gpuE4ELNS1_3repE0EEENS1_30default_config_static_selectorELNS0_4arch9wavefront6targetE1EEEvT1_.kd
    .uniform_work_group_size: 1
    .uses_dynamic_stack: false
    .vgpr_count:     0
    .vgpr_spill_count: 0
    .wavefront_size: 64
  - .agpr_count:     0
    .args:
      - .offset:         0
        .size:           40
        .value_kind:     by_value
    .group_segment_fixed_size: 0
    .kernarg_segment_align: 8
    .kernarg_segment_size: 40
    .language:       OpenCL C
    .language_version:
      - 2
      - 0
    .max_flat_workgroup_size: 1024
    .name:           _ZN7rocprim17ROCPRIM_400000_NS6detail17trampoline_kernelINS0_14default_configENS1_25transform_config_selectorIfLb0EEEZNS1_14transform_implILb0ES3_S5_N6thrust23THRUST_200600_302600_NS6detail15normal_iteratorINS8_10device_ptrIfEEEEPfNS0_8identityIfEEEE10hipError_tT2_T3_mT4_P12ihipStream_tbEUlT_E_NS1_11comp_targetILNS1_3genE9ELNS1_11target_archE1100ELNS1_3gpuE3ELNS1_3repE0EEENS1_30default_config_static_selectorELNS0_4arch9wavefront6targetE1EEEvT1_
    .private_segment_fixed_size: 0
    .sgpr_count:     6
    .sgpr_spill_count: 0
    .symbol:         _ZN7rocprim17ROCPRIM_400000_NS6detail17trampoline_kernelINS0_14default_configENS1_25transform_config_selectorIfLb0EEEZNS1_14transform_implILb0ES3_S5_N6thrust23THRUST_200600_302600_NS6detail15normal_iteratorINS8_10device_ptrIfEEEEPfNS0_8identityIfEEEE10hipError_tT2_T3_mT4_P12ihipStream_tbEUlT_E_NS1_11comp_targetILNS1_3genE9ELNS1_11target_archE1100ELNS1_3gpuE3ELNS1_3repE0EEENS1_30default_config_static_selectorELNS0_4arch9wavefront6targetE1EEEvT1_.kd
    .uniform_work_group_size: 1
    .uses_dynamic_stack: false
    .vgpr_count:     0
    .vgpr_spill_count: 0
    .wavefront_size: 64
  - .agpr_count:     0
    .args:
      - .offset:         0
        .size:           40
        .value_kind:     by_value
    .group_segment_fixed_size: 0
    .kernarg_segment_align: 8
    .kernarg_segment_size: 40
    .language:       OpenCL C
    .language_version:
      - 2
      - 0
    .max_flat_workgroup_size: 256
    .name:           _ZN7rocprim17ROCPRIM_400000_NS6detail17trampoline_kernelINS0_14default_configENS1_25transform_config_selectorIfLb0EEEZNS1_14transform_implILb0ES3_S5_N6thrust23THRUST_200600_302600_NS6detail15normal_iteratorINS8_10device_ptrIfEEEEPfNS0_8identityIfEEEE10hipError_tT2_T3_mT4_P12ihipStream_tbEUlT_E_NS1_11comp_targetILNS1_3genE8ELNS1_11target_archE1030ELNS1_3gpuE2ELNS1_3repE0EEENS1_30default_config_static_selectorELNS0_4arch9wavefront6targetE1EEEvT1_
    .private_segment_fixed_size: 0
    .sgpr_count:     6
    .sgpr_spill_count: 0
    .symbol:         _ZN7rocprim17ROCPRIM_400000_NS6detail17trampoline_kernelINS0_14default_configENS1_25transform_config_selectorIfLb0EEEZNS1_14transform_implILb0ES3_S5_N6thrust23THRUST_200600_302600_NS6detail15normal_iteratorINS8_10device_ptrIfEEEEPfNS0_8identityIfEEEE10hipError_tT2_T3_mT4_P12ihipStream_tbEUlT_E_NS1_11comp_targetILNS1_3genE8ELNS1_11target_archE1030ELNS1_3gpuE2ELNS1_3repE0EEENS1_30default_config_static_selectorELNS0_4arch9wavefront6targetE1EEEvT1_.kd
    .uniform_work_group_size: 1
    .uses_dynamic_stack: false
    .vgpr_count:     0
    .vgpr_spill_count: 0
    .wavefront_size: 64
  - .agpr_count:     0
    .args:
      - .offset:         0
        .size:           88
        .value_kind:     by_value
    .group_segment_fixed_size: 0
    .kernarg_segment_align: 8
    .kernarg_segment_size: 88
    .language:       OpenCL C
    .language_version:
      - 2
      - 0
    .max_flat_workgroup_size: 512
    .name:           _ZN7rocprim17ROCPRIM_400000_NS6detail17trampoline_kernelINS0_14default_configENS1_35radix_sort_onesweep_config_selectorIfNS0_10empty_typeEEEZZNS1_29radix_sort_onesweep_iterationIS3_Lb0EN6thrust23THRUST_200600_302600_NS6detail15normal_iteratorINS9_10device_ptrIfEEEESE_PS5_SF_jNS0_19identity_decomposerENS1_16block_id_wrapperIjLb1EEEEE10hipError_tT1_PNSt15iterator_traitsISK_E10value_typeET2_T3_PNSL_ISQ_E10value_typeET4_T5_PSV_SW_PNS1_23onesweep_lookback_stateEbbT6_jjT7_P12ihipStream_tbENKUlT_T0_SK_SP_E_clISE_SE_SF_SF_EEDaS13_S14_SK_SP_EUlS13_E_NS1_11comp_targetILNS1_3genE0ELNS1_11target_archE4294967295ELNS1_3gpuE0ELNS1_3repE0EEENS1_47radix_sort_onesweep_sort_config_static_selectorELNS0_4arch9wavefront6targetE1EEEvSK_
    .private_segment_fixed_size: 0
    .sgpr_count:     6
    .sgpr_spill_count: 0
    .symbol:         _ZN7rocprim17ROCPRIM_400000_NS6detail17trampoline_kernelINS0_14default_configENS1_35radix_sort_onesweep_config_selectorIfNS0_10empty_typeEEEZZNS1_29radix_sort_onesweep_iterationIS3_Lb0EN6thrust23THRUST_200600_302600_NS6detail15normal_iteratorINS9_10device_ptrIfEEEESE_PS5_SF_jNS0_19identity_decomposerENS1_16block_id_wrapperIjLb1EEEEE10hipError_tT1_PNSt15iterator_traitsISK_E10value_typeET2_T3_PNSL_ISQ_E10value_typeET4_T5_PSV_SW_PNS1_23onesweep_lookback_stateEbbT6_jjT7_P12ihipStream_tbENKUlT_T0_SK_SP_E_clISE_SE_SF_SF_EEDaS13_S14_SK_SP_EUlS13_E_NS1_11comp_targetILNS1_3genE0ELNS1_11target_archE4294967295ELNS1_3gpuE0ELNS1_3repE0EEENS1_47radix_sort_onesweep_sort_config_static_selectorELNS0_4arch9wavefront6targetE1EEEvSK_.kd
    .uniform_work_group_size: 1
    .uses_dynamic_stack: false
    .vgpr_count:     0
    .vgpr_spill_count: 0
    .wavefront_size: 64
  - .agpr_count:     0
    .args:
      - .offset:         0
        .size:           88
        .value_kind:     by_value
      - .offset:         88
        .size:           4
        .value_kind:     hidden_block_count_x
      - .offset:         92
        .size:           4
        .value_kind:     hidden_block_count_y
      - .offset:         96
        .size:           4
        .value_kind:     hidden_block_count_z
      - .offset:         100
        .size:           2
        .value_kind:     hidden_group_size_x
      - .offset:         102
        .size:           2
        .value_kind:     hidden_group_size_y
      - .offset:         104
        .size:           2
        .value_kind:     hidden_group_size_z
      - .offset:         106
        .size:           2
        .value_kind:     hidden_remainder_x
      - .offset:         108
        .size:           2
        .value_kind:     hidden_remainder_y
      - .offset:         110
        .size:           2
        .value_kind:     hidden_remainder_z
      - .offset:         128
        .size:           8
        .value_kind:     hidden_global_offset_x
      - .offset:         136
        .size:           8
        .value_kind:     hidden_global_offset_y
      - .offset:         144
        .size:           8
        .value_kind:     hidden_global_offset_z
      - .offset:         152
        .size:           2
        .value_kind:     hidden_grid_dims
    .group_segment_fixed_size: 20552
    .kernarg_segment_align: 8
    .kernarg_segment_size: 344
    .language:       OpenCL C
    .language_version:
      - 2
      - 0
    .max_flat_workgroup_size: 1024
    .name:           _ZN7rocprim17ROCPRIM_400000_NS6detail17trampoline_kernelINS0_14default_configENS1_35radix_sort_onesweep_config_selectorIfNS0_10empty_typeEEEZZNS1_29radix_sort_onesweep_iterationIS3_Lb0EN6thrust23THRUST_200600_302600_NS6detail15normal_iteratorINS9_10device_ptrIfEEEESE_PS5_SF_jNS0_19identity_decomposerENS1_16block_id_wrapperIjLb1EEEEE10hipError_tT1_PNSt15iterator_traitsISK_E10value_typeET2_T3_PNSL_ISQ_E10value_typeET4_T5_PSV_SW_PNS1_23onesweep_lookback_stateEbbT6_jjT7_P12ihipStream_tbENKUlT_T0_SK_SP_E_clISE_SE_SF_SF_EEDaS13_S14_SK_SP_EUlS13_E_NS1_11comp_targetILNS1_3genE6ELNS1_11target_archE950ELNS1_3gpuE13ELNS1_3repE0EEENS1_47radix_sort_onesweep_sort_config_static_selectorELNS0_4arch9wavefront6targetE1EEEvSK_
    .private_segment_fixed_size: 0
    .sgpr_count:     42
    .sgpr_spill_count: 0
    .symbol:         _ZN7rocprim17ROCPRIM_400000_NS6detail17trampoline_kernelINS0_14default_configENS1_35radix_sort_onesweep_config_selectorIfNS0_10empty_typeEEEZZNS1_29radix_sort_onesweep_iterationIS3_Lb0EN6thrust23THRUST_200600_302600_NS6detail15normal_iteratorINS9_10device_ptrIfEEEESE_PS5_SF_jNS0_19identity_decomposerENS1_16block_id_wrapperIjLb1EEEEE10hipError_tT1_PNSt15iterator_traitsISK_E10value_typeET2_T3_PNSL_ISQ_E10value_typeET4_T5_PSV_SW_PNS1_23onesweep_lookback_stateEbbT6_jjT7_P12ihipStream_tbENKUlT_T0_SK_SP_E_clISE_SE_SF_SF_EEDaS13_S14_SK_SP_EUlS13_E_NS1_11comp_targetILNS1_3genE6ELNS1_11target_archE950ELNS1_3gpuE13ELNS1_3repE0EEENS1_47radix_sort_onesweep_sort_config_static_selectorELNS0_4arch9wavefront6targetE1EEEvSK_.kd
    .uniform_work_group_size: 1
    .uses_dynamic_stack: false
    .vgpr_count:     46
    .vgpr_spill_count: 0
    .wavefront_size: 64
  - .agpr_count:     0
    .args:
      - .offset:         0
        .size:           88
        .value_kind:     by_value
    .group_segment_fixed_size: 0
    .kernarg_segment_align: 8
    .kernarg_segment_size: 88
    .language:       OpenCL C
    .language_version:
      - 2
      - 0
    .max_flat_workgroup_size: 1024
    .name:           _ZN7rocprim17ROCPRIM_400000_NS6detail17trampoline_kernelINS0_14default_configENS1_35radix_sort_onesweep_config_selectorIfNS0_10empty_typeEEEZZNS1_29radix_sort_onesweep_iterationIS3_Lb0EN6thrust23THRUST_200600_302600_NS6detail15normal_iteratorINS9_10device_ptrIfEEEESE_PS5_SF_jNS0_19identity_decomposerENS1_16block_id_wrapperIjLb1EEEEE10hipError_tT1_PNSt15iterator_traitsISK_E10value_typeET2_T3_PNSL_ISQ_E10value_typeET4_T5_PSV_SW_PNS1_23onesweep_lookback_stateEbbT6_jjT7_P12ihipStream_tbENKUlT_T0_SK_SP_E_clISE_SE_SF_SF_EEDaS13_S14_SK_SP_EUlS13_E_NS1_11comp_targetILNS1_3genE5ELNS1_11target_archE942ELNS1_3gpuE9ELNS1_3repE0EEENS1_47radix_sort_onesweep_sort_config_static_selectorELNS0_4arch9wavefront6targetE1EEEvSK_
    .private_segment_fixed_size: 0
    .sgpr_count:     6
    .sgpr_spill_count: 0
    .symbol:         _ZN7rocprim17ROCPRIM_400000_NS6detail17trampoline_kernelINS0_14default_configENS1_35radix_sort_onesweep_config_selectorIfNS0_10empty_typeEEEZZNS1_29radix_sort_onesweep_iterationIS3_Lb0EN6thrust23THRUST_200600_302600_NS6detail15normal_iteratorINS9_10device_ptrIfEEEESE_PS5_SF_jNS0_19identity_decomposerENS1_16block_id_wrapperIjLb1EEEEE10hipError_tT1_PNSt15iterator_traitsISK_E10value_typeET2_T3_PNSL_ISQ_E10value_typeET4_T5_PSV_SW_PNS1_23onesweep_lookback_stateEbbT6_jjT7_P12ihipStream_tbENKUlT_T0_SK_SP_E_clISE_SE_SF_SF_EEDaS13_S14_SK_SP_EUlS13_E_NS1_11comp_targetILNS1_3genE5ELNS1_11target_archE942ELNS1_3gpuE9ELNS1_3repE0EEENS1_47radix_sort_onesweep_sort_config_static_selectorELNS0_4arch9wavefront6targetE1EEEvSK_.kd
    .uniform_work_group_size: 1
    .uses_dynamic_stack: false
    .vgpr_count:     0
    .vgpr_spill_count: 0
    .wavefront_size: 64
  - .agpr_count:     0
    .args:
      - .offset:         0
        .size:           88
        .value_kind:     by_value
    .group_segment_fixed_size: 0
    .kernarg_segment_align: 8
    .kernarg_segment_size: 88
    .language:       OpenCL C
    .language_version:
      - 2
      - 0
    .max_flat_workgroup_size: 512
    .name:           _ZN7rocprim17ROCPRIM_400000_NS6detail17trampoline_kernelINS0_14default_configENS1_35radix_sort_onesweep_config_selectorIfNS0_10empty_typeEEEZZNS1_29radix_sort_onesweep_iterationIS3_Lb0EN6thrust23THRUST_200600_302600_NS6detail15normal_iteratorINS9_10device_ptrIfEEEESE_PS5_SF_jNS0_19identity_decomposerENS1_16block_id_wrapperIjLb1EEEEE10hipError_tT1_PNSt15iterator_traitsISK_E10value_typeET2_T3_PNSL_ISQ_E10value_typeET4_T5_PSV_SW_PNS1_23onesweep_lookback_stateEbbT6_jjT7_P12ihipStream_tbENKUlT_T0_SK_SP_E_clISE_SE_SF_SF_EEDaS13_S14_SK_SP_EUlS13_E_NS1_11comp_targetILNS1_3genE2ELNS1_11target_archE906ELNS1_3gpuE6ELNS1_3repE0EEENS1_47radix_sort_onesweep_sort_config_static_selectorELNS0_4arch9wavefront6targetE1EEEvSK_
    .private_segment_fixed_size: 0
    .sgpr_count:     6
    .sgpr_spill_count: 0
    .symbol:         _ZN7rocprim17ROCPRIM_400000_NS6detail17trampoline_kernelINS0_14default_configENS1_35radix_sort_onesweep_config_selectorIfNS0_10empty_typeEEEZZNS1_29radix_sort_onesweep_iterationIS3_Lb0EN6thrust23THRUST_200600_302600_NS6detail15normal_iteratorINS9_10device_ptrIfEEEESE_PS5_SF_jNS0_19identity_decomposerENS1_16block_id_wrapperIjLb1EEEEE10hipError_tT1_PNSt15iterator_traitsISK_E10value_typeET2_T3_PNSL_ISQ_E10value_typeET4_T5_PSV_SW_PNS1_23onesweep_lookback_stateEbbT6_jjT7_P12ihipStream_tbENKUlT_T0_SK_SP_E_clISE_SE_SF_SF_EEDaS13_S14_SK_SP_EUlS13_E_NS1_11comp_targetILNS1_3genE2ELNS1_11target_archE906ELNS1_3gpuE6ELNS1_3repE0EEENS1_47radix_sort_onesweep_sort_config_static_selectorELNS0_4arch9wavefront6targetE1EEEvSK_.kd
    .uniform_work_group_size: 1
    .uses_dynamic_stack: false
    .vgpr_count:     0
    .vgpr_spill_count: 0
    .wavefront_size: 64
  - .agpr_count:     0
    .args:
      - .offset:         0
        .size:           88
        .value_kind:     by_value
    .group_segment_fixed_size: 0
    .kernarg_segment_align: 8
    .kernarg_segment_size: 88
    .language:       OpenCL C
    .language_version:
      - 2
      - 0
    .max_flat_workgroup_size: 1024
    .name:           _ZN7rocprim17ROCPRIM_400000_NS6detail17trampoline_kernelINS0_14default_configENS1_35radix_sort_onesweep_config_selectorIfNS0_10empty_typeEEEZZNS1_29radix_sort_onesweep_iterationIS3_Lb0EN6thrust23THRUST_200600_302600_NS6detail15normal_iteratorINS9_10device_ptrIfEEEESE_PS5_SF_jNS0_19identity_decomposerENS1_16block_id_wrapperIjLb1EEEEE10hipError_tT1_PNSt15iterator_traitsISK_E10value_typeET2_T3_PNSL_ISQ_E10value_typeET4_T5_PSV_SW_PNS1_23onesweep_lookback_stateEbbT6_jjT7_P12ihipStream_tbENKUlT_T0_SK_SP_E_clISE_SE_SF_SF_EEDaS13_S14_SK_SP_EUlS13_E_NS1_11comp_targetILNS1_3genE4ELNS1_11target_archE910ELNS1_3gpuE8ELNS1_3repE0EEENS1_47radix_sort_onesweep_sort_config_static_selectorELNS0_4arch9wavefront6targetE1EEEvSK_
    .private_segment_fixed_size: 0
    .sgpr_count:     6
    .sgpr_spill_count: 0
    .symbol:         _ZN7rocprim17ROCPRIM_400000_NS6detail17trampoline_kernelINS0_14default_configENS1_35radix_sort_onesweep_config_selectorIfNS0_10empty_typeEEEZZNS1_29radix_sort_onesweep_iterationIS3_Lb0EN6thrust23THRUST_200600_302600_NS6detail15normal_iteratorINS9_10device_ptrIfEEEESE_PS5_SF_jNS0_19identity_decomposerENS1_16block_id_wrapperIjLb1EEEEE10hipError_tT1_PNSt15iterator_traitsISK_E10value_typeET2_T3_PNSL_ISQ_E10value_typeET4_T5_PSV_SW_PNS1_23onesweep_lookback_stateEbbT6_jjT7_P12ihipStream_tbENKUlT_T0_SK_SP_E_clISE_SE_SF_SF_EEDaS13_S14_SK_SP_EUlS13_E_NS1_11comp_targetILNS1_3genE4ELNS1_11target_archE910ELNS1_3gpuE8ELNS1_3repE0EEENS1_47radix_sort_onesweep_sort_config_static_selectorELNS0_4arch9wavefront6targetE1EEEvSK_.kd
    .uniform_work_group_size: 1
    .uses_dynamic_stack: false
    .vgpr_count:     0
    .vgpr_spill_count: 0
    .wavefront_size: 64
  - .agpr_count:     0
    .args:
      - .offset:         0
        .size:           88
        .value_kind:     by_value
    .group_segment_fixed_size: 0
    .kernarg_segment_align: 8
    .kernarg_segment_size: 88
    .language:       OpenCL C
    .language_version:
      - 2
      - 0
    .max_flat_workgroup_size: 512
    .name:           _ZN7rocprim17ROCPRIM_400000_NS6detail17trampoline_kernelINS0_14default_configENS1_35radix_sort_onesweep_config_selectorIfNS0_10empty_typeEEEZZNS1_29radix_sort_onesweep_iterationIS3_Lb0EN6thrust23THRUST_200600_302600_NS6detail15normal_iteratorINS9_10device_ptrIfEEEESE_PS5_SF_jNS0_19identity_decomposerENS1_16block_id_wrapperIjLb1EEEEE10hipError_tT1_PNSt15iterator_traitsISK_E10value_typeET2_T3_PNSL_ISQ_E10value_typeET4_T5_PSV_SW_PNS1_23onesweep_lookback_stateEbbT6_jjT7_P12ihipStream_tbENKUlT_T0_SK_SP_E_clISE_SE_SF_SF_EEDaS13_S14_SK_SP_EUlS13_E_NS1_11comp_targetILNS1_3genE3ELNS1_11target_archE908ELNS1_3gpuE7ELNS1_3repE0EEENS1_47radix_sort_onesweep_sort_config_static_selectorELNS0_4arch9wavefront6targetE1EEEvSK_
    .private_segment_fixed_size: 0
    .sgpr_count:     6
    .sgpr_spill_count: 0
    .symbol:         _ZN7rocprim17ROCPRIM_400000_NS6detail17trampoline_kernelINS0_14default_configENS1_35radix_sort_onesweep_config_selectorIfNS0_10empty_typeEEEZZNS1_29radix_sort_onesweep_iterationIS3_Lb0EN6thrust23THRUST_200600_302600_NS6detail15normal_iteratorINS9_10device_ptrIfEEEESE_PS5_SF_jNS0_19identity_decomposerENS1_16block_id_wrapperIjLb1EEEEE10hipError_tT1_PNSt15iterator_traitsISK_E10value_typeET2_T3_PNSL_ISQ_E10value_typeET4_T5_PSV_SW_PNS1_23onesweep_lookback_stateEbbT6_jjT7_P12ihipStream_tbENKUlT_T0_SK_SP_E_clISE_SE_SF_SF_EEDaS13_S14_SK_SP_EUlS13_E_NS1_11comp_targetILNS1_3genE3ELNS1_11target_archE908ELNS1_3gpuE7ELNS1_3repE0EEENS1_47radix_sort_onesweep_sort_config_static_selectorELNS0_4arch9wavefront6targetE1EEEvSK_.kd
    .uniform_work_group_size: 1
    .uses_dynamic_stack: false
    .vgpr_count:     0
    .vgpr_spill_count: 0
    .wavefront_size: 64
  - .agpr_count:     0
    .args:
      - .offset:         0
        .size:           88
        .value_kind:     by_value
    .group_segment_fixed_size: 0
    .kernarg_segment_align: 8
    .kernarg_segment_size: 88
    .language:       OpenCL C
    .language_version:
      - 2
      - 0
    .max_flat_workgroup_size: 512
    .name:           _ZN7rocprim17ROCPRIM_400000_NS6detail17trampoline_kernelINS0_14default_configENS1_35radix_sort_onesweep_config_selectorIfNS0_10empty_typeEEEZZNS1_29radix_sort_onesweep_iterationIS3_Lb0EN6thrust23THRUST_200600_302600_NS6detail15normal_iteratorINS9_10device_ptrIfEEEESE_PS5_SF_jNS0_19identity_decomposerENS1_16block_id_wrapperIjLb1EEEEE10hipError_tT1_PNSt15iterator_traitsISK_E10value_typeET2_T3_PNSL_ISQ_E10value_typeET4_T5_PSV_SW_PNS1_23onesweep_lookback_stateEbbT6_jjT7_P12ihipStream_tbENKUlT_T0_SK_SP_E_clISE_SE_SF_SF_EEDaS13_S14_SK_SP_EUlS13_E_NS1_11comp_targetILNS1_3genE10ELNS1_11target_archE1201ELNS1_3gpuE5ELNS1_3repE0EEENS1_47radix_sort_onesweep_sort_config_static_selectorELNS0_4arch9wavefront6targetE1EEEvSK_
    .private_segment_fixed_size: 0
    .sgpr_count:     6
    .sgpr_spill_count: 0
    .symbol:         _ZN7rocprim17ROCPRIM_400000_NS6detail17trampoline_kernelINS0_14default_configENS1_35radix_sort_onesweep_config_selectorIfNS0_10empty_typeEEEZZNS1_29radix_sort_onesweep_iterationIS3_Lb0EN6thrust23THRUST_200600_302600_NS6detail15normal_iteratorINS9_10device_ptrIfEEEESE_PS5_SF_jNS0_19identity_decomposerENS1_16block_id_wrapperIjLb1EEEEE10hipError_tT1_PNSt15iterator_traitsISK_E10value_typeET2_T3_PNSL_ISQ_E10value_typeET4_T5_PSV_SW_PNS1_23onesweep_lookback_stateEbbT6_jjT7_P12ihipStream_tbENKUlT_T0_SK_SP_E_clISE_SE_SF_SF_EEDaS13_S14_SK_SP_EUlS13_E_NS1_11comp_targetILNS1_3genE10ELNS1_11target_archE1201ELNS1_3gpuE5ELNS1_3repE0EEENS1_47radix_sort_onesweep_sort_config_static_selectorELNS0_4arch9wavefront6targetE1EEEvSK_.kd
    .uniform_work_group_size: 1
    .uses_dynamic_stack: false
    .vgpr_count:     0
    .vgpr_spill_count: 0
    .wavefront_size: 64
  - .agpr_count:     0
    .args:
      - .offset:         0
        .size:           88
        .value_kind:     by_value
    .group_segment_fixed_size: 0
    .kernarg_segment_align: 8
    .kernarg_segment_size: 88
    .language:       OpenCL C
    .language_version:
      - 2
      - 0
    .max_flat_workgroup_size: 1024
    .name:           _ZN7rocprim17ROCPRIM_400000_NS6detail17trampoline_kernelINS0_14default_configENS1_35radix_sort_onesweep_config_selectorIfNS0_10empty_typeEEEZZNS1_29radix_sort_onesweep_iterationIS3_Lb0EN6thrust23THRUST_200600_302600_NS6detail15normal_iteratorINS9_10device_ptrIfEEEESE_PS5_SF_jNS0_19identity_decomposerENS1_16block_id_wrapperIjLb1EEEEE10hipError_tT1_PNSt15iterator_traitsISK_E10value_typeET2_T3_PNSL_ISQ_E10value_typeET4_T5_PSV_SW_PNS1_23onesweep_lookback_stateEbbT6_jjT7_P12ihipStream_tbENKUlT_T0_SK_SP_E_clISE_SE_SF_SF_EEDaS13_S14_SK_SP_EUlS13_E_NS1_11comp_targetILNS1_3genE9ELNS1_11target_archE1100ELNS1_3gpuE3ELNS1_3repE0EEENS1_47radix_sort_onesweep_sort_config_static_selectorELNS0_4arch9wavefront6targetE1EEEvSK_
    .private_segment_fixed_size: 0
    .sgpr_count:     6
    .sgpr_spill_count: 0
    .symbol:         _ZN7rocprim17ROCPRIM_400000_NS6detail17trampoline_kernelINS0_14default_configENS1_35radix_sort_onesweep_config_selectorIfNS0_10empty_typeEEEZZNS1_29radix_sort_onesweep_iterationIS3_Lb0EN6thrust23THRUST_200600_302600_NS6detail15normal_iteratorINS9_10device_ptrIfEEEESE_PS5_SF_jNS0_19identity_decomposerENS1_16block_id_wrapperIjLb1EEEEE10hipError_tT1_PNSt15iterator_traitsISK_E10value_typeET2_T3_PNSL_ISQ_E10value_typeET4_T5_PSV_SW_PNS1_23onesweep_lookback_stateEbbT6_jjT7_P12ihipStream_tbENKUlT_T0_SK_SP_E_clISE_SE_SF_SF_EEDaS13_S14_SK_SP_EUlS13_E_NS1_11comp_targetILNS1_3genE9ELNS1_11target_archE1100ELNS1_3gpuE3ELNS1_3repE0EEENS1_47radix_sort_onesweep_sort_config_static_selectorELNS0_4arch9wavefront6targetE1EEEvSK_.kd
    .uniform_work_group_size: 1
    .uses_dynamic_stack: false
    .vgpr_count:     0
    .vgpr_spill_count: 0
    .wavefront_size: 64
  - .agpr_count:     0
    .args:
      - .offset:         0
        .size:           88
        .value_kind:     by_value
    .group_segment_fixed_size: 0
    .kernarg_segment_align: 8
    .kernarg_segment_size: 88
    .language:       OpenCL C
    .language_version:
      - 2
      - 0
    .max_flat_workgroup_size: 1024
    .name:           _ZN7rocprim17ROCPRIM_400000_NS6detail17trampoline_kernelINS0_14default_configENS1_35radix_sort_onesweep_config_selectorIfNS0_10empty_typeEEEZZNS1_29radix_sort_onesweep_iterationIS3_Lb0EN6thrust23THRUST_200600_302600_NS6detail15normal_iteratorINS9_10device_ptrIfEEEESE_PS5_SF_jNS0_19identity_decomposerENS1_16block_id_wrapperIjLb1EEEEE10hipError_tT1_PNSt15iterator_traitsISK_E10value_typeET2_T3_PNSL_ISQ_E10value_typeET4_T5_PSV_SW_PNS1_23onesweep_lookback_stateEbbT6_jjT7_P12ihipStream_tbENKUlT_T0_SK_SP_E_clISE_SE_SF_SF_EEDaS13_S14_SK_SP_EUlS13_E_NS1_11comp_targetILNS1_3genE8ELNS1_11target_archE1030ELNS1_3gpuE2ELNS1_3repE0EEENS1_47radix_sort_onesweep_sort_config_static_selectorELNS0_4arch9wavefront6targetE1EEEvSK_
    .private_segment_fixed_size: 0
    .sgpr_count:     6
    .sgpr_spill_count: 0
    .symbol:         _ZN7rocprim17ROCPRIM_400000_NS6detail17trampoline_kernelINS0_14default_configENS1_35radix_sort_onesweep_config_selectorIfNS0_10empty_typeEEEZZNS1_29radix_sort_onesweep_iterationIS3_Lb0EN6thrust23THRUST_200600_302600_NS6detail15normal_iteratorINS9_10device_ptrIfEEEESE_PS5_SF_jNS0_19identity_decomposerENS1_16block_id_wrapperIjLb1EEEEE10hipError_tT1_PNSt15iterator_traitsISK_E10value_typeET2_T3_PNSL_ISQ_E10value_typeET4_T5_PSV_SW_PNS1_23onesweep_lookback_stateEbbT6_jjT7_P12ihipStream_tbENKUlT_T0_SK_SP_E_clISE_SE_SF_SF_EEDaS13_S14_SK_SP_EUlS13_E_NS1_11comp_targetILNS1_3genE8ELNS1_11target_archE1030ELNS1_3gpuE2ELNS1_3repE0EEENS1_47radix_sort_onesweep_sort_config_static_selectorELNS0_4arch9wavefront6targetE1EEEvSK_.kd
    .uniform_work_group_size: 1
    .uses_dynamic_stack: false
    .vgpr_count:     0
    .vgpr_spill_count: 0
    .wavefront_size: 64
  - .agpr_count:     0
    .args:
      - .offset:         0
        .size:           88
        .value_kind:     by_value
    .group_segment_fixed_size: 0
    .kernarg_segment_align: 8
    .kernarg_segment_size: 88
    .language:       OpenCL C
    .language_version:
      - 2
      - 0
    .max_flat_workgroup_size: 512
    .name:           _ZN7rocprim17ROCPRIM_400000_NS6detail17trampoline_kernelINS0_14default_configENS1_35radix_sort_onesweep_config_selectorIfNS0_10empty_typeEEEZZNS1_29radix_sort_onesweep_iterationIS3_Lb0EN6thrust23THRUST_200600_302600_NS6detail15normal_iteratorINS9_10device_ptrIfEEEESE_PS5_SF_jNS0_19identity_decomposerENS1_16block_id_wrapperIjLb1EEEEE10hipError_tT1_PNSt15iterator_traitsISK_E10value_typeET2_T3_PNSL_ISQ_E10value_typeET4_T5_PSV_SW_PNS1_23onesweep_lookback_stateEbbT6_jjT7_P12ihipStream_tbENKUlT_T0_SK_SP_E_clISE_PfSF_SF_EEDaS13_S14_SK_SP_EUlS13_E_NS1_11comp_targetILNS1_3genE0ELNS1_11target_archE4294967295ELNS1_3gpuE0ELNS1_3repE0EEENS1_47radix_sort_onesweep_sort_config_static_selectorELNS0_4arch9wavefront6targetE1EEEvSK_
    .private_segment_fixed_size: 0
    .sgpr_count:     6
    .sgpr_spill_count: 0
    .symbol:         _ZN7rocprim17ROCPRIM_400000_NS6detail17trampoline_kernelINS0_14default_configENS1_35radix_sort_onesweep_config_selectorIfNS0_10empty_typeEEEZZNS1_29radix_sort_onesweep_iterationIS3_Lb0EN6thrust23THRUST_200600_302600_NS6detail15normal_iteratorINS9_10device_ptrIfEEEESE_PS5_SF_jNS0_19identity_decomposerENS1_16block_id_wrapperIjLb1EEEEE10hipError_tT1_PNSt15iterator_traitsISK_E10value_typeET2_T3_PNSL_ISQ_E10value_typeET4_T5_PSV_SW_PNS1_23onesweep_lookback_stateEbbT6_jjT7_P12ihipStream_tbENKUlT_T0_SK_SP_E_clISE_PfSF_SF_EEDaS13_S14_SK_SP_EUlS13_E_NS1_11comp_targetILNS1_3genE0ELNS1_11target_archE4294967295ELNS1_3gpuE0ELNS1_3repE0EEENS1_47radix_sort_onesweep_sort_config_static_selectorELNS0_4arch9wavefront6targetE1EEEvSK_.kd
    .uniform_work_group_size: 1
    .uses_dynamic_stack: false
    .vgpr_count:     0
    .vgpr_spill_count: 0
    .wavefront_size: 64
  - .agpr_count:     0
    .args:
      - .offset:         0
        .size:           88
        .value_kind:     by_value
      - .offset:         88
        .size:           4
        .value_kind:     hidden_block_count_x
      - .offset:         92
        .size:           4
        .value_kind:     hidden_block_count_y
      - .offset:         96
        .size:           4
        .value_kind:     hidden_block_count_z
      - .offset:         100
        .size:           2
        .value_kind:     hidden_group_size_x
      - .offset:         102
        .size:           2
        .value_kind:     hidden_group_size_y
      - .offset:         104
        .size:           2
        .value_kind:     hidden_group_size_z
      - .offset:         106
        .size:           2
        .value_kind:     hidden_remainder_x
      - .offset:         108
        .size:           2
        .value_kind:     hidden_remainder_y
      - .offset:         110
        .size:           2
        .value_kind:     hidden_remainder_z
      - .offset:         128
        .size:           8
        .value_kind:     hidden_global_offset_x
      - .offset:         136
        .size:           8
        .value_kind:     hidden_global_offset_y
      - .offset:         144
        .size:           8
        .value_kind:     hidden_global_offset_z
      - .offset:         152
        .size:           2
        .value_kind:     hidden_grid_dims
    .group_segment_fixed_size: 20552
    .kernarg_segment_align: 8
    .kernarg_segment_size: 344
    .language:       OpenCL C
    .language_version:
      - 2
      - 0
    .max_flat_workgroup_size: 1024
    .name:           _ZN7rocprim17ROCPRIM_400000_NS6detail17trampoline_kernelINS0_14default_configENS1_35radix_sort_onesweep_config_selectorIfNS0_10empty_typeEEEZZNS1_29radix_sort_onesweep_iterationIS3_Lb0EN6thrust23THRUST_200600_302600_NS6detail15normal_iteratorINS9_10device_ptrIfEEEESE_PS5_SF_jNS0_19identity_decomposerENS1_16block_id_wrapperIjLb1EEEEE10hipError_tT1_PNSt15iterator_traitsISK_E10value_typeET2_T3_PNSL_ISQ_E10value_typeET4_T5_PSV_SW_PNS1_23onesweep_lookback_stateEbbT6_jjT7_P12ihipStream_tbENKUlT_T0_SK_SP_E_clISE_PfSF_SF_EEDaS13_S14_SK_SP_EUlS13_E_NS1_11comp_targetILNS1_3genE6ELNS1_11target_archE950ELNS1_3gpuE13ELNS1_3repE0EEENS1_47radix_sort_onesweep_sort_config_static_selectorELNS0_4arch9wavefront6targetE1EEEvSK_
    .private_segment_fixed_size: 0
    .sgpr_count:     42
    .sgpr_spill_count: 0
    .symbol:         _ZN7rocprim17ROCPRIM_400000_NS6detail17trampoline_kernelINS0_14default_configENS1_35radix_sort_onesweep_config_selectorIfNS0_10empty_typeEEEZZNS1_29radix_sort_onesweep_iterationIS3_Lb0EN6thrust23THRUST_200600_302600_NS6detail15normal_iteratorINS9_10device_ptrIfEEEESE_PS5_SF_jNS0_19identity_decomposerENS1_16block_id_wrapperIjLb1EEEEE10hipError_tT1_PNSt15iterator_traitsISK_E10value_typeET2_T3_PNSL_ISQ_E10value_typeET4_T5_PSV_SW_PNS1_23onesweep_lookback_stateEbbT6_jjT7_P12ihipStream_tbENKUlT_T0_SK_SP_E_clISE_PfSF_SF_EEDaS13_S14_SK_SP_EUlS13_E_NS1_11comp_targetILNS1_3genE6ELNS1_11target_archE950ELNS1_3gpuE13ELNS1_3repE0EEENS1_47radix_sort_onesweep_sort_config_static_selectorELNS0_4arch9wavefront6targetE1EEEvSK_.kd
    .uniform_work_group_size: 1
    .uses_dynamic_stack: false
    .vgpr_count:     46
    .vgpr_spill_count: 0
    .wavefront_size: 64
  - .agpr_count:     0
    .args:
      - .offset:         0
        .size:           88
        .value_kind:     by_value
    .group_segment_fixed_size: 0
    .kernarg_segment_align: 8
    .kernarg_segment_size: 88
    .language:       OpenCL C
    .language_version:
      - 2
      - 0
    .max_flat_workgroup_size: 1024
    .name:           _ZN7rocprim17ROCPRIM_400000_NS6detail17trampoline_kernelINS0_14default_configENS1_35radix_sort_onesweep_config_selectorIfNS0_10empty_typeEEEZZNS1_29radix_sort_onesweep_iterationIS3_Lb0EN6thrust23THRUST_200600_302600_NS6detail15normal_iteratorINS9_10device_ptrIfEEEESE_PS5_SF_jNS0_19identity_decomposerENS1_16block_id_wrapperIjLb1EEEEE10hipError_tT1_PNSt15iterator_traitsISK_E10value_typeET2_T3_PNSL_ISQ_E10value_typeET4_T5_PSV_SW_PNS1_23onesweep_lookback_stateEbbT6_jjT7_P12ihipStream_tbENKUlT_T0_SK_SP_E_clISE_PfSF_SF_EEDaS13_S14_SK_SP_EUlS13_E_NS1_11comp_targetILNS1_3genE5ELNS1_11target_archE942ELNS1_3gpuE9ELNS1_3repE0EEENS1_47radix_sort_onesweep_sort_config_static_selectorELNS0_4arch9wavefront6targetE1EEEvSK_
    .private_segment_fixed_size: 0
    .sgpr_count:     6
    .sgpr_spill_count: 0
    .symbol:         _ZN7rocprim17ROCPRIM_400000_NS6detail17trampoline_kernelINS0_14default_configENS1_35radix_sort_onesweep_config_selectorIfNS0_10empty_typeEEEZZNS1_29radix_sort_onesweep_iterationIS3_Lb0EN6thrust23THRUST_200600_302600_NS6detail15normal_iteratorINS9_10device_ptrIfEEEESE_PS5_SF_jNS0_19identity_decomposerENS1_16block_id_wrapperIjLb1EEEEE10hipError_tT1_PNSt15iterator_traitsISK_E10value_typeET2_T3_PNSL_ISQ_E10value_typeET4_T5_PSV_SW_PNS1_23onesweep_lookback_stateEbbT6_jjT7_P12ihipStream_tbENKUlT_T0_SK_SP_E_clISE_PfSF_SF_EEDaS13_S14_SK_SP_EUlS13_E_NS1_11comp_targetILNS1_3genE5ELNS1_11target_archE942ELNS1_3gpuE9ELNS1_3repE0EEENS1_47radix_sort_onesweep_sort_config_static_selectorELNS0_4arch9wavefront6targetE1EEEvSK_.kd
    .uniform_work_group_size: 1
    .uses_dynamic_stack: false
    .vgpr_count:     0
    .vgpr_spill_count: 0
    .wavefront_size: 64
  - .agpr_count:     0
    .args:
      - .offset:         0
        .size:           88
        .value_kind:     by_value
    .group_segment_fixed_size: 0
    .kernarg_segment_align: 8
    .kernarg_segment_size: 88
    .language:       OpenCL C
    .language_version:
      - 2
      - 0
    .max_flat_workgroup_size: 512
    .name:           _ZN7rocprim17ROCPRIM_400000_NS6detail17trampoline_kernelINS0_14default_configENS1_35radix_sort_onesweep_config_selectorIfNS0_10empty_typeEEEZZNS1_29radix_sort_onesweep_iterationIS3_Lb0EN6thrust23THRUST_200600_302600_NS6detail15normal_iteratorINS9_10device_ptrIfEEEESE_PS5_SF_jNS0_19identity_decomposerENS1_16block_id_wrapperIjLb1EEEEE10hipError_tT1_PNSt15iterator_traitsISK_E10value_typeET2_T3_PNSL_ISQ_E10value_typeET4_T5_PSV_SW_PNS1_23onesweep_lookback_stateEbbT6_jjT7_P12ihipStream_tbENKUlT_T0_SK_SP_E_clISE_PfSF_SF_EEDaS13_S14_SK_SP_EUlS13_E_NS1_11comp_targetILNS1_3genE2ELNS1_11target_archE906ELNS1_3gpuE6ELNS1_3repE0EEENS1_47radix_sort_onesweep_sort_config_static_selectorELNS0_4arch9wavefront6targetE1EEEvSK_
    .private_segment_fixed_size: 0
    .sgpr_count:     6
    .sgpr_spill_count: 0
    .symbol:         _ZN7rocprim17ROCPRIM_400000_NS6detail17trampoline_kernelINS0_14default_configENS1_35radix_sort_onesweep_config_selectorIfNS0_10empty_typeEEEZZNS1_29radix_sort_onesweep_iterationIS3_Lb0EN6thrust23THRUST_200600_302600_NS6detail15normal_iteratorINS9_10device_ptrIfEEEESE_PS5_SF_jNS0_19identity_decomposerENS1_16block_id_wrapperIjLb1EEEEE10hipError_tT1_PNSt15iterator_traitsISK_E10value_typeET2_T3_PNSL_ISQ_E10value_typeET4_T5_PSV_SW_PNS1_23onesweep_lookback_stateEbbT6_jjT7_P12ihipStream_tbENKUlT_T0_SK_SP_E_clISE_PfSF_SF_EEDaS13_S14_SK_SP_EUlS13_E_NS1_11comp_targetILNS1_3genE2ELNS1_11target_archE906ELNS1_3gpuE6ELNS1_3repE0EEENS1_47radix_sort_onesweep_sort_config_static_selectorELNS0_4arch9wavefront6targetE1EEEvSK_.kd
    .uniform_work_group_size: 1
    .uses_dynamic_stack: false
    .vgpr_count:     0
    .vgpr_spill_count: 0
    .wavefront_size: 64
  - .agpr_count:     0
    .args:
      - .offset:         0
        .size:           88
        .value_kind:     by_value
    .group_segment_fixed_size: 0
    .kernarg_segment_align: 8
    .kernarg_segment_size: 88
    .language:       OpenCL C
    .language_version:
      - 2
      - 0
    .max_flat_workgroup_size: 1024
    .name:           _ZN7rocprim17ROCPRIM_400000_NS6detail17trampoline_kernelINS0_14default_configENS1_35radix_sort_onesweep_config_selectorIfNS0_10empty_typeEEEZZNS1_29radix_sort_onesweep_iterationIS3_Lb0EN6thrust23THRUST_200600_302600_NS6detail15normal_iteratorINS9_10device_ptrIfEEEESE_PS5_SF_jNS0_19identity_decomposerENS1_16block_id_wrapperIjLb1EEEEE10hipError_tT1_PNSt15iterator_traitsISK_E10value_typeET2_T3_PNSL_ISQ_E10value_typeET4_T5_PSV_SW_PNS1_23onesweep_lookback_stateEbbT6_jjT7_P12ihipStream_tbENKUlT_T0_SK_SP_E_clISE_PfSF_SF_EEDaS13_S14_SK_SP_EUlS13_E_NS1_11comp_targetILNS1_3genE4ELNS1_11target_archE910ELNS1_3gpuE8ELNS1_3repE0EEENS1_47radix_sort_onesweep_sort_config_static_selectorELNS0_4arch9wavefront6targetE1EEEvSK_
    .private_segment_fixed_size: 0
    .sgpr_count:     6
    .sgpr_spill_count: 0
    .symbol:         _ZN7rocprim17ROCPRIM_400000_NS6detail17trampoline_kernelINS0_14default_configENS1_35radix_sort_onesweep_config_selectorIfNS0_10empty_typeEEEZZNS1_29radix_sort_onesweep_iterationIS3_Lb0EN6thrust23THRUST_200600_302600_NS6detail15normal_iteratorINS9_10device_ptrIfEEEESE_PS5_SF_jNS0_19identity_decomposerENS1_16block_id_wrapperIjLb1EEEEE10hipError_tT1_PNSt15iterator_traitsISK_E10value_typeET2_T3_PNSL_ISQ_E10value_typeET4_T5_PSV_SW_PNS1_23onesweep_lookback_stateEbbT6_jjT7_P12ihipStream_tbENKUlT_T0_SK_SP_E_clISE_PfSF_SF_EEDaS13_S14_SK_SP_EUlS13_E_NS1_11comp_targetILNS1_3genE4ELNS1_11target_archE910ELNS1_3gpuE8ELNS1_3repE0EEENS1_47radix_sort_onesweep_sort_config_static_selectorELNS0_4arch9wavefront6targetE1EEEvSK_.kd
    .uniform_work_group_size: 1
    .uses_dynamic_stack: false
    .vgpr_count:     0
    .vgpr_spill_count: 0
    .wavefront_size: 64
  - .agpr_count:     0
    .args:
      - .offset:         0
        .size:           88
        .value_kind:     by_value
    .group_segment_fixed_size: 0
    .kernarg_segment_align: 8
    .kernarg_segment_size: 88
    .language:       OpenCL C
    .language_version:
      - 2
      - 0
    .max_flat_workgroup_size: 512
    .name:           _ZN7rocprim17ROCPRIM_400000_NS6detail17trampoline_kernelINS0_14default_configENS1_35radix_sort_onesweep_config_selectorIfNS0_10empty_typeEEEZZNS1_29radix_sort_onesweep_iterationIS3_Lb0EN6thrust23THRUST_200600_302600_NS6detail15normal_iteratorINS9_10device_ptrIfEEEESE_PS5_SF_jNS0_19identity_decomposerENS1_16block_id_wrapperIjLb1EEEEE10hipError_tT1_PNSt15iterator_traitsISK_E10value_typeET2_T3_PNSL_ISQ_E10value_typeET4_T5_PSV_SW_PNS1_23onesweep_lookback_stateEbbT6_jjT7_P12ihipStream_tbENKUlT_T0_SK_SP_E_clISE_PfSF_SF_EEDaS13_S14_SK_SP_EUlS13_E_NS1_11comp_targetILNS1_3genE3ELNS1_11target_archE908ELNS1_3gpuE7ELNS1_3repE0EEENS1_47radix_sort_onesweep_sort_config_static_selectorELNS0_4arch9wavefront6targetE1EEEvSK_
    .private_segment_fixed_size: 0
    .sgpr_count:     6
    .sgpr_spill_count: 0
    .symbol:         _ZN7rocprim17ROCPRIM_400000_NS6detail17trampoline_kernelINS0_14default_configENS1_35radix_sort_onesweep_config_selectorIfNS0_10empty_typeEEEZZNS1_29radix_sort_onesweep_iterationIS3_Lb0EN6thrust23THRUST_200600_302600_NS6detail15normal_iteratorINS9_10device_ptrIfEEEESE_PS5_SF_jNS0_19identity_decomposerENS1_16block_id_wrapperIjLb1EEEEE10hipError_tT1_PNSt15iterator_traitsISK_E10value_typeET2_T3_PNSL_ISQ_E10value_typeET4_T5_PSV_SW_PNS1_23onesweep_lookback_stateEbbT6_jjT7_P12ihipStream_tbENKUlT_T0_SK_SP_E_clISE_PfSF_SF_EEDaS13_S14_SK_SP_EUlS13_E_NS1_11comp_targetILNS1_3genE3ELNS1_11target_archE908ELNS1_3gpuE7ELNS1_3repE0EEENS1_47radix_sort_onesweep_sort_config_static_selectorELNS0_4arch9wavefront6targetE1EEEvSK_.kd
    .uniform_work_group_size: 1
    .uses_dynamic_stack: false
    .vgpr_count:     0
    .vgpr_spill_count: 0
    .wavefront_size: 64
  - .agpr_count:     0
    .args:
      - .offset:         0
        .size:           88
        .value_kind:     by_value
    .group_segment_fixed_size: 0
    .kernarg_segment_align: 8
    .kernarg_segment_size: 88
    .language:       OpenCL C
    .language_version:
      - 2
      - 0
    .max_flat_workgroup_size: 512
    .name:           _ZN7rocprim17ROCPRIM_400000_NS6detail17trampoline_kernelINS0_14default_configENS1_35radix_sort_onesweep_config_selectorIfNS0_10empty_typeEEEZZNS1_29radix_sort_onesweep_iterationIS3_Lb0EN6thrust23THRUST_200600_302600_NS6detail15normal_iteratorINS9_10device_ptrIfEEEESE_PS5_SF_jNS0_19identity_decomposerENS1_16block_id_wrapperIjLb1EEEEE10hipError_tT1_PNSt15iterator_traitsISK_E10value_typeET2_T3_PNSL_ISQ_E10value_typeET4_T5_PSV_SW_PNS1_23onesweep_lookback_stateEbbT6_jjT7_P12ihipStream_tbENKUlT_T0_SK_SP_E_clISE_PfSF_SF_EEDaS13_S14_SK_SP_EUlS13_E_NS1_11comp_targetILNS1_3genE10ELNS1_11target_archE1201ELNS1_3gpuE5ELNS1_3repE0EEENS1_47radix_sort_onesweep_sort_config_static_selectorELNS0_4arch9wavefront6targetE1EEEvSK_
    .private_segment_fixed_size: 0
    .sgpr_count:     6
    .sgpr_spill_count: 0
    .symbol:         _ZN7rocprim17ROCPRIM_400000_NS6detail17trampoline_kernelINS0_14default_configENS1_35radix_sort_onesweep_config_selectorIfNS0_10empty_typeEEEZZNS1_29radix_sort_onesweep_iterationIS3_Lb0EN6thrust23THRUST_200600_302600_NS6detail15normal_iteratorINS9_10device_ptrIfEEEESE_PS5_SF_jNS0_19identity_decomposerENS1_16block_id_wrapperIjLb1EEEEE10hipError_tT1_PNSt15iterator_traitsISK_E10value_typeET2_T3_PNSL_ISQ_E10value_typeET4_T5_PSV_SW_PNS1_23onesweep_lookback_stateEbbT6_jjT7_P12ihipStream_tbENKUlT_T0_SK_SP_E_clISE_PfSF_SF_EEDaS13_S14_SK_SP_EUlS13_E_NS1_11comp_targetILNS1_3genE10ELNS1_11target_archE1201ELNS1_3gpuE5ELNS1_3repE0EEENS1_47radix_sort_onesweep_sort_config_static_selectorELNS0_4arch9wavefront6targetE1EEEvSK_.kd
    .uniform_work_group_size: 1
    .uses_dynamic_stack: false
    .vgpr_count:     0
    .vgpr_spill_count: 0
    .wavefront_size: 64
  - .agpr_count:     0
    .args:
      - .offset:         0
        .size:           88
        .value_kind:     by_value
    .group_segment_fixed_size: 0
    .kernarg_segment_align: 8
    .kernarg_segment_size: 88
    .language:       OpenCL C
    .language_version:
      - 2
      - 0
    .max_flat_workgroup_size: 1024
    .name:           _ZN7rocprim17ROCPRIM_400000_NS6detail17trampoline_kernelINS0_14default_configENS1_35radix_sort_onesweep_config_selectorIfNS0_10empty_typeEEEZZNS1_29radix_sort_onesweep_iterationIS3_Lb0EN6thrust23THRUST_200600_302600_NS6detail15normal_iteratorINS9_10device_ptrIfEEEESE_PS5_SF_jNS0_19identity_decomposerENS1_16block_id_wrapperIjLb1EEEEE10hipError_tT1_PNSt15iterator_traitsISK_E10value_typeET2_T3_PNSL_ISQ_E10value_typeET4_T5_PSV_SW_PNS1_23onesweep_lookback_stateEbbT6_jjT7_P12ihipStream_tbENKUlT_T0_SK_SP_E_clISE_PfSF_SF_EEDaS13_S14_SK_SP_EUlS13_E_NS1_11comp_targetILNS1_3genE9ELNS1_11target_archE1100ELNS1_3gpuE3ELNS1_3repE0EEENS1_47radix_sort_onesweep_sort_config_static_selectorELNS0_4arch9wavefront6targetE1EEEvSK_
    .private_segment_fixed_size: 0
    .sgpr_count:     6
    .sgpr_spill_count: 0
    .symbol:         _ZN7rocprim17ROCPRIM_400000_NS6detail17trampoline_kernelINS0_14default_configENS1_35radix_sort_onesweep_config_selectorIfNS0_10empty_typeEEEZZNS1_29radix_sort_onesweep_iterationIS3_Lb0EN6thrust23THRUST_200600_302600_NS6detail15normal_iteratorINS9_10device_ptrIfEEEESE_PS5_SF_jNS0_19identity_decomposerENS1_16block_id_wrapperIjLb1EEEEE10hipError_tT1_PNSt15iterator_traitsISK_E10value_typeET2_T3_PNSL_ISQ_E10value_typeET4_T5_PSV_SW_PNS1_23onesweep_lookback_stateEbbT6_jjT7_P12ihipStream_tbENKUlT_T0_SK_SP_E_clISE_PfSF_SF_EEDaS13_S14_SK_SP_EUlS13_E_NS1_11comp_targetILNS1_3genE9ELNS1_11target_archE1100ELNS1_3gpuE3ELNS1_3repE0EEENS1_47radix_sort_onesweep_sort_config_static_selectorELNS0_4arch9wavefront6targetE1EEEvSK_.kd
    .uniform_work_group_size: 1
    .uses_dynamic_stack: false
    .vgpr_count:     0
    .vgpr_spill_count: 0
    .wavefront_size: 64
  - .agpr_count:     0
    .args:
      - .offset:         0
        .size:           88
        .value_kind:     by_value
    .group_segment_fixed_size: 0
    .kernarg_segment_align: 8
    .kernarg_segment_size: 88
    .language:       OpenCL C
    .language_version:
      - 2
      - 0
    .max_flat_workgroup_size: 1024
    .name:           _ZN7rocprim17ROCPRIM_400000_NS6detail17trampoline_kernelINS0_14default_configENS1_35radix_sort_onesweep_config_selectorIfNS0_10empty_typeEEEZZNS1_29radix_sort_onesweep_iterationIS3_Lb0EN6thrust23THRUST_200600_302600_NS6detail15normal_iteratorINS9_10device_ptrIfEEEESE_PS5_SF_jNS0_19identity_decomposerENS1_16block_id_wrapperIjLb1EEEEE10hipError_tT1_PNSt15iterator_traitsISK_E10value_typeET2_T3_PNSL_ISQ_E10value_typeET4_T5_PSV_SW_PNS1_23onesweep_lookback_stateEbbT6_jjT7_P12ihipStream_tbENKUlT_T0_SK_SP_E_clISE_PfSF_SF_EEDaS13_S14_SK_SP_EUlS13_E_NS1_11comp_targetILNS1_3genE8ELNS1_11target_archE1030ELNS1_3gpuE2ELNS1_3repE0EEENS1_47radix_sort_onesweep_sort_config_static_selectorELNS0_4arch9wavefront6targetE1EEEvSK_
    .private_segment_fixed_size: 0
    .sgpr_count:     6
    .sgpr_spill_count: 0
    .symbol:         _ZN7rocprim17ROCPRIM_400000_NS6detail17trampoline_kernelINS0_14default_configENS1_35radix_sort_onesweep_config_selectorIfNS0_10empty_typeEEEZZNS1_29radix_sort_onesweep_iterationIS3_Lb0EN6thrust23THRUST_200600_302600_NS6detail15normal_iteratorINS9_10device_ptrIfEEEESE_PS5_SF_jNS0_19identity_decomposerENS1_16block_id_wrapperIjLb1EEEEE10hipError_tT1_PNSt15iterator_traitsISK_E10value_typeET2_T3_PNSL_ISQ_E10value_typeET4_T5_PSV_SW_PNS1_23onesweep_lookback_stateEbbT6_jjT7_P12ihipStream_tbENKUlT_T0_SK_SP_E_clISE_PfSF_SF_EEDaS13_S14_SK_SP_EUlS13_E_NS1_11comp_targetILNS1_3genE8ELNS1_11target_archE1030ELNS1_3gpuE2ELNS1_3repE0EEENS1_47radix_sort_onesweep_sort_config_static_selectorELNS0_4arch9wavefront6targetE1EEEvSK_.kd
    .uniform_work_group_size: 1
    .uses_dynamic_stack: false
    .vgpr_count:     0
    .vgpr_spill_count: 0
    .wavefront_size: 64
  - .agpr_count:     0
    .args:
      - .offset:         0
        .size:           88
        .value_kind:     by_value
    .group_segment_fixed_size: 0
    .kernarg_segment_align: 8
    .kernarg_segment_size: 88
    .language:       OpenCL C
    .language_version:
      - 2
      - 0
    .max_flat_workgroup_size: 512
    .name:           _ZN7rocprim17ROCPRIM_400000_NS6detail17trampoline_kernelINS0_14default_configENS1_35radix_sort_onesweep_config_selectorIfNS0_10empty_typeEEEZZNS1_29radix_sort_onesweep_iterationIS3_Lb0EN6thrust23THRUST_200600_302600_NS6detail15normal_iteratorINS9_10device_ptrIfEEEESE_PS5_SF_jNS0_19identity_decomposerENS1_16block_id_wrapperIjLb1EEEEE10hipError_tT1_PNSt15iterator_traitsISK_E10value_typeET2_T3_PNSL_ISQ_E10value_typeET4_T5_PSV_SW_PNS1_23onesweep_lookback_stateEbbT6_jjT7_P12ihipStream_tbENKUlT_T0_SK_SP_E_clIPfSE_SF_SF_EEDaS13_S14_SK_SP_EUlS13_E_NS1_11comp_targetILNS1_3genE0ELNS1_11target_archE4294967295ELNS1_3gpuE0ELNS1_3repE0EEENS1_47radix_sort_onesweep_sort_config_static_selectorELNS0_4arch9wavefront6targetE1EEEvSK_
    .private_segment_fixed_size: 0
    .sgpr_count:     6
    .sgpr_spill_count: 0
    .symbol:         _ZN7rocprim17ROCPRIM_400000_NS6detail17trampoline_kernelINS0_14default_configENS1_35radix_sort_onesweep_config_selectorIfNS0_10empty_typeEEEZZNS1_29radix_sort_onesweep_iterationIS3_Lb0EN6thrust23THRUST_200600_302600_NS6detail15normal_iteratorINS9_10device_ptrIfEEEESE_PS5_SF_jNS0_19identity_decomposerENS1_16block_id_wrapperIjLb1EEEEE10hipError_tT1_PNSt15iterator_traitsISK_E10value_typeET2_T3_PNSL_ISQ_E10value_typeET4_T5_PSV_SW_PNS1_23onesweep_lookback_stateEbbT6_jjT7_P12ihipStream_tbENKUlT_T0_SK_SP_E_clIPfSE_SF_SF_EEDaS13_S14_SK_SP_EUlS13_E_NS1_11comp_targetILNS1_3genE0ELNS1_11target_archE4294967295ELNS1_3gpuE0ELNS1_3repE0EEENS1_47radix_sort_onesweep_sort_config_static_selectorELNS0_4arch9wavefront6targetE1EEEvSK_.kd
    .uniform_work_group_size: 1
    .uses_dynamic_stack: false
    .vgpr_count:     0
    .vgpr_spill_count: 0
    .wavefront_size: 64
  - .agpr_count:     0
    .args:
      - .offset:         0
        .size:           88
        .value_kind:     by_value
      - .offset:         88
        .size:           4
        .value_kind:     hidden_block_count_x
      - .offset:         92
        .size:           4
        .value_kind:     hidden_block_count_y
      - .offset:         96
        .size:           4
        .value_kind:     hidden_block_count_z
      - .offset:         100
        .size:           2
        .value_kind:     hidden_group_size_x
      - .offset:         102
        .size:           2
        .value_kind:     hidden_group_size_y
      - .offset:         104
        .size:           2
        .value_kind:     hidden_group_size_z
      - .offset:         106
        .size:           2
        .value_kind:     hidden_remainder_x
      - .offset:         108
        .size:           2
        .value_kind:     hidden_remainder_y
      - .offset:         110
        .size:           2
        .value_kind:     hidden_remainder_z
      - .offset:         128
        .size:           8
        .value_kind:     hidden_global_offset_x
      - .offset:         136
        .size:           8
        .value_kind:     hidden_global_offset_y
      - .offset:         144
        .size:           8
        .value_kind:     hidden_global_offset_z
      - .offset:         152
        .size:           2
        .value_kind:     hidden_grid_dims
    .group_segment_fixed_size: 20552
    .kernarg_segment_align: 8
    .kernarg_segment_size: 344
    .language:       OpenCL C
    .language_version:
      - 2
      - 0
    .max_flat_workgroup_size: 1024
    .name:           _ZN7rocprim17ROCPRIM_400000_NS6detail17trampoline_kernelINS0_14default_configENS1_35radix_sort_onesweep_config_selectorIfNS0_10empty_typeEEEZZNS1_29radix_sort_onesweep_iterationIS3_Lb0EN6thrust23THRUST_200600_302600_NS6detail15normal_iteratorINS9_10device_ptrIfEEEESE_PS5_SF_jNS0_19identity_decomposerENS1_16block_id_wrapperIjLb1EEEEE10hipError_tT1_PNSt15iterator_traitsISK_E10value_typeET2_T3_PNSL_ISQ_E10value_typeET4_T5_PSV_SW_PNS1_23onesweep_lookback_stateEbbT6_jjT7_P12ihipStream_tbENKUlT_T0_SK_SP_E_clIPfSE_SF_SF_EEDaS13_S14_SK_SP_EUlS13_E_NS1_11comp_targetILNS1_3genE6ELNS1_11target_archE950ELNS1_3gpuE13ELNS1_3repE0EEENS1_47radix_sort_onesweep_sort_config_static_selectorELNS0_4arch9wavefront6targetE1EEEvSK_
    .private_segment_fixed_size: 0
    .sgpr_count:     42
    .sgpr_spill_count: 0
    .symbol:         _ZN7rocprim17ROCPRIM_400000_NS6detail17trampoline_kernelINS0_14default_configENS1_35radix_sort_onesweep_config_selectorIfNS0_10empty_typeEEEZZNS1_29radix_sort_onesweep_iterationIS3_Lb0EN6thrust23THRUST_200600_302600_NS6detail15normal_iteratorINS9_10device_ptrIfEEEESE_PS5_SF_jNS0_19identity_decomposerENS1_16block_id_wrapperIjLb1EEEEE10hipError_tT1_PNSt15iterator_traitsISK_E10value_typeET2_T3_PNSL_ISQ_E10value_typeET4_T5_PSV_SW_PNS1_23onesweep_lookback_stateEbbT6_jjT7_P12ihipStream_tbENKUlT_T0_SK_SP_E_clIPfSE_SF_SF_EEDaS13_S14_SK_SP_EUlS13_E_NS1_11comp_targetILNS1_3genE6ELNS1_11target_archE950ELNS1_3gpuE13ELNS1_3repE0EEENS1_47radix_sort_onesweep_sort_config_static_selectorELNS0_4arch9wavefront6targetE1EEEvSK_.kd
    .uniform_work_group_size: 1
    .uses_dynamic_stack: false
    .vgpr_count:     46
    .vgpr_spill_count: 0
    .wavefront_size: 64
  - .agpr_count:     0
    .args:
      - .offset:         0
        .size:           88
        .value_kind:     by_value
    .group_segment_fixed_size: 0
    .kernarg_segment_align: 8
    .kernarg_segment_size: 88
    .language:       OpenCL C
    .language_version:
      - 2
      - 0
    .max_flat_workgroup_size: 1024
    .name:           _ZN7rocprim17ROCPRIM_400000_NS6detail17trampoline_kernelINS0_14default_configENS1_35radix_sort_onesweep_config_selectorIfNS0_10empty_typeEEEZZNS1_29radix_sort_onesweep_iterationIS3_Lb0EN6thrust23THRUST_200600_302600_NS6detail15normal_iteratorINS9_10device_ptrIfEEEESE_PS5_SF_jNS0_19identity_decomposerENS1_16block_id_wrapperIjLb1EEEEE10hipError_tT1_PNSt15iterator_traitsISK_E10value_typeET2_T3_PNSL_ISQ_E10value_typeET4_T5_PSV_SW_PNS1_23onesweep_lookback_stateEbbT6_jjT7_P12ihipStream_tbENKUlT_T0_SK_SP_E_clIPfSE_SF_SF_EEDaS13_S14_SK_SP_EUlS13_E_NS1_11comp_targetILNS1_3genE5ELNS1_11target_archE942ELNS1_3gpuE9ELNS1_3repE0EEENS1_47radix_sort_onesweep_sort_config_static_selectorELNS0_4arch9wavefront6targetE1EEEvSK_
    .private_segment_fixed_size: 0
    .sgpr_count:     6
    .sgpr_spill_count: 0
    .symbol:         _ZN7rocprim17ROCPRIM_400000_NS6detail17trampoline_kernelINS0_14default_configENS1_35radix_sort_onesweep_config_selectorIfNS0_10empty_typeEEEZZNS1_29radix_sort_onesweep_iterationIS3_Lb0EN6thrust23THRUST_200600_302600_NS6detail15normal_iteratorINS9_10device_ptrIfEEEESE_PS5_SF_jNS0_19identity_decomposerENS1_16block_id_wrapperIjLb1EEEEE10hipError_tT1_PNSt15iterator_traitsISK_E10value_typeET2_T3_PNSL_ISQ_E10value_typeET4_T5_PSV_SW_PNS1_23onesweep_lookback_stateEbbT6_jjT7_P12ihipStream_tbENKUlT_T0_SK_SP_E_clIPfSE_SF_SF_EEDaS13_S14_SK_SP_EUlS13_E_NS1_11comp_targetILNS1_3genE5ELNS1_11target_archE942ELNS1_3gpuE9ELNS1_3repE0EEENS1_47radix_sort_onesweep_sort_config_static_selectorELNS0_4arch9wavefront6targetE1EEEvSK_.kd
    .uniform_work_group_size: 1
    .uses_dynamic_stack: false
    .vgpr_count:     0
    .vgpr_spill_count: 0
    .wavefront_size: 64
  - .agpr_count:     0
    .args:
      - .offset:         0
        .size:           88
        .value_kind:     by_value
    .group_segment_fixed_size: 0
    .kernarg_segment_align: 8
    .kernarg_segment_size: 88
    .language:       OpenCL C
    .language_version:
      - 2
      - 0
    .max_flat_workgroup_size: 512
    .name:           _ZN7rocprim17ROCPRIM_400000_NS6detail17trampoline_kernelINS0_14default_configENS1_35radix_sort_onesweep_config_selectorIfNS0_10empty_typeEEEZZNS1_29radix_sort_onesweep_iterationIS3_Lb0EN6thrust23THRUST_200600_302600_NS6detail15normal_iteratorINS9_10device_ptrIfEEEESE_PS5_SF_jNS0_19identity_decomposerENS1_16block_id_wrapperIjLb1EEEEE10hipError_tT1_PNSt15iterator_traitsISK_E10value_typeET2_T3_PNSL_ISQ_E10value_typeET4_T5_PSV_SW_PNS1_23onesweep_lookback_stateEbbT6_jjT7_P12ihipStream_tbENKUlT_T0_SK_SP_E_clIPfSE_SF_SF_EEDaS13_S14_SK_SP_EUlS13_E_NS1_11comp_targetILNS1_3genE2ELNS1_11target_archE906ELNS1_3gpuE6ELNS1_3repE0EEENS1_47radix_sort_onesweep_sort_config_static_selectorELNS0_4arch9wavefront6targetE1EEEvSK_
    .private_segment_fixed_size: 0
    .sgpr_count:     6
    .sgpr_spill_count: 0
    .symbol:         _ZN7rocprim17ROCPRIM_400000_NS6detail17trampoline_kernelINS0_14default_configENS1_35radix_sort_onesweep_config_selectorIfNS0_10empty_typeEEEZZNS1_29radix_sort_onesweep_iterationIS3_Lb0EN6thrust23THRUST_200600_302600_NS6detail15normal_iteratorINS9_10device_ptrIfEEEESE_PS5_SF_jNS0_19identity_decomposerENS1_16block_id_wrapperIjLb1EEEEE10hipError_tT1_PNSt15iterator_traitsISK_E10value_typeET2_T3_PNSL_ISQ_E10value_typeET4_T5_PSV_SW_PNS1_23onesweep_lookback_stateEbbT6_jjT7_P12ihipStream_tbENKUlT_T0_SK_SP_E_clIPfSE_SF_SF_EEDaS13_S14_SK_SP_EUlS13_E_NS1_11comp_targetILNS1_3genE2ELNS1_11target_archE906ELNS1_3gpuE6ELNS1_3repE0EEENS1_47radix_sort_onesweep_sort_config_static_selectorELNS0_4arch9wavefront6targetE1EEEvSK_.kd
    .uniform_work_group_size: 1
    .uses_dynamic_stack: false
    .vgpr_count:     0
    .vgpr_spill_count: 0
    .wavefront_size: 64
  - .agpr_count:     0
    .args:
      - .offset:         0
        .size:           88
        .value_kind:     by_value
    .group_segment_fixed_size: 0
    .kernarg_segment_align: 8
    .kernarg_segment_size: 88
    .language:       OpenCL C
    .language_version:
      - 2
      - 0
    .max_flat_workgroup_size: 1024
    .name:           _ZN7rocprim17ROCPRIM_400000_NS6detail17trampoline_kernelINS0_14default_configENS1_35radix_sort_onesweep_config_selectorIfNS0_10empty_typeEEEZZNS1_29radix_sort_onesweep_iterationIS3_Lb0EN6thrust23THRUST_200600_302600_NS6detail15normal_iteratorINS9_10device_ptrIfEEEESE_PS5_SF_jNS0_19identity_decomposerENS1_16block_id_wrapperIjLb1EEEEE10hipError_tT1_PNSt15iterator_traitsISK_E10value_typeET2_T3_PNSL_ISQ_E10value_typeET4_T5_PSV_SW_PNS1_23onesweep_lookback_stateEbbT6_jjT7_P12ihipStream_tbENKUlT_T0_SK_SP_E_clIPfSE_SF_SF_EEDaS13_S14_SK_SP_EUlS13_E_NS1_11comp_targetILNS1_3genE4ELNS1_11target_archE910ELNS1_3gpuE8ELNS1_3repE0EEENS1_47radix_sort_onesweep_sort_config_static_selectorELNS0_4arch9wavefront6targetE1EEEvSK_
    .private_segment_fixed_size: 0
    .sgpr_count:     6
    .sgpr_spill_count: 0
    .symbol:         _ZN7rocprim17ROCPRIM_400000_NS6detail17trampoline_kernelINS0_14default_configENS1_35radix_sort_onesweep_config_selectorIfNS0_10empty_typeEEEZZNS1_29radix_sort_onesweep_iterationIS3_Lb0EN6thrust23THRUST_200600_302600_NS6detail15normal_iteratorINS9_10device_ptrIfEEEESE_PS5_SF_jNS0_19identity_decomposerENS1_16block_id_wrapperIjLb1EEEEE10hipError_tT1_PNSt15iterator_traitsISK_E10value_typeET2_T3_PNSL_ISQ_E10value_typeET4_T5_PSV_SW_PNS1_23onesweep_lookback_stateEbbT6_jjT7_P12ihipStream_tbENKUlT_T0_SK_SP_E_clIPfSE_SF_SF_EEDaS13_S14_SK_SP_EUlS13_E_NS1_11comp_targetILNS1_3genE4ELNS1_11target_archE910ELNS1_3gpuE8ELNS1_3repE0EEENS1_47radix_sort_onesweep_sort_config_static_selectorELNS0_4arch9wavefront6targetE1EEEvSK_.kd
    .uniform_work_group_size: 1
    .uses_dynamic_stack: false
    .vgpr_count:     0
    .vgpr_spill_count: 0
    .wavefront_size: 64
  - .agpr_count:     0
    .args:
      - .offset:         0
        .size:           88
        .value_kind:     by_value
    .group_segment_fixed_size: 0
    .kernarg_segment_align: 8
    .kernarg_segment_size: 88
    .language:       OpenCL C
    .language_version:
      - 2
      - 0
    .max_flat_workgroup_size: 512
    .name:           _ZN7rocprim17ROCPRIM_400000_NS6detail17trampoline_kernelINS0_14default_configENS1_35radix_sort_onesweep_config_selectorIfNS0_10empty_typeEEEZZNS1_29radix_sort_onesweep_iterationIS3_Lb0EN6thrust23THRUST_200600_302600_NS6detail15normal_iteratorINS9_10device_ptrIfEEEESE_PS5_SF_jNS0_19identity_decomposerENS1_16block_id_wrapperIjLb1EEEEE10hipError_tT1_PNSt15iterator_traitsISK_E10value_typeET2_T3_PNSL_ISQ_E10value_typeET4_T5_PSV_SW_PNS1_23onesweep_lookback_stateEbbT6_jjT7_P12ihipStream_tbENKUlT_T0_SK_SP_E_clIPfSE_SF_SF_EEDaS13_S14_SK_SP_EUlS13_E_NS1_11comp_targetILNS1_3genE3ELNS1_11target_archE908ELNS1_3gpuE7ELNS1_3repE0EEENS1_47radix_sort_onesweep_sort_config_static_selectorELNS0_4arch9wavefront6targetE1EEEvSK_
    .private_segment_fixed_size: 0
    .sgpr_count:     6
    .sgpr_spill_count: 0
    .symbol:         _ZN7rocprim17ROCPRIM_400000_NS6detail17trampoline_kernelINS0_14default_configENS1_35radix_sort_onesweep_config_selectorIfNS0_10empty_typeEEEZZNS1_29radix_sort_onesweep_iterationIS3_Lb0EN6thrust23THRUST_200600_302600_NS6detail15normal_iteratorINS9_10device_ptrIfEEEESE_PS5_SF_jNS0_19identity_decomposerENS1_16block_id_wrapperIjLb1EEEEE10hipError_tT1_PNSt15iterator_traitsISK_E10value_typeET2_T3_PNSL_ISQ_E10value_typeET4_T5_PSV_SW_PNS1_23onesweep_lookback_stateEbbT6_jjT7_P12ihipStream_tbENKUlT_T0_SK_SP_E_clIPfSE_SF_SF_EEDaS13_S14_SK_SP_EUlS13_E_NS1_11comp_targetILNS1_3genE3ELNS1_11target_archE908ELNS1_3gpuE7ELNS1_3repE0EEENS1_47radix_sort_onesweep_sort_config_static_selectorELNS0_4arch9wavefront6targetE1EEEvSK_.kd
    .uniform_work_group_size: 1
    .uses_dynamic_stack: false
    .vgpr_count:     0
    .vgpr_spill_count: 0
    .wavefront_size: 64
  - .agpr_count:     0
    .args:
      - .offset:         0
        .size:           88
        .value_kind:     by_value
    .group_segment_fixed_size: 0
    .kernarg_segment_align: 8
    .kernarg_segment_size: 88
    .language:       OpenCL C
    .language_version:
      - 2
      - 0
    .max_flat_workgroup_size: 512
    .name:           _ZN7rocprim17ROCPRIM_400000_NS6detail17trampoline_kernelINS0_14default_configENS1_35radix_sort_onesweep_config_selectorIfNS0_10empty_typeEEEZZNS1_29radix_sort_onesweep_iterationIS3_Lb0EN6thrust23THRUST_200600_302600_NS6detail15normal_iteratorINS9_10device_ptrIfEEEESE_PS5_SF_jNS0_19identity_decomposerENS1_16block_id_wrapperIjLb1EEEEE10hipError_tT1_PNSt15iterator_traitsISK_E10value_typeET2_T3_PNSL_ISQ_E10value_typeET4_T5_PSV_SW_PNS1_23onesweep_lookback_stateEbbT6_jjT7_P12ihipStream_tbENKUlT_T0_SK_SP_E_clIPfSE_SF_SF_EEDaS13_S14_SK_SP_EUlS13_E_NS1_11comp_targetILNS1_3genE10ELNS1_11target_archE1201ELNS1_3gpuE5ELNS1_3repE0EEENS1_47radix_sort_onesweep_sort_config_static_selectorELNS0_4arch9wavefront6targetE1EEEvSK_
    .private_segment_fixed_size: 0
    .sgpr_count:     6
    .sgpr_spill_count: 0
    .symbol:         _ZN7rocprim17ROCPRIM_400000_NS6detail17trampoline_kernelINS0_14default_configENS1_35radix_sort_onesweep_config_selectorIfNS0_10empty_typeEEEZZNS1_29radix_sort_onesweep_iterationIS3_Lb0EN6thrust23THRUST_200600_302600_NS6detail15normal_iteratorINS9_10device_ptrIfEEEESE_PS5_SF_jNS0_19identity_decomposerENS1_16block_id_wrapperIjLb1EEEEE10hipError_tT1_PNSt15iterator_traitsISK_E10value_typeET2_T3_PNSL_ISQ_E10value_typeET4_T5_PSV_SW_PNS1_23onesweep_lookback_stateEbbT6_jjT7_P12ihipStream_tbENKUlT_T0_SK_SP_E_clIPfSE_SF_SF_EEDaS13_S14_SK_SP_EUlS13_E_NS1_11comp_targetILNS1_3genE10ELNS1_11target_archE1201ELNS1_3gpuE5ELNS1_3repE0EEENS1_47radix_sort_onesweep_sort_config_static_selectorELNS0_4arch9wavefront6targetE1EEEvSK_.kd
    .uniform_work_group_size: 1
    .uses_dynamic_stack: false
    .vgpr_count:     0
    .vgpr_spill_count: 0
    .wavefront_size: 64
  - .agpr_count:     0
    .args:
      - .offset:         0
        .size:           88
        .value_kind:     by_value
    .group_segment_fixed_size: 0
    .kernarg_segment_align: 8
    .kernarg_segment_size: 88
    .language:       OpenCL C
    .language_version:
      - 2
      - 0
    .max_flat_workgroup_size: 1024
    .name:           _ZN7rocprim17ROCPRIM_400000_NS6detail17trampoline_kernelINS0_14default_configENS1_35radix_sort_onesweep_config_selectorIfNS0_10empty_typeEEEZZNS1_29radix_sort_onesweep_iterationIS3_Lb0EN6thrust23THRUST_200600_302600_NS6detail15normal_iteratorINS9_10device_ptrIfEEEESE_PS5_SF_jNS0_19identity_decomposerENS1_16block_id_wrapperIjLb1EEEEE10hipError_tT1_PNSt15iterator_traitsISK_E10value_typeET2_T3_PNSL_ISQ_E10value_typeET4_T5_PSV_SW_PNS1_23onesweep_lookback_stateEbbT6_jjT7_P12ihipStream_tbENKUlT_T0_SK_SP_E_clIPfSE_SF_SF_EEDaS13_S14_SK_SP_EUlS13_E_NS1_11comp_targetILNS1_3genE9ELNS1_11target_archE1100ELNS1_3gpuE3ELNS1_3repE0EEENS1_47radix_sort_onesweep_sort_config_static_selectorELNS0_4arch9wavefront6targetE1EEEvSK_
    .private_segment_fixed_size: 0
    .sgpr_count:     6
    .sgpr_spill_count: 0
    .symbol:         _ZN7rocprim17ROCPRIM_400000_NS6detail17trampoline_kernelINS0_14default_configENS1_35radix_sort_onesweep_config_selectorIfNS0_10empty_typeEEEZZNS1_29radix_sort_onesweep_iterationIS3_Lb0EN6thrust23THRUST_200600_302600_NS6detail15normal_iteratorINS9_10device_ptrIfEEEESE_PS5_SF_jNS0_19identity_decomposerENS1_16block_id_wrapperIjLb1EEEEE10hipError_tT1_PNSt15iterator_traitsISK_E10value_typeET2_T3_PNSL_ISQ_E10value_typeET4_T5_PSV_SW_PNS1_23onesweep_lookback_stateEbbT6_jjT7_P12ihipStream_tbENKUlT_T0_SK_SP_E_clIPfSE_SF_SF_EEDaS13_S14_SK_SP_EUlS13_E_NS1_11comp_targetILNS1_3genE9ELNS1_11target_archE1100ELNS1_3gpuE3ELNS1_3repE0EEENS1_47radix_sort_onesweep_sort_config_static_selectorELNS0_4arch9wavefront6targetE1EEEvSK_.kd
    .uniform_work_group_size: 1
    .uses_dynamic_stack: false
    .vgpr_count:     0
    .vgpr_spill_count: 0
    .wavefront_size: 64
  - .agpr_count:     0
    .args:
      - .offset:         0
        .size:           88
        .value_kind:     by_value
    .group_segment_fixed_size: 0
    .kernarg_segment_align: 8
    .kernarg_segment_size: 88
    .language:       OpenCL C
    .language_version:
      - 2
      - 0
    .max_flat_workgroup_size: 1024
    .name:           _ZN7rocprim17ROCPRIM_400000_NS6detail17trampoline_kernelINS0_14default_configENS1_35radix_sort_onesweep_config_selectorIfNS0_10empty_typeEEEZZNS1_29radix_sort_onesweep_iterationIS3_Lb0EN6thrust23THRUST_200600_302600_NS6detail15normal_iteratorINS9_10device_ptrIfEEEESE_PS5_SF_jNS0_19identity_decomposerENS1_16block_id_wrapperIjLb1EEEEE10hipError_tT1_PNSt15iterator_traitsISK_E10value_typeET2_T3_PNSL_ISQ_E10value_typeET4_T5_PSV_SW_PNS1_23onesweep_lookback_stateEbbT6_jjT7_P12ihipStream_tbENKUlT_T0_SK_SP_E_clIPfSE_SF_SF_EEDaS13_S14_SK_SP_EUlS13_E_NS1_11comp_targetILNS1_3genE8ELNS1_11target_archE1030ELNS1_3gpuE2ELNS1_3repE0EEENS1_47radix_sort_onesweep_sort_config_static_selectorELNS0_4arch9wavefront6targetE1EEEvSK_
    .private_segment_fixed_size: 0
    .sgpr_count:     6
    .sgpr_spill_count: 0
    .symbol:         _ZN7rocprim17ROCPRIM_400000_NS6detail17trampoline_kernelINS0_14default_configENS1_35radix_sort_onesweep_config_selectorIfNS0_10empty_typeEEEZZNS1_29radix_sort_onesweep_iterationIS3_Lb0EN6thrust23THRUST_200600_302600_NS6detail15normal_iteratorINS9_10device_ptrIfEEEESE_PS5_SF_jNS0_19identity_decomposerENS1_16block_id_wrapperIjLb1EEEEE10hipError_tT1_PNSt15iterator_traitsISK_E10value_typeET2_T3_PNSL_ISQ_E10value_typeET4_T5_PSV_SW_PNS1_23onesweep_lookback_stateEbbT6_jjT7_P12ihipStream_tbENKUlT_T0_SK_SP_E_clIPfSE_SF_SF_EEDaS13_S14_SK_SP_EUlS13_E_NS1_11comp_targetILNS1_3genE8ELNS1_11target_archE1030ELNS1_3gpuE2ELNS1_3repE0EEENS1_47radix_sort_onesweep_sort_config_static_selectorELNS0_4arch9wavefront6targetE1EEEvSK_.kd
    .uniform_work_group_size: 1
    .uses_dynamic_stack: false
    .vgpr_count:     0
    .vgpr_spill_count: 0
    .wavefront_size: 64
  - .agpr_count:     0
    .args:
      - .offset:         0
        .size:           88
        .value_kind:     by_value
    .group_segment_fixed_size: 0
    .kernarg_segment_align: 8
    .kernarg_segment_size: 88
    .language:       OpenCL C
    .language_version:
      - 2
      - 0
    .max_flat_workgroup_size: 512
    .name:           _ZN7rocprim17ROCPRIM_400000_NS6detail17trampoline_kernelINS0_14default_configENS1_35radix_sort_onesweep_config_selectorIfNS0_10empty_typeEEEZZNS1_29radix_sort_onesweep_iterationIS3_Lb0EN6thrust23THRUST_200600_302600_NS6detail15normal_iteratorINS9_10device_ptrIfEEEESE_PS5_SF_jNS0_19identity_decomposerENS1_16block_id_wrapperIjLb0EEEEE10hipError_tT1_PNSt15iterator_traitsISK_E10value_typeET2_T3_PNSL_ISQ_E10value_typeET4_T5_PSV_SW_PNS1_23onesweep_lookback_stateEbbT6_jjT7_P12ihipStream_tbENKUlT_T0_SK_SP_E_clISE_SE_SF_SF_EEDaS13_S14_SK_SP_EUlS13_E_NS1_11comp_targetILNS1_3genE0ELNS1_11target_archE4294967295ELNS1_3gpuE0ELNS1_3repE0EEENS1_47radix_sort_onesweep_sort_config_static_selectorELNS0_4arch9wavefront6targetE1EEEvSK_
    .private_segment_fixed_size: 0
    .sgpr_count:     6
    .sgpr_spill_count: 0
    .symbol:         _ZN7rocprim17ROCPRIM_400000_NS6detail17trampoline_kernelINS0_14default_configENS1_35radix_sort_onesweep_config_selectorIfNS0_10empty_typeEEEZZNS1_29radix_sort_onesweep_iterationIS3_Lb0EN6thrust23THRUST_200600_302600_NS6detail15normal_iteratorINS9_10device_ptrIfEEEESE_PS5_SF_jNS0_19identity_decomposerENS1_16block_id_wrapperIjLb0EEEEE10hipError_tT1_PNSt15iterator_traitsISK_E10value_typeET2_T3_PNSL_ISQ_E10value_typeET4_T5_PSV_SW_PNS1_23onesweep_lookback_stateEbbT6_jjT7_P12ihipStream_tbENKUlT_T0_SK_SP_E_clISE_SE_SF_SF_EEDaS13_S14_SK_SP_EUlS13_E_NS1_11comp_targetILNS1_3genE0ELNS1_11target_archE4294967295ELNS1_3gpuE0ELNS1_3repE0EEENS1_47radix_sort_onesweep_sort_config_static_selectorELNS0_4arch9wavefront6targetE1EEEvSK_.kd
    .uniform_work_group_size: 1
    .uses_dynamic_stack: false
    .vgpr_count:     0
    .vgpr_spill_count: 0
    .wavefront_size: 64
  - .agpr_count:     0
    .args:
      - .offset:         0
        .size:           88
        .value_kind:     by_value
      - .offset:         88
        .size:           4
        .value_kind:     hidden_block_count_x
      - .offset:         92
        .size:           4
        .value_kind:     hidden_block_count_y
      - .offset:         96
        .size:           4
        .value_kind:     hidden_block_count_z
      - .offset:         100
        .size:           2
        .value_kind:     hidden_group_size_x
      - .offset:         102
        .size:           2
        .value_kind:     hidden_group_size_y
      - .offset:         104
        .size:           2
        .value_kind:     hidden_group_size_z
      - .offset:         106
        .size:           2
        .value_kind:     hidden_remainder_x
      - .offset:         108
        .size:           2
        .value_kind:     hidden_remainder_y
      - .offset:         110
        .size:           2
        .value_kind:     hidden_remainder_z
      - .offset:         128
        .size:           8
        .value_kind:     hidden_global_offset_x
      - .offset:         136
        .size:           8
        .value_kind:     hidden_global_offset_y
      - .offset:         144
        .size:           8
        .value_kind:     hidden_global_offset_z
      - .offset:         152
        .size:           2
        .value_kind:     hidden_grid_dims
    .group_segment_fixed_size: 20552
    .kernarg_segment_align: 8
    .kernarg_segment_size: 344
    .language:       OpenCL C
    .language_version:
      - 2
      - 0
    .max_flat_workgroup_size: 1024
    .name:           _ZN7rocprim17ROCPRIM_400000_NS6detail17trampoline_kernelINS0_14default_configENS1_35radix_sort_onesweep_config_selectorIfNS0_10empty_typeEEEZZNS1_29radix_sort_onesweep_iterationIS3_Lb0EN6thrust23THRUST_200600_302600_NS6detail15normal_iteratorINS9_10device_ptrIfEEEESE_PS5_SF_jNS0_19identity_decomposerENS1_16block_id_wrapperIjLb0EEEEE10hipError_tT1_PNSt15iterator_traitsISK_E10value_typeET2_T3_PNSL_ISQ_E10value_typeET4_T5_PSV_SW_PNS1_23onesweep_lookback_stateEbbT6_jjT7_P12ihipStream_tbENKUlT_T0_SK_SP_E_clISE_SE_SF_SF_EEDaS13_S14_SK_SP_EUlS13_E_NS1_11comp_targetILNS1_3genE6ELNS1_11target_archE950ELNS1_3gpuE13ELNS1_3repE0EEENS1_47radix_sort_onesweep_sort_config_static_selectorELNS0_4arch9wavefront6targetE1EEEvSK_
    .private_segment_fixed_size: 0
    .sgpr_count:     38
    .sgpr_spill_count: 0
    .symbol:         _ZN7rocprim17ROCPRIM_400000_NS6detail17trampoline_kernelINS0_14default_configENS1_35radix_sort_onesweep_config_selectorIfNS0_10empty_typeEEEZZNS1_29radix_sort_onesweep_iterationIS3_Lb0EN6thrust23THRUST_200600_302600_NS6detail15normal_iteratorINS9_10device_ptrIfEEEESE_PS5_SF_jNS0_19identity_decomposerENS1_16block_id_wrapperIjLb0EEEEE10hipError_tT1_PNSt15iterator_traitsISK_E10value_typeET2_T3_PNSL_ISQ_E10value_typeET4_T5_PSV_SW_PNS1_23onesweep_lookback_stateEbbT6_jjT7_P12ihipStream_tbENKUlT_T0_SK_SP_E_clISE_SE_SF_SF_EEDaS13_S14_SK_SP_EUlS13_E_NS1_11comp_targetILNS1_3genE6ELNS1_11target_archE950ELNS1_3gpuE13ELNS1_3repE0EEENS1_47radix_sort_onesweep_sort_config_static_selectorELNS0_4arch9wavefront6targetE1EEEvSK_.kd
    .uniform_work_group_size: 1
    .uses_dynamic_stack: false
    .vgpr_count:     46
    .vgpr_spill_count: 0
    .wavefront_size: 64
  - .agpr_count:     0
    .args:
      - .offset:         0
        .size:           88
        .value_kind:     by_value
    .group_segment_fixed_size: 0
    .kernarg_segment_align: 8
    .kernarg_segment_size: 88
    .language:       OpenCL C
    .language_version:
      - 2
      - 0
    .max_flat_workgroup_size: 1024
    .name:           _ZN7rocprim17ROCPRIM_400000_NS6detail17trampoline_kernelINS0_14default_configENS1_35radix_sort_onesweep_config_selectorIfNS0_10empty_typeEEEZZNS1_29radix_sort_onesweep_iterationIS3_Lb0EN6thrust23THRUST_200600_302600_NS6detail15normal_iteratorINS9_10device_ptrIfEEEESE_PS5_SF_jNS0_19identity_decomposerENS1_16block_id_wrapperIjLb0EEEEE10hipError_tT1_PNSt15iterator_traitsISK_E10value_typeET2_T3_PNSL_ISQ_E10value_typeET4_T5_PSV_SW_PNS1_23onesweep_lookback_stateEbbT6_jjT7_P12ihipStream_tbENKUlT_T0_SK_SP_E_clISE_SE_SF_SF_EEDaS13_S14_SK_SP_EUlS13_E_NS1_11comp_targetILNS1_3genE5ELNS1_11target_archE942ELNS1_3gpuE9ELNS1_3repE0EEENS1_47radix_sort_onesweep_sort_config_static_selectorELNS0_4arch9wavefront6targetE1EEEvSK_
    .private_segment_fixed_size: 0
    .sgpr_count:     6
    .sgpr_spill_count: 0
    .symbol:         _ZN7rocprim17ROCPRIM_400000_NS6detail17trampoline_kernelINS0_14default_configENS1_35radix_sort_onesweep_config_selectorIfNS0_10empty_typeEEEZZNS1_29radix_sort_onesweep_iterationIS3_Lb0EN6thrust23THRUST_200600_302600_NS6detail15normal_iteratorINS9_10device_ptrIfEEEESE_PS5_SF_jNS0_19identity_decomposerENS1_16block_id_wrapperIjLb0EEEEE10hipError_tT1_PNSt15iterator_traitsISK_E10value_typeET2_T3_PNSL_ISQ_E10value_typeET4_T5_PSV_SW_PNS1_23onesweep_lookback_stateEbbT6_jjT7_P12ihipStream_tbENKUlT_T0_SK_SP_E_clISE_SE_SF_SF_EEDaS13_S14_SK_SP_EUlS13_E_NS1_11comp_targetILNS1_3genE5ELNS1_11target_archE942ELNS1_3gpuE9ELNS1_3repE0EEENS1_47radix_sort_onesweep_sort_config_static_selectorELNS0_4arch9wavefront6targetE1EEEvSK_.kd
    .uniform_work_group_size: 1
    .uses_dynamic_stack: false
    .vgpr_count:     0
    .vgpr_spill_count: 0
    .wavefront_size: 64
  - .agpr_count:     0
    .args:
      - .offset:         0
        .size:           88
        .value_kind:     by_value
    .group_segment_fixed_size: 0
    .kernarg_segment_align: 8
    .kernarg_segment_size: 88
    .language:       OpenCL C
    .language_version:
      - 2
      - 0
    .max_flat_workgroup_size: 512
    .name:           _ZN7rocprim17ROCPRIM_400000_NS6detail17trampoline_kernelINS0_14default_configENS1_35radix_sort_onesweep_config_selectorIfNS0_10empty_typeEEEZZNS1_29radix_sort_onesweep_iterationIS3_Lb0EN6thrust23THRUST_200600_302600_NS6detail15normal_iteratorINS9_10device_ptrIfEEEESE_PS5_SF_jNS0_19identity_decomposerENS1_16block_id_wrapperIjLb0EEEEE10hipError_tT1_PNSt15iterator_traitsISK_E10value_typeET2_T3_PNSL_ISQ_E10value_typeET4_T5_PSV_SW_PNS1_23onesweep_lookback_stateEbbT6_jjT7_P12ihipStream_tbENKUlT_T0_SK_SP_E_clISE_SE_SF_SF_EEDaS13_S14_SK_SP_EUlS13_E_NS1_11comp_targetILNS1_3genE2ELNS1_11target_archE906ELNS1_3gpuE6ELNS1_3repE0EEENS1_47radix_sort_onesweep_sort_config_static_selectorELNS0_4arch9wavefront6targetE1EEEvSK_
    .private_segment_fixed_size: 0
    .sgpr_count:     6
    .sgpr_spill_count: 0
    .symbol:         _ZN7rocprim17ROCPRIM_400000_NS6detail17trampoline_kernelINS0_14default_configENS1_35radix_sort_onesweep_config_selectorIfNS0_10empty_typeEEEZZNS1_29radix_sort_onesweep_iterationIS3_Lb0EN6thrust23THRUST_200600_302600_NS6detail15normal_iteratorINS9_10device_ptrIfEEEESE_PS5_SF_jNS0_19identity_decomposerENS1_16block_id_wrapperIjLb0EEEEE10hipError_tT1_PNSt15iterator_traitsISK_E10value_typeET2_T3_PNSL_ISQ_E10value_typeET4_T5_PSV_SW_PNS1_23onesweep_lookback_stateEbbT6_jjT7_P12ihipStream_tbENKUlT_T0_SK_SP_E_clISE_SE_SF_SF_EEDaS13_S14_SK_SP_EUlS13_E_NS1_11comp_targetILNS1_3genE2ELNS1_11target_archE906ELNS1_3gpuE6ELNS1_3repE0EEENS1_47radix_sort_onesweep_sort_config_static_selectorELNS0_4arch9wavefront6targetE1EEEvSK_.kd
    .uniform_work_group_size: 1
    .uses_dynamic_stack: false
    .vgpr_count:     0
    .vgpr_spill_count: 0
    .wavefront_size: 64
  - .agpr_count:     0
    .args:
      - .offset:         0
        .size:           88
        .value_kind:     by_value
    .group_segment_fixed_size: 0
    .kernarg_segment_align: 8
    .kernarg_segment_size: 88
    .language:       OpenCL C
    .language_version:
      - 2
      - 0
    .max_flat_workgroup_size: 1024
    .name:           _ZN7rocprim17ROCPRIM_400000_NS6detail17trampoline_kernelINS0_14default_configENS1_35radix_sort_onesweep_config_selectorIfNS0_10empty_typeEEEZZNS1_29radix_sort_onesweep_iterationIS3_Lb0EN6thrust23THRUST_200600_302600_NS6detail15normal_iteratorINS9_10device_ptrIfEEEESE_PS5_SF_jNS0_19identity_decomposerENS1_16block_id_wrapperIjLb0EEEEE10hipError_tT1_PNSt15iterator_traitsISK_E10value_typeET2_T3_PNSL_ISQ_E10value_typeET4_T5_PSV_SW_PNS1_23onesweep_lookback_stateEbbT6_jjT7_P12ihipStream_tbENKUlT_T0_SK_SP_E_clISE_SE_SF_SF_EEDaS13_S14_SK_SP_EUlS13_E_NS1_11comp_targetILNS1_3genE4ELNS1_11target_archE910ELNS1_3gpuE8ELNS1_3repE0EEENS1_47radix_sort_onesweep_sort_config_static_selectorELNS0_4arch9wavefront6targetE1EEEvSK_
    .private_segment_fixed_size: 0
    .sgpr_count:     6
    .sgpr_spill_count: 0
    .symbol:         _ZN7rocprim17ROCPRIM_400000_NS6detail17trampoline_kernelINS0_14default_configENS1_35radix_sort_onesweep_config_selectorIfNS0_10empty_typeEEEZZNS1_29radix_sort_onesweep_iterationIS3_Lb0EN6thrust23THRUST_200600_302600_NS6detail15normal_iteratorINS9_10device_ptrIfEEEESE_PS5_SF_jNS0_19identity_decomposerENS1_16block_id_wrapperIjLb0EEEEE10hipError_tT1_PNSt15iterator_traitsISK_E10value_typeET2_T3_PNSL_ISQ_E10value_typeET4_T5_PSV_SW_PNS1_23onesweep_lookback_stateEbbT6_jjT7_P12ihipStream_tbENKUlT_T0_SK_SP_E_clISE_SE_SF_SF_EEDaS13_S14_SK_SP_EUlS13_E_NS1_11comp_targetILNS1_3genE4ELNS1_11target_archE910ELNS1_3gpuE8ELNS1_3repE0EEENS1_47radix_sort_onesweep_sort_config_static_selectorELNS0_4arch9wavefront6targetE1EEEvSK_.kd
    .uniform_work_group_size: 1
    .uses_dynamic_stack: false
    .vgpr_count:     0
    .vgpr_spill_count: 0
    .wavefront_size: 64
  - .agpr_count:     0
    .args:
      - .offset:         0
        .size:           88
        .value_kind:     by_value
    .group_segment_fixed_size: 0
    .kernarg_segment_align: 8
    .kernarg_segment_size: 88
    .language:       OpenCL C
    .language_version:
      - 2
      - 0
    .max_flat_workgroup_size: 512
    .name:           _ZN7rocprim17ROCPRIM_400000_NS6detail17trampoline_kernelINS0_14default_configENS1_35radix_sort_onesweep_config_selectorIfNS0_10empty_typeEEEZZNS1_29radix_sort_onesweep_iterationIS3_Lb0EN6thrust23THRUST_200600_302600_NS6detail15normal_iteratorINS9_10device_ptrIfEEEESE_PS5_SF_jNS0_19identity_decomposerENS1_16block_id_wrapperIjLb0EEEEE10hipError_tT1_PNSt15iterator_traitsISK_E10value_typeET2_T3_PNSL_ISQ_E10value_typeET4_T5_PSV_SW_PNS1_23onesweep_lookback_stateEbbT6_jjT7_P12ihipStream_tbENKUlT_T0_SK_SP_E_clISE_SE_SF_SF_EEDaS13_S14_SK_SP_EUlS13_E_NS1_11comp_targetILNS1_3genE3ELNS1_11target_archE908ELNS1_3gpuE7ELNS1_3repE0EEENS1_47radix_sort_onesweep_sort_config_static_selectorELNS0_4arch9wavefront6targetE1EEEvSK_
    .private_segment_fixed_size: 0
    .sgpr_count:     6
    .sgpr_spill_count: 0
    .symbol:         _ZN7rocprim17ROCPRIM_400000_NS6detail17trampoline_kernelINS0_14default_configENS1_35radix_sort_onesweep_config_selectorIfNS0_10empty_typeEEEZZNS1_29radix_sort_onesweep_iterationIS3_Lb0EN6thrust23THRUST_200600_302600_NS6detail15normal_iteratorINS9_10device_ptrIfEEEESE_PS5_SF_jNS0_19identity_decomposerENS1_16block_id_wrapperIjLb0EEEEE10hipError_tT1_PNSt15iterator_traitsISK_E10value_typeET2_T3_PNSL_ISQ_E10value_typeET4_T5_PSV_SW_PNS1_23onesweep_lookback_stateEbbT6_jjT7_P12ihipStream_tbENKUlT_T0_SK_SP_E_clISE_SE_SF_SF_EEDaS13_S14_SK_SP_EUlS13_E_NS1_11comp_targetILNS1_3genE3ELNS1_11target_archE908ELNS1_3gpuE7ELNS1_3repE0EEENS1_47radix_sort_onesweep_sort_config_static_selectorELNS0_4arch9wavefront6targetE1EEEvSK_.kd
    .uniform_work_group_size: 1
    .uses_dynamic_stack: false
    .vgpr_count:     0
    .vgpr_spill_count: 0
    .wavefront_size: 64
  - .agpr_count:     0
    .args:
      - .offset:         0
        .size:           88
        .value_kind:     by_value
    .group_segment_fixed_size: 0
    .kernarg_segment_align: 8
    .kernarg_segment_size: 88
    .language:       OpenCL C
    .language_version:
      - 2
      - 0
    .max_flat_workgroup_size: 512
    .name:           _ZN7rocprim17ROCPRIM_400000_NS6detail17trampoline_kernelINS0_14default_configENS1_35radix_sort_onesweep_config_selectorIfNS0_10empty_typeEEEZZNS1_29radix_sort_onesweep_iterationIS3_Lb0EN6thrust23THRUST_200600_302600_NS6detail15normal_iteratorINS9_10device_ptrIfEEEESE_PS5_SF_jNS0_19identity_decomposerENS1_16block_id_wrapperIjLb0EEEEE10hipError_tT1_PNSt15iterator_traitsISK_E10value_typeET2_T3_PNSL_ISQ_E10value_typeET4_T5_PSV_SW_PNS1_23onesweep_lookback_stateEbbT6_jjT7_P12ihipStream_tbENKUlT_T0_SK_SP_E_clISE_SE_SF_SF_EEDaS13_S14_SK_SP_EUlS13_E_NS1_11comp_targetILNS1_3genE10ELNS1_11target_archE1201ELNS1_3gpuE5ELNS1_3repE0EEENS1_47radix_sort_onesweep_sort_config_static_selectorELNS0_4arch9wavefront6targetE1EEEvSK_
    .private_segment_fixed_size: 0
    .sgpr_count:     6
    .sgpr_spill_count: 0
    .symbol:         _ZN7rocprim17ROCPRIM_400000_NS6detail17trampoline_kernelINS0_14default_configENS1_35radix_sort_onesweep_config_selectorIfNS0_10empty_typeEEEZZNS1_29radix_sort_onesweep_iterationIS3_Lb0EN6thrust23THRUST_200600_302600_NS6detail15normal_iteratorINS9_10device_ptrIfEEEESE_PS5_SF_jNS0_19identity_decomposerENS1_16block_id_wrapperIjLb0EEEEE10hipError_tT1_PNSt15iterator_traitsISK_E10value_typeET2_T3_PNSL_ISQ_E10value_typeET4_T5_PSV_SW_PNS1_23onesweep_lookback_stateEbbT6_jjT7_P12ihipStream_tbENKUlT_T0_SK_SP_E_clISE_SE_SF_SF_EEDaS13_S14_SK_SP_EUlS13_E_NS1_11comp_targetILNS1_3genE10ELNS1_11target_archE1201ELNS1_3gpuE5ELNS1_3repE0EEENS1_47radix_sort_onesweep_sort_config_static_selectorELNS0_4arch9wavefront6targetE1EEEvSK_.kd
    .uniform_work_group_size: 1
    .uses_dynamic_stack: false
    .vgpr_count:     0
    .vgpr_spill_count: 0
    .wavefront_size: 64
  - .agpr_count:     0
    .args:
      - .offset:         0
        .size:           88
        .value_kind:     by_value
    .group_segment_fixed_size: 0
    .kernarg_segment_align: 8
    .kernarg_segment_size: 88
    .language:       OpenCL C
    .language_version:
      - 2
      - 0
    .max_flat_workgroup_size: 1024
    .name:           _ZN7rocprim17ROCPRIM_400000_NS6detail17trampoline_kernelINS0_14default_configENS1_35radix_sort_onesweep_config_selectorIfNS0_10empty_typeEEEZZNS1_29radix_sort_onesweep_iterationIS3_Lb0EN6thrust23THRUST_200600_302600_NS6detail15normal_iteratorINS9_10device_ptrIfEEEESE_PS5_SF_jNS0_19identity_decomposerENS1_16block_id_wrapperIjLb0EEEEE10hipError_tT1_PNSt15iterator_traitsISK_E10value_typeET2_T3_PNSL_ISQ_E10value_typeET4_T5_PSV_SW_PNS1_23onesweep_lookback_stateEbbT6_jjT7_P12ihipStream_tbENKUlT_T0_SK_SP_E_clISE_SE_SF_SF_EEDaS13_S14_SK_SP_EUlS13_E_NS1_11comp_targetILNS1_3genE9ELNS1_11target_archE1100ELNS1_3gpuE3ELNS1_3repE0EEENS1_47radix_sort_onesweep_sort_config_static_selectorELNS0_4arch9wavefront6targetE1EEEvSK_
    .private_segment_fixed_size: 0
    .sgpr_count:     6
    .sgpr_spill_count: 0
    .symbol:         _ZN7rocprim17ROCPRIM_400000_NS6detail17trampoline_kernelINS0_14default_configENS1_35radix_sort_onesweep_config_selectorIfNS0_10empty_typeEEEZZNS1_29radix_sort_onesweep_iterationIS3_Lb0EN6thrust23THRUST_200600_302600_NS6detail15normal_iteratorINS9_10device_ptrIfEEEESE_PS5_SF_jNS0_19identity_decomposerENS1_16block_id_wrapperIjLb0EEEEE10hipError_tT1_PNSt15iterator_traitsISK_E10value_typeET2_T3_PNSL_ISQ_E10value_typeET4_T5_PSV_SW_PNS1_23onesweep_lookback_stateEbbT6_jjT7_P12ihipStream_tbENKUlT_T0_SK_SP_E_clISE_SE_SF_SF_EEDaS13_S14_SK_SP_EUlS13_E_NS1_11comp_targetILNS1_3genE9ELNS1_11target_archE1100ELNS1_3gpuE3ELNS1_3repE0EEENS1_47radix_sort_onesweep_sort_config_static_selectorELNS0_4arch9wavefront6targetE1EEEvSK_.kd
    .uniform_work_group_size: 1
    .uses_dynamic_stack: false
    .vgpr_count:     0
    .vgpr_spill_count: 0
    .wavefront_size: 64
  - .agpr_count:     0
    .args:
      - .offset:         0
        .size:           88
        .value_kind:     by_value
    .group_segment_fixed_size: 0
    .kernarg_segment_align: 8
    .kernarg_segment_size: 88
    .language:       OpenCL C
    .language_version:
      - 2
      - 0
    .max_flat_workgroup_size: 1024
    .name:           _ZN7rocprim17ROCPRIM_400000_NS6detail17trampoline_kernelINS0_14default_configENS1_35radix_sort_onesweep_config_selectorIfNS0_10empty_typeEEEZZNS1_29radix_sort_onesweep_iterationIS3_Lb0EN6thrust23THRUST_200600_302600_NS6detail15normal_iteratorINS9_10device_ptrIfEEEESE_PS5_SF_jNS0_19identity_decomposerENS1_16block_id_wrapperIjLb0EEEEE10hipError_tT1_PNSt15iterator_traitsISK_E10value_typeET2_T3_PNSL_ISQ_E10value_typeET4_T5_PSV_SW_PNS1_23onesweep_lookback_stateEbbT6_jjT7_P12ihipStream_tbENKUlT_T0_SK_SP_E_clISE_SE_SF_SF_EEDaS13_S14_SK_SP_EUlS13_E_NS1_11comp_targetILNS1_3genE8ELNS1_11target_archE1030ELNS1_3gpuE2ELNS1_3repE0EEENS1_47radix_sort_onesweep_sort_config_static_selectorELNS0_4arch9wavefront6targetE1EEEvSK_
    .private_segment_fixed_size: 0
    .sgpr_count:     6
    .sgpr_spill_count: 0
    .symbol:         _ZN7rocprim17ROCPRIM_400000_NS6detail17trampoline_kernelINS0_14default_configENS1_35radix_sort_onesweep_config_selectorIfNS0_10empty_typeEEEZZNS1_29radix_sort_onesweep_iterationIS3_Lb0EN6thrust23THRUST_200600_302600_NS6detail15normal_iteratorINS9_10device_ptrIfEEEESE_PS5_SF_jNS0_19identity_decomposerENS1_16block_id_wrapperIjLb0EEEEE10hipError_tT1_PNSt15iterator_traitsISK_E10value_typeET2_T3_PNSL_ISQ_E10value_typeET4_T5_PSV_SW_PNS1_23onesweep_lookback_stateEbbT6_jjT7_P12ihipStream_tbENKUlT_T0_SK_SP_E_clISE_SE_SF_SF_EEDaS13_S14_SK_SP_EUlS13_E_NS1_11comp_targetILNS1_3genE8ELNS1_11target_archE1030ELNS1_3gpuE2ELNS1_3repE0EEENS1_47radix_sort_onesweep_sort_config_static_selectorELNS0_4arch9wavefront6targetE1EEEvSK_.kd
    .uniform_work_group_size: 1
    .uses_dynamic_stack: false
    .vgpr_count:     0
    .vgpr_spill_count: 0
    .wavefront_size: 64
  - .agpr_count:     0
    .args:
      - .offset:         0
        .size:           88
        .value_kind:     by_value
    .group_segment_fixed_size: 0
    .kernarg_segment_align: 8
    .kernarg_segment_size: 88
    .language:       OpenCL C
    .language_version:
      - 2
      - 0
    .max_flat_workgroup_size: 512
    .name:           _ZN7rocprim17ROCPRIM_400000_NS6detail17trampoline_kernelINS0_14default_configENS1_35radix_sort_onesweep_config_selectorIfNS0_10empty_typeEEEZZNS1_29radix_sort_onesweep_iterationIS3_Lb0EN6thrust23THRUST_200600_302600_NS6detail15normal_iteratorINS9_10device_ptrIfEEEESE_PS5_SF_jNS0_19identity_decomposerENS1_16block_id_wrapperIjLb0EEEEE10hipError_tT1_PNSt15iterator_traitsISK_E10value_typeET2_T3_PNSL_ISQ_E10value_typeET4_T5_PSV_SW_PNS1_23onesweep_lookback_stateEbbT6_jjT7_P12ihipStream_tbENKUlT_T0_SK_SP_E_clISE_PfSF_SF_EEDaS13_S14_SK_SP_EUlS13_E_NS1_11comp_targetILNS1_3genE0ELNS1_11target_archE4294967295ELNS1_3gpuE0ELNS1_3repE0EEENS1_47radix_sort_onesweep_sort_config_static_selectorELNS0_4arch9wavefront6targetE1EEEvSK_
    .private_segment_fixed_size: 0
    .sgpr_count:     6
    .sgpr_spill_count: 0
    .symbol:         _ZN7rocprim17ROCPRIM_400000_NS6detail17trampoline_kernelINS0_14default_configENS1_35radix_sort_onesweep_config_selectorIfNS0_10empty_typeEEEZZNS1_29radix_sort_onesweep_iterationIS3_Lb0EN6thrust23THRUST_200600_302600_NS6detail15normal_iteratorINS9_10device_ptrIfEEEESE_PS5_SF_jNS0_19identity_decomposerENS1_16block_id_wrapperIjLb0EEEEE10hipError_tT1_PNSt15iterator_traitsISK_E10value_typeET2_T3_PNSL_ISQ_E10value_typeET4_T5_PSV_SW_PNS1_23onesweep_lookback_stateEbbT6_jjT7_P12ihipStream_tbENKUlT_T0_SK_SP_E_clISE_PfSF_SF_EEDaS13_S14_SK_SP_EUlS13_E_NS1_11comp_targetILNS1_3genE0ELNS1_11target_archE4294967295ELNS1_3gpuE0ELNS1_3repE0EEENS1_47radix_sort_onesweep_sort_config_static_selectorELNS0_4arch9wavefront6targetE1EEEvSK_.kd
    .uniform_work_group_size: 1
    .uses_dynamic_stack: false
    .vgpr_count:     0
    .vgpr_spill_count: 0
    .wavefront_size: 64
  - .agpr_count:     0
    .args:
      - .offset:         0
        .size:           88
        .value_kind:     by_value
      - .offset:         88
        .size:           4
        .value_kind:     hidden_block_count_x
      - .offset:         92
        .size:           4
        .value_kind:     hidden_block_count_y
      - .offset:         96
        .size:           4
        .value_kind:     hidden_block_count_z
      - .offset:         100
        .size:           2
        .value_kind:     hidden_group_size_x
      - .offset:         102
        .size:           2
        .value_kind:     hidden_group_size_y
      - .offset:         104
        .size:           2
        .value_kind:     hidden_group_size_z
      - .offset:         106
        .size:           2
        .value_kind:     hidden_remainder_x
      - .offset:         108
        .size:           2
        .value_kind:     hidden_remainder_y
      - .offset:         110
        .size:           2
        .value_kind:     hidden_remainder_z
      - .offset:         128
        .size:           8
        .value_kind:     hidden_global_offset_x
      - .offset:         136
        .size:           8
        .value_kind:     hidden_global_offset_y
      - .offset:         144
        .size:           8
        .value_kind:     hidden_global_offset_z
      - .offset:         152
        .size:           2
        .value_kind:     hidden_grid_dims
    .group_segment_fixed_size: 20552
    .kernarg_segment_align: 8
    .kernarg_segment_size: 344
    .language:       OpenCL C
    .language_version:
      - 2
      - 0
    .max_flat_workgroup_size: 1024
    .name:           _ZN7rocprim17ROCPRIM_400000_NS6detail17trampoline_kernelINS0_14default_configENS1_35radix_sort_onesweep_config_selectorIfNS0_10empty_typeEEEZZNS1_29radix_sort_onesweep_iterationIS3_Lb0EN6thrust23THRUST_200600_302600_NS6detail15normal_iteratorINS9_10device_ptrIfEEEESE_PS5_SF_jNS0_19identity_decomposerENS1_16block_id_wrapperIjLb0EEEEE10hipError_tT1_PNSt15iterator_traitsISK_E10value_typeET2_T3_PNSL_ISQ_E10value_typeET4_T5_PSV_SW_PNS1_23onesweep_lookback_stateEbbT6_jjT7_P12ihipStream_tbENKUlT_T0_SK_SP_E_clISE_PfSF_SF_EEDaS13_S14_SK_SP_EUlS13_E_NS1_11comp_targetILNS1_3genE6ELNS1_11target_archE950ELNS1_3gpuE13ELNS1_3repE0EEENS1_47radix_sort_onesweep_sort_config_static_selectorELNS0_4arch9wavefront6targetE1EEEvSK_
    .private_segment_fixed_size: 0
    .sgpr_count:     38
    .sgpr_spill_count: 0
    .symbol:         _ZN7rocprim17ROCPRIM_400000_NS6detail17trampoline_kernelINS0_14default_configENS1_35radix_sort_onesweep_config_selectorIfNS0_10empty_typeEEEZZNS1_29radix_sort_onesweep_iterationIS3_Lb0EN6thrust23THRUST_200600_302600_NS6detail15normal_iteratorINS9_10device_ptrIfEEEESE_PS5_SF_jNS0_19identity_decomposerENS1_16block_id_wrapperIjLb0EEEEE10hipError_tT1_PNSt15iterator_traitsISK_E10value_typeET2_T3_PNSL_ISQ_E10value_typeET4_T5_PSV_SW_PNS1_23onesweep_lookback_stateEbbT6_jjT7_P12ihipStream_tbENKUlT_T0_SK_SP_E_clISE_PfSF_SF_EEDaS13_S14_SK_SP_EUlS13_E_NS1_11comp_targetILNS1_3genE6ELNS1_11target_archE950ELNS1_3gpuE13ELNS1_3repE0EEENS1_47radix_sort_onesweep_sort_config_static_selectorELNS0_4arch9wavefront6targetE1EEEvSK_.kd
    .uniform_work_group_size: 1
    .uses_dynamic_stack: false
    .vgpr_count:     46
    .vgpr_spill_count: 0
    .wavefront_size: 64
  - .agpr_count:     0
    .args:
      - .offset:         0
        .size:           88
        .value_kind:     by_value
    .group_segment_fixed_size: 0
    .kernarg_segment_align: 8
    .kernarg_segment_size: 88
    .language:       OpenCL C
    .language_version:
      - 2
      - 0
    .max_flat_workgroup_size: 1024
    .name:           _ZN7rocprim17ROCPRIM_400000_NS6detail17trampoline_kernelINS0_14default_configENS1_35radix_sort_onesweep_config_selectorIfNS0_10empty_typeEEEZZNS1_29radix_sort_onesweep_iterationIS3_Lb0EN6thrust23THRUST_200600_302600_NS6detail15normal_iteratorINS9_10device_ptrIfEEEESE_PS5_SF_jNS0_19identity_decomposerENS1_16block_id_wrapperIjLb0EEEEE10hipError_tT1_PNSt15iterator_traitsISK_E10value_typeET2_T3_PNSL_ISQ_E10value_typeET4_T5_PSV_SW_PNS1_23onesweep_lookback_stateEbbT6_jjT7_P12ihipStream_tbENKUlT_T0_SK_SP_E_clISE_PfSF_SF_EEDaS13_S14_SK_SP_EUlS13_E_NS1_11comp_targetILNS1_3genE5ELNS1_11target_archE942ELNS1_3gpuE9ELNS1_3repE0EEENS1_47radix_sort_onesweep_sort_config_static_selectorELNS0_4arch9wavefront6targetE1EEEvSK_
    .private_segment_fixed_size: 0
    .sgpr_count:     6
    .sgpr_spill_count: 0
    .symbol:         _ZN7rocprim17ROCPRIM_400000_NS6detail17trampoline_kernelINS0_14default_configENS1_35radix_sort_onesweep_config_selectorIfNS0_10empty_typeEEEZZNS1_29radix_sort_onesweep_iterationIS3_Lb0EN6thrust23THRUST_200600_302600_NS6detail15normal_iteratorINS9_10device_ptrIfEEEESE_PS5_SF_jNS0_19identity_decomposerENS1_16block_id_wrapperIjLb0EEEEE10hipError_tT1_PNSt15iterator_traitsISK_E10value_typeET2_T3_PNSL_ISQ_E10value_typeET4_T5_PSV_SW_PNS1_23onesweep_lookback_stateEbbT6_jjT7_P12ihipStream_tbENKUlT_T0_SK_SP_E_clISE_PfSF_SF_EEDaS13_S14_SK_SP_EUlS13_E_NS1_11comp_targetILNS1_3genE5ELNS1_11target_archE942ELNS1_3gpuE9ELNS1_3repE0EEENS1_47radix_sort_onesweep_sort_config_static_selectorELNS0_4arch9wavefront6targetE1EEEvSK_.kd
    .uniform_work_group_size: 1
    .uses_dynamic_stack: false
    .vgpr_count:     0
    .vgpr_spill_count: 0
    .wavefront_size: 64
  - .agpr_count:     0
    .args:
      - .offset:         0
        .size:           88
        .value_kind:     by_value
    .group_segment_fixed_size: 0
    .kernarg_segment_align: 8
    .kernarg_segment_size: 88
    .language:       OpenCL C
    .language_version:
      - 2
      - 0
    .max_flat_workgroup_size: 512
    .name:           _ZN7rocprim17ROCPRIM_400000_NS6detail17trampoline_kernelINS0_14default_configENS1_35radix_sort_onesweep_config_selectorIfNS0_10empty_typeEEEZZNS1_29radix_sort_onesweep_iterationIS3_Lb0EN6thrust23THRUST_200600_302600_NS6detail15normal_iteratorINS9_10device_ptrIfEEEESE_PS5_SF_jNS0_19identity_decomposerENS1_16block_id_wrapperIjLb0EEEEE10hipError_tT1_PNSt15iterator_traitsISK_E10value_typeET2_T3_PNSL_ISQ_E10value_typeET4_T5_PSV_SW_PNS1_23onesweep_lookback_stateEbbT6_jjT7_P12ihipStream_tbENKUlT_T0_SK_SP_E_clISE_PfSF_SF_EEDaS13_S14_SK_SP_EUlS13_E_NS1_11comp_targetILNS1_3genE2ELNS1_11target_archE906ELNS1_3gpuE6ELNS1_3repE0EEENS1_47radix_sort_onesweep_sort_config_static_selectorELNS0_4arch9wavefront6targetE1EEEvSK_
    .private_segment_fixed_size: 0
    .sgpr_count:     6
    .sgpr_spill_count: 0
    .symbol:         _ZN7rocprim17ROCPRIM_400000_NS6detail17trampoline_kernelINS0_14default_configENS1_35radix_sort_onesweep_config_selectorIfNS0_10empty_typeEEEZZNS1_29radix_sort_onesweep_iterationIS3_Lb0EN6thrust23THRUST_200600_302600_NS6detail15normal_iteratorINS9_10device_ptrIfEEEESE_PS5_SF_jNS0_19identity_decomposerENS1_16block_id_wrapperIjLb0EEEEE10hipError_tT1_PNSt15iterator_traitsISK_E10value_typeET2_T3_PNSL_ISQ_E10value_typeET4_T5_PSV_SW_PNS1_23onesweep_lookback_stateEbbT6_jjT7_P12ihipStream_tbENKUlT_T0_SK_SP_E_clISE_PfSF_SF_EEDaS13_S14_SK_SP_EUlS13_E_NS1_11comp_targetILNS1_3genE2ELNS1_11target_archE906ELNS1_3gpuE6ELNS1_3repE0EEENS1_47radix_sort_onesweep_sort_config_static_selectorELNS0_4arch9wavefront6targetE1EEEvSK_.kd
    .uniform_work_group_size: 1
    .uses_dynamic_stack: false
    .vgpr_count:     0
    .vgpr_spill_count: 0
    .wavefront_size: 64
  - .agpr_count:     0
    .args:
      - .offset:         0
        .size:           88
        .value_kind:     by_value
    .group_segment_fixed_size: 0
    .kernarg_segment_align: 8
    .kernarg_segment_size: 88
    .language:       OpenCL C
    .language_version:
      - 2
      - 0
    .max_flat_workgroup_size: 1024
    .name:           _ZN7rocprim17ROCPRIM_400000_NS6detail17trampoline_kernelINS0_14default_configENS1_35radix_sort_onesweep_config_selectorIfNS0_10empty_typeEEEZZNS1_29radix_sort_onesweep_iterationIS3_Lb0EN6thrust23THRUST_200600_302600_NS6detail15normal_iteratorINS9_10device_ptrIfEEEESE_PS5_SF_jNS0_19identity_decomposerENS1_16block_id_wrapperIjLb0EEEEE10hipError_tT1_PNSt15iterator_traitsISK_E10value_typeET2_T3_PNSL_ISQ_E10value_typeET4_T5_PSV_SW_PNS1_23onesweep_lookback_stateEbbT6_jjT7_P12ihipStream_tbENKUlT_T0_SK_SP_E_clISE_PfSF_SF_EEDaS13_S14_SK_SP_EUlS13_E_NS1_11comp_targetILNS1_3genE4ELNS1_11target_archE910ELNS1_3gpuE8ELNS1_3repE0EEENS1_47radix_sort_onesweep_sort_config_static_selectorELNS0_4arch9wavefront6targetE1EEEvSK_
    .private_segment_fixed_size: 0
    .sgpr_count:     6
    .sgpr_spill_count: 0
    .symbol:         _ZN7rocprim17ROCPRIM_400000_NS6detail17trampoline_kernelINS0_14default_configENS1_35radix_sort_onesweep_config_selectorIfNS0_10empty_typeEEEZZNS1_29radix_sort_onesweep_iterationIS3_Lb0EN6thrust23THRUST_200600_302600_NS6detail15normal_iteratorINS9_10device_ptrIfEEEESE_PS5_SF_jNS0_19identity_decomposerENS1_16block_id_wrapperIjLb0EEEEE10hipError_tT1_PNSt15iterator_traitsISK_E10value_typeET2_T3_PNSL_ISQ_E10value_typeET4_T5_PSV_SW_PNS1_23onesweep_lookback_stateEbbT6_jjT7_P12ihipStream_tbENKUlT_T0_SK_SP_E_clISE_PfSF_SF_EEDaS13_S14_SK_SP_EUlS13_E_NS1_11comp_targetILNS1_3genE4ELNS1_11target_archE910ELNS1_3gpuE8ELNS1_3repE0EEENS1_47radix_sort_onesweep_sort_config_static_selectorELNS0_4arch9wavefront6targetE1EEEvSK_.kd
    .uniform_work_group_size: 1
    .uses_dynamic_stack: false
    .vgpr_count:     0
    .vgpr_spill_count: 0
    .wavefront_size: 64
  - .agpr_count:     0
    .args:
      - .offset:         0
        .size:           88
        .value_kind:     by_value
    .group_segment_fixed_size: 0
    .kernarg_segment_align: 8
    .kernarg_segment_size: 88
    .language:       OpenCL C
    .language_version:
      - 2
      - 0
    .max_flat_workgroup_size: 512
    .name:           _ZN7rocprim17ROCPRIM_400000_NS6detail17trampoline_kernelINS0_14default_configENS1_35radix_sort_onesweep_config_selectorIfNS0_10empty_typeEEEZZNS1_29radix_sort_onesweep_iterationIS3_Lb0EN6thrust23THRUST_200600_302600_NS6detail15normal_iteratorINS9_10device_ptrIfEEEESE_PS5_SF_jNS0_19identity_decomposerENS1_16block_id_wrapperIjLb0EEEEE10hipError_tT1_PNSt15iterator_traitsISK_E10value_typeET2_T3_PNSL_ISQ_E10value_typeET4_T5_PSV_SW_PNS1_23onesweep_lookback_stateEbbT6_jjT7_P12ihipStream_tbENKUlT_T0_SK_SP_E_clISE_PfSF_SF_EEDaS13_S14_SK_SP_EUlS13_E_NS1_11comp_targetILNS1_3genE3ELNS1_11target_archE908ELNS1_3gpuE7ELNS1_3repE0EEENS1_47radix_sort_onesweep_sort_config_static_selectorELNS0_4arch9wavefront6targetE1EEEvSK_
    .private_segment_fixed_size: 0
    .sgpr_count:     6
    .sgpr_spill_count: 0
    .symbol:         _ZN7rocprim17ROCPRIM_400000_NS6detail17trampoline_kernelINS0_14default_configENS1_35radix_sort_onesweep_config_selectorIfNS0_10empty_typeEEEZZNS1_29radix_sort_onesweep_iterationIS3_Lb0EN6thrust23THRUST_200600_302600_NS6detail15normal_iteratorINS9_10device_ptrIfEEEESE_PS5_SF_jNS0_19identity_decomposerENS1_16block_id_wrapperIjLb0EEEEE10hipError_tT1_PNSt15iterator_traitsISK_E10value_typeET2_T3_PNSL_ISQ_E10value_typeET4_T5_PSV_SW_PNS1_23onesweep_lookback_stateEbbT6_jjT7_P12ihipStream_tbENKUlT_T0_SK_SP_E_clISE_PfSF_SF_EEDaS13_S14_SK_SP_EUlS13_E_NS1_11comp_targetILNS1_3genE3ELNS1_11target_archE908ELNS1_3gpuE7ELNS1_3repE0EEENS1_47radix_sort_onesweep_sort_config_static_selectorELNS0_4arch9wavefront6targetE1EEEvSK_.kd
    .uniform_work_group_size: 1
    .uses_dynamic_stack: false
    .vgpr_count:     0
    .vgpr_spill_count: 0
    .wavefront_size: 64
  - .agpr_count:     0
    .args:
      - .offset:         0
        .size:           88
        .value_kind:     by_value
    .group_segment_fixed_size: 0
    .kernarg_segment_align: 8
    .kernarg_segment_size: 88
    .language:       OpenCL C
    .language_version:
      - 2
      - 0
    .max_flat_workgroup_size: 512
    .name:           _ZN7rocprim17ROCPRIM_400000_NS6detail17trampoline_kernelINS0_14default_configENS1_35radix_sort_onesweep_config_selectorIfNS0_10empty_typeEEEZZNS1_29radix_sort_onesweep_iterationIS3_Lb0EN6thrust23THRUST_200600_302600_NS6detail15normal_iteratorINS9_10device_ptrIfEEEESE_PS5_SF_jNS0_19identity_decomposerENS1_16block_id_wrapperIjLb0EEEEE10hipError_tT1_PNSt15iterator_traitsISK_E10value_typeET2_T3_PNSL_ISQ_E10value_typeET4_T5_PSV_SW_PNS1_23onesweep_lookback_stateEbbT6_jjT7_P12ihipStream_tbENKUlT_T0_SK_SP_E_clISE_PfSF_SF_EEDaS13_S14_SK_SP_EUlS13_E_NS1_11comp_targetILNS1_3genE10ELNS1_11target_archE1201ELNS1_3gpuE5ELNS1_3repE0EEENS1_47radix_sort_onesweep_sort_config_static_selectorELNS0_4arch9wavefront6targetE1EEEvSK_
    .private_segment_fixed_size: 0
    .sgpr_count:     6
    .sgpr_spill_count: 0
    .symbol:         _ZN7rocprim17ROCPRIM_400000_NS6detail17trampoline_kernelINS0_14default_configENS1_35radix_sort_onesweep_config_selectorIfNS0_10empty_typeEEEZZNS1_29radix_sort_onesweep_iterationIS3_Lb0EN6thrust23THRUST_200600_302600_NS6detail15normal_iteratorINS9_10device_ptrIfEEEESE_PS5_SF_jNS0_19identity_decomposerENS1_16block_id_wrapperIjLb0EEEEE10hipError_tT1_PNSt15iterator_traitsISK_E10value_typeET2_T3_PNSL_ISQ_E10value_typeET4_T5_PSV_SW_PNS1_23onesweep_lookback_stateEbbT6_jjT7_P12ihipStream_tbENKUlT_T0_SK_SP_E_clISE_PfSF_SF_EEDaS13_S14_SK_SP_EUlS13_E_NS1_11comp_targetILNS1_3genE10ELNS1_11target_archE1201ELNS1_3gpuE5ELNS1_3repE0EEENS1_47radix_sort_onesweep_sort_config_static_selectorELNS0_4arch9wavefront6targetE1EEEvSK_.kd
    .uniform_work_group_size: 1
    .uses_dynamic_stack: false
    .vgpr_count:     0
    .vgpr_spill_count: 0
    .wavefront_size: 64
  - .agpr_count:     0
    .args:
      - .offset:         0
        .size:           88
        .value_kind:     by_value
    .group_segment_fixed_size: 0
    .kernarg_segment_align: 8
    .kernarg_segment_size: 88
    .language:       OpenCL C
    .language_version:
      - 2
      - 0
    .max_flat_workgroup_size: 1024
    .name:           _ZN7rocprim17ROCPRIM_400000_NS6detail17trampoline_kernelINS0_14default_configENS1_35radix_sort_onesweep_config_selectorIfNS0_10empty_typeEEEZZNS1_29radix_sort_onesweep_iterationIS3_Lb0EN6thrust23THRUST_200600_302600_NS6detail15normal_iteratorINS9_10device_ptrIfEEEESE_PS5_SF_jNS0_19identity_decomposerENS1_16block_id_wrapperIjLb0EEEEE10hipError_tT1_PNSt15iterator_traitsISK_E10value_typeET2_T3_PNSL_ISQ_E10value_typeET4_T5_PSV_SW_PNS1_23onesweep_lookback_stateEbbT6_jjT7_P12ihipStream_tbENKUlT_T0_SK_SP_E_clISE_PfSF_SF_EEDaS13_S14_SK_SP_EUlS13_E_NS1_11comp_targetILNS1_3genE9ELNS1_11target_archE1100ELNS1_3gpuE3ELNS1_3repE0EEENS1_47radix_sort_onesweep_sort_config_static_selectorELNS0_4arch9wavefront6targetE1EEEvSK_
    .private_segment_fixed_size: 0
    .sgpr_count:     6
    .sgpr_spill_count: 0
    .symbol:         _ZN7rocprim17ROCPRIM_400000_NS6detail17trampoline_kernelINS0_14default_configENS1_35radix_sort_onesweep_config_selectorIfNS0_10empty_typeEEEZZNS1_29radix_sort_onesweep_iterationIS3_Lb0EN6thrust23THRUST_200600_302600_NS6detail15normal_iteratorINS9_10device_ptrIfEEEESE_PS5_SF_jNS0_19identity_decomposerENS1_16block_id_wrapperIjLb0EEEEE10hipError_tT1_PNSt15iterator_traitsISK_E10value_typeET2_T3_PNSL_ISQ_E10value_typeET4_T5_PSV_SW_PNS1_23onesweep_lookback_stateEbbT6_jjT7_P12ihipStream_tbENKUlT_T0_SK_SP_E_clISE_PfSF_SF_EEDaS13_S14_SK_SP_EUlS13_E_NS1_11comp_targetILNS1_3genE9ELNS1_11target_archE1100ELNS1_3gpuE3ELNS1_3repE0EEENS1_47radix_sort_onesweep_sort_config_static_selectorELNS0_4arch9wavefront6targetE1EEEvSK_.kd
    .uniform_work_group_size: 1
    .uses_dynamic_stack: false
    .vgpr_count:     0
    .vgpr_spill_count: 0
    .wavefront_size: 64
  - .agpr_count:     0
    .args:
      - .offset:         0
        .size:           88
        .value_kind:     by_value
    .group_segment_fixed_size: 0
    .kernarg_segment_align: 8
    .kernarg_segment_size: 88
    .language:       OpenCL C
    .language_version:
      - 2
      - 0
    .max_flat_workgroup_size: 1024
    .name:           _ZN7rocprim17ROCPRIM_400000_NS6detail17trampoline_kernelINS0_14default_configENS1_35radix_sort_onesweep_config_selectorIfNS0_10empty_typeEEEZZNS1_29radix_sort_onesweep_iterationIS3_Lb0EN6thrust23THRUST_200600_302600_NS6detail15normal_iteratorINS9_10device_ptrIfEEEESE_PS5_SF_jNS0_19identity_decomposerENS1_16block_id_wrapperIjLb0EEEEE10hipError_tT1_PNSt15iterator_traitsISK_E10value_typeET2_T3_PNSL_ISQ_E10value_typeET4_T5_PSV_SW_PNS1_23onesweep_lookback_stateEbbT6_jjT7_P12ihipStream_tbENKUlT_T0_SK_SP_E_clISE_PfSF_SF_EEDaS13_S14_SK_SP_EUlS13_E_NS1_11comp_targetILNS1_3genE8ELNS1_11target_archE1030ELNS1_3gpuE2ELNS1_3repE0EEENS1_47radix_sort_onesweep_sort_config_static_selectorELNS0_4arch9wavefront6targetE1EEEvSK_
    .private_segment_fixed_size: 0
    .sgpr_count:     6
    .sgpr_spill_count: 0
    .symbol:         _ZN7rocprim17ROCPRIM_400000_NS6detail17trampoline_kernelINS0_14default_configENS1_35radix_sort_onesweep_config_selectorIfNS0_10empty_typeEEEZZNS1_29radix_sort_onesweep_iterationIS3_Lb0EN6thrust23THRUST_200600_302600_NS6detail15normal_iteratorINS9_10device_ptrIfEEEESE_PS5_SF_jNS0_19identity_decomposerENS1_16block_id_wrapperIjLb0EEEEE10hipError_tT1_PNSt15iterator_traitsISK_E10value_typeET2_T3_PNSL_ISQ_E10value_typeET4_T5_PSV_SW_PNS1_23onesweep_lookback_stateEbbT6_jjT7_P12ihipStream_tbENKUlT_T0_SK_SP_E_clISE_PfSF_SF_EEDaS13_S14_SK_SP_EUlS13_E_NS1_11comp_targetILNS1_3genE8ELNS1_11target_archE1030ELNS1_3gpuE2ELNS1_3repE0EEENS1_47radix_sort_onesweep_sort_config_static_selectorELNS0_4arch9wavefront6targetE1EEEvSK_.kd
    .uniform_work_group_size: 1
    .uses_dynamic_stack: false
    .vgpr_count:     0
    .vgpr_spill_count: 0
    .wavefront_size: 64
  - .agpr_count:     0
    .args:
      - .offset:         0
        .size:           88
        .value_kind:     by_value
    .group_segment_fixed_size: 0
    .kernarg_segment_align: 8
    .kernarg_segment_size: 88
    .language:       OpenCL C
    .language_version:
      - 2
      - 0
    .max_flat_workgroup_size: 512
    .name:           _ZN7rocprim17ROCPRIM_400000_NS6detail17trampoline_kernelINS0_14default_configENS1_35radix_sort_onesweep_config_selectorIfNS0_10empty_typeEEEZZNS1_29radix_sort_onesweep_iterationIS3_Lb0EN6thrust23THRUST_200600_302600_NS6detail15normal_iteratorINS9_10device_ptrIfEEEESE_PS5_SF_jNS0_19identity_decomposerENS1_16block_id_wrapperIjLb0EEEEE10hipError_tT1_PNSt15iterator_traitsISK_E10value_typeET2_T3_PNSL_ISQ_E10value_typeET4_T5_PSV_SW_PNS1_23onesweep_lookback_stateEbbT6_jjT7_P12ihipStream_tbENKUlT_T0_SK_SP_E_clIPfSE_SF_SF_EEDaS13_S14_SK_SP_EUlS13_E_NS1_11comp_targetILNS1_3genE0ELNS1_11target_archE4294967295ELNS1_3gpuE0ELNS1_3repE0EEENS1_47radix_sort_onesweep_sort_config_static_selectorELNS0_4arch9wavefront6targetE1EEEvSK_
    .private_segment_fixed_size: 0
    .sgpr_count:     6
    .sgpr_spill_count: 0
    .symbol:         _ZN7rocprim17ROCPRIM_400000_NS6detail17trampoline_kernelINS0_14default_configENS1_35radix_sort_onesweep_config_selectorIfNS0_10empty_typeEEEZZNS1_29radix_sort_onesweep_iterationIS3_Lb0EN6thrust23THRUST_200600_302600_NS6detail15normal_iteratorINS9_10device_ptrIfEEEESE_PS5_SF_jNS0_19identity_decomposerENS1_16block_id_wrapperIjLb0EEEEE10hipError_tT1_PNSt15iterator_traitsISK_E10value_typeET2_T3_PNSL_ISQ_E10value_typeET4_T5_PSV_SW_PNS1_23onesweep_lookback_stateEbbT6_jjT7_P12ihipStream_tbENKUlT_T0_SK_SP_E_clIPfSE_SF_SF_EEDaS13_S14_SK_SP_EUlS13_E_NS1_11comp_targetILNS1_3genE0ELNS1_11target_archE4294967295ELNS1_3gpuE0ELNS1_3repE0EEENS1_47radix_sort_onesweep_sort_config_static_selectorELNS0_4arch9wavefront6targetE1EEEvSK_.kd
    .uniform_work_group_size: 1
    .uses_dynamic_stack: false
    .vgpr_count:     0
    .vgpr_spill_count: 0
    .wavefront_size: 64
  - .agpr_count:     0
    .args:
      - .offset:         0
        .size:           88
        .value_kind:     by_value
      - .offset:         88
        .size:           4
        .value_kind:     hidden_block_count_x
      - .offset:         92
        .size:           4
        .value_kind:     hidden_block_count_y
      - .offset:         96
        .size:           4
        .value_kind:     hidden_block_count_z
      - .offset:         100
        .size:           2
        .value_kind:     hidden_group_size_x
      - .offset:         102
        .size:           2
        .value_kind:     hidden_group_size_y
      - .offset:         104
        .size:           2
        .value_kind:     hidden_group_size_z
      - .offset:         106
        .size:           2
        .value_kind:     hidden_remainder_x
      - .offset:         108
        .size:           2
        .value_kind:     hidden_remainder_y
      - .offset:         110
        .size:           2
        .value_kind:     hidden_remainder_z
      - .offset:         128
        .size:           8
        .value_kind:     hidden_global_offset_x
      - .offset:         136
        .size:           8
        .value_kind:     hidden_global_offset_y
      - .offset:         144
        .size:           8
        .value_kind:     hidden_global_offset_z
      - .offset:         152
        .size:           2
        .value_kind:     hidden_grid_dims
    .group_segment_fixed_size: 20552
    .kernarg_segment_align: 8
    .kernarg_segment_size: 344
    .language:       OpenCL C
    .language_version:
      - 2
      - 0
    .max_flat_workgroup_size: 1024
    .name:           _ZN7rocprim17ROCPRIM_400000_NS6detail17trampoline_kernelINS0_14default_configENS1_35radix_sort_onesweep_config_selectorIfNS0_10empty_typeEEEZZNS1_29radix_sort_onesweep_iterationIS3_Lb0EN6thrust23THRUST_200600_302600_NS6detail15normal_iteratorINS9_10device_ptrIfEEEESE_PS5_SF_jNS0_19identity_decomposerENS1_16block_id_wrapperIjLb0EEEEE10hipError_tT1_PNSt15iterator_traitsISK_E10value_typeET2_T3_PNSL_ISQ_E10value_typeET4_T5_PSV_SW_PNS1_23onesweep_lookback_stateEbbT6_jjT7_P12ihipStream_tbENKUlT_T0_SK_SP_E_clIPfSE_SF_SF_EEDaS13_S14_SK_SP_EUlS13_E_NS1_11comp_targetILNS1_3genE6ELNS1_11target_archE950ELNS1_3gpuE13ELNS1_3repE0EEENS1_47radix_sort_onesweep_sort_config_static_selectorELNS0_4arch9wavefront6targetE1EEEvSK_
    .private_segment_fixed_size: 0
    .sgpr_count:     38
    .sgpr_spill_count: 0
    .symbol:         _ZN7rocprim17ROCPRIM_400000_NS6detail17trampoline_kernelINS0_14default_configENS1_35radix_sort_onesweep_config_selectorIfNS0_10empty_typeEEEZZNS1_29radix_sort_onesweep_iterationIS3_Lb0EN6thrust23THRUST_200600_302600_NS6detail15normal_iteratorINS9_10device_ptrIfEEEESE_PS5_SF_jNS0_19identity_decomposerENS1_16block_id_wrapperIjLb0EEEEE10hipError_tT1_PNSt15iterator_traitsISK_E10value_typeET2_T3_PNSL_ISQ_E10value_typeET4_T5_PSV_SW_PNS1_23onesweep_lookback_stateEbbT6_jjT7_P12ihipStream_tbENKUlT_T0_SK_SP_E_clIPfSE_SF_SF_EEDaS13_S14_SK_SP_EUlS13_E_NS1_11comp_targetILNS1_3genE6ELNS1_11target_archE950ELNS1_3gpuE13ELNS1_3repE0EEENS1_47radix_sort_onesweep_sort_config_static_selectorELNS0_4arch9wavefront6targetE1EEEvSK_.kd
    .uniform_work_group_size: 1
    .uses_dynamic_stack: false
    .vgpr_count:     46
    .vgpr_spill_count: 0
    .wavefront_size: 64
  - .agpr_count:     0
    .args:
      - .offset:         0
        .size:           88
        .value_kind:     by_value
    .group_segment_fixed_size: 0
    .kernarg_segment_align: 8
    .kernarg_segment_size: 88
    .language:       OpenCL C
    .language_version:
      - 2
      - 0
    .max_flat_workgroup_size: 1024
    .name:           _ZN7rocprim17ROCPRIM_400000_NS6detail17trampoline_kernelINS0_14default_configENS1_35radix_sort_onesweep_config_selectorIfNS0_10empty_typeEEEZZNS1_29radix_sort_onesweep_iterationIS3_Lb0EN6thrust23THRUST_200600_302600_NS6detail15normal_iteratorINS9_10device_ptrIfEEEESE_PS5_SF_jNS0_19identity_decomposerENS1_16block_id_wrapperIjLb0EEEEE10hipError_tT1_PNSt15iterator_traitsISK_E10value_typeET2_T3_PNSL_ISQ_E10value_typeET4_T5_PSV_SW_PNS1_23onesweep_lookback_stateEbbT6_jjT7_P12ihipStream_tbENKUlT_T0_SK_SP_E_clIPfSE_SF_SF_EEDaS13_S14_SK_SP_EUlS13_E_NS1_11comp_targetILNS1_3genE5ELNS1_11target_archE942ELNS1_3gpuE9ELNS1_3repE0EEENS1_47radix_sort_onesweep_sort_config_static_selectorELNS0_4arch9wavefront6targetE1EEEvSK_
    .private_segment_fixed_size: 0
    .sgpr_count:     6
    .sgpr_spill_count: 0
    .symbol:         _ZN7rocprim17ROCPRIM_400000_NS6detail17trampoline_kernelINS0_14default_configENS1_35radix_sort_onesweep_config_selectorIfNS0_10empty_typeEEEZZNS1_29radix_sort_onesweep_iterationIS3_Lb0EN6thrust23THRUST_200600_302600_NS6detail15normal_iteratorINS9_10device_ptrIfEEEESE_PS5_SF_jNS0_19identity_decomposerENS1_16block_id_wrapperIjLb0EEEEE10hipError_tT1_PNSt15iterator_traitsISK_E10value_typeET2_T3_PNSL_ISQ_E10value_typeET4_T5_PSV_SW_PNS1_23onesweep_lookback_stateEbbT6_jjT7_P12ihipStream_tbENKUlT_T0_SK_SP_E_clIPfSE_SF_SF_EEDaS13_S14_SK_SP_EUlS13_E_NS1_11comp_targetILNS1_3genE5ELNS1_11target_archE942ELNS1_3gpuE9ELNS1_3repE0EEENS1_47radix_sort_onesweep_sort_config_static_selectorELNS0_4arch9wavefront6targetE1EEEvSK_.kd
    .uniform_work_group_size: 1
    .uses_dynamic_stack: false
    .vgpr_count:     0
    .vgpr_spill_count: 0
    .wavefront_size: 64
  - .agpr_count:     0
    .args:
      - .offset:         0
        .size:           88
        .value_kind:     by_value
    .group_segment_fixed_size: 0
    .kernarg_segment_align: 8
    .kernarg_segment_size: 88
    .language:       OpenCL C
    .language_version:
      - 2
      - 0
    .max_flat_workgroup_size: 512
    .name:           _ZN7rocprim17ROCPRIM_400000_NS6detail17trampoline_kernelINS0_14default_configENS1_35radix_sort_onesweep_config_selectorIfNS0_10empty_typeEEEZZNS1_29radix_sort_onesweep_iterationIS3_Lb0EN6thrust23THRUST_200600_302600_NS6detail15normal_iteratorINS9_10device_ptrIfEEEESE_PS5_SF_jNS0_19identity_decomposerENS1_16block_id_wrapperIjLb0EEEEE10hipError_tT1_PNSt15iterator_traitsISK_E10value_typeET2_T3_PNSL_ISQ_E10value_typeET4_T5_PSV_SW_PNS1_23onesweep_lookback_stateEbbT6_jjT7_P12ihipStream_tbENKUlT_T0_SK_SP_E_clIPfSE_SF_SF_EEDaS13_S14_SK_SP_EUlS13_E_NS1_11comp_targetILNS1_3genE2ELNS1_11target_archE906ELNS1_3gpuE6ELNS1_3repE0EEENS1_47radix_sort_onesweep_sort_config_static_selectorELNS0_4arch9wavefront6targetE1EEEvSK_
    .private_segment_fixed_size: 0
    .sgpr_count:     6
    .sgpr_spill_count: 0
    .symbol:         _ZN7rocprim17ROCPRIM_400000_NS6detail17trampoline_kernelINS0_14default_configENS1_35radix_sort_onesweep_config_selectorIfNS0_10empty_typeEEEZZNS1_29radix_sort_onesweep_iterationIS3_Lb0EN6thrust23THRUST_200600_302600_NS6detail15normal_iteratorINS9_10device_ptrIfEEEESE_PS5_SF_jNS0_19identity_decomposerENS1_16block_id_wrapperIjLb0EEEEE10hipError_tT1_PNSt15iterator_traitsISK_E10value_typeET2_T3_PNSL_ISQ_E10value_typeET4_T5_PSV_SW_PNS1_23onesweep_lookback_stateEbbT6_jjT7_P12ihipStream_tbENKUlT_T0_SK_SP_E_clIPfSE_SF_SF_EEDaS13_S14_SK_SP_EUlS13_E_NS1_11comp_targetILNS1_3genE2ELNS1_11target_archE906ELNS1_3gpuE6ELNS1_3repE0EEENS1_47radix_sort_onesweep_sort_config_static_selectorELNS0_4arch9wavefront6targetE1EEEvSK_.kd
    .uniform_work_group_size: 1
    .uses_dynamic_stack: false
    .vgpr_count:     0
    .vgpr_spill_count: 0
    .wavefront_size: 64
  - .agpr_count:     0
    .args:
      - .offset:         0
        .size:           88
        .value_kind:     by_value
    .group_segment_fixed_size: 0
    .kernarg_segment_align: 8
    .kernarg_segment_size: 88
    .language:       OpenCL C
    .language_version:
      - 2
      - 0
    .max_flat_workgroup_size: 1024
    .name:           _ZN7rocprim17ROCPRIM_400000_NS6detail17trampoline_kernelINS0_14default_configENS1_35radix_sort_onesweep_config_selectorIfNS0_10empty_typeEEEZZNS1_29radix_sort_onesweep_iterationIS3_Lb0EN6thrust23THRUST_200600_302600_NS6detail15normal_iteratorINS9_10device_ptrIfEEEESE_PS5_SF_jNS0_19identity_decomposerENS1_16block_id_wrapperIjLb0EEEEE10hipError_tT1_PNSt15iterator_traitsISK_E10value_typeET2_T3_PNSL_ISQ_E10value_typeET4_T5_PSV_SW_PNS1_23onesweep_lookback_stateEbbT6_jjT7_P12ihipStream_tbENKUlT_T0_SK_SP_E_clIPfSE_SF_SF_EEDaS13_S14_SK_SP_EUlS13_E_NS1_11comp_targetILNS1_3genE4ELNS1_11target_archE910ELNS1_3gpuE8ELNS1_3repE0EEENS1_47radix_sort_onesweep_sort_config_static_selectorELNS0_4arch9wavefront6targetE1EEEvSK_
    .private_segment_fixed_size: 0
    .sgpr_count:     6
    .sgpr_spill_count: 0
    .symbol:         _ZN7rocprim17ROCPRIM_400000_NS6detail17trampoline_kernelINS0_14default_configENS1_35radix_sort_onesweep_config_selectorIfNS0_10empty_typeEEEZZNS1_29radix_sort_onesweep_iterationIS3_Lb0EN6thrust23THRUST_200600_302600_NS6detail15normal_iteratorINS9_10device_ptrIfEEEESE_PS5_SF_jNS0_19identity_decomposerENS1_16block_id_wrapperIjLb0EEEEE10hipError_tT1_PNSt15iterator_traitsISK_E10value_typeET2_T3_PNSL_ISQ_E10value_typeET4_T5_PSV_SW_PNS1_23onesweep_lookback_stateEbbT6_jjT7_P12ihipStream_tbENKUlT_T0_SK_SP_E_clIPfSE_SF_SF_EEDaS13_S14_SK_SP_EUlS13_E_NS1_11comp_targetILNS1_3genE4ELNS1_11target_archE910ELNS1_3gpuE8ELNS1_3repE0EEENS1_47radix_sort_onesweep_sort_config_static_selectorELNS0_4arch9wavefront6targetE1EEEvSK_.kd
    .uniform_work_group_size: 1
    .uses_dynamic_stack: false
    .vgpr_count:     0
    .vgpr_spill_count: 0
    .wavefront_size: 64
  - .agpr_count:     0
    .args:
      - .offset:         0
        .size:           88
        .value_kind:     by_value
    .group_segment_fixed_size: 0
    .kernarg_segment_align: 8
    .kernarg_segment_size: 88
    .language:       OpenCL C
    .language_version:
      - 2
      - 0
    .max_flat_workgroup_size: 512
    .name:           _ZN7rocprim17ROCPRIM_400000_NS6detail17trampoline_kernelINS0_14default_configENS1_35radix_sort_onesweep_config_selectorIfNS0_10empty_typeEEEZZNS1_29radix_sort_onesweep_iterationIS3_Lb0EN6thrust23THRUST_200600_302600_NS6detail15normal_iteratorINS9_10device_ptrIfEEEESE_PS5_SF_jNS0_19identity_decomposerENS1_16block_id_wrapperIjLb0EEEEE10hipError_tT1_PNSt15iterator_traitsISK_E10value_typeET2_T3_PNSL_ISQ_E10value_typeET4_T5_PSV_SW_PNS1_23onesweep_lookback_stateEbbT6_jjT7_P12ihipStream_tbENKUlT_T0_SK_SP_E_clIPfSE_SF_SF_EEDaS13_S14_SK_SP_EUlS13_E_NS1_11comp_targetILNS1_3genE3ELNS1_11target_archE908ELNS1_3gpuE7ELNS1_3repE0EEENS1_47radix_sort_onesweep_sort_config_static_selectorELNS0_4arch9wavefront6targetE1EEEvSK_
    .private_segment_fixed_size: 0
    .sgpr_count:     6
    .sgpr_spill_count: 0
    .symbol:         _ZN7rocprim17ROCPRIM_400000_NS6detail17trampoline_kernelINS0_14default_configENS1_35radix_sort_onesweep_config_selectorIfNS0_10empty_typeEEEZZNS1_29radix_sort_onesweep_iterationIS3_Lb0EN6thrust23THRUST_200600_302600_NS6detail15normal_iteratorINS9_10device_ptrIfEEEESE_PS5_SF_jNS0_19identity_decomposerENS1_16block_id_wrapperIjLb0EEEEE10hipError_tT1_PNSt15iterator_traitsISK_E10value_typeET2_T3_PNSL_ISQ_E10value_typeET4_T5_PSV_SW_PNS1_23onesweep_lookback_stateEbbT6_jjT7_P12ihipStream_tbENKUlT_T0_SK_SP_E_clIPfSE_SF_SF_EEDaS13_S14_SK_SP_EUlS13_E_NS1_11comp_targetILNS1_3genE3ELNS1_11target_archE908ELNS1_3gpuE7ELNS1_3repE0EEENS1_47radix_sort_onesweep_sort_config_static_selectorELNS0_4arch9wavefront6targetE1EEEvSK_.kd
    .uniform_work_group_size: 1
    .uses_dynamic_stack: false
    .vgpr_count:     0
    .vgpr_spill_count: 0
    .wavefront_size: 64
  - .agpr_count:     0
    .args:
      - .offset:         0
        .size:           88
        .value_kind:     by_value
    .group_segment_fixed_size: 0
    .kernarg_segment_align: 8
    .kernarg_segment_size: 88
    .language:       OpenCL C
    .language_version:
      - 2
      - 0
    .max_flat_workgroup_size: 512
    .name:           _ZN7rocprim17ROCPRIM_400000_NS6detail17trampoline_kernelINS0_14default_configENS1_35radix_sort_onesweep_config_selectorIfNS0_10empty_typeEEEZZNS1_29radix_sort_onesweep_iterationIS3_Lb0EN6thrust23THRUST_200600_302600_NS6detail15normal_iteratorINS9_10device_ptrIfEEEESE_PS5_SF_jNS0_19identity_decomposerENS1_16block_id_wrapperIjLb0EEEEE10hipError_tT1_PNSt15iterator_traitsISK_E10value_typeET2_T3_PNSL_ISQ_E10value_typeET4_T5_PSV_SW_PNS1_23onesweep_lookback_stateEbbT6_jjT7_P12ihipStream_tbENKUlT_T0_SK_SP_E_clIPfSE_SF_SF_EEDaS13_S14_SK_SP_EUlS13_E_NS1_11comp_targetILNS1_3genE10ELNS1_11target_archE1201ELNS1_3gpuE5ELNS1_3repE0EEENS1_47radix_sort_onesweep_sort_config_static_selectorELNS0_4arch9wavefront6targetE1EEEvSK_
    .private_segment_fixed_size: 0
    .sgpr_count:     6
    .sgpr_spill_count: 0
    .symbol:         _ZN7rocprim17ROCPRIM_400000_NS6detail17trampoline_kernelINS0_14default_configENS1_35radix_sort_onesweep_config_selectorIfNS0_10empty_typeEEEZZNS1_29radix_sort_onesweep_iterationIS3_Lb0EN6thrust23THRUST_200600_302600_NS6detail15normal_iteratorINS9_10device_ptrIfEEEESE_PS5_SF_jNS0_19identity_decomposerENS1_16block_id_wrapperIjLb0EEEEE10hipError_tT1_PNSt15iterator_traitsISK_E10value_typeET2_T3_PNSL_ISQ_E10value_typeET4_T5_PSV_SW_PNS1_23onesweep_lookback_stateEbbT6_jjT7_P12ihipStream_tbENKUlT_T0_SK_SP_E_clIPfSE_SF_SF_EEDaS13_S14_SK_SP_EUlS13_E_NS1_11comp_targetILNS1_3genE10ELNS1_11target_archE1201ELNS1_3gpuE5ELNS1_3repE0EEENS1_47radix_sort_onesweep_sort_config_static_selectorELNS0_4arch9wavefront6targetE1EEEvSK_.kd
    .uniform_work_group_size: 1
    .uses_dynamic_stack: false
    .vgpr_count:     0
    .vgpr_spill_count: 0
    .wavefront_size: 64
  - .agpr_count:     0
    .args:
      - .offset:         0
        .size:           88
        .value_kind:     by_value
    .group_segment_fixed_size: 0
    .kernarg_segment_align: 8
    .kernarg_segment_size: 88
    .language:       OpenCL C
    .language_version:
      - 2
      - 0
    .max_flat_workgroup_size: 1024
    .name:           _ZN7rocprim17ROCPRIM_400000_NS6detail17trampoline_kernelINS0_14default_configENS1_35radix_sort_onesweep_config_selectorIfNS0_10empty_typeEEEZZNS1_29radix_sort_onesweep_iterationIS3_Lb0EN6thrust23THRUST_200600_302600_NS6detail15normal_iteratorINS9_10device_ptrIfEEEESE_PS5_SF_jNS0_19identity_decomposerENS1_16block_id_wrapperIjLb0EEEEE10hipError_tT1_PNSt15iterator_traitsISK_E10value_typeET2_T3_PNSL_ISQ_E10value_typeET4_T5_PSV_SW_PNS1_23onesweep_lookback_stateEbbT6_jjT7_P12ihipStream_tbENKUlT_T0_SK_SP_E_clIPfSE_SF_SF_EEDaS13_S14_SK_SP_EUlS13_E_NS1_11comp_targetILNS1_3genE9ELNS1_11target_archE1100ELNS1_3gpuE3ELNS1_3repE0EEENS1_47radix_sort_onesweep_sort_config_static_selectorELNS0_4arch9wavefront6targetE1EEEvSK_
    .private_segment_fixed_size: 0
    .sgpr_count:     6
    .sgpr_spill_count: 0
    .symbol:         _ZN7rocprim17ROCPRIM_400000_NS6detail17trampoline_kernelINS0_14default_configENS1_35radix_sort_onesweep_config_selectorIfNS0_10empty_typeEEEZZNS1_29radix_sort_onesweep_iterationIS3_Lb0EN6thrust23THRUST_200600_302600_NS6detail15normal_iteratorINS9_10device_ptrIfEEEESE_PS5_SF_jNS0_19identity_decomposerENS1_16block_id_wrapperIjLb0EEEEE10hipError_tT1_PNSt15iterator_traitsISK_E10value_typeET2_T3_PNSL_ISQ_E10value_typeET4_T5_PSV_SW_PNS1_23onesweep_lookback_stateEbbT6_jjT7_P12ihipStream_tbENKUlT_T0_SK_SP_E_clIPfSE_SF_SF_EEDaS13_S14_SK_SP_EUlS13_E_NS1_11comp_targetILNS1_3genE9ELNS1_11target_archE1100ELNS1_3gpuE3ELNS1_3repE0EEENS1_47radix_sort_onesweep_sort_config_static_selectorELNS0_4arch9wavefront6targetE1EEEvSK_.kd
    .uniform_work_group_size: 1
    .uses_dynamic_stack: false
    .vgpr_count:     0
    .vgpr_spill_count: 0
    .wavefront_size: 64
  - .agpr_count:     0
    .args:
      - .offset:         0
        .size:           88
        .value_kind:     by_value
    .group_segment_fixed_size: 0
    .kernarg_segment_align: 8
    .kernarg_segment_size: 88
    .language:       OpenCL C
    .language_version:
      - 2
      - 0
    .max_flat_workgroup_size: 1024
    .name:           _ZN7rocprim17ROCPRIM_400000_NS6detail17trampoline_kernelINS0_14default_configENS1_35radix_sort_onesweep_config_selectorIfNS0_10empty_typeEEEZZNS1_29radix_sort_onesweep_iterationIS3_Lb0EN6thrust23THRUST_200600_302600_NS6detail15normal_iteratorINS9_10device_ptrIfEEEESE_PS5_SF_jNS0_19identity_decomposerENS1_16block_id_wrapperIjLb0EEEEE10hipError_tT1_PNSt15iterator_traitsISK_E10value_typeET2_T3_PNSL_ISQ_E10value_typeET4_T5_PSV_SW_PNS1_23onesweep_lookback_stateEbbT6_jjT7_P12ihipStream_tbENKUlT_T0_SK_SP_E_clIPfSE_SF_SF_EEDaS13_S14_SK_SP_EUlS13_E_NS1_11comp_targetILNS1_3genE8ELNS1_11target_archE1030ELNS1_3gpuE2ELNS1_3repE0EEENS1_47radix_sort_onesweep_sort_config_static_selectorELNS0_4arch9wavefront6targetE1EEEvSK_
    .private_segment_fixed_size: 0
    .sgpr_count:     6
    .sgpr_spill_count: 0
    .symbol:         _ZN7rocprim17ROCPRIM_400000_NS6detail17trampoline_kernelINS0_14default_configENS1_35radix_sort_onesweep_config_selectorIfNS0_10empty_typeEEEZZNS1_29radix_sort_onesweep_iterationIS3_Lb0EN6thrust23THRUST_200600_302600_NS6detail15normal_iteratorINS9_10device_ptrIfEEEESE_PS5_SF_jNS0_19identity_decomposerENS1_16block_id_wrapperIjLb0EEEEE10hipError_tT1_PNSt15iterator_traitsISK_E10value_typeET2_T3_PNSL_ISQ_E10value_typeET4_T5_PSV_SW_PNS1_23onesweep_lookback_stateEbbT6_jjT7_P12ihipStream_tbENKUlT_T0_SK_SP_E_clIPfSE_SF_SF_EEDaS13_S14_SK_SP_EUlS13_E_NS1_11comp_targetILNS1_3genE8ELNS1_11target_archE1030ELNS1_3gpuE2ELNS1_3repE0EEENS1_47radix_sort_onesweep_sort_config_static_selectorELNS0_4arch9wavefront6targetE1EEEvSK_.kd
    .uniform_work_group_size: 1
    .uses_dynamic_stack: false
    .vgpr_count:     0
    .vgpr_spill_count: 0
    .wavefront_size: 64
  - .agpr_count:     0
    .args:
      - .offset:         0
        .size:           16
        .value_kind:     by_value
      - .offset:         16
        .size:           8
        .value_kind:     by_value
      - .offset:         24
        .size:           8
        .value_kind:     by_value
    .group_segment_fixed_size: 0
    .kernarg_segment_align: 8
    .kernarg_segment_size: 32
    .language:       OpenCL C
    .language_version:
      - 2
      - 0
    .max_flat_workgroup_size: 256
    .name:           _ZN6thrust23THRUST_200600_302600_NS11hip_rocprim14__parallel_for6kernelILj256ENS1_10for_each_fINS0_10device_ptrINS0_4pairIiiEEEENS0_6detail16wrapped_functionINS9_23allocator_traits_detail24construct1_via_allocatorINS0_16device_allocatorIS7_EEEEvEEEEmLj1EEEvT0_T1_SJ_
    .private_segment_fixed_size: 0
    .sgpr_count:     18
    .sgpr_spill_count: 0
    .symbol:         _ZN6thrust23THRUST_200600_302600_NS11hip_rocprim14__parallel_for6kernelILj256ENS1_10for_each_fINS0_10device_ptrINS0_4pairIiiEEEENS0_6detail16wrapped_functionINS9_23allocator_traits_detail24construct1_via_allocatorINS0_16device_allocatorIS7_EEEEvEEEEmLj1EEEvT0_T1_SJ_.kd
    .uniform_work_group_size: 1
    .uses_dynamic_stack: false
    .vgpr_count:     6
    .vgpr_spill_count: 0
    .wavefront_size: 64
  - .agpr_count:     0
    .args:
      - .offset:         0
        .size:           16
        .value_kind:     by_value
      - .offset:         16
        .size:           8
        .value_kind:     by_value
      - .offset:         24
        .size:           8
        .value_kind:     by_value
    .group_segment_fixed_size: 0
    .kernarg_segment_align: 8
    .kernarg_segment_size: 32
    .language:       OpenCL C
    .language_version:
      - 2
      - 0
    .max_flat_workgroup_size: 256
    .name:           _ZN6thrust23THRUST_200600_302600_NS11hip_rocprim14__parallel_for6kernelILj256ENS1_10for_each_fINS0_10device_ptrINS0_4pairIiiEEEENS0_6detail16wrapped_functionINS9_23allocator_traits_detail5gozerEvEEEElLj1EEEvT0_T1_SG_
    .private_segment_fixed_size: 0
    .sgpr_count:     6
    .sgpr_spill_count: 0
    .symbol:         _ZN6thrust23THRUST_200600_302600_NS11hip_rocprim14__parallel_for6kernelILj256ENS1_10for_each_fINS0_10device_ptrINS0_4pairIiiEEEENS0_6detail16wrapped_functionINS9_23allocator_traits_detail5gozerEvEEEElLj1EEEvT0_T1_SG_.kd
    .uniform_work_group_size: 1
    .uses_dynamic_stack: false
    .vgpr_count:     0
    .vgpr_spill_count: 0
    .wavefront_size: 64
  - .agpr_count:     0
    .args:           []
    .group_segment_fixed_size: 0
    .kernarg_segment_align: 4
    .kernarg_segment_size: 0
    .language:       OpenCL C
    .language_version:
      - 2
      - 0
    .max_flat_workgroup_size: 1024
    .name:           _ZN7rocprim17ROCPRIM_400000_NS6detail44device_merge_sort_compile_time_verifier_archINS1_11comp_targetILNS1_3genE0ELNS1_11target_archE4294967295ELNS1_3gpuE0ELNS1_3repE0EEES8_NS0_14default_configES9_NS1_37merge_sort_block_sort_config_selectorIN6thrust23THRUST_200600_302600_NS4pairIiiEENS0_10empty_typeEEENS1_38merge_sort_block_merge_config_selectorISE_SF_EEEEvv
    .private_segment_fixed_size: 0
    .sgpr_count:     6
    .sgpr_spill_count: 0
    .symbol:         _ZN7rocprim17ROCPRIM_400000_NS6detail44device_merge_sort_compile_time_verifier_archINS1_11comp_targetILNS1_3genE0ELNS1_11target_archE4294967295ELNS1_3gpuE0ELNS1_3repE0EEES8_NS0_14default_configES9_NS1_37merge_sort_block_sort_config_selectorIN6thrust23THRUST_200600_302600_NS4pairIiiEENS0_10empty_typeEEENS1_38merge_sort_block_merge_config_selectorISE_SF_EEEEvv.kd
    .uniform_work_group_size: 1
    .uses_dynamic_stack: false
    .vgpr_count:     0
    .vgpr_spill_count: 0
    .wavefront_size: 64
  - .agpr_count:     0
    .args:           []
    .group_segment_fixed_size: 0
    .kernarg_segment_align: 4
    .kernarg_segment_size: 0
    .language:       OpenCL C
    .language_version:
      - 2
      - 0
    .max_flat_workgroup_size: 1024
    .name:           _ZN7rocprim17ROCPRIM_400000_NS6detail44device_merge_sort_compile_time_verifier_archINS1_11comp_targetILNS1_3genE5ELNS1_11target_archE942ELNS1_3gpuE9ELNS1_3repE0EEES8_NS0_14default_configES9_NS1_37merge_sort_block_sort_config_selectorIN6thrust23THRUST_200600_302600_NS4pairIiiEENS0_10empty_typeEEENS1_38merge_sort_block_merge_config_selectorISE_SF_EEEEvv
    .private_segment_fixed_size: 0
    .sgpr_count:     6
    .sgpr_spill_count: 0
    .symbol:         _ZN7rocprim17ROCPRIM_400000_NS6detail44device_merge_sort_compile_time_verifier_archINS1_11comp_targetILNS1_3genE5ELNS1_11target_archE942ELNS1_3gpuE9ELNS1_3repE0EEES8_NS0_14default_configES9_NS1_37merge_sort_block_sort_config_selectorIN6thrust23THRUST_200600_302600_NS4pairIiiEENS0_10empty_typeEEENS1_38merge_sort_block_merge_config_selectorISE_SF_EEEEvv.kd
    .uniform_work_group_size: 1
    .uses_dynamic_stack: false
    .vgpr_count:     0
    .vgpr_spill_count: 0
    .wavefront_size: 64
  - .agpr_count:     0
    .args:           []
    .group_segment_fixed_size: 0
    .kernarg_segment_align: 4
    .kernarg_segment_size: 0
    .language:       OpenCL C
    .language_version:
      - 2
      - 0
    .max_flat_workgroup_size: 1024
    .name:           _ZN7rocprim17ROCPRIM_400000_NS6detail44device_merge_sort_compile_time_verifier_archINS1_11comp_targetILNS1_3genE4ELNS1_11target_archE910ELNS1_3gpuE8ELNS1_3repE0EEES8_NS0_14default_configES9_NS1_37merge_sort_block_sort_config_selectorIN6thrust23THRUST_200600_302600_NS4pairIiiEENS0_10empty_typeEEENS1_38merge_sort_block_merge_config_selectorISE_SF_EEEEvv
    .private_segment_fixed_size: 0
    .sgpr_count:     6
    .sgpr_spill_count: 0
    .symbol:         _ZN7rocprim17ROCPRIM_400000_NS6detail44device_merge_sort_compile_time_verifier_archINS1_11comp_targetILNS1_3genE4ELNS1_11target_archE910ELNS1_3gpuE8ELNS1_3repE0EEES8_NS0_14default_configES9_NS1_37merge_sort_block_sort_config_selectorIN6thrust23THRUST_200600_302600_NS4pairIiiEENS0_10empty_typeEEENS1_38merge_sort_block_merge_config_selectorISE_SF_EEEEvv.kd
    .uniform_work_group_size: 1
    .uses_dynamic_stack: false
    .vgpr_count:     0
    .vgpr_spill_count: 0
    .wavefront_size: 64
  - .agpr_count:     0
    .args:           []
    .group_segment_fixed_size: 0
    .kernarg_segment_align: 4
    .kernarg_segment_size: 0
    .language:       OpenCL C
    .language_version:
      - 2
      - 0
    .max_flat_workgroup_size: 1024
    .name:           _ZN7rocprim17ROCPRIM_400000_NS6detail44device_merge_sort_compile_time_verifier_archINS1_11comp_targetILNS1_3genE3ELNS1_11target_archE908ELNS1_3gpuE7ELNS1_3repE0EEES8_NS0_14default_configES9_NS1_37merge_sort_block_sort_config_selectorIN6thrust23THRUST_200600_302600_NS4pairIiiEENS0_10empty_typeEEENS1_38merge_sort_block_merge_config_selectorISE_SF_EEEEvv
    .private_segment_fixed_size: 0
    .sgpr_count:     6
    .sgpr_spill_count: 0
    .symbol:         _ZN7rocprim17ROCPRIM_400000_NS6detail44device_merge_sort_compile_time_verifier_archINS1_11comp_targetILNS1_3genE3ELNS1_11target_archE908ELNS1_3gpuE7ELNS1_3repE0EEES8_NS0_14default_configES9_NS1_37merge_sort_block_sort_config_selectorIN6thrust23THRUST_200600_302600_NS4pairIiiEENS0_10empty_typeEEENS1_38merge_sort_block_merge_config_selectorISE_SF_EEEEvv.kd
    .uniform_work_group_size: 1
    .uses_dynamic_stack: false
    .vgpr_count:     0
    .vgpr_spill_count: 0
    .wavefront_size: 64
  - .agpr_count:     0
    .args:           []
    .group_segment_fixed_size: 0
    .kernarg_segment_align: 4
    .kernarg_segment_size: 0
    .language:       OpenCL C
    .language_version:
      - 2
      - 0
    .max_flat_workgroup_size: 1024
    .name:           _ZN7rocprim17ROCPRIM_400000_NS6detail44device_merge_sort_compile_time_verifier_archINS1_11comp_targetILNS1_3genE2ELNS1_11target_archE906ELNS1_3gpuE6ELNS1_3repE0EEES8_NS0_14default_configES9_NS1_37merge_sort_block_sort_config_selectorIN6thrust23THRUST_200600_302600_NS4pairIiiEENS0_10empty_typeEEENS1_38merge_sort_block_merge_config_selectorISE_SF_EEEEvv
    .private_segment_fixed_size: 0
    .sgpr_count:     6
    .sgpr_spill_count: 0
    .symbol:         _ZN7rocprim17ROCPRIM_400000_NS6detail44device_merge_sort_compile_time_verifier_archINS1_11comp_targetILNS1_3genE2ELNS1_11target_archE906ELNS1_3gpuE6ELNS1_3repE0EEES8_NS0_14default_configES9_NS1_37merge_sort_block_sort_config_selectorIN6thrust23THRUST_200600_302600_NS4pairIiiEENS0_10empty_typeEEENS1_38merge_sort_block_merge_config_selectorISE_SF_EEEEvv.kd
    .uniform_work_group_size: 1
    .uses_dynamic_stack: false
    .vgpr_count:     0
    .vgpr_spill_count: 0
    .wavefront_size: 64
  - .agpr_count:     0
    .args:           []
    .group_segment_fixed_size: 0
    .kernarg_segment_align: 4
    .kernarg_segment_size: 0
    .language:       OpenCL C
    .language_version:
      - 2
      - 0
    .max_flat_workgroup_size: 1024
    .name:           _ZN7rocprim17ROCPRIM_400000_NS6detail44device_merge_sort_compile_time_verifier_archINS1_11comp_targetILNS1_3genE10ELNS1_11target_archE1201ELNS1_3gpuE5ELNS1_3repE0EEES8_NS0_14default_configES9_NS1_37merge_sort_block_sort_config_selectorIN6thrust23THRUST_200600_302600_NS4pairIiiEENS0_10empty_typeEEENS1_38merge_sort_block_merge_config_selectorISE_SF_EEEEvv
    .private_segment_fixed_size: 0
    .sgpr_count:     6
    .sgpr_spill_count: 0
    .symbol:         _ZN7rocprim17ROCPRIM_400000_NS6detail44device_merge_sort_compile_time_verifier_archINS1_11comp_targetILNS1_3genE10ELNS1_11target_archE1201ELNS1_3gpuE5ELNS1_3repE0EEES8_NS0_14default_configES9_NS1_37merge_sort_block_sort_config_selectorIN6thrust23THRUST_200600_302600_NS4pairIiiEENS0_10empty_typeEEENS1_38merge_sort_block_merge_config_selectorISE_SF_EEEEvv.kd
    .uniform_work_group_size: 1
    .uses_dynamic_stack: false
    .vgpr_count:     0
    .vgpr_spill_count: 0
    .wavefront_size: 64
  - .agpr_count:     0
    .args:           []
    .group_segment_fixed_size: 0
    .kernarg_segment_align: 4
    .kernarg_segment_size: 0
    .language:       OpenCL C
    .language_version:
      - 2
      - 0
    .max_flat_workgroup_size: 1024
    .name:           _ZN7rocprim17ROCPRIM_400000_NS6detail44device_merge_sort_compile_time_verifier_archINS1_11comp_targetILNS1_3genE10ELNS1_11target_archE1200ELNS1_3gpuE4ELNS1_3repE0EEENS3_ILS4_10ELS5_1201ELS6_5ELS7_0EEENS0_14default_configESA_NS1_37merge_sort_block_sort_config_selectorIN6thrust23THRUST_200600_302600_NS4pairIiiEENS0_10empty_typeEEENS1_38merge_sort_block_merge_config_selectorISF_SG_EEEEvv
    .private_segment_fixed_size: 0
    .sgpr_count:     6
    .sgpr_spill_count: 0
    .symbol:         _ZN7rocprim17ROCPRIM_400000_NS6detail44device_merge_sort_compile_time_verifier_archINS1_11comp_targetILNS1_3genE10ELNS1_11target_archE1200ELNS1_3gpuE4ELNS1_3repE0EEENS3_ILS4_10ELS5_1201ELS6_5ELS7_0EEENS0_14default_configESA_NS1_37merge_sort_block_sort_config_selectorIN6thrust23THRUST_200600_302600_NS4pairIiiEENS0_10empty_typeEEENS1_38merge_sort_block_merge_config_selectorISF_SG_EEEEvv.kd
    .uniform_work_group_size: 1
    .uses_dynamic_stack: false
    .vgpr_count:     0
    .vgpr_spill_count: 0
    .wavefront_size: 64
  - .agpr_count:     0
    .args:           []
    .group_segment_fixed_size: 0
    .kernarg_segment_align: 4
    .kernarg_segment_size: 0
    .language:       OpenCL C
    .language_version:
      - 2
      - 0
    .max_flat_workgroup_size: 1024
    .name:           _ZN7rocprim17ROCPRIM_400000_NS6detail44device_merge_sort_compile_time_verifier_archINS1_11comp_targetILNS1_3genE9ELNS1_11target_archE1100ELNS1_3gpuE3ELNS1_3repE0EEES8_NS0_14default_configES9_NS1_37merge_sort_block_sort_config_selectorIN6thrust23THRUST_200600_302600_NS4pairIiiEENS0_10empty_typeEEENS1_38merge_sort_block_merge_config_selectorISE_SF_EEEEvv
    .private_segment_fixed_size: 0
    .sgpr_count:     6
    .sgpr_spill_count: 0
    .symbol:         _ZN7rocprim17ROCPRIM_400000_NS6detail44device_merge_sort_compile_time_verifier_archINS1_11comp_targetILNS1_3genE9ELNS1_11target_archE1100ELNS1_3gpuE3ELNS1_3repE0EEES8_NS0_14default_configES9_NS1_37merge_sort_block_sort_config_selectorIN6thrust23THRUST_200600_302600_NS4pairIiiEENS0_10empty_typeEEENS1_38merge_sort_block_merge_config_selectorISE_SF_EEEEvv.kd
    .uniform_work_group_size: 1
    .uses_dynamic_stack: false
    .vgpr_count:     0
    .vgpr_spill_count: 0
    .wavefront_size: 64
  - .agpr_count:     0
    .args:           []
    .group_segment_fixed_size: 0
    .kernarg_segment_align: 4
    .kernarg_segment_size: 0
    .language:       OpenCL C
    .language_version:
      - 2
      - 0
    .max_flat_workgroup_size: 1024
    .name:           _ZN7rocprim17ROCPRIM_400000_NS6detail44device_merge_sort_compile_time_verifier_archINS1_11comp_targetILNS1_3genE8ELNS1_11target_archE1030ELNS1_3gpuE2ELNS1_3repE0EEES8_NS0_14default_configES9_NS1_37merge_sort_block_sort_config_selectorIN6thrust23THRUST_200600_302600_NS4pairIiiEENS0_10empty_typeEEENS1_38merge_sort_block_merge_config_selectorISE_SF_EEEEvv
    .private_segment_fixed_size: 0
    .sgpr_count:     6
    .sgpr_spill_count: 0
    .symbol:         _ZN7rocprim17ROCPRIM_400000_NS6detail44device_merge_sort_compile_time_verifier_archINS1_11comp_targetILNS1_3genE8ELNS1_11target_archE1030ELNS1_3gpuE2ELNS1_3repE0EEES8_NS0_14default_configES9_NS1_37merge_sort_block_sort_config_selectorIN6thrust23THRUST_200600_302600_NS4pairIiiEENS0_10empty_typeEEENS1_38merge_sort_block_merge_config_selectorISE_SF_EEEEvv.kd
    .uniform_work_group_size: 1
    .uses_dynamic_stack: false
    .vgpr_count:     0
    .vgpr_spill_count: 0
    .wavefront_size: 64
  - .agpr_count:     0
    .args:
      - .offset:         0
        .size:           64
        .value_kind:     by_value
      - .offset:         64
        .size:           4
        .value_kind:     hidden_block_count_x
      - .offset:         68
        .size:           4
        .value_kind:     hidden_block_count_y
      - .offset:         72
        .size:           4
        .value_kind:     hidden_block_count_z
      - .offset:         76
        .size:           2
        .value_kind:     hidden_group_size_x
      - .offset:         78
        .size:           2
        .value_kind:     hidden_group_size_y
      - .offset:         80
        .size:           2
        .value_kind:     hidden_group_size_z
      - .offset:         82
        .size:           2
        .value_kind:     hidden_remainder_x
      - .offset:         84
        .size:           2
        .value_kind:     hidden_remainder_y
      - .offset:         86
        .size:           2
        .value_kind:     hidden_remainder_z
      - .offset:         104
        .size:           8
        .value_kind:     hidden_global_offset_x
      - .offset:         112
        .size:           8
        .value_kind:     hidden_global_offset_y
      - .offset:         120
        .size:           8
        .value_kind:     hidden_global_offset_z
      - .offset:         128
        .size:           2
        .value_kind:     hidden_grid_dims
    .group_segment_fixed_size: 16896
    .kernarg_segment_align: 8
    .kernarg_segment_size: 320
    .language:       OpenCL C
    .language_version:
      - 2
      - 0
    .max_flat_workgroup_size: 256
    .name:           _ZN7rocprim17ROCPRIM_400000_NS6detail17trampoline_kernelINS0_14default_configENS1_37merge_sort_block_sort_config_selectorIN6thrust23THRUST_200600_302600_NS4pairIiiEENS0_10empty_typeEEEZNS1_21merge_sort_block_sortIS3_NS6_6detail15normal_iteratorINS6_10device_ptrIS8_EEEESG_PS9_SH_NS6_4lessIS8_EEEE10hipError_tT0_T1_T2_T3_mRjT4_P12ihipStream_tbNS1_7vsmem_tEEUlT_E_NS1_11comp_targetILNS1_3genE0ELNS1_11target_archE4294967295ELNS1_3gpuE0ELNS1_3repE0EEENS1_30default_config_static_selectorELNS0_4arch9wavefront6targetE1EEEvSM_
    .private_segment_fixed_size: 0
    .sgpr_count:     51
    .sgpr_spill_count: 0
    .symbol:         _ZN7rocprim17ROCPRIM_400000_NS6detail17trampoline_kernelINS0_14default_configENS1_37merge_sort_block_sort_config_selectorIN6thrust23THRUST_200600_302600_NS4pairIiiEENS0_10empty_typeEEEZNS1_21merge_sort_block_sortIS3_NS6_6detail15normal_iteratorINS6_10device_ptrIS8_EEEESG_PS9_SH_NS6_4lessIS8_EEEE10hipError_tT0_T1_T2_T3_mRjT4_P12ihipStream_tbNS1_7vsmem_tEEUlT_E_NS1_11comp_targetILNS1_3genE0ELNS1_11target_archE4294967295ELNS1_3gpuE0ELNS1_3repE0EEENS1_30default_config_static_selectorELNS0_4arch9wavefront6targetE1EEEvSM_.kd
    .uniform_work_group_size: 1
    .uses_dynamic_stack: false
    .vgpr_count:     60
    .vgpr_spill_count: 0
    .wavefront_size: 64
  - .agpr_count:     0
    .args:
      - .offset:         0
        .size:           64
        .value_kind:     by_value
    .group_segment_fixed_size: 0
    .kernarg_segment_align: 8
    .kernarg_segment_size: 64
    .language:       OpenCL C
    .language_version:
      - 2
      - 0
    .max_flat_workgroup_size: 256
    .name:           _ZN7rocprim17ROCPRIM_400000_NS6detail17trampoline_kernelINS0_14default_configENS1_37merge_sort_block_sort_config_selectorIN6thrust23THRUST_200600_302600_NS4pairIiiEENS0_10empty_typeEEEZNS1_21merge_sort_block_sortIS3_NS6_6detail15normal_iteratorINS6_10device_ptrIS8_EEEESG_PS9_SH_NS6_4lessIS8_EEEE10hipError_tT0_T1_T2_T3_mRjT4_P12ihipStream_tbNS1_7vsmem_tEEUlT_E_NS1_11comp_targetILNS1_3genE5ELNS1_11target_archE942ELNS1_3gpuE9ELNS1_3repE0EEENS1_30default_config_static_selectorELNS0_4arch9wavefront6targetE1EEEvSM_
    .private_segment_fixed_size: 0
    .sgpr_count:     6
    .sgpr_spill_count: 0
    .symbol:         _ZN7rocprim17ROCPRIM_400000_NS6detail17trampoline_kernelINS0_14default_configENS1_37merge_sort_block_sort_config_selectorIN6thrust23THRUST_200600_302600_NS4pairIiiEENS0_10empty_typeEEEZNS1_21merge_sort_block_sortIS3_NS6_6detail15normal_iteratorINS6_10device_ptrIS8_EEEESG_PS9_SH_NS6_4lessIS8_EEEE10hipError_tT0_T1_T2_T3_mRjT4_P12ihipStream_tbNS1_7vsmem_tEEUlT_E_NS1_11comp_targetILNS1_3genE5ELNS1_11target_archE942ELNS1_3gpuE9ELNS1_3repE0EEENS1_30default_config_static_selectorELNS0_4arch9wavefront6targetE1EEEvSM_.kd
    .uniform_work_group_size: 1
    .uses_dynamic_stack: false
    .vgpr_count:     0
    .vgpr_spill_count: 0
    .wavefront_size: 64
  - .agpr_count:     0
    .args:
      - .offset:         0
        .size:           64
        .value_kind:     by_value
    .group_segment_fixed_size: 0
    .kernarg_segment_align: 8
    .kernarg_segment_size: 64
    .language:       OpenCL C
    .language_version:
      - 2
      - 0
    .max_flat_workgroup_size: 256
    .name:           _ZN7rocprim17ROCPRIM_400000_NS6detail17trampoline_kernelINS0_14default_configENS1_37merge_sort_block_sort_config_selectorIN6thrust23THRUST_200600_302600_NS4pairIiiEENS0_10empty_typeEEEZNS1_21merge_sort_block_sortIS3_NS6_6detail15normal_iteratorINS6_10device_ptrIS8_EEEESG_PS9_SH_NS6_4lessIS8_EEEE10hipError_tT0_T1_T2_T3_mRjT4_P12ihipStream_tbNS1_7vsmem_tEEUlT_E_NS1_11comp_targetILNS1_3genE4ELNS1_11target_archE910ELNS1_3gpuE8ELNS1_3repE0EEENS1_30default_config_static_selectorELNS0_4arch9wavefront6targetE1EEEvSM_
    .private_segment_fixed_size: 0
    .sgpr_count:     6
    .sgpr_spill_count: 0
    .symbol:         _ZN7rocprim17ROCPRIM_400000_NS6detail17trampoline_kernelINS0_14default_configENS1_37merge_sort_block_sort_config_selectorIN6thrust23THRUST_200600_302600_NS4pairIiiEENS0_10empty_typeEEEZNS1_21merge_sort_block_sortIS3_NS6_6detail15normal_iteratorINS6_10device_ptrIS8_EEEESG_PS9_SH_NS6_4lessIS8_EEEE10hipError_tT0_T1_T2_T3_mRjT4_P12ihipStream_tbNS1_7vsmem_tEEUlT_E_NS1_11comp_targetILNS1_3genE4ELNS1_11target_archE910ELNS1_3gpuE8ELNS1_3repE0EEENS1_30default_config_static_selectorELNS0_4arch9wavefront6targetE1EEEvSM_.kd
    .uniform_work_group_size: 1
    .uses_dynamic_stack: false
    .vgpr_count:     0
    .vgpr_spill_count: 0
    .wavefront_size: 64
  - .agpr_count:     0
    .args:
      - .offset:         0
        .size:           64
        .value_kind:     by_value
    .group_segment_fixed_size: 0
    .kernarg_segment_align: 8
    .kernarg_segment_size: 64
    .language:       OpenCL C
    .language_version:
      - 2
      - 0
    .max_flat_workgroup_size: 256
    .name:           _ZN7rocprim17ROCPRIM_400000_NS6detail17trampoline_kernelINS0_14default_configENS1_37merge_sort_block_sort_config_selectorIN6thrust23THRUST_200600_302600_NS4pairIiiEENS0_10empty_typeEEEZNS1_21merge_sort_block_sortIS3_NS6_6detail15normal_iteratorINS6_10device_ptrIS8_EEEESG_PS9_SH_NS6_4lessIS8_EEEE10hipError_tT0_T1_T2_T3_mRjT4_P12ihipStream_tbNS1_7vsmem_tEEUlT_E_NS1_11comp_targetILNS1_3genE3ELNS1_11target_archE908ELNS1_3gpuE7ELNS1_3repE0EEENS1_30default_config_static_selectorELNS0_4arch9wavefront6targetE1EEEvSM_
    .private_segment_fixed_size: 0
    .sgpr_count:     6
    .sgpr_spill_count: 0
    .symbol:         _ZN7rocprim17ROCPRIM_400000_NS6detail17trampoline_kernelINS0_14default_configENS1_37merge_sort_block_sort_config_selectorIN6thrust23THRUST_200600_302600_NS4pairIiiEENS0_10empty_typeEEEZNS1_21merge_sort_block_sortIS3_NS6_6detail15normal_iteratorINS6_10device_ptrIS8_EEEESG_PS9_SH_NS6_4lessIS8_EEEE10hipError_tT0_T1_T2_T3_mRjT4_P12ihipStream_tbNS1_7vsmem_tEEUlT_E_NS1_11comp_targetILNS1_3genE3ELNS1_11target_archE908ELNS1_3gpuE7ELNS1_3repE0EEENS1_30default_config_static_selectorELNS0_4arch9wavefront6targetE1EEEvSM_.kd
    .uniform_work_group_size: 1
    .uses_dynamic_stack: false
    .vgpr_count:     0
    .vgpr_spill_count: 0
    .wavefront_size: 64
  - .agpr_count:     0
    .args:
      - .offset:         0
        .size:           64
        .value_kind:     by_value
    .group_segment_fixed_size: 0
    .kernarg_segment_align: 8
    .kernarg_segment_size: 64
    .language:       OpenCL C
    .language_version:
      - 2
      - 0
    .max_flat_workgroup_size: 256
    .name:           _ZN7rocprim17ROCPRIM_400000_NS6detail17trampoline_kernelINS0_14default_configENS1_37merge_sort_block_sort_config_selectorIN6thrust23THRUST_200600_302600_NS4pairIiiEENS0_10empty_typeEEEZNS1_21merge_sort_block_sortIS3_NS6_6detail15normal_iteratorINS6_10device_ptrIS8_EEEESG_PS9_SH_NS6_4lessIS8_EEEE10hipError_tT0_T1_T2_T3_mRjT4_P12ihipStream_tbNS1_7vsmem_tEEUlT_E_NS1_11comp_targetILNS1_3genE2ELNS1_11target_archE906ELNS1_3gpuE6ELNS1_3repE0EEENS1_30default_config_static_selectorELNS0_4arch9wavefront6targetE1EEEvSM_
    .private_segment_fixed_size: 0
    .sgpr_count:     6
    .sgpr_spill_count: 0
    .symbol:         _ZN7rocprim17ROCPRIM_400000_NS6detail17trampoline_kernelINS0_14default_configENS1_37merge_sort_block_sort_config_selectorIN6thrust23THRUST_200600_302600_NS4pairIiiEENS0_10empty_typeEEEZNS1_21merge_sort_block_sortIS3_NS6_6detail15normal_iteratorINS6_10device_ptrIS8_EEEESG_PS9_SH_NS6_4lessIS8_EEEE10hipError_tT0_T1_T2_T3_mRjT4_P12ihipStream_tbNS1_7vsmem_tEEUlT_E_NS1_11comp_targetILNS1_3genE2ELNS1_11target_archE906ELNS1_3gpuE6ELNS1_3repE0EEENS1_30default_config_static_selectorELNS0_4arch9wavefront6targetE1EEEvSM_.kd
    .uniform_work_group_size: 1
    .uses_dynamic_stack: false
    .vgpr_count:     0
    .vgpr_spill_count: 0
    .wavefront_size: 64
  - .agpr_count:     0
    .args:
      - .offset:         0
        .size:           64
        .value_kind:     by_value
    .group_segment_fixed_size: 0
    .kernarg_segment_align: 8
    .kernarg_segment_size: 64
    .language:       OpenCL C
    .language_version:
      - 2
      - 0
    .max_flat_workgroup_size: 256
    .name:           _ZN7rocprim17ROCPRIM_400000_NS6detail17trampoline_kernelINS0_14default_configENS1_37merge_sort_block_sort_config_selectorIN6thrust23THRUST_200600_302600_NS4pairIiiEENS0_10empty_typeEEEZNS1_21merge_sort_block_sortIS3_NS6_6detail15normal_iteratorINS6_10device_ptrIS8_EEEESG_PS9_SH_NS6_4lessIS8_EEEE10hipError_tT0_T1_T2_T3_mRjT4_P12ihipStream_tbNS1_7vsmem_tEEUlT_E_NS1_11comp_targetILNS1_3genE10ELNS1_11target_archE1201ELNS1_3gpuE5ELNS1_3repE0EEENS1_30default_config_static_selectorELNS0_4arch9wavefront6targetE1EEEvSM_
    .private_segment_fixed_size: 0
    .sgpr_count:     6
    .sgpr_spill_count: 0
    .symbol:         _ZN7rocprim17ROCPRIM_400000_NS6detail17trampoline_kernelINS0_14default_configENS1_37merge_sort_block_sort_config_selectorIN6thrust23THRUST_200600_302600_NS4pairIiiEENS0_10empty_typeEEEZNS1_21merge_sort_block_sortIS3_NS6_6detail15normal_iteratorINS6_10device_ptrIS8_EEEESG_PS9_SH_NS6_4lessIS8_EEEE10hipError_tT0_T1_T2_T3_mRjT4_P12ihipStream_tbNS1_7vsmem_tEEUlT_E_NS1_11comp_targetILNS1_3genE10ELNS1_11target_archE1201ELNS1_3gpuE5ELNS1_3repE0EEENS1_30default_config_static_selectorELNS0_4arch9wavefront6targetE1EEEvSM_.kd
    .uniform_work_group_size: 1
    .uses_dynamic_stack: false
    .vgpr_count:     0
    .vgpr_spill_count: 0
    .wavefront_size: 64
  - .agpr_count:     0
    .args:
      - .offset:         0
        .size:           64
        .value_kind:     by_value
    .group_segment_fixed_size: 0
    .kernarg_segment_align: 8
    .kernarg_segment_size: 64
    .language:       OpenCL C
    .language_version:
      - 2
      - 0
    .max_flat_workgroup_size: 512
    .name:           _ZN7rocprim17ROCPRIM_400000_NS6detail17trampoline_kernelINS0_14default_configENS1_37merge_sort_block_sort_config_selectorIN6thrust23THRUST_200600_302600_NS4pairIiiEENS0_10empty_typeEEEZNS1_21merge_sort_block_sortIS3_NS6_6detail15normal_iteratorINS6_10device_ptrIS8_EEEESG_PS9_SH_NS6_4lessIS8_EEEE10hipError_tT0_T1_T2_T3_mRjT4_P12ihipStream_tbNS1_7vsmem_tEEUlT_E_NS1_11comp_targetILNS1_3genE10ELNS1_11target_archE1200ELNS1_3gpuE4ELNS1_3repE0EEENS1_30default_config_static_selectorELNS0_4arch9wavefront6targetE1EEEvSM_
    .private_segment_fixed_size: 0
    .sgpr_count:     6
    .sgpr_spill_count: 0
    .symbol:         _ZN7rocprim17ROCPRIM_400000_NS6detail17trampoline_kernelINS0_14default_configENS1_37merge_sort_block_sort_config_selectorIN6thrust23THRUST_200600_302600_NS4pairIiiEENS0_10empty_typeEEEZNS1_21merge_sort_block_sortIS3_NS6_6detail15normal_iteratorINS6_10device_ptrIS8_EEEESG_PS9_SH_NS6_4lessIS8_EEEE10hipError_tT0_T1_T2_T3_mRjT4_P12ihipStream_tbNS1_7vsmem_tEEUlT_E_NS1_11comp_targetILNS1_3genE10ELNS1_11target_archE1200ELNS1_3gpuE4ELNS1_3repE0EEENS1_30default_config_static_selectorELNS0_4arch9wavefront6targetE1EEEvSM_.kd
    .uniform_work_group_size: 1
    .uses_dynamic_stack: false
    .vgpr_count:     0
    .vgpr_spill_count: 0
    .wavefront_size: 64
  - .agpr_count:     0
    .args:
      - .offset:         0
        .size:           64
        .value_kind:     by_value
    .group_segment_fixed_size: 0
    .kernarg_segment_align: 8
    .kernarg_segment_size: 64
    .language:       OpenCL C
    .language_version:
      - 2
      - 0
    .max_flat_workgroup_size: 256
    .name:           _ZN7rocprim17ROCPRIM_400000_NS6detail17trampoline_kernelINS0_14default_configENS1_37merge_sort_block_sort_config_selectorIN6thrust23THRUST_200600_302600_NS4pairIiiEENS0_10empty_typeEEEZNS1_21merge_sort_block_sortIS3_NS6_6detail15normal_iteratorINS6_10device_ptrIS8_EEEESG_PS9_SH_NS6_4lessIS8_EEEE10hipError_tT0_T1_T2_T3_mRjT4_P12ihipStream_tbNS1_7vsmem_tEEUlT_E_NS1_11comp_targetILNS1_3genE9ELNS1_11target_archE1100ELNS1_3gpuE3ELNS1_3repE0EEENS1_30default_config_static_selectorELNS0_4arch9wavefront6targetE1EEEvSM_
    .private_segment_fixed_size: 0
    .sgpr_count:     6
    .sgpr_spill_count: 0
    .symbol:         _ZN7rocprim17ROCPRIM_400000_NS6detail17trampoline_kernelINS0_14default_configENS1_37merge_sort_block_sort_config_selectorIN6thrust23THRUST_200600_302600_NS4pairIiiEENS0_10empty_typeEEEZNS1_21merge_sort_block_sortIS3_NS6_6detail15normal_iteratorINS6_10device_ptrIS8_EEEESG_PS9_SH_NS6_4lessIS8_EEEE10hipError_tT0_T1_T2_T3_mRjT4_P12ihipStream_tbNS1_7vsmem_tEEUlT_E_NS1_11comp_targetILNS1_3genE9ELNS1_11target_archE1100ELNS1_3gpuE3ELNS1_3repE0EEENS1_30default_config_static_selectorELNS0_4arch9wavefront6targetE1EEEvSM_.kd
    .uniform_work_group_size: 1
    .uses_dynamic_stack: false
    .vgpr_count:     0
    .vgpr_spill_count: 0
    .wavefront_size: 64
  - .agpr_count:     0
    .args:
      - .offset:         0
        .size:           64
        .value_kind:     by_value
    .group_segment_fixed_size: 0
    .kernarg_segment_align: 8
    .kernarg_segment_size: 64
    .language:       OpenCL C
    .language_version:
      - 2
      - 0
    .max_flat_workgroup_size: 256
    .name:           _ZN7rocprim17ROCPRIM_400000_NS6detail17trampoline_kernelINS0_14default_configENS1_37merge_sort_block_sort_config_selectorIN6thrust23THRUST_200600_302600_NS4pairIiiEENS0_10empty_typeEEEZNS1_21merge_sort_block_sortIS3_NS6_6detail15normal_iteratorINS6_10device_ptrIS8_EEEESG_PS9_SH_NS6_4lessIS8_EEEE10hipError_tT0_T1_T2_T3_mRjT4_P12ihipStream_tbNS1_7vsmem_tEEUlT_E_NS1_11comp_targetILNS1_3genE8ELNS1_11target_archE1030ELNS1_3gpuE2ELNS1_3repE0EEENS1_30default_config_static_selectorELNS0_4arch9wavefront6targetE1EEEvSM_
    .private_segment_fixed_size: 0
    .sgpr_count:     6
    .sgpr_spill_count: 0
    .symbol:         _ZN7rocprim17ROCPRIM_400000_NS6detail17trampoline_kernelINS0_14default_configENS1_37merge_sort_block_sort_config_selectorIN6thrust23THRUST_200600_302600_NS4pairIiiEENS0_10empty_typeEEEZNS1_21merge_sort_block_sortIS3_NS6_6detail15normal_iteratorINS6_10device_ptrIS8_EEEESG_PS9_SH_NS6_4lessIS8_EEEE10hipError_tT0_T1_T2_T3_mRjT4_P12ihipStream_tbNS1_7vsmem_tEEUlT_E_NS1_11comp_targetILNS1_3genE8ELNS1_11target_archE1030ELNS1_3gpuE2ELNS1_3repE0EEENS1_30default_config_static_selectorELNS0_4arch9wavefront6targetE1EEEvSM_.kd
    .uniform_work_group_size: 1
    .uses_dynamic_stack: false
    .vgpr_count:     0
    .vgpr_spill_count: 0
    .wavefront_size: 64
  - .agpr_count:     0
    .args:
      - .offset:         0
        .size:           48
        .value_kind:     by_value
    .group_segment_fixed_size: 0
    .kernarg_segment_align: 8
    .kernarg_segment_size: 48
    .language:       OpenCL C
    .language_version:
      - 2
      - 0
    .max_flat_workgroup_size: 128
    .name:           _ZN7rocprim17ROCPRIM_400000_NS6detail17trampoline_kernelINS0_14default_configENS1_38merge_sort_block_merge_config_selectorIN6thrust23THRUST_200600_302600_NS4pairIiiEENS0_10empty_typeEEEZZNS1_27merge_sort_block_merge_implIS3_NS6_6detail15normal_iteratorINS6_10device_ptrIS8_EEEEPS9_mNS6_4lessIS8_EEEE10hipError_tT0_T1_T2_jT3_P12ihipStream_tbPNSt15iterator_traitsISL_E10value_typeEPNSR_ISM_E10value_typeEPSN_NS1_7vsmem_tEENKUlT_SL_SM_SN_E_clIPS8_SG_SH_SH_EESK_S10_SL_SM_SN_EUlS10_E_NS1_11comp_targetILNS1_3genE0ELNS1_11target_archE4294967295ELNS1_3gpuE0ELNS1_3repE0EEENS1_48merge_mergepath_partition_config_static_selectorELNS0_4arch9wavefront6targetE1EEEvSM_
    .private_segment_fixed_size: 0
    .sgpr_count:     18
    .sgpr_spill_count: 0
    .symbol:         _ZN7rocprim17ROCPRIM_400000_NS6detail17trampoline_kernelINS0_14default_configENS1_38merge_sort_block_merge_config_selectorIN6thrust23THRUST_200600_302600_NS4pairIiiEENS0_10empty_typeEEEZZNS1_27merge_sort_block_merge_implIS3_NS6_6detail15normal_iteratorINS6_10device_ptrIS8_EEEEPS9_mNS6_4lessIS8_EEEE10hipError_tT0_T1_T2_jT3_P12ihipStream_tbPNSt15iterator_traitsISL_E10value_typeEPNSR_ISM_E10value_typeEPSN_NS1_7vsmem_tEENKUlT_SL_SM_SN_E_clIPS8_SG_SH_SH_EESK_S10_SL_SM_SN_EUlS10_E_NS1_11comp_targetILNS1_3genE0ELNS1_11target_archE4294967295ELNS1_3gpuE0ELNS1_3repE0EEENS1_48merge_mergepath_partition_config_static_selectorELNS0_4arch9wavefront6targetE1EEEvSM_.kd
    .uniform_work_group_size: 1
    .uses_dynamic_stack: false
    .vgpr_count:     22
    .vgpr_spill_count: 0
    .wavefront_size: 64
  - .agpr_count:     0
    .args:
      - .offset:         0
        .size:           48
        .value_kind:     by_value
    .group_segment_fixed_size: 0
    .kernarg_segment_align: 8
    .kernarg_segment_size: 48
    .language:       OpenCL C
    .language_version:
      - 2
      - 0
    .max_flat_workgroup_size: 128
    .name:           _ZN7rocprim17ROCPRIM_400000_NS6detail17trampoline_kernelINS0_14default_configENS1_38merge_sort_block_merge_config_selectorIN6thrust23THRUST_200600_302600_NS4pairIiiEENS0_10empty_typeEEEZZNS1_27merge_sort_block_merge_implIS3_NS6_6detail15normal_iteratorINS6_10device_ptrIS8_EEEEPS9_mNS6_4lessIS8_EEEE10hipError_tT0_T1_T2_jT3_P12ihipStream_tbPNSt15iterator_traitsISL_E10value_typeEPNSR_ISM_E10value_typeEPSN_NS1_7vsmem_tEENKUlT_SL_SM_SN_E_clIPS8_SG_SH_SH_EESK_S10_SL_SM_SN_EUlS10_E_NS1_11comp_targetILNS1_3genE10ELNS1_11target_archE1201ELNS1_3gpuE5ELNS1_3repE0EEENS1_48merge_mergepath_partition_config_static_selectorELNS0_4arch9wavefront6targetE1EEEvSM_
    .private_segment_fixed_size: 0
    .sgpr_count:     6
    .sgpr_spill_count: 0
    .symbol:         _ZN7rocprim17ROCPRIM_400000_NS6detail17trampoline_kernelINS0_14default_configENS1_38merge_sort_block_merge_config_selectorIN6thrust23THRUST_200600_302600_NS4pairIiiEENS0_10empty_typeEEEZZNS1_27merge_sort_block_merge_implIS3_NS6_6detail15normal_iteratorINS6_10device_ptrIS8_EEEEPS9_mNS6_4lessIS8_EEEE10hipError_tT0_T1_T2_jT3_P12ihipStream_tbPNSt15iterator_traitsISL_E10value_typeEPNSR_ISM_E10value_typeEPSN_NS1_7vsmem_tEENKUlT_SL_SM_SN_E_clIPS8_SG_SH_SH_EESK_S10_SL_SM_SN_EUlS10_E_NS1_11comp_targetILNS1_3genE10ELNS1_11target_archE1201ELNS1_3gpuE5ELNS1_3repE0EEENS1_48merge_mergepath_partition_config_static_selectorELNS0_4arch9wavefront6targetE1EEEvSM_.kd
    .uniform_work_group_size: 1
    .uses_dynamic_stack: false
    .vgpr_count:     0
    .vgpr_spill_count: 0
    .wavefront_size: 64
  - .agpr_count:     0
    .args:
      - .offset:         0
        .size:           48
        .value_kind:     by_value
    .group_segment_fixed_size: 0
    .kernarg_segment_align: 8
    .kernarg_segment_size: 48
    .language:       OpenCL C
    .language_version:
      - 2
      - 0
    .max_flat_workgroup_size: 128
    .name:           _ZN7rocprim17ROCPRIM_400000_NS6detail17trampoline_kernelINS0_14default_configENS1_38merge_sort_block_merge_config_selectorIN6thrust23THRUST_200600_302600_NS4pairIiiEENS0_10empty_typeEEEZZNS1_27merge_sort_block_merge_implIS3_NS6_6detail15normal_iteratorINS6_10device_ptrIS8_EEEEPS9_mNS6_4lessIS8_EEEE10hipError_tT0_T1_T2_jT3_P12ihipStream_tbPNSt15iterator_traitsISL_E10value_typeEPNSR_ISM_E10value_typeEPSN_NS1_7vsmem_tEENKUlT_SL_SM_SN_E_clIPS8_SG_SH_SH_EESK_S10_SL_SM_SN_EUlS10_E_NS1_11comp_targetILNS1_3genE5ELNS1_11target_archE942ELNS1_3gpuE9ELNS1_3repE0EEENS1_48merge_mergepath_partition_config_static_selectorELNS0_4arch9wavefront6targetE1EEEvSM_
    .private_segment_fixed_size: 0
    .sgpr_count:     6
    .sgpr_spill_count: 0
    .symbol:         _ZN7rocprim17ROCPRIM_400000_NS6detail17trampoline_kernelINS0_14default_configENS1_38merge_sort_block_merge_config_selectorIN6thrust23THRUST_200600_302600_NS4pairIiiEENS0_10empty_typeEEEZZNS1_27merge_sort_block_merge_implIS3_NS6_6detail15normal_iteratorINS6_10device_ptrIS8_EEEEPS9_mNS6_4lessIS8_EEEE10hipError_tT0_T1_T2_jT3_P12ihipStream_tbPNSt15iterator_traitsISL_E10value_typeEPNSR_ISM_E10value_typeEPSN_NS1_7vsmem_tEENKUlT_SL_SM_SN_E_clIPS8_SG_SH_SH_EESK_S10_SL_SM_SN_EUlS10_E_NS1_11comp_targetILNS1_3genE5ELNS1_11target_archE942ELNS1_3gpuE9ELNS1_3repE0EEENS1_48merge_mergepath_partition_config_static_selectorELNS0_4arch9wavefront6targetE1EEEvSM_.kd
    .uniform_work_group_size: 1
    .uses_dynamic_stack: false
    .vgpr_count:     0
    .vgpr_spill_count: 0
    .wavefront_size: 64
  - .agpr_count:     0
    .args:
      - .offset:         0
        .size:           48
        .value_kind:     by_value
    .group_segment_fixed_size: 0
    .kernarg_segment_align: 8
    .kernarg_segment_size: 48
    .language:       OpenCL C
    .language_version:
      - 2
      - 0
    .max_flat_workgroup_size: 128
    .name:           _ZN7rocprim17ROCPRIM_400000_NS6detail17trampoline_kernelINS0_14default_configENS1_38merge_sort_block_merge_config_selectorIN6thrust23THRUST_200600_302600_NS4pairIiiEENS0_10empty_typeEEEZZNS1_27merge_sort_block_merge_implIS3_NS6_6detail15normal_iteratorINS6_10device_ptrIS8_EEEEPS9_mNS6_4lessIS8_EEEE10hipError_tT0_T1_T2_jT3_P12ihipStream_tbPNSt15iterator_traitsISL_E10value_typeEPNSR_ISM_E10value_typeEPSN_NS1_7vsmem_tEENKUlT_SL_SM_SN_E_clIPS8_SG_SH_SH_EESK_S10_SL_SM_SN_EUlS10_E_NS1_11comp_targetILNS1_3genE4ELNS1_11target_archE910ELNS1_3gpuE8ELNS1_3repE0EEENS1_48merge_mergepath_partition_config_static_selectorELNS0_4arch9wavefront6targetE1EEEvSM_
    .private_segment_fixed_size: 0
    .sgpr_count:     6
    .sgpr_spill_count: 0
    .symbol:         _ZN7rocprim17ROCPRIM_400000_NS6detail17trampoline_kernelINS0_14default_configENS1_38merge_sort_block_merge_config_selectorIN6thrust23THRUST_200600_302600_NS4pairIiiEENS0_10empty_typeEEEZZNS1_27merge_sort_block_merge_implIS3_NS6_6detail15normal_iteratorINS6_10device_ptrIS8_EEEEPS9_mNS6_4lessIS8_EEEE10hipError_tT0_T1_T2_jT3_P12ihipStream_tbPNSt15iterator_traitsISL_E10value_typeEPNSR_ISM_E10value_typeEPSN_NS1_7vsmem_tEENKUlT_SL_SM_SN_E_clIPS8_SG_SH_SH_EESK_S10_SL_SM_SN_EUlS10_E_NS1_11comp_targetILNS1_3genE4ELNS1_11target_archE910ELNS1_3gpuE8ELNS1_3repE0EEENS1_48merge_mergepath_partition_config_static_selectorELNS0_4arch9wavefront6targetE1EEEvSM_.kd
    .uniform_work_group_size: 1
    .uses_dynamic_stack: false
    .vgpr_count:     0
    .vgpr_spill_count: 0
    .wavefront_size: 64
  - .agpr_count:     0
    .args:
      - .offset:         0
        .size:           48
        .value_kind:     by_value
    .group_segment_fixed_size: 0
    .kernarg_segment_align: 8
    .kernarg_segment_size: 48
    .language:       OpenCL C
    .language_version:
      - 2
      - 0
    .max_flat_workgroup_size: 128
    .name:           _ZN7rocprim17ROCPRIM_400000_NS6detail17trampoline_kernelINS0_14default_configENS1_38merge_sort_block_merge_config_selectorIN6thrust23THRUST_200600_302600_NS4pairIiiEENS0_10empty_typeEEEZZNS1_27merge_sort_block_merge_implIS3_NS6_6detail15normal_iteratorINS6_10device_ptrIS8_EEEEPS9_mNS6_4lessIS8_EEEE10hipError_tT0_T1_T2_jT3_P12ihipStream_tbPNSt15iterator_traitsISL_E10value_typeEPNSR_ISM_E10value_typeEPSN_NS1_7vsmem_tEENKUlT_SL_SM_SN_E_clIPS8_SG_SH_SH_EESK_S10_SL_SM_SN_EUlS10_E_NS1_11comp_targetILNS1_3genE3ELNS1_11target_archE908ELNS1_3gpuE7ELNS1_3repE0EEENS1_48merge_mergepath_partition_config_static_selectorELNS0_4arch9wavefront6targetE1EEEvSM_
    .private_segment_fixed_size: 0
    .sgpr_count:     6
    .sgpr_spill_count: 0
    .symbol:         _ZN7rocprim17ROCPRIM_400000_NS6detail17trampoline_kernelINS0_14default_configENS1_38merge_sort_block_merge_config_selectorIN6thrust23THRUST_200600_302600_NS4pairIiiEENS0_10empty_typeEEEZZNS1_27merge_sort_block_merge_implIS3_NS6_6detail15normal_iteratorINS6_10device_ptrIS8_EEEEPS9_mNS6_4lessIS8_EEEE10hipError_tT0_T1_T2_jT3_P12ihipStream_tbPNSt15iterator_traitsISL_E10value_typeEPNSR_ISM_E10value_typeEPSN_NS1_7vsmem_tEENKUlT_SL_SM_SN_E_clIPS8_SG_SH_SH_EESK_S10_SL_SM_SN_EUlS10_E_NS1_11comp_targetILNS1_3genE3ELNS1_11target_archE908ELNS1_3gpuE7ELNS1_3repE0EEENS1_48merge_mergepath_partition_config_static_selectorELNS0_4arch9wavefront6targetE1EEEvSM_.kd
    .uniform_work_group_size: 1
    .uses_dynamic_stack: false
    .vgpr_count:     0
    .vgpr_spill_count: 0
    .wavefront_size: 64
  - .agpr_count:     0
    .args:
      - .offset:         0
        .size:           48
        .value_kind:     by_value
    .group_segment_fixed_size: 0
    .kernarg_segment_align: 8
    .kernarg_segment_size: 48
    .language:       OpenCL C
    .language_version:
      - 2
      - 0
    .max_flat_workgroup_size: 128
    .name:           _ZN7rocprim17ROCPRIM_400000_NS6detail17trampoline_kernelINS0_14default_configENS1_38merge_sort_block_merge_config_selectorIN6thrust23THRUST_200600_302600_NS4pairIiiEENS0_10empty_typeEEEZZNS1_27merge_sort_block_merge_implIS3_NS6_6detail15normal_iteratorINS6_10device_ptrIS8_EEEEPS9_mNS6_4lessIS8_EEEE10hipError_tT0_T1_T2_jT3_P12ihipStream_tbPNSt15iterator_traitsISL_E10value_typeEPNSR_ISM_E10value_typeEPSN_NS1_7vsmem_tEENKUlT_SL_SM_SN_E_clIPS8_SG_SH_SH_EESK_S10_SL_SM_SN_EUlS10_E_NS1_11comp_targetILNS1_3genE2ELNS1_11target_archE906ELNS1_3gpuE6ELNS1_3repE0EEENS1_48merge_mergepath_partition_config_static_selectorELNS0_4arch9wavefront6targetE1EEEvSM_
    .private_segment_fixed_size: 0
    .sgpr_count:     6
    .sgpr_spill_count: 0
    .symbol:         _ZN7rocprim17ROCPRIM_400000_NS6detail17trampoline_kernelINS0_14default_configENS1_38merge_sort_block_merge_config_selectorIN6thrust23THRUST_200600_302600_NS4pairIiiEENS0_10empty_typeEEEZZNS1_27merge_sort_block_merge_implIS3_NS6_6detail15normal_iteratorINS6_10device_ptrIS8_EEEEPS9_mNS6_4lessIS8_EEEE10hipError_tT0_T1_T2_jT3_P12ihipStream_tbPNSt15iterator_traitsISL_E10value_typeEPNSR_ISM_E10value_typeEPSN_NS1_7vsmem_tEENKUlT_SL_SM_SN_E_clIPS8_SG_SH_SH_EESK_S10_SL_SM_SN_EUlS10_E_NS1_11comp_targetILNS1_3genE2ELNS1_11target_archE906ELNS1_3gpuE6ELNS1_3repE0EEENS1_48merge_mergepath_partition_config_static_selectorELNS0_4arch9wavefront6targetE1EEEvSM_.kd
    .uniform_work_group_size: 1
    .uses_dynamic_stack: false
    .vgpr_count:     0
    .vgpr_spill_count: 0
    .wavefront_size: 64
  - .agpr_count:     0
    .args:
      - .offset:         0
        .size:           48
        .value_kind:     by_value
    .group_segment_fixed_size: 0
    .kernarg_segment_align: 8
    .kernarg_segment_size: 48
    .language:       OpenCL C
    .language_version:
      - 2
      - 0
    .max_flat_workgroup_size: 128
    .name:           _ZN7rocprim17ROCPRIM_400000_NS6detail17trampoline_kernelINS0_14default_configENS1_38merge_sort_block_merge_config_selectorIN6thrust23THRUST_200600_302600_NS4pairIiiEENS0_10empty_typeEEEZZNS1_27merge_sort_block_merge_implIS3_NS6_6detail15normal_iteratorINS6_10device_ptrIS8_EEEEPS9_mNS6_4lessIS8_EEEE10hipError_tT0_T1_T2_jT3_P12ihipStream_tbPNSt15iterator_traitsISL_E10value_typeEPNSR_ISM_E10value_typeEPSN_NS1_7vsmem_tEENKUlT_SL_SM_SN_E_clIPS8_SG_SH_SH_EESK_S10_SL_SM_SN_EUlS10_E_NS1_11comp_targetILNS1_3genE9ELNS1_11target_archE1100ELNS1_3gpuE3ELNS1_3repE0EEENS1_48merge_mergepath_partition_config_static_selectorELNS0_4arch9wavefront6targetE1EEEvSM_
    .private_segment_fixed_size: 0
    .sgpr_count:     6
    .sgpr_spill_count: 0
    .symbol:         _ZN7rocprim17ROCPRIM_400000_NS6detail17trampoline_kernelINS0_14default_configENS1_38merge_sort_block_merge_config_selectorIN6thrust23THRUST_200600_302600_NS4pairIiiEENS0_10empty_typeEEEZZNS1_27merge_sort_block_merge_implIS3_NS6_6detail15normal_iteratorINS6_10device_ptrIS8_EEEEPS9_mNS6_4lessIS8_EEEE10hipError_tT0_T1_T2_jT3_P12ihipStream_tbPNSt15iterator_traitsISL_E10value_typeEPNSR_ISM_E10value_typeEPSN_NS1_7vsmem_tEENKUlT_SL_SM_SN_E_clIPS8_SG_SH_SH_EESK_S10_SL_SM_SN_EUlS10_E_NS1_11comp_targetILNS1_3genE9ELNS1_11target_archE1100ELNS1_3gpuE3ELNS1_3repE0EEENS1_48merge_mergepath_partition_config_static_selectorELNS0_4arch9wavefront6targetE1EEEvSM_.kd
    .uniform_work_group_size: 1
    .uses_dynamic_stack: false
    .vgpr_count:     0
    .vgpr_spill_count: 0
    .wavefront_size: 64
  - .agpr_count:     0
    .args:
      - .offset:         0
        .size:           48
        .value_kind:     by_value
    .group_segment_fixed_size: 0
    .kernarg_segment_align: 8
    .kernarg_segment_size: 48
    .language:       OpenCL C
    .language_version:
      - 2
      - 0
    .max_flat_workgroup_size: 128
    .name:           _ZN7rocprim17ROCPRIM_400000_NS6detail17trampoline_kernelINS0_14default_configENS1_38merge_sort_block_merge_config_selectorIN6thrust23THRUST_200600_302600_NS4pairIiiEENS0_10empty_typeEEEZZNS1_27merge_sort_block_merge_implIS3_NS6_6detail15normal_iteratorINS6_10device_ptrIS8_EEEEPS9_mNS6_4lessIS8_EEEE10hipError_tT0_T1_T2_jT3_P12ihipStream_tbPNSt15iterator_traitsISL_E10value_typeEPNSR_ISM_E10value_typeEPSN_NS1_7vsmem_tEENKUlT_SL_SM_SN_E_clIPS8_SG_SH_SH_EESK_S10_SL_SM_SN_EUlS10_E_NS1_11comp_targetILNS1_3genE8ELNS1_11target_archE1030ELNS1_3gpuE2ELNS1_3repE0EEENS1_48merge_mergepath_partition_config_static_selectorELNS0_4arch9wavefront6targetE1EEEvSM_
    .private_segment_fixed_size: 0
    .sgpr_count:     6
    .sgpr_spill_count: 0
    .symbol:         _ZN7rocprim17ROCPRIM_400000_NS6detail17trampoline_kernelINS0_14default_configENS1_38merge_sort_block_merge_config_selectorIN6thrust23THRUST_200600_302600_NS4pairIiiEENS0_10empty_typeEEEZZNS1_27merge_sort_block_merge_implIS3_NS6_6detail15normal_iteratorINS6_10device_ptrIS8_EEEEPS9_mNS6_4lessIS8_EEEE10hipError_tT0_T1_T2_jT3_P12ihipStream_tbPNSt15iterator_traitsISL_E10value_typeEPNSR_ISM_E10value_typeEPSN_NS1_7vsmem_tEENKUlT_SL_SM_SN_E_clIPS8_SG_SH_SH_EESK_S10_SL_SM_SN_EUlS10_E_NS1_11comp_targetILNS1_3genE8ELNS1_11target_archE1030ELNS1_3gpuE2ELNS1_3repE0EEENS1_48merge_mergepath_partition_config_static_selectorELNS0_4arch9wavefront6targetE1EEEvSM_.kd
    .uniform_work_group_size: 1
    .uses_dynamic_stack: false
    .vgpr_count:     0
    .vgpr_spill_count: 0
    .wavefront_size: 64
  - .agpr_count:     0
    .args:
      - .offset:         0
        .size:           72
        .value_kind:     by_value
      - .offset:         72
        .size:           4
        .value_kind:     hidden_block_count_x
      - .offset:         76
        .size:           4
        .value_kind:     hidden_block_count_y
      - .offset:         80
        .size:           4
        .value_kind:     hidden_block_count_z
      - .offset:         84
        .size:           2
        .value_kind:     hidden_group_size_x
      - .offset:         86
        .size:           2
        .value_kind:     hidden_group_size_y
      - .offset:         88
        .size:           2
        .value_kind:     hidden_group_size_z
      - .offset:         90
        .size:           2
        .value_kind:     hidden_remainder_x
      - .offset:         92
        .size:           2
        .value_kind:     hidden_remainder_y
      - .offset:         94
        .size:           2
        .value_kind:     hidden_remainder_z
      - .offset:         112
        .size:           8
        .value_kind:     hidden_global_offset_x
      - .offset:         120
        .size:           8
        .value_kind:     hidden_global_offset_y
      - .offset:         128
        .size:           8
        .value_kind:     hidden_global_offset_z
      - .offset:         136
        .size:           2
        .value_kind:     hidden_grid_dims
    .group_segment_fixed_size: 8448
    .kernarg_segment_align: 8
    .kernarg_segment_size: 328
    .language:       OpenCL C
    .language_version:
      - 2
      - 0
    .max_flat_workgroup_size: 128
    .name:           _ZN7rocprim17ROCPRIM_400000_NS6detail17trampoline_kernelINS0_14default_configENS1_38merge_sort_block_merge_config_selectorIN6thrust23THRUST_200600_302600_NS4pairIiiEENS0_10empty_typeEEEZZNS1_27merge_sort_block_merge_implIS3_NS6_6detail15normal_iteratorINS6_10device_ptrIS8_EEEEPS9_mNS6_4lessIS8_EEEE10hipError_tT0_T1_T2_jT3_P12ihipStream_tbPNSt15iterator_traitsISL_E10value_typeEPNSR_ISM_E10value_typeEPSN_NS1_7vsmem_tEENKUlT_SL_SM_SN_E_clIPS8_SG_SH_SH_EESK_S10_SL_SM_SN_EUlS10_E0_NS1_11comp_targetILNS1_3genE0ELNS1_11target_archE4294967295ELNS1_3gpuE0ELNS1_3repE0EEENS1_38merge_mergepath_config_static_selectorELNS0_4arch9wavefront6targetE1EEEvSM_
    .private_segment_fixed_size: 0
    .sgpr_count:     37
    .sgpr_spill_count: 0
    .symbol:         _ZN7rocprim17ROCPRIM_400000_NS6detail17trampoline_kernelINS0_14default_configENS1_38merge_sort_block_merge_config_selectorIN6thrust23THRUST_200600_302600_NS4pairIiiEENS0_10empty_typeEEEZZNS1_27merge_sort_block_merge_implIS3_NS6_6detail15normal_iteratorINS6_10device_ptrIS8_EEEEPS9_mNS6_4lessIS8_EEEE10hipError_tT0_T1_T2_jT3_P12ihipStream_tbPNSt15iterator_traitsISL_E10value_typeEPNSR_ISM_E10value_typeEPSN_NS1_7vsmem_tEENKUlT_SL_SM_SN_E_clIPS8_SG_SH_SH_EESK_S10_SL_SM_SN_EUlS10_E0_NS1_11comp_targetILNS1_3genE0ELNS1_11target_archE4294967295ELNS1_3gpuE0ELNS1_3repE0EEENS1_38merge_mergepath_config_static_selectorELNS0_4arch9wavefront6targetE1EEEvSM_.kd
    .uniform_work_group_size: 1
    .uses_dynamic_stack: false
    .vgpr_count:     34
    .vgpr_spill_count: 0
    .wavefront_size: 64
  - .agpr_count:     0
    .args:
      - .offset:         0
        .size:           72
        .value_kind:     by_value
    .group_segment_fixed_size: 0
    .kernarg_segment_align: 8
    .kernarg_segment_size: 72
    .language:       OpenCL C
    .language_version:
      - 2
      - 0
    .max_flat_workgroup_size: 512
    .name:           _ZN7rocprim17ROCPRIM_400000_NS6detail17trampoline_kernelINS0_14default_configENS1_38merge_sort_block_merge_config_selectorIN6thrust23THRUST_200600_302600_NS4pairIiiEENS0_10empty_typeEEEZZNS1_27merge_sort_block_merge_implIS3_NS6_6detail15normal_iteratorINS6_10device_ptrIS8_EEEEPS9_mNS6_4lessIS8_EEEE10hipError_tT0_T1_T2_jT3_P12ihipStream_tbPNSt15iterator_traitsISL_E10value_typeEPNSR_ISM_E10value_typeEPSN_NS1_7vsmem_tEENKUlT_SL_SM_SN_E_clIPS8_SG_SH_SH_EESK_S10_SL_SM_SN_EUlS10_E0_NS1_11comp_targetILNS1_3genE10ELNS1_11target_archE1201ELNS1_3gpuE5ELNS1_3repE0EEENS1_38merge_mergepath_config_static_selectorELNS0_4arch9wavefront6targetE1EEEvSM_
    .private_segment_fixed_size: 0
    .sgpr_count:     6
    .sgpr_spill_count: 0
    .symbol:         _ZN7rocprim17ROCPRIM_400000_NS6detail17trampoline_kernelINS0_14default_configENS1_38merge_sort_block_merge_config_selectorIN6thrust23THRUST_200600_302600_NS4pairIiiEENS0_10empty_typeEEEZZNS1_27merge_sort_block_merge_implIS3_NS6_6detail15normal_iteratorINS6_10device_ptrIS8_EEEEPS9_mNS6_4lessIS8_EEEE10hipError_tT0_T1_T2_jT3_P12ihipStream_tbPNSt15iterator_traitsISL_E10value_typeEPNSR_ISM_E10value_typeEPSN_NS1_7vsmem_tEENKUlT_SL_SM_SN_E_clIPS8_SG_SH_SH_EESK_S10_SL_SM_SN_EUlS10_E0_NS1_11comp_targetILNS1_3genE10ELNS1_11target_archE1201ELNS1_3gpuE5ELNS1_3repE0EEENS1_38merge_mergepath_config_static_selectorELNS0_4arch9wavefront6targetE1EEEvSM_.kd
    .uniform_work_group_size: 1
    .uses_dynamic_stack: false
    .vgpr_count:     0
    .vgpr_spill_count: 0
    .wavefront_size: 64
  - .agpr_count:     0
    .args:
      - .offset:         0
        .size:           72
        .value_kind:     by_value
    .group_segment_fixed_size: 0
    .kernarg_segment_align: 8
    .kernarg_segment_size: 72
    .language:       OpenCL C
    .language_version:
      - 2
      - 0
    .max_flat_workgroup_size: 128
    .name:           _ZN7rocprim17ROCPRIM_400000_NS6detail17trampoline_kernelINS0_14default_configENS1_38merge_sort_block_merge_config_selectorIN6thrust23THRUST_200600_302600_NS4pairIiiEENS0_10empty_typeEEEZZNS1_27merge_sort_block_merge_implIS3_NS6_6detail15normal_iteratorINS6_10device_ptrIS8_EEEEPS9_mNS6_4lessIS8_EEEE10hipError_tT0_T1_T2_jT3_P12ihipStream_tbPNSt15iterator_traitsISL_E10value_typeEPNSR_ISM_E10value_typeEPSN_NS1_7vsmem_tEENKUlT_SL_SM_SN_E_clIPS8_SG_SH_SH_EESK_S10_SL_SM_SN_EUlS10_E0_NS1_11comp_targetILNS1_3genE5ELNS1_11target_archE942ELNS1_3gpuE9ELNS1_3repE0EEENS1_38merge_mergepath_config_static_selectorELNS0_4arch9wavefront6targetE1EEEvSM_
    .private_segment_fixed_size: 0
    .sgpr_count:     6
    .sgpr_spill_count: 0
    .symbol:         _ZN7rocprim17ROCPRIM_400000_NS6detail17trampoline_kernelINS0_14default_configENS1_38merge_sort_block_merge_config_selectorIN6thrust23THRUST_200600_302600_NS4pairIiiEENS0_10empty_typeEEEZZNS1_27merge_sort_block_merge_implIS3_NS6_6detail15normal_iteratorINS6_10device_ptrIS8_EEEEPS9_mNS6_4lessIS8_EEEE10hipError_tT0_T1_T2_jT3_P12ihipStream_tbPNSt15iterator_traitsISL_E10value_typeEPNSR_ISM_E10value_typeEPSN_NS1_7vsmem_tEENKUlT_SL_SM_SN_E_clIPS8_SG_SH_SH_EESK_S10_SL_SM_SN_EUlS10_E0_NS1_11comp_targetILNS1_3genE5ELNS1_11target_archE942ELNS1_3gpuE9ELNS1_3repE0EEENS1_38merge_mergepath_config_static_selectorELNS0_4arch9wavefront6targetE1EEEvSM_.kd
    .uniform_work_group_size: 1
    .uses_dynamic_stack: false
    .vgpr_count:     0
    .vgpr_spill_count: 0
    .wavefront_size: 64
  - .agpr_count:     0
    .args:
      - .offset:         0
        .size:           72
        .value_kind:     by_value
    .group_segment_fixed_size: 0
    .kernarg_segment_align: 8
    .kernarg_segment_size: 72
    .language:       OpenCL C
    .language_version:
      - 2
      - 0
    .max_flat_workgroup_size: 256
    .name:           _ZN7rocprim17ROCPRIM_400000_NS6detail17trampoline_kernelINS0_14default_configENS1_38merge_sort_block_merge_config_selectorIN6thrust23THRUST_200600_302600_NS4pairIiiEENS0_10empty_typeEEEZZNS1_27merge_sort_block_merge_implIS3_NS6_6detail15normal_iteratorINS6_10device_ptrIS8_EEEEPS9_mNS6_4lessIS8_EEEE10hipError_tT0_T1_T2_jT3_P12ihipStream_tbPNSt15iterator_traitsISL_E10value_typeEPNSR_ISM_E10value_typeEPSN_NS1_7vsmem_tEENKUlT_SL_SM_SN_E_clIPS8_SG_SH_SH_EESK_S10_SL_SM_SN_EUlS10_E0_NS1_11comp_targetILNS1_3genE4ELNS1_11target_archE910ELNS1_3gpuE8ELNS1_3repE0EEENS1_38merge_mergepath_config_static_selectorELNS0_4arch9wavefront6targetE1EEEvSM_
    .private_segment_fixed_size: 0
    .sgpr_count:     6
    .sgpr_spill_count: 0
    .symbol:         _ZN7rocprim17ROCPRIM_400000_NS6detail17trampoline_kernelINS0_14default_configENS1_38merge_sort_block_merge_config_selectorIN6thrust23THRUST_200600_302600_NS4pairIiiEENS0_10empty_typeEEEZZNS1_27merge_sort_block_merge_implIS3_NS6_6detail15normal_iteratorINS6_10device_ptrIS8_EEEEPS9_mNS6_4lessIS8_EEEE10hipError_tT0_T1_T2_jT3_P12ihipStream_tbPNSt15iterator_traitsISL_E10value_typeEPNSR_ISM_E10value_typeEPSN_NS1_7vsmem_tEENKUlT_SL_SM_SN_E_clIPS8_SG_SH_SH_EESK_S10_SL_SM_SN_EUlS10_E0_NS1_11comp_targetILNS1_3genE4ELNS1_11target_archE910ELNS1_3gpuE8ELNS1_3repE0EEENS1_38merge_mergepath_config_static_selectorELNS0_4arch9wavefront6targetE1EEEvSM_.kd
    .uniform_work_group_size: 1
    .uses_dynamic_stack: false
    .vgpr_count:     0
    .vgpr_spill_count: 0
    .wavefront_size: 64
  - .agpr_count:     0
    .args:
      - .offset:         0
        .size:           72
        .value_kind:     by_value
    .group_segment_fixed_size: 0
    .kernarg_segment_align: 8
    .kernarg_segment_size: 72
    .language:       OpenCL C
    .language_version:
      - 2
      - 0
    .max_flat_workgroup_size: 128
    .name:           _ZN7rocprim17ROCPRIM_400000_NS6detail17trampoline_kernelINS0_14default_configENS1_38merge_sort_block_merge_config_selectorIN6thrust23THRUST_200600_302600_NS4pairIiiEENS0_10empty_typeEEEZZNS1_27merge_sort_block_merge_implIS3_NS6_6detail15normal_iteratorINS6_10device_ptrIS8_EEEEPS9_mNS6_4lessIS8_EEEE10hipError_tT0_T1_T2_jT3_P12ihipStream_tbPNSt15iterator_traitsISL_E10value_typeEPNSR_ISM_E10value_typeEPSN_NS1_7vsmem_tEENKUlT_SL_SM_SN_E_clIPS8_SG_SH_SH_EESK_S10_SL_SM_SN_EUlS10_E0_NS1_11comp_targetILNS1_3genE3ELNS1_11target_archE908ELNS1_3gpuE7ELNS1_3repE0EEENS1_38merge_mergepath_config_static_selectorELNS0_4arch9wavefront6targetE1EEEvSM_
    .private_segment_fixed_size: 0
    .sgpr_count:     6
    .sgpr_spill_count: 0
    .symbol:         _ZN7rocprim17ROCPRIM_400000_NS6detail17trampoline_kernelINS0_14default_configENS1_38merge_sort_block_merge_config_selectorIN6thrust23THRUST_200600_302600_NS4pairIiiEENS0_10empty_typeEEEZZNS1_27merge_sort_block_merge_implIS3_NS6_6detail15normal_iteratorINS6_10device_ptrIS8_EEEEPS9_mNS6_4lessIS8_EEEE10hipError_tT0_T1_T2_jT3_P12ihipStream_tbPNSt15iterator_traitsISL_E10value_typeEPNSR_ISM_E10value_typeEPSN_NS1_7vsmem_tEENKUlT_SL_SM_SN_E_clIPS8_SG_SH_SH_EESK_S10_SL_SM_SN_EUlS10_E0_NS1_11comp_targetILNS1_3genE3ELNS1_11target_archE908ELNS1_3gpuE7ELNS1_3repE0EEENS1_38merge_mergepath_config_static_selectorELNS0_4arch9wavefront6targetE1EEEvSM_.kd
    .uniform_work_group_size: 1
    .uses_dynamic_stack: false
    .vgpr_count:     0
    .vgpr_spill_count: 0
    .wavefront_size: 64
  - .agpr_count:     0
    .args:
      - .offset:         0
        .size:           72
        .value_kind:     by_value
    .group_segment_fixed_size: 0
    .kernarg_segment_align: 8
    .kernarg_segment_size: 72
    .language:       OpenCL C
    .language_version:
      - 2
      - 0
    .max_flat_workgroup_size: 256
    .name:           _ZN7rocprim17ROCPRIM_400000_NS6detail17trampoline_kernelINS0_14default_configENS1_38merge_sort_block_merge_config_selectorIN6thrust23THRUST_200600_302600_NS4pairIiiEENS0_10empty_typeEEEZZNS1_27merge_sort_block_merge_implIS3_NS6_6detail15normal_iteratorINS6_10device_ptrIS8_EEEEPS9_mNS6_4lessIS8_EEEE10hipError_tT0_T1_T2_jT3_P12ihipStream_tbPNSt15iterator_traitsISL_E10value_typeEPNSR_ISM_E10value_typeEPSN_NS1_7vsmem_tEENKUlT_SL_SM_SN_E_clIPS8_SG_SH_SH_EESK_S10_SL_SM_SN_EUlS10_E0_NS1_11comp_targetILNS1_3genE2ELNS1_11target_archE906ELNS1_3gpuE6ELNS1_3repE0EEENS1_38merge_mergepath_config_static_selectorELNS0_4arch9wavefront6targetE1EEEvSM_
    .private_segment_fixed_size: 0
    .sgpr_count:     6
    .sgpr_spill_count: 0
    .symbol:         _ZN7rocprim17ROCPRIM_400000_NS6detail17trampoline_kernelINS0_14default_configENS1_38merge_sort_block_merge_config_selectorIN6thrust23THRUST_200600_302600_NS4pairIiiEENS0_10empty_typeEEEZZNS1_27merge_sort_block_merge_implIS3_NS6_6detail15normal_iteratorINS6_10device_ptrIS8_EEEEPS9_mNS6_4lessIS8_EEEE10hipError_tT0_T1_T2_jT3_P12ihipStream_tbPNSt15iterator_traitsISL_E10value_typeEPNSR_ISM_E10value_typeEPSN_NS1_7vsmem_tEENKUlT_SL_SM_SN_E_clIPS8_SG_SH_SH_EESK_S10_SL_SM_SN_EUlS10_E0_NS1_11comp_targetILNS1_3genE2ELNS1_11target_archE906ELNS1_3gpuE6ELNS1_3repE0EEENS1_38merge_mergepath_config_static_selectorELNS0_4arch9wavefront6targetE1EEEvSM_.kd
    .uniform_work_group_size: 1
    .uses_dynamic_stack: false
    .vgpr_count:     0
    .vgpr_spill_count: 0
    .wavefront_size: 64
  - .agpr_count:     0
    .args:
      - .offset:         0
        .size:           72
        .value_kind:     by_value
    .group_segment_fixed_size: 0
    .kernarg_segment_align: 8
    .kernarg_segment_size: 72
    .language:       OpenCL C
    .language_version:
      - 2
      - 0
    .max_flat_workgroup_size: 512
    .name:           _ZN7rocprim17ROCPRIM_400000_NS6detail17trampoline_kernelINS0_14default_configENS1_38merge_sort_block_merge_config_selectorIN6thrust23THRUST_200600_302600_NS4pairIiiEENS0_10empty_typeEEEZZNS1_27merge_sort_block_merge_implIS3_NS6_6detail15normal_iteratorINS6_10device_ptrIS8_EEEEPS9_mNS6_4lessIS8_EEEE10hipError_tT0_T1_T2_jT3_P12ihipStream_tbPNSt15iterator_traitsISL_E10value_typeEPNSR_ISM_E10value_typeEPSN_NS1_7vsmem_tEENKUlT_SL_SM_SN_E_clIPS8_SG_SH_SH_EESK_S10_SL_SM_SN_EUlS10_E0_NS1_11comp_targetILNS1_3genE9ELNS1_11target_archE1100ELNS1_3gpuE3ELNS1_3repE0EEENS1_38merge_mergepath_config_static_selectorELNS0_4arch9wavefront6targetE1EEEvSM_
    .private_segment_fixed_size: 0
    .sgpr_count:     6
    .sgpr_spill_count: 0
    .symbol:         _ZN7rocprim17ROCPRIM_400000_NS6detail17trampoline_kernelINS0_14default_configENS1_38merge_sort_block_merge_config_selectorIN6thrust23THRUST_200600_302600_NS4pairIiiEENS0_10empty_typeEEEZZNS1_27merge_sort_block_merge_implIS3_NS6_6detail15normal_iteratorINS6_10device_ptrIS8_EEEEPS9_mNS6_4lessIS8_EEEE10hipError_tT0_T1_T2_jT3_P12ihipStream_tbPNSt15iterator_traitsISL_E10value_typeEPNSR_ISM_E10value_typeEPSN_NS1_7vsmem_tEENKUlT_SL_SM_SN_E_clIPS8_SG_SH_SH_EESK_S10_SL_SM_SN_EUlS10_E0_NS1_11comp_targetILNS1_3genE9ELNS1_11target_archE1100ELNS1_3gpuE3ELNS1_3repE0EEENS1_38merge_mergepath_config_static_selectorELNS0_4arch9wavefront6targetE1EEEvSM_.kd
    .uniform_work_group_size: 1
    .uses_dynamic_stack: false
    .vgpr_count:     0
    .vgpr_spill_count: 0
    .wavefront_size: 64
  - .agpr_count:     0
    .args:
      - .offset:         0
        .size:           72
        .value_kind:     by_value
    .group_segment_fixed_size: 0
    .kernarg_segment_align: 8
    .kernarg_segment_size: 72
    .language:       OpenCL C
    .language_version:
      - 2
      - 0
    .max_flat_workgroup_size: 1024
    .name:           _ZN7rocprim17ROCPRIM_400000_NS6detail17trampoline_kernelINS0_14default_configENS1_38merge_sort_block_merge_config_selectorIN6thrust23THRUST_200600_302600_NS4pairIiiEENS0_10empty_typeEEEZZNS1_27merge_sort_block_merge_implIS3_NS6_6detail15normal_iteratorINS6_10device_ptrIS8_EEEEPS9_mNS6_4lessIS8_EEEE10hipError_tT0_T1_T2_jT3_P12ihipStream_tbPNSt15iterator_traitsISL_E10value_typeEPNSR_ISM_E10value_typeEPSN_NS1_7vsmem_tEENKUlT_SL_SM_SN_E_clIPS8_SG_SH_SH_EESK_S10_SL_SM_SN_EUlS10_E0_NS1_11comp_targetILNS1_3genE8ELNS1_11target_archE1030ELNS1_3gpuE2ELNS1_3repE0EEENS1_38merge_mergepath_config_static_selectorELNS0_4arch9wavefront6targetE1EEEvSM_
    .private_segment_fixed_size: 0
    .sgpr_count:     6
    .sgpr_spill_count: 0
    .symbol:         _ZN7rocprim17ROCPRIM_400000_NS6detail17trampoline_kernelINS0_14default_configENS1_38merge_sort_block_merge_config_selectorIN6thrust23THRUST_200600_302600_NS4pairIiiEENS0_10empty_typeEEEZZNS1_27merge_sort_block_merge_implIS3_NS6_6detail15normal_iteratorINS6_10device_ptrIS8_EEEEPS9_mNS6_4lessIS8_EEEE10hipError_tT0_T1_T2_jT3_P12ihipStream_tbPNSt15iterator_traitsISL_E10value_typeEPNSR_ISM_E10value_typeEPSN_NS1_7vsmem_tEENKUlT_SL_SM_SN_E_clIPS8_SG_SH_SH_EESK_S10_SL_SM_SN_EUlS10_E0_NS1_11comp_targetILNS1_3genE8ELNS1_11target_archE1030ELNS1_3gpuE2ELNS1_3repE0EEENS1_38merge_mergepath_config_static_selectorELNS0_4arch9wavefront6targetE1EEEvSM_.kd
    .uniform_work_group_size: 1
    .uses_dynamic_stack: false
    .vgpr_count:     0
    .vgpr_spill_count: 0
    .wavefront_size: 64
  - .agpr_count:     0
    .args:
      - .offset:         0
        .size:           56
        .value_kind:     by_value
    .group_segment_fixed_size: 0
    .kernarg_segment_align: 8
    .kernarg_segment_size: 56
    .language:       OpenCL C
    .language_version:
      - 2
      - 0
    .max_flat_workgroup_size: 256
    .name:           _ZN7rocprim17ROCPRIM_400000_NS6detail17trampoline_kernelINS0_14default_configENS1_38merge_sort_block_merge_config_selectorIN6thrust23THRUST_200600_302600_NS4pairIiiEENS0_10empty_typeEEEZZNS1_27merge_sort_block_merge_implIS3_NS6_6detail15normal_iteratorINS6_10device_ptrIS8_EEEEPS9_mNS6_4lessIS8_EEEE10hipError_tT0_T1_T2_jT3_P12ihipStream_tbPNSt15iterator_traitsISL_E10value_typeEPNSR_ISM_E10value_typeEPSN_NS1_7vsmem_tEENKUlT_SL_SM_SN_E_clIPS8_SG_SH_SH_EESK_S10_SL_SM_SN_EUlS10_E1_NS1_11comp_targetILNS1_3genE0ELNS1_11target_archE4294967295ELNS1_3gpuE0ELNS1_3repE0EEENS1_36merge_oddeven_config_static_selectorELNS0_4arch9wavefront6targetE1EEEvSM_
    .private_segment_fixed_size: 0
    .sgpr_count:     31
    .sgpr_spill_count: 0
    .symbol:         _ZN7rocprim17ROCPRIM_400000_NS6detail17trampoline_kernelINS0_14default_configENS1_38merge_sort_block_merge_config_selectorIN6thrust23THRUST_200600_302600_NS4pairIiiEENS0_10empty_typeEEEZZNS1_27merge_sort_block_merge_implIS3_NS6_6detail15normal_iteratorINS6_10device_ptrIS8_EEEEPS9_mNS6_4lessIS8_EEEE10hipError_tT0_T1_T2_jT3_P12ihipStream_tbPNSt15iterator_traitsISL_E10value_typeEPNSR_ISM_E10value_typeEPSN_NS1_7vsmem_tEENKUlT_SL_SM_SN_E_clIPS8_SG_SH_SH_EESK_S10_SL_SM_SN_EUlS10_E1_NS1_11comp_targetILNS1_3genE0ELNS1_11target_archE4294967295ELNS1_3gpuE0ELNS1_3repE0EEENS1_36merge_oddeven_config_static_selectorELNS0_4arch9wavefront6targetE1EEEvSM_.kd
    .uniform_work_group_size: 1
    .uses_dynamic_stack: false
    .vgpr_count:     9
    .vgpr_spill_count: 0
    .wavefront_size: 64
  - .agpr_count:     0
    .args:
      - .offset:         0
        .size:           56
        .value_kind:     by_value
    .group_segment_fixed_size: 0
    .kernarg_segment_align: 8
    .kernarg_segment_size: 56
    .language:       OpenCL C
    .language_version:
      - 2
      - 0
    .max_flat_workgroup_size: 256
    .name:           _ZN7rocprim17ROCPRIM_400000_NS6detail17trampoline_kernelINS0_14default_configENS1_38merge_sort_block_merge_config_selectorIN6thrust23THRUST_200600_302600_NS4pairIiiEENS0_10empty_typeEEEZZNS1_27merge_sort_block_merge_implIS3_NS6_6detail15normal_iteratorINS6_10device_ptrIS8_EEEEPS9_mNS6_4lessIS8_EEEE10hipError_tT0_T1_T2_jT3_P12ihipStream_tbPNSt15iterator_traitsISL_E10value_typeEPNSR_ISM_E10value_typeEPSN_NS1_7vsmem_tEENKUlT_SL_SM_SN_E_clIPS8_SG_SH_SH_EESK_S10_SL_SM_SN_EUlS10_E1_NS1_11comp_targetILNS1_3genE10ELNS1_11target_archE1201ELNS1_3gpuE5ELNS1_3repE0EEENS1_36merge_oddeven_config_static_selectorELNS0_4arch9wavefront6targetE1EEEvSM_
    .private_segment_fixed_size: 0
    .sgpr_count:     6
    .sgpr_spill_count: 0
    .symbol:         _ZN7rocprim17ROCPRIM_400000_NS6detail17trampoline_kernelINS0_14default_configENS1_38merge_sort_block_merge_config_selectorIN6thrust23THRUST_200600_302600_NS4pairIiiEENS0_10empty_typeEEEZZNS1_27merge_sort_block_merge_implIS3_NS6_6detail15normal_iteratorINS6_10device_ptrIS8_EEEEPS9_mNS6_4lessIS8_EEEE10hipError_tT0_T1_T2_jT3_P12ihipStream_tbPNSt15iterator_traitsISL_E10value_typeEPNSR_ISM_E10value_typeEPSN_NS1_7vsmem_tEENKUlT_SL_SM_SN_E_clIPS8_SG_SH_SH_EESK_S10_SL_SM_SN_EUlS10_E1_NS1_11comp_targetILNS1_3genE10ELNS1_11target_archE1201ELNS1_3gpuE5ELNS1_3repE0EEENS1_36merge_oddeven_config_static_selectorELNS0_4arch9wavefront6targetE1EEEvSM_.kd
    .uniform_work_group_size: 1
    .uses_dynamic_stack: false
    .vgpr_count:     0
    .vgpr_spill_count: 0
    .wavefront_size: 64
  - .agpr_count:     0
    .args:
      - .offset:         0
        .size:           56
        .value_kind:     by_value
    .group_segment_fixed_size: 0
    .kernarg_segment_align: 8
    .kernarg_segment_size: 56
    .language:       OpenCL C
    .language_version:
      - 2
      - 0
    .max_flat_workgroup_size: 256
    .name:           _ZN7rocprim17ROCPRIM_400000_NS6detail17trampoline_kernelINS0_14default_configENS1_38merge_sort_block_merge_config_selectorIN6thrust23THRUST_200600_302600_NS4pairIiiEENS0_10empty_typeEEEZZNS1_27merge_sort_block_merge_implIS3_NS6_6detail15normal_iteratorINS6_10device_ptrIS8_EEEEPS9_mNS6_4lessIS8_EEEE10hipError_tT0_T1_T2_jT3_P12ihipStream_tbPNSt15iterator_traitsISL_E10value_typeEPNSR_ISM_E10value_typeEPSN_NS1_7vsmem_tEENKUlT_SL_SM_SN_E_clIPS8_SG_SH_SH_EESK_S10_SL_SM_SN_EUlS10_E1_NS1_11comp_targetILNS1_3genE5ELNS1_11target_archE942ELNS1_3gpuE9ELNS1_3repE0EEENS1_36merge_oddeven_config_static_selectorELNS0_4arch9wavefront6targetE1EEEvSM_
    .private_segment_fixed_size: 0
    .sgpr_count:     6
    .sgpr_spill_count: 0
    .symbol:         _ZN7rocprim17ROCPRIM_400000_NS6detail17trampoline_kernelINS0_14default_configENS1_38merge_sort_block_merge_config_selectorIN6thrust23THRUST_200600_302600_NS4pairIiiEENS0_10empty_typeEEEZZNS1_27merge_sort_block_merge_implIS3_NS6_6detail15normal_iteratorINS6_10device_ptrIS8_EEEEPS9_mNS6_4lessIS8_EEEE10hipError_tT0_T1_T2_jT3_P12ihipStream_tbPNSt15iterator_traitsISL_E10value_typeEPNSR_ISM_E10value_typeEPSN_NS1_7vsmem_tEENKUlT_SL_SM_SN_E_clIPS8_SG_SH_SH_EESK_S10_SL_SM_SN_EUlS10_E1_NS1_11comp_targetILNS1_3genE5ELNS1_11target_archE942ELNS1_3gpuE9ELNS1_3repE0EEENS1_36merge_oddeven_config_static_selectorELNS0_4arch9wavefront6targetE1EEEvSM_.kd
    .uniform_work_group_size: 1
    .uses_dynamic_stack: false
    .vgpr_count:     0
    .vgpr_spill_count: 0
    .wavefront_size: 64
  - .agpr_count:     0
    .args:
      - .offset:         0
        .size:           56
        .value_kind:     by_value
    .group_segment_fixed_size: 0
    .kernarg_segment_align: 8
    .kernarg_segment_size: 56
    .language:       OpenCL C
    .language_version:
      - 2
      - 0
    .max_flat_workgroup_size: 256
    .name:           _ZN7rocprim17ROCPRIM_400000_NS6detail17trampoline_kernelINS0_14default_configENS1_38merge_sort_block_merge_config_selectorIN6thrust23THRUST_200600_302600_NS4pairIiiEENS0_10empty_typeEEEZZNS1_27merge_sort_block_merge_implIS3_NS6_6detail15normal_iteratorINS6_10device_ptrIS8_EEEEPS9_mNS6_4lessIS8_EEEE10hipError_tT0_T1_T2_jT3_P12ihipStream_tbPNSt15iterator_traitsISL_E10value_typeEPNSR_ISM_E10value_typeEPSN_NS1_7vsmem_tEENKUlT_SL_SM_SN_E_clIPS8_SG_SH_SH_EESK_S10_SL_SM_SN_EUlS10_E1_NS1_11comp_targetILNS1_3genE4ELNS1_11target_archE910ELNS1_3gpuE8ELNS1_3repE0EEENS1_36merge_oddeven_config_static_selectorELNS0_4arch9wavefront6targetE1EEEvSM_
    .private_segment_fixed_size: 0
    .sgpr_count:     6
    .sgpr_spill_count: 0
    .symbol:         _ZN7rocprim17ROCPRIM_400000_NS6detail17trampoline_kernelINS0_14default_configENS1_38merge_sort_block_merge_config_selectorIN6thrust23THRUST_200600_302600_NS4pairIiiEENS0_10empty_typeEEEZZNS1_27merge_sort_block_merge_implIS3_NS6_6detail15normal_iteratorINS6_10device_ptrIS8_EEEEPS9_mNS6_4lessIS8_EEEE10hipError_tT0_T1_T2_jT3_P12ihipStream_tbPNSt15iterator_traitsISL_E10value_typeEPNSR_ISM_E10value_typeEPSN_NS1_7vsmem_tEENKUlT_SL_SM_SN_E_clIPS8_SG_SH_SH_EESK_S10_SL_SM_SN_EUlS10_E1_NS1_11comp_targetILNS1_3genE4ELNS1_11target_archE910ELNS1_3gpuE8ELNS1_3repE0EEENS1_36merge_oddeven_config_static_selectorELNS0_4arch9wavefront6targetE1EEEvSM_.kd
    .uniform_work_group_size: 1
    .uses_dynamic_stack: false
    .vgpr_count:     0
    .vgpr_spill_count: 0
    .wavefront_size: 64
  - .agpr_count:     0
    .args:
      - .offset:         0
        .size:           56
        .value_kind:     by_value
    .group_segment_fixed_size: 0
    .kernarg_segment_align: 8
    .kernarg_segment_size: 56
    .language:       OpenCL C
    .language_version:
      - 2
      - 0
    .max_flat_workgroup_size: 256
    .name:           _ZN7rocprim17ROCPRIM_400000_NS6detail17trampoline_kernelINS0_14default_configENS1_38merge_sort_block_merge_config_selectorIN6thrust23THRUST_200600_302600_NS4pairIiiEENS0_10empty_typeEEEZZNS1_27merge_sort_block_merge_implIS3_NS6_6detail15normal_iteratorINS6_10device_ptrIS8_EEEEPS9_mNS6_4lessIS8_EEEE10hipError_tT0_T1_T2_jT3_P12ihipStream_tbPNSt15iterator_traitsISL_E10value_typeEPNSR_ISM_E10value_typeEPSN_NS1_7vsmem_tEENKUlT_SL_SM_SN_E_clIPS8_SG_SH_SH_EESK_S10_SL_SM_SN_EUlS10_E1_NS1_11comp_targetILNS1_3genE3ELNS1_11target_archE908ELNS1_3gpuE7ELNS1_3repE0EEENS1_36merge_oddeven_config_static_selectorELNS0_4arch9wavefront6targetE1EEEvSM_
    .private_segment_fixed_size: 0
    .sgpr_count:     6
    .sgpr_spill_count: 0
    .symbol:         _ZN7rocprim17ROCPRIM_400000_NS6detail17trampoline_kernelINS0_14default_configENS1_38merge_sort_block_merge_config_selectorIN6thrust23THRUST_200600_302600_NS4pairIiiEENS0_10empty_typeEEEZZNS1_27merge_sort_block_merge_implIS3_NS6_6detail15normal_iteratorINS6_10device_ptrIS8_EEEEPS9_mNS6_4lessIS8_EEEE10hipError_tT0_T1_T2_jT3_P12ihipStream_tbPNSt15iterator_traitsISL_E10value_typeEPNSR_ISM_E10value_typeEPSN_NS1_7vsmem_tEENKUlT_SL_SM_SN_E_clIPS8_SG_SH_SH_EESK_S10_SL_SM_SN_EUlS10_E1_NS1_11comp_targetILNS1_3genE3ELNS1_11target_archE908ELNS1_3gpuE7ELNS1_3repE0EEENS1_36merge_oddeven_config_static_selectorELNS0_4arch9wavefront6targetE1EEEvSM_.kd
    .uniform_work_group_size: 1
    .uses_dynamic_stack: false
    .vgpr_count:     0
    .vgpr_spill_count: 0
    .wavefront_size: 64
  - .agpr_count:     0
    .args:
      - .offset:         0
        .size:           56
        .value_kind:     by_value
    .group_segment_fixed_size: 0
    .kernarg_segment_align: 8
    .kernarg_segment_size: 56
    .language:       OpenCL C
    .language_version:
      - 2
      - 0
    .max_flat_workgroup_size: 256
    .name:           _ZN7rocprim17ROCPRIM_400000_NS6detail17trampoline_kernelINS0_14default_configENS1_38merge_sort_block_merge_config_selectorIN6thrust23THRUST_200600_302600_NS4pairIiiEENS0_10empty_typeEEEZZNS1_27merge_sort_block_merge_implIS3_NS6_6detail15normal_iteratorINS6_10device_ptrIS8_EEEEPS9_mNS6_4lessIS8_EEEE10hipError_tT0_T1_T2_jT3_P12ihipStream_tbPNSt15iterator_traitsISL_E10value_typeEPNSR_ISM_E10value_typeEPSN_NS1_7vsmem_tEENKUlT_SL_SM_SN_E_clIPS8_SG_SH_SH_EESK_S10_SL_SM_SN_EUlS10_E1_NS1_11comp_targetILNS1_3genE2ELNS1_11target_archE906ELNS1_3gpuE6ELNS1_3repE0EEENS1_36merge_oddeven_config_static_selectorELNS0_4arch9wavefront6targetE1EEEvSM_
    .private_segment_fixed_size: 0
    .sgpr_count:     6
    .sgpr_spill_count: 0
    .symbol:         _ZN7rocprim17ROCPRIM_400000_NS6detail17trampoline_kernelINS0_14default_configENS1_38merge_sort_block_merge_config_selectorIN6thrust23THRUST_200600_302600_NS4pairIiiEENS0_10empty_typeEEEZZNS1_27merge_sort_block_merge_implIS3_NS6_6detail15normal_iteratorINS6_10device_ptrIS8_EEEEPS9_mNS6_4lessIS8_EEEE10hipError_tT0_T1_T2_jT3_P12ihipStream_tbPNSt15iterator_traitsISL_E10value_typeEPNSR_ISM_E10value_typeEPSN_NS1_7vsmem_tEENKUlT_SL_SM_SN_E_clIPS8_SG_SH_SH_EESK_S10_SL_SM_SN_EUlS10_E1_NS1_11comp_targetILNS1_3genE2ELNS1_11target_archE906ELNS1_3gpuE6ELNS1_3repE0EEENS1_36merge_oddeven_config_static_selectorELNS0_4arch9wavefront6targetE1EEEvSM_.kd
    .uniform_work_group_size: 1
    .uses_dynamic_stack: false
    .vgpr_count:     0
    .vgpr_spill_count: 0
    .wavefront_size: 64
  - .agpr_count:     0
    .args:
      - .offset:         0
        .size:           56
        .value_kind:     by_value
    .group_segment_fixed_size: 0
    .kernarg_segment_align: 8
    .kernarg_segment_size: 56
    .language:       OpenCL C
    .language_version:
      - 2
      - 0
    .max_flat_workgroup_size: 256
    .name:           _ZN7rocprim17ROCPRIM_400000_NS6detail17trampoline_kernelINS0_14default_configENS1_38merge_sort_block_merge_config_selectorIN6thrust23THRUST_200600_302600_NS4pairIiiEENS0_10empty_typeEEEZZNS1_27merge_sort_block_merge_implIS3_NS6_6detail15normal_iteratorINS6_10device_ptrIS8_EEEEPS9_mNS6_4lessIS8_EEEE10hipError_tT0_T1_T2_jT3_P12ihipStream_tbPNSt15iterator_traitsISL_E10value_typeEPNSR_ISM_E10value_typeEPSN_NS1_7vsmem_tEENKUlT_SL_SM_SN_E_clIPS8_SG_SH_SH_EESK_S10_SL_SM_SN_EUlS10_E1_NS1_11comp_targetILNS1_3genE9ELNS1_11target_archE1100ELNS1_3gpuE3ELNS1_3repE0EEENS1_36merge_oddeven_config_static_selectorELNS0_4arch9wavefront6targetE1EEEvSM_
    .private_segment_fixed_size: 0
    .sgpr_count:     6
    .sgpr_spill_count: 0
    .symbol:         _ZN7rocprim17ROCPRIM_400000_NS6detail17trampoline_kernelINS0_14default_configENS1_38merge_sort_block_merge_config_selectorIN6thrust23THRUST_200600_302600_NS4pairIiiEENS0_10empty_typeEEEZZNS1_27merge_sort_block_merge_implIS3_NS6_6detail15normal_iteratorINS6_10device_ptrIS8_EEEEPS9_mNS6_4lessIS8_EEEE10hipError_tT0_T1_T2_jT3_P12ihipStream_tbPNSt15iterator_traitsISL_E10value_typeEPNSR_ISM_E10value_typeEPSN_NS1_7vsmem_tEENKUlT_SL_SM_SN_E_clIPS8_SG_SH_SH_EESK_S10_SL_SM_SN_EUlS10_E1_NS1_11comp_targetILNS1_3genE9ELNS1_11target_archE1100ELNS1_3gpuE3ELNS1_3repE0EEENS1_36merge_oddeven_config_static_selectorELNS0_4arch9wavefront6targetE1EEEvSM_.kd
    .uniform_work_group_size: 1
    .uses_dynamic_stack: false
    .vgpr_count:     0
    .vgpr_spill_count: 0
    .wavefront_size: 64
  - .agpr_count:     0
    .args:
      - .offset:         0
        .size:           56
        .value_kind:     by_value
    .group_segment_fixed_size: 0
    .kernarg_segment_align: 8
    .kernarg_segment_size: 56
    .language:       OpenCL C
    .language_version:
      - 2
      - 0
    .max_flat_workgroup_size: 256
    .name:           _ZN7rocprim17ROCPRIM_400000_NS6detail17trampoline_kernelINS0_14default_configENS1_38merge_sort_block_merge_config_selectorIN6thrust23THRUST_200600_302600_NS4pairIiiEENS0_10empty_typeEEEZZNS1_27merge_sort_block_merge_implIS3_NS6_6detail15normal_iteratorINS6_10device_ptrIS8_EEEEPS9_mNS6_4lessIS8_EEEE10hipError_tT0_T1_T2_jT3_P12ihipStream_tbPNSt15iterator_traitsISL_E10value_typeEPNSR_ISM_E10value_typeEPSN_NS1_7vsmem_tEENKUlT_SL_SM_SN_E_clIPS8_SG_SH_SH_EESK_S10_SL_SM_SN_EUlS10_E1_NS1_11comp_targetILNS1_3genE8ELNS1_11target_archE1030ELNS1_3gpuE2ELNS1_3repE0EEENS1_36merge_oddeven_config_static_selectorELNS0_4arch9wavefront6targetE1EEEvSM_
    .private_segment_fixed_size: 0
    .sgpr_count:     6
    .sgpr_spill_count: 0
    .symbol:         _ZN7rocprim17ROCPRIM_400000_NS6detail17trampoline_kernelINS0_14default_configENS1_38merge_sort_block_merge_config_selectorIN6thrust23THRUST_200600_302600_NS4pairIiiEENS0_10empty_typeEEEZZNS1_27merge_sort_block_merge_implIS3_NS6_6detail15normal_iteratorINS6_10device_ptrIS8_EEEEPS9_mNS6_4lessIS8_EEEE10hipError_tT0_T1_T2_jT3_P12ihipStream_tbPNSt15iterator_traitsISL_E10value_typeEPNSR_ISM_E10value_typeEPSN_NS1_7vsmem_tEENKUlT_SL_SM_SN_E_clIPS8_SG_SH_SH_EESK_S10_SL_SM_SN_EUlS10_E1_NS1_11comp_targetILNS1_3genE8ELNS1_11target_archE1030ELNS1_3gpuE2ELNS1_3repE0EEENS1_36merge_oddeven_config_static_selectorELNS0_4arch9wavefront6targetE1EEEvSM_.kd
    .uniform_work_group_size: 1
    .uses_dynamic_stack: false
    .vgpr_count:     0
    .vgpr_spill_count: 0
    .wavefront_size: 64
  - .agpr_count:     0
    .args:
      - .offset:         0
        .size:           48
        .value_kind:     by_value
    .group_segment_fixed_size: 0
    .kernarg_segment_align: 8
    .kernarg_segment_size: 48
    .language:       OpenCL C
    .language_version:
      - 2
      - 0
    .max_flat_workgroup_size: 128
    .name:           _ZN7rocprim17ROCPRIM_400000_NS6detail17trampoline_kernelINS0_14default_configENS1_38merge_sort_block_merge_config_selectorIN6thrust23THRUST_200600_302600_NS4pairIiiEENS0_10empty_typeEEEZZNS1_27merge_sort_block_merge_implIS3_NS6_6detail15normal_iteratorINS6_10device_ptrIS8_EEEEPS9_mNS6_4lessIS8_EEEE10hipError_tT0_T1_T2_jT3_P12ihipStream_tbPNSt15iterator_traitsISL_E10value_typeEPNSR_ISM_E10value_typeEPSN_NS1_7vsmem_tEENKUlT_SL_SM_SN_E_clISG_PS8_SH_SH_EESK_S10_SL_SM_SN_EUlS10_E_NS1_11comp_targetILNS1_3genE0ELNS1_11target_archE4294967295ELNS1_3gpuE0ELNS1_3repE0EEENS1_48merge_mergepath_partition_config_static_selectorELNS0_4arch9wavefront6targetE1EEEvSM_
    .private_segment_fixed_size: 0
    .sgpr_count:     18
    .sgpr_spill_count: 0
    .symbol:         _ZN7rocprim17ROCPRIM_400000_NS6detail17trampoline_kernelINS0_14default_configENS1_38merge_sort_block_merge_config_selectorIN6thrust23THRUST_200600_302600_NS4pairIiiEENS0_10empty_typeEEEZZNS1_27merge_sort_block_merge_implIS3_NS6_6detail15normal_iteratorINS6_10device_ptrIS8_EEEEPS9_mNS6_4lessIS8_EEEE10hipError_tT0_T1_T2_jT3_P12ihipStream_tbPNSt15iterator_traitsISL_E10value_typeEPNSR_ISM_E10value_typeEPSN_NS1_7vsmem_tEENKUlT_SL_SM_SN_E_clISG_PS8_SH_SH_EESK_S10_SL_SM_SN_EUlS10_E_NS1_11comp_targetILNS1_3genE0ELNS1_11target_archE4294967295ELNS1_3gpuE0ELNS1_3repE0EEENS1_48merge_mergepath_partition_config_static_selectorELNS0_4arch9wavefront6targetE1EEEvSM_.kd
    .uniform_work_group_size: 1
    .uses_dynamic_stack: false
    .vgpr_count:     20
    .vgpr_spill_count: 0
    .wavefront_size: 64
  - .agpr_count:     0
    .args:
      - .offset:         0
        .size:           48
        .value_kind:     by_value
    .group_segment_fixed_size: 0
    .kernarg_segment_align: 8
    .kernarg_segment_size: 48
    .language:       OpenCL C
    .language_version:
      - 2
      - 0
    .max_flat_workgroup_size: 128
    .name:           _ZN7rocprim17ROCPRIM_400000_NS6detail17trampoline_kernelINS0_14default_configENS1_38merge_sort_block_merge_config_selectorIN6thrust23THRUST_200600_302600_NS4pairIiiEENS0_10empty_typeEEEZZNS1_27merge_sort_block_merge_implIS3_NS6_6detail15normal_iteratorINS6_10device_ptrIS8_EEEEPS9_mNS6_4lessIS8_EEEE10hipError_tT0_T1_T2_jT3_P12ihipStream_tbPNSt15iterator_traitsISL_E10value_typeEPNSR_ISM_E10value_typeEPSN_NS1_7vsmem_tEENKUlT_SL_SM_SN_E_clISG_PS8_SH_SH_EESK_S10_SL_SM_SN_EUlS10_E_NS1_11comp_targetILNS1_3genE10ELNS1_11target_archE1201ELNS1_3gpuE5ELNS1_3repE0EEENS1_48merge_mergepath_partition_config_static_selectorELNS0_4arch9wavefront6targetE1EEEvSM_
    .private_segment_fixed_size: 0
    .sgpr_count:     6
    .sgpr_spill_count: 0
    .symbol:         _ZN7rocprim17ROCPRIM_400000_NS6detail17trampoline_kernelINS0_14default_configENS1_38merge_sort_block_merge_config_selectorIN6thrust23THRUST_200600_302600_NS4pairIiiEENS0_10empty_typeEEEZZNS1_27merge_sort_block_merge_implIS3_NS6_6detail15normal_iteratorINS6_10device_ptrIS8_EEEEPS9_mNS6_4lessIS8_EEEE10hipError_tT0_T1_T2_jT3_P12ihipStream_tbPNSt15iterator_traitsISL_E10value_typeEPNSR_ISM_E10value_typeEPSN_NS1_7vsmem_tEENKUlT_SL_SM_SN_E_clISG_PS8_SH_SH_EESK_S10_SL_SM_SN_EUlS10_E_NS1_11comp_targetILNS1_3genE10ELNS1_11target_archE1201ELNS1_3gpuE5ELNS1_3repE0EEENS1_48merge_mergepath_partition_config_static_selectorELNS0_4arch9wavefront6targetE1EEEvSM_.kd
    .uniform_work_group_size: 1
    .uses_dynamic_stack: false
    .vgpr_count:     0
    .vgpr_spill_count: 0
    .wavefront_size: 64
  - .agpr_count:     0
    .args:
      - .offset:         0
        .size:           48
        .value_kind:     by_value
    .group_segment_fixed_size: 0
    .kernarg_segment_align: 8
    .kernarg_segment_size: 48
    .language:       OpenCL C
    .language_version:
      - 2
      - 0
    .max_flat_workgroup_size: 128
    .name:           _ZN7rocprim17ROCPRIM_400000_NS6detail17trampoline_kernelINS0_14default_configENS1_38merge_sort_block_merge_config_selectorIN6thrust23THRUST_200600_302600_NS4pairIiiEENS0_10empty_typeEEEZZNS1_27merge_sort_block_merge_implIS3_NS6_6detail15normal_iteratorINS6_10device_ptrIS8_EEEEPS9_mNS6_4lessIS8_EEEE10hipError_tT0_T1_T2_jT3_P12ihipStream_tbPNSt15iterator_traitsISL_E10value_typeEPNSR_ISM_E10value_typeEPSN_NS1_7vsmem_tEENKUlT_SL_SM_SN_E_clISG_PS8_SH_SH_EESK_S10_SL_SM_SN_EUlS10_E_NS1_11comp_targetILNS1_3genE5ELNS1_11target_archE942ELNS1_3gpuE9ELNS1_3repE0EEENS1_48merge_mergepath_partition_config_static_selectorELNS0_4arch9wavefront6targetE1EEEvSM_
    .private_segment_fixed_size: 0
    .sgpr_count:     6
    .sgpr_spill_count: 0
    .symbol:         _ZN7rocprim17ROCPRIM_400000_NS6detail17trampoline_kernelINS0_14default_configENS1_38merge_sort_block_merge_config_selectorIN6thrust23THRUST_200600_302600_NS4pairIiiEENS0_10empty_typeEEEZZNS1_27merge_sort_block_merge_implIS3_NS6_6detail15normal_iteratorINS6_10device_ptrIS8_EEEEPS9_mNS6_4lessIS8_EEEE10hipError_tT0_T1_T2_jT3_P12ihipStream_tbPNSt15iterator_traitsISL_E10value_typeEPNSR_ISM_E10value_typeEPSN_NS1_7vsmem_tEENKUlT_SL_SM_SN_E_clISG_PS8_SH_SH_EESK_S10_SL_SM_SN_EUlS10_E_NS1_11comp_targetILNS1_3genE5ELNS1_11target_archE942ELNS1_3gpuE9ELNS1_3repE0EEENS1_48merge_mergepath_partition_config_static_selectorELNS0_4arch9wavefront6targetE1EEEvSM_.kd
    .uniform_work_group_size: 1
    .uses_dynamic_stack: false
    .vgpr_count:     0
    .vgpr_spill_count: 0
    .wavefront_size: 64
  - .agpr_count:     0
    .args:
      - .offset:         0
        .size:           48
        .value_kind:     by_value
    .group_segment_fixed_size: 0
    .kernarg_segment_align: 8
    .kernarg_segment_size: 48
    .language:       OpenCL C
    .language_version:
      - 2
      - 0
    .max_flat_workgroup_size: 128
    .name:           _ZN7rocprim17ROCPRIM_400000_NS6detail17trampoline_kernelINS0_14default_configENS1_38merge_sort_block_merge_config_selectorIN6thrust23THRUST_200600_302600_NS4pairIiiEENS0_10empty_typeEEEZZNS1_27merge_sort_block_merge_implIS3_NS6_6detail15normal_iteratorINS6_10device_ptrIS8_EEEEPS9_mNS6_4lessIS8_EEEE10hipError_tT0_T1_T2_jT3_P12ihipStream_tbPNSt15iterator_traitsISL_E10value_typeEPNSR_ISM_E10value_typeEPSN_NS1_7vsmem_tEENKUlT_SL_SM_SN_E_clISG_PS8_SH_SH_EESK_S10_SL_SM_SN_EUlS10_E_NS1_11comp_targetILNS1_3genE4ELNS1_11target_archE910ELNS1_3gpuE8ELNS1_3repE0EEENS1_48merge_mergepath_partition_config_static_selectorELNS0_4arch9wavefront6targetE1EEEvSM_
    .private_segment_fixed_size: 0
    .sgpr_count:     6
    .sgpr_spill_count: 0
    .symbol:         _ZN7rocprim17ROCPRIM_400000_NS6detail17trampoline_kernelINS0_14default_configENS1_38merge_sort_block_merge_config_selectorIN6thrust23THRUST_200600_302600_NS4pairIiiEENS0_10empty_typeEEEZZNS1_27merge_sort_block_merge_implIS3_NS6_6detail15normal_iteratorINS6_10device_ptrIS8_EEEEPS9_mNS6_4lessIS8_EEEE10hipError_tT0_T1_T2_jT3_P12ihipStream_tbPNSt15iterator_traitsISL_E10value_typeEPNSR_ISM_E10value_typeEPSN_NS1_7vsmem_tEENKUlT_SL_SM_SN_E_clISG_PS8_SH_SH_EESK_S10_SL_SM_SN_EUlS10_E_NS1_11comp_targetILNS1_3genE4ELNS1_11target_archE910ELNS1_3gpuE8ELNS1_3repE0EEENS1_48merge_mergepath_partition_config_static_selectorELNS0_4arch9wavefront6targetE1EEEvSM_.kd
    .uniform_work_group_size: 1
    .uses_dynamic_stack: false
    .vgpr_count:     0
    .vgpr_spill_count: 0
    .wavefront_size: 64
  - .agpr_count:     0
    .args:
      - .offset:         0
        .size:           48
        .value_kind:     by_value
    .group_segment_fixed_size: 0
    .kernarg_segment_align: 8
    .kernarg_segment_size: 48
    .language:       OpenCL C
    .language_version:
      - 2
      - 0
    .max_flat_workgroup_size: 128
    .name:           _ZN7rocprim17ROCPRIM_400000_NS6detail17trampoline_kernelINS0_14default_configENS1_38merge_sort_block_merge_config_selectorIN6thrust23THRUST_200600_302600_NS4pairIiiEENS0_10empty_typeEEEZZNS1_27merge_sort_block_merge_implIS3_NS6_6detail15normal_iteratorINS6_10device_ptrIS8_EEEEPS9_mNS6_4lessIS8_EEEE10hipError_tT0_T1_T2_jT3_P12ihipStream_tbPNSt15iterator_traitsISL_E10value_typeEPNSR_ISM_E10value_typeEPSN_NS1_7vsmem_tEENKUlT_SL_SM_SN_E_clISG_PS8_SH_SH_EESK_S10_SL_SM_SN_EUlS10_E_NS1_11comp_targetILNS1_3genE3ELNS1_11target_archE908ELNS1_3gpuE7ELNS1_3repE0EEENS1_48merge_mergepath_partition_config_static_selectorELNS0_4arch9wavefront6targetE1EEEvSM_
    .private_segment_fixed_size: 0
    .sgpr_count:     6
    .sgpr_spill_count: 0
    .symbol:         _ZN7rocprim17ROCPRIM_400000_NS6detail17trampoline_kernelINS0_14default_configENS1_38merge_sort_block_merge_config_selectorIN6thrust23THRUST_200600_302600_NS4pairIiiEENS0_10empty_typeEEEZZNS1_27merge_sort_block_merge_implIS3_NS6_6detail15normal_iteratorINS6_10device_ptrIS8_EEEEPS9_mNS6_4lessIS8_EEEE10hipError_tT0_T1_T2_jT3_P12ihipStream_tbPNSt15iterator_traitsISL_E10value_typeEPNSR_ISM_E10value_typeEPSN_NS1_7vsmem_tEENKUlT_SL_SM_SN_E_clISG_PS8_SH_SH_EESK_S10_SL_SM_SN_EUlS10_E_NS1_11comp_targetILNS1_3genE3ELNS1_11target_archE908ELNS1_3gpuE7ELNS1_3repE0EEENS1_48merge_mergepath_partition_config_static_selectorELNS0_4arch9wavefront6targetE1EEEvSM_.kd
    .uniform_work_group_size: 1
    .uses_dynamic_stack: false
    .vgpr_count:     0
    .vgpr_spill_count: 0
    .wavefront_size: 64
  - .agpr_count:     0
    .args:
      - .offset:         0
        .size:           48
        .value_kind:     by_value
    .group_segment_fixed_size: 0
    .kernarg_segment_align: 8
    .kernarg_segment_size: 48
    .language:       OpenCL C
    .language_version:
      - 2
      - 0
    .max_flat_workgroup_size: 128
    .name:           _ZN7rocprim17ROCPRIM_400000_NS6detail17trampoline_kernelINS0_14default_configENS1_38merge_sort_block_merge_config_selectorIN6thrust23THRUST_200600_302600_NS4pairIiiEENS0_10empty_typeEEEZZNS1_27merge_sort_block_merge_implIS3_NS6_6detail15normal_iteratorINS6_10device_ptrIS8_EEEEPS9_mNS6_4lessIS8_EEEE10hipError_tT0_T1_T2_jT3_P12ihipStream_tbPNSt15iterator_traitsISL_E10value_typeEPNSR_ISM_E10value_typeEPSN_NS1_7vsmem_tEENKUlT_SL_SM_SN_E_clISG_PS8_SH_SH_EESK_S10_SL_SM_SN_EUlS10_E_NS1_11comp_targetILNS1_3genE2ELNS1_11target_archE906ELNS1_3gpuE6ELNS1_3repE0EEENS1_48merge_mergepath_partition_config_static_selectorELNS0_4arch9wavefront6targetE1EEEvSM_
    .private_segment_fixed_size: 0
    .sgpr_count:     6
    .sgpr_spill_count: 0
    .symbol:         _ZN7rocprim17ROCPRIM_400000_NS6detail17trampoline_kernelINS0_14default_configENS1_38merge_sort_block_merge_config_selectorIN6thrust23THRUST_200600_302600_NS4pairIiiEENS0_10empty_typeEEEZZNS1_27merge_sort_block_merge_implIS3_NS6_6detail15normal_iteratorINS6_10device_ptrIS8_EEEEPS9_mNS6_4lessIS8_EEEE10hipError_tT0_T1_T2_jT3_P12ihipStream_tbPNSt15iterator_traitsISL_E10value_typeEPNSR_ISM_E10value_typeEPSN_NS1_7vsmem_tEENKUlT_SL_SM_SN_E_clISG_PS8_SH_SH_EESK_S10_SL_SM_SN_EUlS10_E_NS1_11comp_targetILNS1_3genE2ELNS1_11target_archE906ELNS1_3gpuE6ELNS1_3repE0EEENS1_48merge_mergepath_partition_config_static_selectorELNS0_4arch9wavefront6targetE1EEEvSM_.kd
    .uniform_work_group_size: 1
    .uses_dynamic_stack: false
    .vgpr_count:     0
    .vgpr_spill_count: 0
    .wavefront_size: 64
  - .agpr_count:     0
    .args:
      - .offset:         0
        .size:           48
        .value_kind:     by_value
    .group_segment_fixed_size: 0
    .kernarg_segment_align: 8
    .kernarg_segment_size: 48
    .language:       OpenCL C
    .language_version:
      - 2
      - 0
    .max_flat_workgroup_size: 128
    .name:           _ZN7rocprim17ROCPRIM_400000_NS6detail17trampoline_kernelINS0_14default_configENS1_38merge_sort_block_merge_config_selectorIN6thrust23THRUST_200600_302600_NS4pairIiiEENS0_10empty_typeEEEZZNS1_27merge_sort_block_merge_implIS3_NS6_6detail15normal_iteratorINS6_10device_ptrIS8_EEEEPS9_mNS6_4lessIS8_EEEE10hipError_tT0_T1_T2_jT3_P12ihipStream_tbPNSt15iterator_traitsISL_E10value_typeEPNSR_ISM_E10value_typeEPSN_NS1_7vsmem_tEENKUlT_SL_SM_SN_E_clISG_PS8_SH_SH_EESK_S10_SL_SM_SN_EUlS10_E_NS1_11comp_targetILNS1_3genE9ELNS1_11target_archE1100ELNS1_3gpuE3ELNS1_3repE0EEENS1_48merge_mergepath_partition_config_static_selectorELNS0_4arch9wavefront6targetE1EEEvSM_
    .private_segment_fixed_size: 0
    .sgpr_count:     6
    .sgpr_spill_count: 0
    .symbol:         _ZN7rocprim17ROCPRIM_400000_NS6detail17trampoline_kernelINS0_14default_configENS1_38merge_sort_block_merge_config_selectorIN6thrust23THRUST_200600_302600_NS4pairIiiEENS0_10empty_typeEEEZZNS1_27merge_sort_block_merge_implIS3_NS6_6detail15normal_iteratorINS6_10device_ptrIS8_EEEEPS9_mNS6_4lessIS8_EEEE10hipError_tT0_T1_T2_jT3_P12ihipStream_tbPNSt15iterator_traitsISL_E10value_typeEPNSR_ISM_E10value_typeEPSN_NS1_7vsmem_tEENKUlT_SL_SM_SN_E_clISG_PS8_SH_SH_EESK_S10_SL_SM_SN_EUlS10_E_NS1_11comp_targetILNS1_3genE9ELNS1_11target_archE1100ELNS1_3gpuE3ELNS1_3repE0EEENS1_48merge_mergepath_partition_config_static_selectorELNS0_4arch9wavefront6targetE1EEEvSM_.kd
    .uniform_work_group_size: 1
    .uses_dynamic_stack: false
    .vgpr_count:     0
    .vgpr_spill_count: 0
    .wavefront_size: 64
  - .agpr_count:     0
    .args:
      - .offset:         0
        .size:           48
        .value_kind:     by_value
    .group_segment_fixed_size: 0
    .kernarg_segment_align: 8
    .kernarg_segment_size: 48
    .language:       OpenCL C
    .language_version:
      - 2
      - 0
    .max_flat_workgroup_size: 128
    .name:           _ZN7rocprim17ROCPRIM_400000_NS6detail17trampoline_kernelINS0_14default_configENS1_38merge_sort_block_merge_config_selectorIN6thrust23THRUST_200600_302600_NS4pairIiiEENS0_10empty_typeEEEZZNS1_27merge_sort_block_merge_implIS3_NS6_6detail15normal_iteratorINS6_10device_ptrIS8_EEEEPS9_mNS6_4lessIS8_EEEE10hipError_tT0_T1_T2_jT3_P12ihipStream_tbPNSt15iterator_traitsISL_E10value_typeEPNSR_ISM_E10value_typeEPSN_NS1_7vsmem_tEENKUlT_SL_SM_SN_E_clISG_PS8_SH_SH_EESK_S10_SL_SM_SN_EUlS10_E_NS1_11comp_targetILNS1_3genE8ELNS1_11target_archE1030ELNS1_3gpuE2ELNS1_3repE0EEENS1_48merge_mergepath_partition_config_static_selectorELNS0_4arch9wavefront6targetE1EEEvSM_
    .private_segment_fixed_size: 0
    .sgpr_count:     6
    .sgpr_spill_count: 0
    .symbol:         _ZN7rocprim17ROCPRIM_400000_NS6detail17trampoline_kernelINS0_14default_configENS1_38merge_sort_block_merge_config_selectorIN6thrust23THRUST_200600_302600_NS4pairIiiEENS0_10empty_typeEEEZZNS1_27merge_sort_block_merge_implIS3_NS6_6detail15normal_iteratorINS6_10device_ptrIS8_EEEEPS9_mNS6_4lessIS8_EEEE10hipError_tT0_T1_T2_jT3_P12ihipStream_tbPNSt15iterator_traitsISL_E10value_typeEPNSR_ISM_E10value_typeEPSN_NS1_7vsmem_tEENKUlT_SL_SM_SN_E_clISG_PS8_SH_SH_EESK_S10_SL_SM_SN_EUlS10_E_NS1_11comp_targetILNS1_3genE8ELNS1_11target_archE1030ELNS1_3gpuE2ELNS1_3repE0EEENS1_48merge_mergepath_partition_config_static_selectorELNS0_4arch9wavefront6targetE1EEEvSM_.kd
    .uniform_work_group_size: 1
    .uses_dynamic_stack: false
    .vgpr_count:     0
    .vgpr_spill_count: 0
    .wavefront_size: 64
  - .agpr_count:     0
    .args:
      - .offset:         0
        .size:           72
        .value_kind:     by_value
      - .offset:         72
        .size:           4
        .value_kind:     hidden_block_count_x
      - .offset:         76
        .size:           4
        .value_kind:     hidden_block_count_y
      - .offset:         80
        .size:           4
        .value_kind:     hidden_block_count_z
      - .offset:         84
        .size:           2
        .value_kind:     hidden_group_size_x
      - .offset:         86
        .size:           2
        .value_kind:     hidden_group_size_y
      - .offset:         88
        .size:           2
        .value_kind:     hidden_group_size_z
      - .offset:         90
        .size:           2
        .value_kind:     hidden_remainder_x
      - .offset:         92
        .size:           2
        .value_kind:     hidden_remainder_y
      - .offset:         94
        .size:           2
        .value_kind:     hidden_remainder_z
      - .offset:         112
        .size:           8
        .value_kind:     hidden_global_offset_x
      - .offset:         120
        .size:           8
        .value_kind:     hidden_global_offset_y
      - .offset:         128
        .size:           8
        .value_kind:     hidden_global_offset_z
      - .offset:         136
        .size:           2
        .value_kind:     hidden_grid_dims
    .group_segment_fixed_size: 8448
    .kernarg_segment_align: 8
    .kernarg_segment_size: 328
    .language:       OpenCL C
    .language_version:
      - 2
      - 0
    .max_flat_workgroup_size: 128
    .name:           _ZN7rocprim17ROCPRIM_400000_NS6detail17trampoline_kernelINS0_14default_configENS1_38merge_sort_block_merge_config_selectorIN6thrust23THRUST_200600_302600_NS4pairIiiEENS0_10empty_typeEEEZZNS1_27merge_sort_block_merge_implIS3_NS6_6detail15normal_iteratorINS6_10device_ptrIS8_EEEEPS9_mNS6_4lessIS8_EEEE10hipError_tT0_T1_T2_jT3_P12ihipStream_tbPNSt15iterator_traitsISL_E10value_typeEPNSR_ISM_E10value_typeEPSN_NS1_7vsmem_tEENKUlT_SL_SM_SN_E_clISG_PS8_SH_SH_EESK_S10_SL_SM_SN_EUlS10_E0_NS1_11comp_targetILNS1_3genE0ELNS1_11target_archE4294967295ELNS1_3gpuE0ELNS1_3repE0EEENS1_38merge_mergepath_config_static_selectorELNS0_4arch9wavefront6targetE1EEEvSM_
    .private_segment_fixed_size: 0
    .sgpr_count:     37
    .sgpr_spill_count: 0
    .symbol:         _ZN7rocprim17ROCPRIM_400000_NS6detail17trampoline_kernelINS0_14default_configENS1_38merge_sort_block_merge_config_selectorIN6thrust23THRUST_200600_302600_NS4pairIiiEENS0_10empty_typeEEEZZNS1_27merge_sort_block_merge_implIS3_NS6_6detail15normal_iteratorINS6_10device_ptrIS8_EEEEPS9_mNS6_4lessIS8_EEEE10hipError_tT0_T1_T2_jT3_P12ihipStream_tbPNSt15iterator_traitsISL_E10value_typeEPNSR_ISM_E10value_typeEPSN_NS1_7vsmem_tEENKUlT_SL_SM_SN_E_clISG_PS8_SH_SH_EESK_S10_SL_SM_SN_EUlS10_E0_NS1_11comp_targetILNS1_3genE0ELNS1_11target_archE4294967295ELNS1_3gpuE0ELNS1_3repE0EEENS1_38merge_mergepath_config_static_selectorELNS0_4arch9wavefront6targetE1EEEvSM_.kd
    .uniform_work_group_size: 1
    .uses_dynamic_stack: false
    .vgpr_count:     34
    .vgpr_spill_count: 0
    .wavefront_size: 64
  - .agpr_count:     0
    .args:
      - .offset:         0
        .size:           72
        .value_kind:     by_value
    .group_segment_fixed_size: 0
    .kernarg_segment_align: 8
    .kernarg_segment_size: 72
    .language:       OpenCL C
    .language_version:
      - 2
      - 0
    .max_flat_workgroup_size: 512
    .name:           _ZN7rocprim17ROCPRIM_400000_NS6detail17trampoline_kernelINS0_14default_configENS1_38merge_sort_block_merge_config_selectorIN6thrust23THRUST_200600_302600_NS4pairIiiEENS0_10empty_typeEEEZZNS1_27merge_sort_block_merge_implIS3_NS6_6detail15normal_iteratorINS6_10device_ptrIS8_EEEEPS9_mNS6_4lessIS8_EEEE10hipError_tT0_T1_T2_jT3_P12ihipStream_tbPNSt15iterator_traitsISL_E10value_typeEPNSR_ISM_E10value_typeEPSN_NS1_7vsmem_tEENKUlT_SL_SM_SN_E_clISG_PS8_SH_SH_EESK_S10_SL_SM_SN_EUlS10_E0_NS1_11comp_targetILNS1_3genE10ELNS1_11target_archE1201ELNS1_3gpuE5ELNS1_3repE0EEENS1_38merge_mergepath_config_static_selectorELNS0_4arch9wavefront6targetE1EEEvSM_
    .private_segment_fixed_size: 0
    .sgpr_count:     6
    .sgpr_spill_count: 0
    .symbol:         _ZN7rocprim17ROCPRIM_400000_NS6detail17trampoline_kernelINS0_14default_configENS1_38merge_sort_block_merge_config_selectorIN6thrust23THRUST_200600_302600_NS4pairIiiEENS0_10empty_typeEEEZZNS1_27merge_sort_block_merge_implIS3_NS6_6detail15normal_iteratorINS6_10device_ptrIS8_EEEEPS9_mNS6_4lessIS8_EEEE10hipError_tT0_T1_T2_jT3_P12ihipStream_tbPNSt15iterator_traitsISL_E10value_typeEPNSR_ISM_E10value_typeEPSN_NS1_7vsmem_tEENKUlT_SL_SM_SN_E_clISG_PS8_SH_SH_EESK_S10_SL_SM_SN_EUlS10_E0_NS1_11comp_targetILNS1_3genE10ELNS1_11target_archE1201ELNS1_3gpuE5ELNS1_3repE0EEENS1_38merge_mergepath_config_static_selectorELNS0_4arch9wavefront6targetE1EEEvSM_.kd
    .uniform_work_group_size: 1
    .uses_dynamic_stack: false
    .vgpr_count:     0
    .vgpr_spill_count: 0
    .wavefront_size: 64
  - .agpr_count:     0
    .args:
      - .offset:         0
        .size:           72
        .value_kind:     by_value
    .group_segment_fixed_size: 0
    .kernarg_segment_align: 8
    .kernarg_segment_size: 72
    .language:       OpenCL C
    .language_version:
      - 2
      - 0
    .max_flat_workgroup_size: 128
    .name:           _ZN7rocprim17ROCPRIM_400000_NS6detail17trampoline_kernelINS0_14default_configENS1_38merge_sort_block_merge_config_selectorIN6thrust23THRUST_200600_302600_NS4pairIiiEENS0_10empty_typeEEEZZNS1_27merge_sort_block_merge_implIS3_NS6_6detail15normal_iteratorINS6_10device_ptrIS8_EEEEPS9_mNS6_4lessIS8_EEEE10hipError_tT0_T1_T2_jT3_P12ihipStream_tbPNSt15iterator_traitsISL_E10value_typeEPNSR_ISM_E10value_typeEPSN_NS1_7vsmem_tEENKUlT_SL_SM_SN_E_clISG_PS8_SH_SH_EESK_S10_SL_SM_SN_EUlS10_E0_NS1_11comp_targetILNS1_3genE5ELNS1_11target_archE942ELNS1_3gpuE9ELNS1_3repE0EEENS1_38merge_mergepath_config_static_selectorELNS0_4arch9wavefront6targetE1EEEvSM_
    .private_segment_fixed_size: 0
    .sgpr_count:     6
    .sgpr_spill_count: 0
    .symbol:         _ZN7rocprim17ROCPRIM_400000_NS6detail17trampoline_kernelINS0_14default_configENS1_38merge_sort_block_merge_config_selectorIN6thrust23THRUST_200600_302600_NS4pairIiiEENS0_10empty_typeEEEZZNS1_27merge_sort_block_merge_implIS3_NS6_6detail15normal_iteratorINS6_10device_ptrIS8_EEEEPS9_mNS6_4lessIS8_EEEE10hipError_tT0_T1_T2_jT3_P12ihipStream_tbPNSt15iterator_traitsISL_E10value_typeEPNSR_ISM_E10value_typeEPSN_NS1_7vsmem_tEENKUlT_SL_SM_SN_E_clISG_PS8_SH_SH_EESK_S10_SL_SM_SN_EUlS10_E0_NS1_11comp_targetILNS1_3genE5ELNS1_11target_archE942ELNS1_3gpuE9ELNS1_3repE0EEENS1_38merge_mergepath_config_static_selectorELNS0_4arch9wavefront6targetE1EEEvSM_.kd
    .uniform_work_group_size: 1
    .uses_dynamic_stack: false
    .vgpr_count:     0
    .vgpr_spill_count: 0
    .wavefront_size: 64
  - .agpr_count:     0
    .args:
      - .offset:         0
        .size:           72
        .value_kind:     by_value
    .group_segment_fixed_size: 0
    .kernarg_segment_align: 8
    .kernarg_segment_size: 72
    .language:       OpenCL C
    .language_version:
      - 2
      - 0
    .max_flat_workgroup_size: 256
    .name:           _ZN7rocprim17ROCPRIM_400000_NS6detail17trampoline_kernelINS0_14default_configENS1_38merge_sort_block_merge_config_selectorIN6thrust23THRUST_200600_302600_NS4pairIiiEENS0_10empty_typeEEEZZNS1_27merge_sort_block_merge_implIS3_NS6_6detail15normal_iteratorINS6_10device_ptrIS8_EEEEPS9_mNS6_4lessIS8_EEEE10hipError_tT0_T1_T2_jT3_P12ihipStream_tbPNSt15iterator_traitsISL_E10value_typeEPNSR_ISM_E10value_typeEPSN_NS1_7vsmem_tEENKUlT_SL_SM_SN_E_clISG_PS8_SH_SH_EESK_S10_SL_SM_SN_EUlS10_E0_NS1_11comp_targetILNS1_3genE4ELNS1_11target_archE910ELNS1_3gpuE8ELNS1_3repE0EEENS1_38merge_mergepath_config_static_selectorELNS0_4arch9wavefront6targetE1EEEvSM_
    .private_segment_fixed_size: 0
    .sgpr_count:     6
    .sgpr_spill_count: 0
    .symbol:         _ZN7rocprim17ROCPRIM_400000_NS6detail17trampoline_kernelINS0_14default_configENS1_38merge_sort_block_merge_config_selectorIN6thrust23THRUST_200600_302600_NS4pairIiiEENS0_10empty_typeEEEZZNS1_27merge_sort_block_merge_implIS3_NS6_6detail15normal_iteratorINS6_10device_ptrIS8_EEEEPS9_mNS6_4lessIS8_EEEE10hipError_tT0_T1_T2_jT3_P12ihipStream_tbPNSt15iterator_traitsISL_E10value_typeEPNSR_ISM_E10value_typeEPSN_NS1_7vsmem_tEENKUlT_SL_SM_SN_E_clISG_PS8_SH_SH_EESK_S10_SL_SM_SN_EUlS10_E0_NS1_11comp_targetILNS1_3genE4ELNS1_11target_archE910ELNS1_3gpuE8ELNS1_3repE0EEENS1_38merge_mergepath_config_static_selectorELNS0_4arch9wavefront6targetE1EEEvSM_.kd
    .uniform_work_group_size: 1
    .uses_dynamic_stack: false
    .vgpr_count:     0
    .vgpr_spill_count: 0
    .wavefront_size: 64
  - .agpr_count:     0
    .args:
      - .offset:         0
        .size:           72
        .value_kind:     by_value
    .group_segment_fixed_size: 0
    .kernarg_segment_align: 8
    .kernarg_segment_size: 72
    .language:       OpenCL C
    .language_version:
      - 2
      - 0
    .max_flat_workgroup_size: 128
    .name:           _ZN7rocprim17ROCPRIM_400000_NS6detail17trampoline_kernelINS0_14default_configENS1_38merge_sort_block_merge_config_selectorIN6thrust23THRUST_200600_302600_NS4pairIiiEENS0_10empty_typeEEEZZNS1_27merge_sort_block_merge_implIS3_NS6_6detail15normal_iteratorINS6_10device_ptrIS8_EEEEPS9_mNS6_4lessIS8_EEEE10hipError_tT0_T1_T2_jT3_P12ihipStream_tbPNSt15iterator_traitsISL_E10value_typeEPNSR_ISM_E10value_typeEPSN_NS1_7vsmem_tEENKUlT_SL_SM_SN_E_clISG_PS8_SH_SH_EESK_S10_SL_SM_SN_EUlS10_E0_NS1_11comp_targetILNS1_3genE3ELNS1_11target_archE908ELNS1_3gpuE7ELNS1_3repE0EEENS1_38merge_mergepath_config_static_selectorELNS0_4arch9wavefront6targetE1EEEvSM_
    .private_segment_fixed_size: 0
    .sgpr_count:     6
    .sgpr_spill_count: 0
    .symbol:         _ZN7rocprim17ROCPRIM_400000_NS6detail17trampoline_kernelINS0_14default_configENS1_38merge_sort_block_merge_config_selectorIN6thrust23THRUST_200600_302600_NS4pairIiiEENS0_10empty_typeEEEZZNS1_27merge_sort_block_merge_implIS3_NS6_6detail15normal_iteratorINS6_10device_ptrIS8_EEEEPS9_mNS6_4lessIS8_EEEE10hipError_tT0_T1_T2_jT3_P12ihipStream_tbPNSt15iterator_traitsISL_E10value_typeEPNSR_ISM_E10value_typeEPSN_NS1_7vsmem_tEENKUlT_SL_SM_SN_E_clISG_PS8_SH_SH_EESK_S10_SL_SM_SN_EUlS10_E0_NS1_11comp_targetILNS1_3genE3ELNS1_11target_archE908ELNS1_3gpuE7ELNS1_3repE0EEENS1_38merge_mergepath_config_static_selectorELNS0_4arch9wavefront6targetE1EEEvSM_.kd
    .uniform_work_group_size: 1
    .uses_dynamic_stack: false
    .vgpr_count:     0
    .vgpr_spill_count: 0
    .wavefront_size: 64
  - .agpr_count:     0
    .args:
      - .offset:         0
        .size:           72
        .value_kind:     by_value
    .group_segment_fixed_size: 0
    .kernarg_segment_align: 8
    .kernarg_segment_size: 72
    .language:       OpenCL C
    .language_version:
      - 2
      - 0
    .max_flat_workgroup_size: 256
    .name:           _ZN7rocprim17ROCPRIM_400000_NS6detail17trampoline_kernelINS0_14default_configENS1_38merge_sort_block_merge_config_selectorIN6thrust23THRUST_200600_302600_NS4pairIiiEENS0_10empty_typeEEEZZNS1_27merge_sort_block_merge_implIS3_NS6_6detail15normal_iteratorINS6_10device_ptrIS8_EEEEPS9_mNS6_4lessIS8_EEEE10hipError_tT0_T1_T2_jT3_P12ihipStream_tbPNSt15iterator_traitsISL_E10value_typeEPNSR_ISM_E10value_typeEPSN_NS1_7vsmem_tEENKUlT_SL_SM_SN_E_clISG_PS8_SH_SH_EESK_S10_SL_SM_SN_EUlS10_E0_NS1_11comp_targetILNS1_3genE2ELNS1_11target_archE906ELNS1_3gpuE6ELNS1_3repE0EEENS1_38merge_mergepath_config_static_selectorELNS0_4arch9wavefront6targetE1EEEvSM_
    .private_segment_fixed_size: 0
    .sgpr_count:     6
    .sgpr_spill_count: 0
    .symbol:         _ZN7rocprim17ROCPRIM_400000_NS6detail17trampoline_kernelINS0_14default_configENS1_38merge_sort_block_merge_config_selectorIN6thrust23THRUST_200600_302600_NS4pairIiiEENS0_10empty_typeEEEZZNS1_27merge_sort_block_merge_implIS3_NS6_6detail15normal_iteratorINS6_10device_ptrIS8_EEEEPS9_mNS6_4lessIS8_EEEE10hipError_tT0_T1_T2_jT3_P12ihipStream_tbPNSt15iterator_traitsISL_E10value_typeEPNSR_ISM_E10value_typeEPSN_NS1_7vsmem_tEENKUlT_SL_SM_SN_E_clISG_PS8_SH_SH_EESK_S10_SL_SM_SN_EUlS10_E0_NS1_11comp_targetILNS1_3genE2ELNS1_11target_archE906ELNS1_3gpuE6ELNS1_3repE0EEENS1_38merge_mergepath_config_static_selectorELNS0_4arch9wavefront6targetE1EEEvSM_.kd
    .uniform_work_group_size: 1
    .uses_dynamic_stack: false
    .vgpr_count:     0
    .vgpr_spill_count: 0
    .wavefront_size: 64
  - .agpr_count:     0
    .args:
      - .offset:         0
        .size:           72
        .value_kind:     by_value
    .group_segment_fixed_size: 0
    .kernarg_segment_align: 8
    .kernarg_segment_size: 72
    .language:       OpenCL C
    .language_version:
      - 2
      - 0
    .max_flat_workgroup_size: 512
    .name:           _ZN7rocprim17ROCPRIM_400000_NS6detail17trampoline_kernelINS0_14default_configENS1_38merge_sort_block_merge_config_selectorIN6thrust23THRUST_200600_302600_NS4pairIiiEENS0_10empty_typeEEEZZNS1_27merge_sort_block_merge_implIS3_NS6_6detail15normal_iteratorINS6_10device_ptrIS8_EEEEPS9_mNS6_4lessIS8_EEEE10hipError_tT0_T1_T2_jT3_P12ihipStream_tbPNSt15iterator_traitsISL_E10value_typeEPNSR_ISM_E10value_typeEPSN_NS1_7vsmem_tEENKUlT_SL_SM_SN_E_clISG_PS8_SH_SH_EESK_S10_SL_SM_SN_EUlS10_E0_NS1_11comp_targetILNS1_3genE9ELNS1_11target_archE1100ELNS1_3gpuE3ELNS1_3repE0EEENS1_38merge_mergepath_config_static_selectorELNS0_4arch9wavefront6targetE1EEEvSM_
    .private_segment_fixed_size: 0
    .sgpr_count:     6
    .sgpr_spill_count: 0
    .symbol:         _ZN7rocprim17ROCPRIM_400000_NS6detail17trampoline_kernelINS0_14default_configENS1_38merge_sort_block_merge_config_selectorIN6thrust23THRUST_200600_302600_NS4pairIiiEENS0_10empty_typeEEEZZNS1_27merge_sort_block_merge_implIS3_NS6_6detail15normal_iteratorINS6_10device_ptrIS8_EEEEPS9_mNS6_4lessIS8_EEEE10hipError_tT0_T1_T2_jT3_P12ihipStream_tbPNSt15iterator_traitsISL_E10value_typeEPNSR_ISM_E10value_typeEPSN_NS1_7vsmem_tEENKUlT_SL_SM_SN_E_clISG_PS8_SH_SH_EESK_S10_SL_SM_SN_EUlS10_E0_NS1_11comp_targetILNS1_3genE9ELNS1_11target_archE1100ELNS1_3gpuE3ELNS1_3repE0EEENS1_38merge_mergepath_config_static_selectorELNS0_4arch9wavefront6targetE1EEEvSM_.kd
    .uniform_work_group_size: 1
    .uses_dynamic_stack: false
    .vgpr_count:     0
    .vgpr_spill_count: 0
    .wavefront_size: 64
  - .agpr_count:     0
    .args:
      - .offset:         0
        .size:           72
        .value_kind:     by_value
    .group_segment_fixed_size: 0
    .kernarg_segment_align: 8
    .kernarg_segment_size: 72
    .language:       OpenCL C
    .language_version:
      - 2
      - 0
    .max_flat_workgroup_size: 1024
    .name:           _ZN7rocprim17ROCPRIM_400000_NS6detail17trampoline_kernelINS0_14default_configENS1_38merge_sort_block_merge_config_selectorIN6thrust23THRUST_200600_302600_NS4pairIiiEENS0_10empty_typeEEEZZNS1_27merge_sort_block_merge_implIS3_NS6_6detail15normal_iteratorINS6_10device_ptrIS8_EEEEPS9_mNS6_4lessIS8_EEEE10hipError_tT0_T1_T2_jT3_P12ihipStream_tbPNSt15iterator_traitsISL_E10value_typeEPNSR_ISM_E10value_typeEPSN_NS1_7vsmem_tEENKUlT_SL_SM_SN_E_clISG_PS8_SH_SH_EESK_S10_SL_SM_SN_EUlS10_E0_NS1_11comp_targetILNS1_3genE8ELNS1_11target_archE1030ELNS1_3gpuE2ELNS1_3repE0EEENS1_38merge_mergepath_config_static_selectorELNS0_4arch9wavefront6targetE1EEEvSM_
    .private_segment_fixed_size: 0
    .sgpr_count:     6
    .sgpr_spill_count: 0
    .symbol:         _ZN7rocprim17ROCPRIM_400000_NS6detail17trampoline_kernelINS0_14default_configENS1_38merge_sort_block_merge_config_selectorIN6thrust23THRUST_200600_302600_NS4pairIiiEENS0_10empty_typeEEEZZNS1_27merge_sort_block_merge_implIS3_NS6_6detail15normal_iteratorINS6_10device_ptrIS8_EEEEPS9_mNS6_4lessIS8_EEEE10hipError_tT0_T1_T2_jT3_P12ihipStream_tbPNSt15iterator_traitsISL_E10value_typeEPNSR_ISM_E10value_typeEPSN_NS1_7vsmem_tEENKUlT_SL_SM_SN_E_clISG_PS8_SH_SH_EESK_S10_SL_SM_SN_EUlS10_E0_NS1_11comp_targetILNS1_3genE8ELNS1_11target_archE1030ELNS1_3gpuE2ELNS1_3repE0EEENS1_38merge_mergepath_config_static_selectorELNS0_4arch9wavefront6targetE1EEEvSM_.kd
    .uniform_work_group_size: 1
    .uses_dynamic_stack: false
    .vgpr_count:     0
    .vgpr_spill_count: 0
    .wavefront_size: 64
  - .agpr_count:     0
    .args:
      - .offset:         0
        .size:           56
        .value_kind:     by_value
    .group_segment_fixed_size: 0
    .kernarg_segment_align: 8
    .kernarg_segment_size: 56
    .language:       OpenCL C
    .language_version:
      - 2
      - 0
    .max_flat_workgroup_size: 256
    .name:           _ZN7rocprim17ROCPRIM_400000_NS6detail17trampoline_kernelINS0_14default_configENS1_38merge_sort_block_merge_config_selectorIN6thrust23THRUST_200600_302600_NS4pairIiiEENS0_10empty_typeEEEZZNS1_27merge_sort_block_merge_implIS3_NS6_6detail15normal_iteratorINS6_10device_ptrIS8_EEEEPS9_mNS6_4lessIS8_EEEE10hipError_tT0_T1_T2_jT3_P12ihipStream_tbPNSt15iterator_traitsISL_E10value_typeEPNSR_ISM_E10value_typeEPSN_NS1_7vsmem_tEENKUlT_SL_SM_SN_E_clISG_PS8_SH_SH_EESK_S10_SL_SM_SN_EUlS10_E1_NS1_11comp_targetILNS1_3genE0ELNS1_11target_archE4294967295ELNS1_3gpuE0ELNS1_3repE0EEENS1_36merge_oddeven_config_static_selectorELNS0_4arch9wavefront6targetE1EEEvSM_
    .private_segment_fixed_size: 0
    .sgpr_count:     31
    .sgpr_spill_count: 0
    .symbol:         _ZN7rocprim17ROCPRIM_400000_NS6detail17trampoline_kernelINS0_14default_configENS1_38merge_sort_block_merge_config_selectorIN6thrust23THRUST_200600_302600_NS4pairIiiEENS0_10empty_typeEEEZZNS1_27merge_sort_block_merge_implIS3_NS6_6detail15normal_iteratorINS6_10device_ptrIS8_EEEEPS9_mNS6_4lessIS8_EEEE10hipError_tT0_T1_T2_jT3_P12ihipStream_tbPNSt15iterator_traitsISL_E10value_typeEPNSR_ISM_E10value_typeEPSN_NS1_7vsmem_tEENKUlT_SL_SM_SN_E_clISG_PS8_SH_SH_EESK_S10_SL_SM_SN_EUlS10_E1_NS1_11comp_targetILNS1_3genE0ELNS1_11target_archE4294967295ELNS1_3gpuE0ELNS1_3repE0EEENS1_36merge_oddeven_config_static_selectorELNS0_4arch9wavefront6targetE1EEEvSM_.kd
    .uniform_work_group_size: 1
    .uses_dynamic_stack: false
    .vgpr_count:     9
    .vgpr_spill_count: 0
    .wavefront_size: 64
  - .agpr_count:     0
    .args:
      - .offset:         0
        .size:           56
        .value_kind:     by_value
    .group_segment_fixed_size: 0
    .kernarg_segment_align: 8
    .kernarg_segment_size: 56
    .language:       OpenCL C
    .language_version:
      - 2
      - 0
    .max_flat_workgroup_size: 256
    .name:           _ZN7rocprim17ROCPRIM_400000_NS6detail17trampoline_kernelINS0_14default_configENS1_38merge_sort_block_merge_config_selectorIN6thrust23THRUST_200600_302600_NS4pairIiiEENS0_10empty_typeEEEZZNS1_27merge_sort_block_merge_implIS3_NS6_6detail15normal_iteratorINS6_10device_ptrIS8_EEEEPS9_mNS6_4lessIS8_EEEE10hipError_tT0_T1_T2_jT3_P12ihipStream_tbPNSt15iterator_traitsISL_E10value_typeEPNSR_ISM_E10value_typeEPSN_NS1_7vsmem_tEENKUlT_SL_SM_SN_E_clISG_PS8_SH_SH_EESK_S10_SL_SM_SN_EUlS10_E1_NS1_11comp_targetILNS1_3genE10ELNS1_11target_archE1201ELNS1_3gpuE5ELNS1_3repE0EEENS1_36merge_oddeven_config_static_selectorELNS0_4arch9wavefront6targetE1EEEvSM_
    .private_segment_fixed_size: 0
    .sgpr_count:     6
    .sgpr_spill_count: 0
    .symbol:         _ZN7rocprim17ROCPRIM_400000_NS6detail17trampoline_kernelINS0_14default_configENS1_38merge_sort_block_merge_config_selectorIN6thrust23THRUST_200600_302600_NS4pairIiiEENS0_10empty_typeEEEZZNS1_27merge_sort_block_merge_implIS3_NS6_6detail15normal_iteratorINS6_10device_ptrIS8_EEEEPS9_mNS6_4lessIS8_EEEE10hipError_tT0_T1_T2_jT3_P12ihipStream_tbPNSt15iterator_traitsISL_E10value_typeEPNSR_ISM_E10value_typeEPSN_NS1_7vsmem_tEENKUlT_SL_SM_SN_E_clISG_PS8_SH_SH_EESK_S10_SL_SM_SN_EUlS10_E1_NS1_11comp_targetILNS1_3genE10ELNS1_11target_archE1201ELNS1_3gpuE5ELNS1_3repE0EEENS1_36merge_oddeven_config_static_selectorELNS0_4arch9wavefront6targetE1EEEvSM_.kd
    .uniform_work_group_size: 1
    .uses_dynamic_stack: false
    .vgpr_count:     0
    .vgpr_spill_count: 0
    .wavefront_size: 64
  - .agpr_count:     0
    .args:
      - .offset:         0
        .size:           56
        .value_kind:     by_value
    .group_segment_fixed_size: 0
    .kernarg_segment_align: 8
    .kernarg_segment_size: 56
    .language:       OpenCL C
    .language_version:
      - 2
      - 0
    .max_flat_workgroup_size: 256
    .name:           _ZN7rocprim17ROCPRIM_400000_NS6detail17trampoline_kernelINS0_14default_configENS1_38merge_sort_block_merge_config_selectorIN6thrust23THRUST_200600_302600_NS4pairIiiEENS0_10empty_typeEEEZZNS1_27merge_sort_block_merge_implIS3_NS6_6detail15normal_iteratorINS6_10device_ptrIS8_EEEEPS9_mNS6_4lessIS8_EEEE10hipError_tT0_T1_T2_jT3_P12ihipStream_tbPNSt15iterator_traitsISL_E10value_typeEPNSR_ISM_E10value_typeEPSN_NS1_7vsmem_tEENKUlT_SL_SM_SN_E_clISG_PS8_SH_SH_EESK_S10_SL_SM_SN_EUlS10_E1_NS1_11comp_targetILNS1_3genE5ELNS1_11target_archE942ELNS1_3gpuE9ELNS1_3repE0EEENS1_36merge_oddeven_config_static_selectorELNS0_4arch9wavefront6targetE1EEEvSM_
    .private_segment_fixed_size: 0
    .sgpr_count:     6
    .sgpr_spill_count: 0
    .symbol:         _ZN7rocprim17ROCPRIM_400000_NS6detail17trampoline_kernelINS0_14default_configENS1_38merge_sort_block_merge_config_selectorIN6thrust23THRUST_200600_302600_NS4pairIiiEENS0_10empty_typeEEEZZNS1_27merge_sort_block_merge_implIS3_NS6_6detail15normal_iteratorINS6_10device_ptrIS8_EEEEPS9_mNS6_4lessIS8_EEEE10hipError_tT0_T1_T2_jT3_P12ihipStream_tbPNSt15iterator_traitsISL_E10value_typeEPNSR_ISM_E10value_typeEPSN_NS1_7vsmem_tEENKUlT_SL_SM_SN_E_clISG_PS8_SH_SH_EESK_S10_SL_SM_SN_EUlS10_E1_NS1_11comp_targetILNS1_3genE5ELNS1_11target_archE942ELNS1_3gpuE9ELNS1_3repE0EEENS1_36merge_oddeven_config_static_selectorELNS0_4arch9wavefront6targetE1EEEvSM_.kd
    .uniform_work_group_size: 1
    .uses_dynamic_stack: false
    .vgpr_count:     0
    .vgpr_spill_count: 0
    .wavefront_size: 64
  - .agpr_count:     0
    .args:
      - .offset:         0
        .size:           56
        .value_kind:     by_value
    .group_segment_fixed_size: 0
    .kernarg_segment_align: 8
    .kernarg_segment_size: 56
    .language:       OpenCL C
    .language_version:
      - 2
      - 0
    .max_flat_workgroup_size: 256
    .name:           _ZN7rocprim17ROCPRIM_400000_NS6detail17trampoline_kernelINS0_14default_configENS1_38merge_sort_block_merge_config_selectorIN6thrust23THRUST_200600_302600_NS4pairIiiEENS0_10empty_typeEEEZZNS1_27merge_sort_block_merge_implIS3_NS6_6detail15normal_iteratorINS6_10device_ptrIS8_EEEEPS9_mNS6_4lessIS8_EEEE10hipError_tT0_T1_T2_jT3_P12ihipStream_tbPNSt15iterator_traitsISL_E10value_typeEPNSR_ISM_E10value_typeEPSN_NS1_7vsmem_tEENKUlT_SL_SM_SN_E_clISG_PS8_SH_SH_EESK_S10_SL_SM_SN_EUlS10_E1_NS1_11comp_targetILNS1_3genE4ELNS1_11target_archE910ELNS1_3gpuE8ELNS1_3repE0EEENS1_36merge_oddeven_config_static_selectorELNS0_4arch9wavefront6targetE1EEEvSM_
    .private_segment_fixed_size: 0
    .sgpr_count:     6
    .sgpr_spill_count: 0
    .symbol:         _ZN7rocprim17ROCPRIM_400000_NS6detail17trampoline_kernelINS0_14default_configENS1_38merge_sort_block_merge_config_selectorIN6thrust23THRUST_200600_302600_NS4pairIiiEENS0_10empty_typeEEEZZNS1_27merge_sort_block_merge_implIS3_NS6_6detail15normal_iteratorINS6_10device_ptrIS8_EEEEPS9_mNS6_4lessIS8_EEEE10hipError_tT0_T1_T2_jT3_P12ihipStream_tbPNSt15iterator_traitsISL_E10value_typeEPNSR_ISM_E10value_typeEPSN_NS1_7vsmem_tEENKUlT_SL_SM_SN_E_clISG_PS8_SH_SH_EESK_S10_SL_SM_SN_EUlS10_E1_NS1_11comp_targetILNS1_3genE4ELNS1_11target_archE910ELNS1_3gpuE8ELNS1_3repE0EEENS1_36merge_oddeven_config_static_selectorELNS0_4arch9wavefront6targetE1EEEvSM_.kd
    .uniform_work_group_size: 1
    .uses_dynamic_stack: false
    .vgpr_count:     0
    .vgpr_spill_count: 0
    .wavefront_size: 64
  - .agpr_count:     0
    .args:
      - .offset:         0
        .size:           56
        .value_kind:     by_value
    .group_segment_fixed_size: 0
    .kernarg_segment_align: 8
    .kernarg_segment_size: 56
    .language:       OpenCL C
    .language_version:
      - 2
      - 0
    .max_flat_workgroup_size: 256
    .name:           _ZN7rocprim17ROCPRIM_400000_NS6detail17trampoline_kernelINS0_14default_configENS1_38merge_sort_block_merge_config_selectorIN6thrust23THRUST_200600_302600_NS4pairIiiEENS0_10empty_typeEEEZZNS1_27merge_sort_block_merge_implIS3_NS6_6detail15normal_iteratorINS6_10device_ptrIS8_EEEEPS9_mNS6_4lessIS8_EEEE10hipError_tT0_T1_T2_jT3_P12ihipStream_tbPNSt15iterator_traitsISL_E10value_typeEPNSR_ISM_E10value_typeEPSN_NS1_7vsmem_tEENKUlT_SL_SM_SN_E_clISG_PS8_SH_SH_EESK_S10_SL_SM_SN_EUlS10_E1_NS1_11comp_targetILNS1_3genE3ELNS1_11target_archE908ELNS1_3gpuE7ELNS1_3repE0EEENS1_36merge_oddeven_config_static_selectorELNS0_4arch9wavefront6targetE1EEEvSM_
    .private_segment_fixed_size: 0
    .sgpr_count:     6
    .sgpr_spill_count: 0
    .symbol:         _ZN7rocprim17ROCPRIM_400000_NS6detail17trampoline_kernelINS0_14default_configENS1_38merge_sort_block_merge_config_selectorIN6thrust23THRUST_200600_302600_NS4pairIiiEENS0_10empty_typeEEEZZNS1_27merge_sort_block_merge_implIS3_NS6_6detail15normal_iteratorINS6_10device_ptrIS8_EEEEPS9_mNS6_4lessIS8_EEEE10hipError_tT0_T1_T2_jT3_P12ihipStream_tbPNSt15iterator_traitsISL_E10value_typeEPNSR_ISM_E10value_typeEPSN_NS1_7vsmem_tEENKUlT_SL_SM_SN_E_clISG_PS8_SH_SH_EESK_S10_SL_SM_SN_EUlS10_E1_NS1_11comp_targetILNS1_3genE3ELNS1_11target_archE908ELNS1_3gpuE7ELNS1_3repE0EEENS1_36merge_oddeven_config_static_selectorELNS0_4arch9wavefront6targetE1EEEvSM_.kd
    .uniform_work_group_size: 1
    .uses_dynamic_stack: false
    .vgpr_count:     0
    .vgpr_spill_count: 0
    .wavefront_size: 64
  - .agpr_count:     0
    .args:
      - .offset:         0
        .size:           56
        .value_kind:     by_value
    .group_segment_fixed_size: 0
    .kernarg_segment_align: 8
    .kernarg_segment_size: 56
    .language:       OpenCL C
    .language_version:
      - 2
      - 0
    .max_flat_workgroup_size: 256
    .name:           _ZN7rocprim17ROCPRIM_400000_NS6detail17trampoline_kernelINS0_14default_configENS1_38merge_sort_block_merge_config_selectorIN6thrust23THRUST_200600_302600_NS4pairIiiEENS0_10empty_typeEEEZZNS1_27merge_sort_block_merge_implIS3_NS6_6detail15normal_iteratorINS6_10device_ptrIS8_EEEEPS9_mNS6_4lessIS8_EEEE10hipError_tT0_T1_T2_jT3_P12ihipStream_tbPNSt15iterator_traitsISL_E10value_typeEPNSR_ISM_E10value_typeEPSN_NS1_7vsmem_tEENKUlT_SL_SM_SN_E_clISG_PS8_SH_SH_EESK_S10_SL_SM_SN_EUlS10_E1_NS1_11comp_targetILNS1_3genE2ELNS1_11target_archE906ELNS1_3gpuE6ELNS1_3repE0EEENS1_36merge_oddeven_config_static_selectorELNS0_4arch9wavefront6targetE1EEEvSM_
    .private_segment_fixed_size: 0
    .sgpr_count:     6
    .sgpr_spill_count: 0
    .symbol:         _ZN7rocprim17ROCPRIM_400000_NS6detail17trampoline_kernelINS0_14default_configENS1_38merge_sort_block_merge_config_selectorIN6thrust23THRUST_200600_302600_NS4pairIiiEENS0_10empty_typeEEEZZNS1_27merge_sort_block_merge_implIS3_NS6_6detail15normal_iteratorINS6_10device_ptrIS8_EEEEPS9_mNS6_4lessIS8_EEEE10hipError_tT0_T1_T2_jT3_P12ihipStream_tbPNSt15iterator_traitsISL_E10value_typeEPNSR_ISM_E10value_typeEPSN_NS1_7vsmem_tEENKUlT_SL_SM_SN_E_clISG_PS8_SH_SH_EESK_S10_SL_SM_SN_EUlS10_E1_NS1_11comp_targetILNS1_3genE2ELNS1_11target_archE906ELNS1_3gpuE6ELNS1_3repE0EEENS1_36merge_oddeven_config_static_selectorELNS0_4arch9wavefront6targetE1EEEvSM_.kd
    .uniform_work_group_size: 1
    .uses_dynamic_stack: false
    .vgpr_count:     0
    .vgpr_spill_count: 0
    .wavefront_size: 64
  - .agpr_count:     0
    .args:
      - .offset:         0
        .size:           56
        .value_kind:     by_value
    .group_segment_fixed_size: 0
    .kernarg_segment_align: 8
    .kernarg_segment_size: 56
    .language:       OpenCL C
    .language_version:
      - 2
      - 0
    .max_flat_workgroup_size: 256
    .name:           _ZN7rocprim17ROCPRIM_400000_NS6detail17trampoline_kernelINS0_14default_configENS1_38merge_sort_block_merge_config_selectorIN6thrust23THRUST_200600_302600_NS4pairIiiEENS0_10empty_typeEEEZZNS1_27merge_sort_block_merge_implIS3_NS6_6detail15normal_iteratorINS6_10device_ptrIS8_EEEEPS9_mNS6_4lessIS8_EEEE10hipError_tT0_T1_T2_jT3_P12ihipStream_tbPNSt15iterator_traitsISL_E10value_typeEPNSR_ISM_E10value_typeEPSN_NS1_7vsmem_tEENKUlT_SL_SM_SN_E_clISG_PS8_SH_SH_EESK_S10_SL_SM_SN_EUlS10_E1_NS1_11comp_targetILNS1_3genE9ELNS1_11target_archE1100ELNS1_3gpuE3ELNS1_3repE0EEENS1_36merge_oddeven_config_static_selectorELNS0_4arch9wavefront6targetE1EEEvSM_
    .private_segment_fixed_size: 0
    .sgpr_count:     6
    .sgpr_spill_count: 0
    .symbol:         _ZN7rocprim17ROCPRIM_400000_NS6detail17trampoline_kernelINS0_14default_configENS1_38merge_sort_block_merge_config_selectorIN6thrust23THRUST_200600_302600_NS4pairIiiEENS0_10empty_typeEEEZZNS1_27merge_sort_block_merge_implIS3_NS6_6detail15normal_iteratorINS6_10device_ptrIS8_EEEEPS9_mNS6_4lessIS8_EEEE10hipError_tT0_T1_T2_jT3_P12ihipStream_tbPNSt15iterator_traitsISL_E10value_typeEPNSR_ISM_E10value_typeEPSN_NS1_7vsmem_tEENKUlT_SL_SM_SN_E_clISG_PS8_SH_SH_EESK_S10_SL_SM_SN_EUlS10_E1_NS1_11comp_targetILNS1_3genE9ELNS1_11target_archE1100ELNS1_3gpuE3ELNS1_3repE0EEENS1_36merge_oddeven_config_static_selectorELNS0_4arch9wavefront6targetE1EEEvSM_.kd
    .uniform_work_group_size: 1
    .uses_dynamic_stack: false
    .vgpr_count:     0
    .vgpr_spill_count: 0
    .wavefront_size: 64
  - .agpr_count:     0
    .args:
      - .offset:         0
        .size:           56
        .value_kind:     by_value
    .group_segment_fixed_size: 0
    .kernarg_segment_align: 8
    .kernarg_segment_size: 56
    .language:       OpenCL C
    .language_version:
      - 2
      - 0
    .max_flat_workgroup_size: 256
    .name:           _ZN7rocprim17ROCPRIM_400000_NS6detail17trampoline_kernelINS0_14default_configENS1_38merge_sort_block_merge_config_selectorIN6thrust23THRUST_200600_302600_NS4pairIiiEENS0_10empty_typeEEEZZNS1_27merge_sort_block_merge_implIS3_NS6_6detail15normal_iteratorINS6_10device_ptrIS8_EEEEPS9_mNS6_4lessIS8_EEEE10hipError_tT0_T1_T2_jT3_P12ihipStream_tbPNSt15iterator_traitsISL_E10value_typeEPNSR_ISM_E10value_typeEPSN_NS1_7vsmem_tEENKUlT_SL_SM_SN_E_clISG_PS8_SH_SH_EESK_S10_SL_SM_SN_EUlS10_E1_NS1_11comp_targetILNS1_3genE8ELNS1_11target_archE1030ELNS1_3gpuE2ELNS1_3repE0EEENS1_36merge_oddeven_config_static_selectorELNS0_4arch9wavefront6targetE1EEEvSM_
    .private_segment_fixed_size: 0
    .sgpr_count:     6
    .sgpr_spill_count: 0
    .symbol:         _ZN7rocprim17ROCPRIM_400000_NS6detail17trampoline_kernelINS0_14default_configENS1_38merge_sort_block_merge_config_selectorIN6thrust23THRUST_200600_302600_NS4pairIiiEENS0_10empty_typeEEEZZNS1_27merge_sort_block_merge_implIS3_NS6_6detail15normal_iteratorINS6_10device_ptrIS8_EEEEPS9_mNS6_4lessIS8_EEEE10hipError_tT0_T1_T2_jT3_P12ihipStream_tbPNSt15iterator_traitsISL_E10value_typeEPNSR_ISM_E10value_typeEPSN_NS1_7vsmem_tEENKUlT_SL_SM_SN_E_clISG_PS8_SH_SH_EESK_S10_SL_SM_SN_EUlS10_E1_NS1_11comp_targetILNS1_3genE8ELNS1_11target_archE1030ELNS1_3gpuE2ELNS1_3repE0EEENS1_36merge_oddeven_config_static_selectorELNS0_4arch9wavefront6targetE1EEEvSM_.kd
    .uniform_work_group_size: 1
    .uses_dynamic_stack: false
    .vgpr_count:     0
    .vgpr_spill_count: 0
    .wavefront_size: 64
  - .agpr_count:     0
    .args:
      - .offset:         0
        .size:           40
        .value_kind:     by_value
      - .offset:         40
        .size:           4
        .value_kind:     hidden_block_count_x
      - .offset:         44
        .size:           4
        .value_kind:     hidden_block_count_y
      - .offset:         48
        .size:           4
        .value_kind:     hidden_block_count_z
      - .offset:         52
        .size:           2
        .value_kind:     hidden_group_size_x
      - .offset:         54
        .size:           2
        .value_kind:     hidden_group_size_y
      - .offset:         56
        .size:           2
        .value_kind:     hidden_group_size_z
      - .offset:         58
        .size:           2
        .value_kind:     hidden_remainder_x
      - .offset:         60
        .size:           2
        .value_kind:     hidden_remainder_y
      - .offset:         62
        .size:           2
        .value_kind:     hidden_remainder_z
      - .offset:         80
        .size:           8
        .value_kind:     hidden_global_offset_x
      - .offset:         88
        .size:           8
        .value_kind:     hidden_global_offset_y
      - .offset:         96
        .size:           8
        .value_kind:     hidden_global_offset_z
      - .offset:         104
        .size:           2
        .value_kind:     hidden_grid_dims
    .group_segment_fixed_size: 0
    .kernarg_segment_align: 8
    .kernarg_segment_size: 296
    .language:       OpenCL C
    .language_version:
      - 2
      - 0
    .max_flat_workgroup_size: 128
    .name:           _ZN7rocprim17ROCPRIM_400000_NS6detail17trampoline_kernelINS0_14default_configENS1_25transform_config_selectorIN6thrust23THRUST_200600_302600_NS4pairIiiEELb0EEEZNS1_14transform_implILb0ES3_S9_PS8_NS6_6detail15normal_iteratorINS6_10device_ptrIS8_EEEENS0_8identityIS8_EEEE10hipError_tT2_T3_mT4_P12ihipStream_tbEUlT_E_NS1_11comp_targetILNS1_3genE0ELNS1_11target_archE4294967295ELNS1_3gpuE0ELNS1_3repE0EEENS1_30default_config_static_selectorELNS0_4arch9wavefront6targetE1EEEvT1_
    .private_segment_fixed_size: 0
    .sgpr_count:     18
    .sgpr_spill_count: 0
    .symbol:         _ZN7rocprim17ROCPRIM_400000_NS6detail17trampoline_kernelINS0_14default_configENS1_25transform_config_selectorIN6thrust23THRUST_200600_302600_NS4pairIiiEELb0EEEZNS1_14transform_implILb0ES3_S9_PS8_NS6_6detail15normal_iteratorINS6_10device_ptrIS8_EEEENS0_8identityIS8_EEEE10hipError_tT2_T3_mT4_P12ihipStream_tbEUlT_E_NS1_11comp_targetILNS1_3genE0ELNS1_11target_archE4294967295ELNS1_3gpuE0ELNS1_3repE0EEENS1_30default_config_static_selectorELNS0_4arch9wavefront6targetE1EEEvT1_.kd
    .uniform_work_group_size: 1
    .uses_dynamic_stack: false
    .vgpr_count:     4
    .vgpr_spill_count: 0
    .wavefront_size: 64
  - .agpr_count:     0
    .args:
      - .offset:         0
        .size:           40
        .value_kind:     by_value
    .group_segment_fixed_size: 0
    .kernarg_segment_align: 8
    .kernarg_segment_size: 40
    .language:       OpenCL C
    .language_version:
      - 2
      - 0
    .max_flat_workgroup_size: 512
    .name:           _ZN7rocprim17ROCPRIM_400000_NS6detail17trampoline_kernelINS0_14default_configENS1_25transform_config_selectorIN6thrust23THRUST_200600_302600_NS4pairIiiEELb0EEEZNS1_14transform_implILb0ES3_S9_PS8_NS6_6detail15normal_iteratorINS6_10device_ptrIS8_EEEENS0_8identityIS8_EEEE10hipError_tT2_T3_mT4_P12ihipStream_tbEUlT_E_NS1_11comp_targetILNS1_3genE5ELNS1_11target_archE942ELNS1_3gpuE9ELNS1_3repE0EEENS1_30default_config_static_selectorELNS0_4arch9wavefront6targetE1EEEvT1_
    .private_segment_fixed_size: 0
    .sgpr_count:     6
    .sgpr_spill_count: 0
    .symbol:         _ZN7rocprim17ROCPRIM_400000_NS6detail17trampoline_kernelINS0_14default_configENS1_25transform_config_selectorIN6thrust23THRUST_200600_302600_NS4pairIiiEELb0EEEZNS1_14transform_implILb0ES3_S9_PS8_NS6_6detail15normal_iteratorINS6_10device_ptrIS8_EEEENS0_8identityIS8_EEEE10hipError_tT2_T3_mT4_P12ihipStream_tbEUlT_E_NS1_11comp_targetILNS1_3genE5ELNS1_11target_archE942ELNS1_3gpuE9ELNS1_3repE0EEENS1_30default_config_static_selectorELNS0_4arch9wavefront6targetE1EEEvT1_.kd
    .uniform_work_group_size: 1
    .uses_dynamic_stack: false
    .vgpr_count:     0
    .vgpr_spill_count: 0
    .wavefront_size: 64
  - .agpr_count:     0
    .args:
      - .offset:         0
        .size:           40
        .value_kind:     by_value
    .group_segment_fixed_size: 0
    .kernarg_segment_align: 8
    .kernarg_segment_size: 40
    .language:       OpenCL C
    .language_version:
      - 2
      - 0
    .max_flat_workgroup_size: 256
    .name:           _ZN7rocprim17ROCPRIM_400000_NS6detail17trampoline_kernelINS0_14default_configENS1_25transform_config_selectorIN6thrust23THRUST_200600_302600_NS4pairIiiEELb0EEEZNS1_14transform_implILb0ES3_S9_PS8_NS6_6detail15normal_iteratorINS6_10device_ptrIS8_EEEENS0_8identityIS8_EEEE10hipError_tT2_T3_mT4_P12ihipStream_tbEUlT_E_NS1_11comp_targetILNS1_3genE4ELNS1_11target_archE910ELNS1_3gpuE8ELNS1_3repE0EEENS1_30default_config_static_selectorELNS0_4arch9wavefront6targetE1EEEvT1_
    .private_segment_fixed_size: 0
    .sgpr_count:     6
    .sgpr_spill_count: 0
    .symbol:         _ZN7rocprim17ROCPRIM_400000_NS6detail17trampoline_kernelINS0_14default_configENS1_25transform_config_selectorIN6thrust23THRUST_200600_302600_NS4pairIiiEELb0EEEZNS1_14transform_implILb0ES3_S9_PS8_NS6_6detail15normal_iteratorINS6_10device_ptrIS8_EEEENS0_8identityIS8_EEEE10hipError_tT2_T3_mT4_P12ihipStream_tbEUlT_E_NS1_11comp_targetILNS1_3genE4ELNS1_11target_archE910ELNS1_3gpuE8ELNS1_3repE0EEENS1_30default_config_static_selectorELNS0_4arch9wavefront6targetE1EEEvT1_.kd
    .uniform_work_group_size: 1
    .uses_dynamic_stack: false
    .vgpr_count:     0
    .vgpr_spill_count: 0
    .wavefront_size: 64
  - .agpr_count:     0
    .args:
      - .offset:         0
        .size:           40
        .value_kind:     by_value
    .group_segment_fixed_size: 0
    .kernarg_segment_align: 8
    .kernarg_segment_size: 40
    .language:       OpenCL C
    .language_version:
      - 2
      - 0
    .max_flat_workgroup_size: 128
    .name:           _ZN7rocprim17ROCPRIM_400000_NS6detail17trampoline_kernelINS0_14default_configENS1_25transform_config_selectorIN6thrust23THRUST_200600_302600_NS4pairIiiEELb0EEEZNS1_14transform_implILb0ES3_S9_PS8_NS6_6detail15normal_iteratorINS6_10device_ptrIS8_EEEENS0_8identityIS8_EEEE10hipError_tT2_T3_mT4_P12ihipStream_tbEUlT_E_NS1_11comp_targetILNS1_3genE3ELNS1_11target_archE908ELNS1_3gpuE7ELNS1_3repE0EEENS1_30default_config_static_selectorELNS0_4arch9wavefront6targetE1EEEvT1_
    .private_segment_fixed_size: 0
    .sgpr_count:     6
    .sgpr_spill_count: 0
    .symbol:         _ZN7rocprim17ROCPRIM_400000_NS6detail17trampoline_kernelINS0_14default_configENS1_25transform_config_selectorIN6thrust23THRUST_200600_302600_NS4pairIiiEELb0EEEZNS1_14transform_implILb0ES3_S9_PS8_NS6_6detail15normal_iteratorINS6_10device_ptrIS8_EEEENS0_8identityIS8_EEEE10hipError_tT2_T3_mT4_P12ihipStream_tbEUlT_E_NS1_11comp_targetILNS1_3genE3ELNS1_11target_archE908ELNS1_3gpuE7ELNS1_3repE0EEENS1_30default_config_static_selectorELNS0_4arch9wavefront6targetE1EEEvT1_.kd
    .uniform_work_group_size: 1
    .uses_dynamic_stack: false
    .vgpr_count:     0
    .vgpr_spill_count: 0
    .wavefront_size: 64
  - .agpr_count:     0
    .args:
      - .offset:         0
        .size:           40
        .value_kind:     by_value
    .group_segment_fixed_size: 0
    .kernarg_segment_align: 8
    .kernarg_segment_size: 40
    .language:       OpenCL C
    .language_version:
      - 2
      - 0
    .max_flat_workgroup_size: 512
    .name:           _ZN7rocprim17ROCPRIM_400000_NS6detail17trampoline_kernelINS0_14default_configENS1_25transform_config_selectorIN6thrust23THRUST_200600_302600_NS4pairIiiEELb0EEEZNS1_14transform_implILb0ES3_S9_PS8_NS6_6detail15normal_iteratorINS6_10device_ptrIS8_EEEENS0_8identityIS8_EEEE10hipError_tT2_T3_mT4_P12ihipStream_tbEUlT_E_NS1_11comp_targetILNS1_3genE2ELNS1_11target_archE906ELNS1_3gpuE6ELNS1_3repE0EEENS1_30default_config_static_selectorELNS0_4arch9wavefront6targetE1EEEvT1_
    .private_segment_fixed_size: 0
    .sgpr_count:     6
    .sgpr_spill_count: 0
    .symbol:         _ZN7rocprim17ROCPRIM_400000_NS6detail17trampoline_kernelINS0_14default_configENS1_25transform_config_selectorIN6thrust23THRUST_200600_302600_NS4pairIiiEELb0EEEZNS1_14transform_implILb0ES3_S9_PS8_NS6_6detail15normal_iteratorINS6_10device_ptrIS8_EEEENS0_8identityIS8_EEEE10hipError_tT2_T3_mT4_P12ihipStream_tbEUlT_E_NS1_11comp_targetILNS1_3genE2ELNS1_11target_archE906ELNS1_3gpuE6ELNS1_3repE0EEENS1_30default_config_static_selectorELNS0_4arch9wavefront6targetE1EEEvT1_.kd
    .uniform_work_group_size: 1
    .uses_dynamic_stack: false
    .vgpr_count:     0
    .vgpr_spill_count: 0
    .wavefront_size: 64
  - .agpr_count:     0
    .args:
      - .offset:         0
        .size:           40
        .value_kind:     by_value
    .group_segment_fixed_size: 0
    .kernarg_segment_align: 8
    .kernarg_segment_size: 40
    .language:       OpenCL C
    .language_version:
      - 2
      - 0
    .max_flat_workgroup_size: 1024
    .name:           _ZN7rocprim17ROCPRIM_400000_NS6detail17trampoline_kernelINS0_14default_configENS1_25transform_config_selectorIN6thrust23THRUST_200600_302600_NS4pairIiiEELb0EEEZNS1_14transform_implILb0ES3_S9_PS8_NS6_6detail15normal_iteratorINS6_10device_ptrIS8_EEEENS0_8identityIS8_EEEE10hipError_tT2_T3_mT4_P12ihipStream_tbEUlT_E_NS1_11comp_targetILNS1_3genE10ELNS1_11target_archE1201ELNS1_3gpuE5ELNS1_3repE0EEENS1_30default_config_static_selectorELNS0_4arch9wavefront6targetE1EEEvT1_
    .private_segment_fixed_size: 0
    .sgpr_count:     6
    .sgpr_spill_count: 0
    .symbol:         _ZN7rocprim17ROCPRIM_400000_NS6detail17trampoline_kernelINS0_14default_configENS1_25transform_config_selectorIN6thrust23THRUST_200600_302600_NS4pairIiiEELb0EEEZNS1_14transform_implILb0ES3_S9_PS8_NS6_6detail15normal_iteratorINS6_10device_ptrIS8_EEEENS0_8identityIS8_EEEE10hipError_tT2_T3_mT4_P12ihipStream_tbEUlT_E_NS1_11comp_targetILNS1_3genE10ELNS1_11target_archE1201ELNS1_3gpuE5ELNS1_3repE0EEENS1_30default_config_static_selectorELNS0_4arch9wavefront6targetE1EEEvT1_.kd
    .uniform_work_group_size: 1
    .uses_dynamic_stack: false
    .vgpr_count:     0
    .vgpr_spill_count: 0
    .wavefront_size: 64
  - .agpr_count:     0
    .args:
      - .offset:         0
        .size:           40
        .value_kind:     by_value
    .group_segment_fixed_size: 0
    .kernarg_segment_align: 8
    .kernarg_segment_size: 40
    .language:       OpenCL C
    .language_version:
      - 2
      - 0
    .max_flat_workgroup_size: 512
    .name:           _ZN7rocprim17ROCPRIM_400000_NS6detail17trampoline_kernelINS0_14default_configENS1_25transform_config_selectorIN6thrust23THRUST_200600_302600_NS4pairIiiEELb0EEEZNS1_14transform_implILb0ES3_S9_PS8_NS6_6detail15normal_iteratorINS6_10device_ptrIS8_EEEENS0_8identityIS8_EEEE10hipError_tT2_T3_mT4_P12ihipStream_tbEUlT_E_NS1_11comp_targetILNS1_3genE10ELNS1_11target_archE1200ELNS1_3gpuE4ELNS1_3repE0EEENS1_30default_config_static_selectorELNS0_4arch9wavefront6targetE1EEEvT1_
    .private_segment_fixed_size: 0
    .sgpr_count:     6
    .sgpr_spill_count: 0
    .symbol:         _ZN7rocprim17ROCPRIM_400000_NS6detail17trampoline_kernelINS0_14default_configENS1_25transform_config_selectorIN6thrust23THRUST_200600_302600_NS4pairIiiEELb0EEEZNS1_14transform_implILb0ES3_S9_PS8_NS6_6detail15normal_iteratorINS6_10device_ptrIS8_EEEENS0_8identityIS8_EEEE10hipError_tT2_T3_mT4_P12ihipStream_tbEUlT_E_NS1_11comp_targetILNS1_3genE10ELNS1_11target_archE1200ELNS1_3gpuE4ELNS1_3repE0EEENS1_30default_config_static_selectorELNS0_4arch9wavefront6targetE1EEEvT1_.kd
    .uniform_work_group_size: 1
    .uses_dynamic_stack: false
    .vgpr_count:     0
    .vgpr_spill_count: 0
    .wavefront_size: 64
  - .agpr_count:     0
    .args:
      - .offset:         0
        .size:           40
        .value_kind:     by_value
    .group_segment_fixed_size: 0
    .kernarg_segment_align: 8
    .kernarg_segment_size: 40
    .language:       OpenCL C
    .language_version:
      - 2
      - 0
    .max_flat_workgroup_size: 512
    .name:           _ZN7rocprim17ROCPRIM_400000_NS6detail17trampoline_kernelINS0_14default_configENS1_25transform_config_selectorIN6thrust23THRUST_200600_302600_NS4pairIiiEELb0EEEZNS1_14transform_implILb0ES3_S9_PS8_NS6_6detail15normal_iteratorINS6_10device_ptrIS8_EEEENS0_8identityIS8_EEEE10hipError_tT2_T3_mT4_P12ihipStream_tbEUlT_E_NS1_11comp_targetILNS1_3genE9ELNS1_11target_archE1100ELNS1_3gpuE3ELNS1_3repE0EEENS1_30default_config_static_selectorELNS0_4arch9wavefront6targetE1EEEvT1_
    .private_segment_fixed_size: 0
    .sgpr_count:     6
    .sgpr_spill_count: 0
    .symbol:         _ZN7rocprim17ROCPRIM_400000_NS6detail17trampoline_kernelINS0_14default_configENS1_25transform_config_selectorIN6thrust23THRUST_200600_302600_NS4pairIiiEELb0EEEZNS1_14transform_implILb0ES3_S9_PS8_NS6_6detail15normal_iteratorINS6_10device_ptrIS8_EEEENS0_8identityIS8_EEEE10hipError_tT2_T3_mT4_P12ihipStream_tbEUlT_E_NS1_11comp_targetILNS1_3genE9ELNS1_11target_archE1100ELNS1_3gpuE3ELNS1_3repE0EEENS1_30default_config_static_selectorELNS0_4arch9wavefront6targetE1EEEvT1_.kd
    .uniform_work_group_size: 1
    .uses_dynamic_stack: false
    .vgpr_count:     0
    .vgpr_spill_count: 0
    .wavefront_size: 64
  - .agpr_count:     0
    .args:
      - .offset:         0
        .size:           40
        .value_kind:     by_value
    .group_segment_fixed_size: 0
    .kernarg_segment_align: 8
    .kernarg_segment_size: 40
    .language:       OpenCL C
    .language_version:
      - 2
      - 0
    .max_flat_workgroup_size: 512
    .name:           _ZN7rocprim17ROCPRIM_400000_NS6detail17trampoline_kernelINS0_14default_configENS1_25transform_config_selectorIN6thrust23THRUST_200600_302600_NS4pairIiiEELb0EEEZNS1_14transform_implILb0ES3_S9_PS8_NS6_6detail15normal_iteratorINS6_10device_ptrIS8_EEEENS0_8identityIS8_EEEE10hipError_tT2_T3_mT4_P12ihipStream_tbEUlT_E_NS1_11comp_targetILNS1_3genE8ELNS1_11target_archE1030ELNS1_3gpuE2ELNS1_3repE0EEENS1_30default_config_static_selectorELNS0_4arch9wavefront6targetE1EEEvT1_
    .private_segment_fixed_size: 0
    .sgpr_count:     6
    .sgpr_spill_count: 0
    .symbol:         _ZN7rocprim17ROCPRIM_400000_NS6detail17trampoline_kernelINS0_14default_configENS1_25transform_config_selectorIN6thrust23THRUST_200600_302600_NS4pairIiiEELb0EEEZNS1_14transform_implILb0ES3_S9_PS8_NS6_6detail15normal_iteratorINS6_10device_ptrIS8_EEEENS0_8identityIS8_EEEE10hipError_tT2_T3_mT4_P12ihipStream_tbEUlT_E_NS1_11comp_targetILNS1_3genE8ELNS1_11target_archE1030ELNS1_3gpuE2ELNS1_3repE0EEENS1_30default_config_static_selectorELNS0_4arch9wavefront6targetE1EEEvT1_.kd
    .uniform_work_group_size: 1
    .uses_dynamic_stack: false
    .vgpr_count:     0
    .vgpr_spill_count: 0
    .wavefront_size: 64
  - .agpr_count:     0
    .args:
      - .offset:         0
        .size:           48
        .value_kind:     by_value
      - .offset:         48
        .size:           4
        .value_kind:     hidden_block_count_x
      - .offset:         52
        .size:           4
        .value_kind:     hidden_block_count_y
      - .offset:         56
        .size:           4
        .value_kind:     hidden_block_count_z
      - .offset:         60
        .size:           2
        .value_kind:     hidden_group_size_x
      - .offset:         62
        .size:           2
        .value_kind:     hidden_group_size_y
      - .offset:         64
        .size:           2
        .value_kind:     hidden_group_size_z
      - .offset:         66
        .size:           2
        .value_kind:     hidden_remainder_x
      - .offset:         68
        .size:           2
        .value_kind:     hidden_remainder_y
      - .offset:         70
        .size:           2
        .value_kind:     hidden_remainder_z
      - .offset:         88
        .size:           8
        .value_kind:     hidden_global_offset_x
      - .offset:         96
        .size:           8
        .value_kind:     hidden_global_offset_y
      - .offset:         104
        .size:           8
        .value_kind:     hidden_global_offset_z
      - .offset:         112
        .size:           2
        .value_kind:     hidden_grid_dims
    .group_segment_fixed_size: 4112
    .kernarg_segment_align: 8
    .kernarg_segment_size: 304
    .language:       OpenCL C
    .language_version:
      - 2
      - 0
    .max_flat_workgroup_size: 256
    .name:           _ZN7rocprim17ROCPRIM_400000_NS6detail17trampoline_kernelINS0_13kernel_configILj256ELj4ELj4294967295EEENS1_37radix_sort_block_sort_config_selectorIiiEEZNS1_21radix_sort_block_sortIS4_Lb0EN6thrust23THRUST_200600_302600_NS6detail15normal_iteratorINS9_10device_ptrIiEEEESE_SE_SE_NS0_19identity_decomposerEEE10hipError_tT1_T2_T3_T4_jRjT5_jjP12ihipStream_tbEUlT_E_NS1_11comp_targetILNS1_3genE0ELNS1_11target_archE4294967295ELNS1_3gpuE0ELNS1_3repE0EEENS1_44radix_sort_block_sort_config_static_selectorELNS0_4arch9wavefront6targetE1EEEvSH_
    .private_segment_fixed_size: 0
    .sgpr_count:     52
    .sgpr_spill_count: 0
    .symbol:         _ZN7rocprim17ROCPRIM_400000_NS6detail17trampoline_kernelINS0_13kernel_configILj256ELj4ELj4294967295EEENS1_37radix_sort_block_sort_config_selectorIiiEEZNS1_21radix_sort_block_sortIS4_Lb0EN6thrust23THRUST_200600_302600_NS6detail15normal_iteratorINS9_10device_ptrIiEEEESE_SE_SE_NS0_19identity_decomposerEEE10hipError_tT1_T2_T3_T4_jRjT5_jjP12ihipStream_tbEUlT_E_NS1_11comp_targetILNS1_3genE0ELNS1_11target_archE4294967295ELNS1_3gpuE0ELNS1_3repE0EEENS1_44radix_sort_block_sort_config_static_selectorELNS0_4arch9wavefront6targetE1EEEvSH_.kd
    .uniform_work_group_size: 1
    .uses_dynamic_stack: false
    .vgpr_count:     40
    .vgpr_spill_count: 0
    .wavefront_size: 64
  - .agpr_count:     0
    .args:
      - .offset:         0
        .size:           48
        .value_kind:     by_value
    .group_segment_fixed_size: 0
    .kernarg_segment_align: 8
    .kernarg_segment_size: 48
    .language:       OpenCL C
    .language_version:
      - 2
      - 0
    .max_flat_workgroup_size: 256
    .name:           _ZN7rocprim17ROCPRIM_400000_NS6detail17trampoline_kernelINS0_13kernel_configILj256ELj4ELj4294967295EEENS1_37radix_sort_block_sort_config_selectorIiiEEZNS1_21radix_sort_block_sortIS4_Lb0EN6thrust23THRUST_200600_302600_NS6detail15normal_iteratorINS9_10device_ptrIiEEEESE_SE_SE_NS0_19identity_decomposerEEE10hipError_tT1_T2_T3_T4_jRjT5_jjP12ihipStream_tbEUlT_E_NS1_11comp_targetILNS1_3genE5ELNS1_11target_archE942ELNS1_3gpuE9ELNS1_3repE0EEENS1_44radix_sort_block_sort_config_static_selectorELNS0_4arch9wavefront6targetE1EEEvSH_
    .private_segment_fixed_size: 0
    .sgpr_count:     6
    .sgpr_spill_count: 0
    .symbol:         _ZN7rocprim17ROCPRIM_400000_NS6detail17trampoline_kernelINS0_13kernel_configILj256ELj4ELj4294967295EEENS1_37radix_sort_block_sort_config_selectorIiiEEZNS1_21radix_sort_block_sortIS4_Lb0EN6thrust23THRUST_200600_302600_NS6detail15normal_iteratorINS9_10device_ptrIiEEEESE_SE_SE_NS0_19identity_decomposerEEE10hipError_tT1_T2_T3_T4_jRjT5_jjP12ihipStream_tbEUlT_E_NS1_11comp_targetILNS1_3genE5ELNS1_11target_archE942ELNS1_3gpuE9ELNS1_3repE0EEENS1_44radix_sort_block_sort_config_static_selectorELNS0_4arch9wavefront6targetE1EEEvSH_.kd
    .uniform_work_group_size: 1
    .uses_dynamic_stack: false
    .vgpr_count:     0
    .vgpr_spill_count: 0
    .wavefront_size: 64
  - .agpr_count:     0
    .args:
      - .offset:         0
        .size:           48
        .value_kind:     by_value
    .group_segment_fixed_size: 0
    .kernarg_segment_align: 8
    .kernarg_segment_size: 48
    .language:       OpenCL C
    .language_version:
      - 2
      - 0
    .max_flat_workgroup_size: 256
    .name:           _ZN7rocprim17ROCPRIM_400000_NS6detail17trampoline_kernelINS0_13kernel_configILj256ELj4ELj4294967295EEENS1_37radix_sort_block_sort_config_selectorIiiEEZNS1_21radix_sort_block_sortIS4_Lb0EN6thrust23THRUST_200600_302600_NS6detail15normal_iteratorINS9_10device_ptrIiEEEESE_SE_SE_NS0_19identity_decomposerEEE10hipError_tT1_T2_T3_T4_jRjT5_jjP12ihipStream_tbEUlT_E_NS1_11comp_targetILNS1_3genE4ELNS1_11target_archE910ELNS1_3gpuE8ELNS1_3repE0EEENS1_44radix_sort_block_sort_config_static_selectorELNS0_4arch9wavefront6targetE1EEEvSH_
    .private_segment_fixed_size: 0
    .sgpr_count:     6
    .sgpr_spill_count: 0
    .symbol:         _ZN7rocprim17ROCPRIM_400000_NS6detail17trampoline_kernelINS0_13kernel_configILj256ELj4ELj4294967295EEENS1_37radix_sort_block_sort_config_selectorIiiEEZNS1_21radix_sort_block_sortIS4_Lb0EN6thrust23THRUST_200600_302600_NS6detail15normal_iteratorINS9_10device_ptrIiEEEESE_SE_SE_NS0_19identity_decomposerEEE10hipError_tT1_T2_T3_T4_jRjT5_jjP12ihipStream_tbEUlT_E_NS1_11comp_targetILNS1_3genE4ELNS1_11target_archE910ELNS1_3gpuE8ELNS1_3repE0EEENS1_44radix_sort_block_sort_config_static_selectorELNS0_4arch9wavefront6targetE1EEEvSH_.kd
    .uniform_work_group_size: 1
    .uses_dynamic_stack: false
    .vgpr_count:     0
    .vgpr_spill_count: 0
    .wavefront_size: 64
  - .agpr_count:     0
    .args:
      - .offset:         0
        .size:           48
        .value_kind:     by_value
    .group_segment_fixed_size: 0
    .kernarg_segment_align: 8
    .kernarg_segment_size: 48
    .language:       OpenCL C
    .language_version:
      - 2
      - 0
    .max_flat_workgroup_size: 256
    .name:           _ZN7rocprim17ROCPRIM_400000_NS6detail17trampoline_kernelINS0_13kernel_configILj256ELj4ELj4294967295EEENS1_37radix_sort_block_sort_config_selectorIiiEEZNS1_21radix_sort_block_sortIS4_Lb0EN6thrust23THRUST_200600_302600_NS6detail15normal_iteratorINS9_10device_ptrIiEEEESE_SE_SE_NS0_19identity_decomposerEEE10hipError_tT1_T2_T3_T4_jRjT5_jjP12ihipStream_tbEUlT_E_NS1_11comp_targetILNS1_3genE3ELNS1_11target_archE908ELNS1_3gpuE7ELNS1_3repE0EEENS1_44radix_sort_block_sort_config_static_selectorELNS0_4arch9wavefront6targetE1EEEvSH_
    .private_segment_fixed_size: 0
    .sgpr_count:     6
    .sgpr_spill_count: 0
    .symbol:         _ZN7rocprim17ROCPRIM_400000_NS6detail17trampoline_kernelINS0_13kernel_configILj256ELj4ELj4294967295EEENS1_37radix_sort_block_sort_config_selectorIiiEEZNS1_21radix_sort_block_sortIS4_Lb0EN6thrust23THRUST_200600_302600_NS6detail15normal_iteratorINS9_10device_ptrIiEEEESE_SE_SE_NS0_19identity_decomposerEEE10hipError_tT1_T2_T3_T4_jRjT5_jjP12ihipStream_tbEUlT_E_NS1_11comp_targetILNS1_3genE3ELNS1_11target_archE908ELNS1_3gpuE7ELNS1_3repE0EEENS1_44radix_sort_block_sort_config_static_selectorELNS0_4arch9wavefront6targetE1EEEvSH_.kd
    .uniform_work_group_size: 1
    .uses_dynamic_stack: false
    .vgpr_count:     0
    .vgpr_spill_count: 0
    .wavefront_size: 64
  - .agpr_count:     0
    .args:
      - .offset:         0
        .size:           48
        .value_kind:     by_value
    .group_segment_fixed_size: 0
    .kernarg_segment_align: 8
    .kernarg_segment_size: 48
    .language:       OpenCL C
    .language_version:
      - 2
      - 0
    .max_flat_workgroup_size: 256
    .name:           _ZN7rocprim17ROCPRIM_400000_NS6detail17trampoline_kernelINS0_13kernel_configILj256ELj4ELj4294967295EEENS1_37radix_sort_block_sort_config_selectorIiiEEZNS1_21radix_sort_block_sortIS4_Lb0EN6thrust23THRUST_200600_302600_NS6detail15normal_iteratorINS9_10device_ptrIiEEEESE_SE_SE_NS0_19identity_decomposerEEE10hipError_tT1_T2_T3_T4_jRjT5_jjP12ihipStream_tbEUlT_E_NS1_11comp_targetILNS1_3genE2ELNS1_11target_archE906ELNS1_3gpuE6ELNS1_3repE0EEENS1_44radix_sort_block_sort_config_static_selectorELNS0_4arch9wavefront6targetE1EEEvSH_
    .private_segment_fixed_size: 0
    .sgpr_count:     6
    .sgpr_spill_count: 0
    .symbol:         _ZN7rocprim17ROCPRIM_400000_NS6detail17trampoline_kernelINS0_13kernel_configILj256ELj4ELj4294967295EEENS1_37radix_sort_block_sort_config_selectorIiiEEZNS1_21radix_sort_block_sortIS4_Lb0EN6thrust23THRUST_200600_302600_NS6detail15normal_iteratorINS9_10device_ptrIiEEEESE_SE_SE_NS0_19identity_decomposerEEE10hipError_tT1_T2_T3_T4_jRjT5_jjP12ihipStream_tbEUlT_E_NS1_11comp_targetILNS1_3genE2ELNS1_11target_archE906ELNS1_3gpuE6ELNS1_3repE0EEENS1_44radix_sort_block_sort_config_static_selectorELNS0_4arch9wavefront6targetE1EEEvSH_.kd
    .uniform_work_group_size: 1
    .uses_dynamic_stack: false
    .vgpr_count:     0
    .vgpr_spill_count: 0
    .wavefront_size: 64
  - .agpr_count:     0
    .args:
      - .offset:         0
        .size:           48
        .value_kind:     by_value
    .group_segment_fixed_size: 0
    .kernarg_segment_align: 8
    .kernarg_segment_size: 48
    .language:       OpenCL C
    .language_version:
      - 2
      - 0
    .max_flat_workgroup_size: 256
    .name:           _ZN7rocprim17ROCPRIM_400000_NS6detail17trampoline_kernelINS0_13kernel_configILj256ELj4ELj4294967295EEENS1_37radix_sort_block_sort_config_selectorIiiEEZNS1_21radix_sort_block_sortIS4_Lb0EN6thrust23THRUST_200600_302600_NS6detail15normal_iteratorINS9_10device_ptrIiEEEESE_SE_SE_NS0_19identity_decomposerEEE10hipError_tT1_T2_T3_T4_jRjT5_jjP12ihipStream_tbEUlT_E_NS1_11comp_targetILNS1_3genE10ELNS1_11target_archE1201ELNS1_3gpuE5ELNS1_3repE0EEENS1_44radix_sort_block_sort_config_static_selectorELNS0_4arch9wavefront6targetE1EEEvSH_
    .private_segment_fixed_size: 0
    .sgpr_count:     6
    .sgpr_spill_count: 0
    .symbol:         _ZN7rocprim17ROCPRIM_400000_NS6detail17trampoline_kernelINS0_13kernel_configILj256ELj4ELj4294967295EEENS1_37radix_sort_block_sort_config_selectorIiiEEZNS1_21radix_sort_block_sortIS4_Lb0EN6thrust23THRUST_200600_302600_NS6detail15normal_iteratorINS9_10device_ptrIiEEEESE_SE_SE_NS0_19identity_decomposerEEE10hipError_tT1_T2_T3_T4_jRjT5_jjP12ihipStream_tbEUlT_E_NS1_11comp_targetILNS1_3genE10ELNS1_11target_archE1201ELNS1_3gpuE5ELNS1_3repE0EEENS1_44radix_sort_block_sort_config_static_selectorELNS0_4arch9wavefront6targetE1EEEvSH_.kd
    .uniform_work_group_size: 1
    .uses_dynamic_stack: false
    .vgpr_count:     0
    .vgpr_spill_count: 0
    .wavefront_size: 64
  - .agpr_count:     0
    .args:
      - .offset:         0
        .size:           48
        .value_kind:     by_value
    .group_segment_fixed_size: 0
    .kernarg_segment_align: 8
    .kernarg_segment_size: 48
    .language:       OpenCL C
    .language_version:
      - 2
      - 0
    .max_flat_workgroup_size: 256
    .name:           _ZN7rocprim17ROCPRIM_400000_NS6detail17trampoline_kernelINS0_13kernel_configILj256ELj4ELj4294967295EEENS1_37radix_sort_block_sort_config_selectorIiiEEZNS1_21radix_sort_block_sortIS4_Lb0EN6thrust23THRUST_200600_302600_NS6detail15normal_iteratorINS9_10device_ptrIiEEEESE_SE_SE_NS0_19identity_decomposerEEE10hipError_tT1_T2_T3_T4_jRjT5_jjP12ihipStream_tbEUlT_E_NS1_11comp_targetILNS1_3genE10ELNS1_11target_archE1200ELNS1_3gpuE4ELNS1_3repE0EEENS1_44radix_sort_block_sort_config_static_selectorELNS0_4arch9wavefront6targetE1EEEvSH_
    .private_segment_fixed_size: 0
    .sgpr_count:     6
    .sgpr_spill_count: 0
    .symbol:         _ZN7rocprim17ROCPRIM_400000_NS6detail17trampoline_kernelINS0_13kernel_configILj256ELj4ELj4294967295EEENS1_37radix_sort_block_sort_config_selectorIiiEEZNS1_21radix_sort_block_sortIS4_Lb0EN6thrust23THRUST_200600_302600_NS6detail15normal_iteratorINS9_10device_ptrIiEEEESE_SE_SE_NS0_19identity_decomposerEEE10hipError_tT1_T2_T3_T4_jRjT5_jjP12ihipStream_tbEUlT_E_NS1_11comp_targetILNS1_3genE10ELNS1_11target_archE1200ELNS1_3gpuE4ELNS1_3repE0EEENS1_44radix_sort_block_sort_config_static_selectorELNS0_4arch9wavefront6targetE1EEEvSH_.kd
    .uniform_work_group_size: 1
    .uses_dynamic_stack: false
    .vgpr_count:     0
    .vgpr_spill_count: 0
    .wavefront_size: 64
  - .agpr_count:     0
    .args:
      - .offset:         0
        .size:           48
        .value_kind:     by_value
    .group_segment_fixed_size: 0
    .kernarg_segment_align: 8
    .kernarg_segment_size: 48
    .language:       OpenCL C
    .language_version:
      - 2
      - 0
    .max_flat_workgroup_size: 256
    .name:           _ZN7rocprim17ROCPRIM_400000_NS6detail17trampoline_kernelINS0_13kernel_configILj256ELj4ELj4294967295EEENS1_37radix_sort_block_sort_config_selectorIiiEEZNS1_21radix_sort_block_sortIS4_Lb0EN6thrust23THRUST_200600_302600_NS6detail15normal_iteratorINS9_10device_ptrIiEEEESE_SE_SE_NS0_19identity_decomposerEEE10hipError_tT1_T2_T3_T4_jRjT5_jjP12ihipStream_tbEUlT_E_NS1_11comp_targetILNS1_3genE9ELNS1_11target_archE1100ELNS1_3gpuE3ELNS1_3repE0EEENS1_44radix_sort_block_sort_config_static_selectorELNS0_4arch9wavefront6targetE1EEEvSH_
    .private_segment_fixed_size: 0
    .sgpr_count:     6
    .sgpr_spill_count: 0
    .symbol:         _ZN7rocprim17ROCPRIM_400000_NS6detail17trampoline_kernelINS0_13kernel_configILj256ELj4ELj4294967295EEENS1_37radix_sort_block_sort_config_selectorIiiEEZNS1_21radix_sort_block_sortIS4_Lb0EN6thrust23THRUST_200600_302600_NS6detail15normal_iteratorINS9_10device_ptrIiEEEESE_SE_SE_NS0_19identity_decomposerEEE10hipError_tT1_T2_T3_T4_jRjT5_jjP12ihipStream_tbEUlT_E_NS1_11comp_targetILNS1_3genE9ELNS1_11target_archE1100ELNS1_3gpuE3ELNS1_3repE0EEENS1_44radix_sort_block_sort_config_static_selectorELNS0_4arch9wavefront6targetE1EEEvSH_.kd
    .uniform_work_group_size: 1
    .uses_dynamic_stack: false
    .vgpr_count:     0
    .vgpr_spill_count: 0
    .wavefront_size: 64
  - .agpr_count:     0
    .args:
      - .offset:         0
        .size:           48
        .value_kind:     by_value
    .group_segment_fixed_size: 0
    .kernarg_segment_align: 8
    .kernarg_segment_size: 48
    .language:       OpenCL C
    .language_version:
      - 2
      - 0
    .max_flat_workgroup_size: 256
    .name:           _ZN7rocprim17ROCPRIM_400000_NS6detail17trampoline_kernelINS0_13kernel_configILj256ELj4ELj4294967295EEENS1_37radix_sort_block_sort_config_selectorIiiEEZNS1_21radix_sort_block_sortIS4_Lb0EN6thrust23THRUST_200600_302600_NS6detail15normal_iteratorINS9_10device_ptrIiEEEESE_SE_SE_NS0_19identity_decomposerEEE10hipError_tT1_T2_T3_T4_jRjT5_jjP12ihipStream_tbEUlT_E_NS1_11comp_targetILNS1_3genE8ELNS1_11target_archE1030ELNS1_3gpuE2ELNS1_3repE0EEENS1_44radix_sort_block_sort_config_static_selectorELNS0_4arch9wavefront6targetE1EEEvSH_
    .private_segment_fixed_size: 0
    .sgpr_count:     6
    .sgpr_spill_count: 0
    .symbol:         _ZN7rocprim17ROCPRIM_400000_NS6detail17trampoline_kernelINS0_13kernel_configILj256ELj4ELj4294967295EEENS1_37radix_sort_block_sort_config_selectorIiiEEZNS1_21radix_sort_block_sortIS4_Lb0EN6thrust23THRUST_200600_302600_NS6detail15normal_iteratorINS9_10device_ptrIiEEEESE_SE_SE_NS0_19identity_decomposerEEE10hipError_tT1_T2_T3_T4_jRjT5_jjP12ihipStream_tbEUlT_E_NS1_11comp_targetILNS1_3genE8ELNS1_11target_archE1030ELNS1_3gpuE2ELNS1_3repE0EEENS1_44radix_sort_block_sort_config_static_selectorELNS0_4arch9wavefront6targetE1EEEvSH_.kd
    .uniform_work_group_size: 1
    .uses_dynamic_stack: false
    .vgpr_count:     0
    .vgpr_spill_count: 0
    .wavefront_size: 64
  - .agpr_count:     0
    .args:           []
    .group_segment_fixed_size: 0
    .kernarg_segment_align: 4
    .kernarg_segment_size: 0
    .language:       OpenCL C
    .language_version:
      - 2
      - 0
    .max_flat_workgroup_size: 1024
    .name:           _ZN7rocprim17ROCPRIM_400000_NS6detail44device_merge_sort_compile_time_verifier_archINS1_11comp_targetILNS1_3genE0ELNS1_11target_archE4294967295ELNS1_3gpuE0ELNS1_3repE0EEES8_NS1_28merge_sort_block_sort_configILj256ELj4ELNS0_20block_sort_algorithmE0EEENS0_14default_configENS1_37merge_sort_block_sort_config_selectorIiiEENS1_38merge_sort_block_merge_config_selectorIiiEEEEvv
    .private_segment_fixed_size: 0
    .sgpr_count:     6
    .sgpr_spill_count: 0
    .symbol:         _ZN7rocprim17ROCPRIM_400000_NS6detail44device_merge_sort_compile_time_verifier_archINS1_11comp_targetILNS1_3genE0ELNS1_11target_archE4294967295ELNS1_3gpuE0ELNS1_3repE0EEES8_NS1_28merge_sort_block_sort_configILj256ELj4ELNS0_20block_sort_algorithmE0EEENS0_14default_configENS1_37merge_sort_block_sort_config_selectorIiiEENS1_38merge_sort_block_merge_config_selectorIiiEEEEvv.kd
    .uniform_work_group_size: 1
    .uses_dynamic_stack: false
    .vgpr_count:     0
    .vgpr_spill_count: 0
    .wavefront_size: 64
  - .agpr_count:     0
    .args:           []
    .group_segment_fixed_size: 0
    .kernarg_segment_align: 4
    .kernarg_segment_size: 0
    .language:       OpenCL C
    .language_version:
      - 2
      - 0
    .max_flat_workgroup_size: 1024
    .name:           _ZN7rocprim17ROCPRIM_400000_NS6detail44device_merge_sort_compile_time_verifier_archINS1_11comp_targetILNS1_3genE5ELNS1_11target_archE942ELNS1_3gpuE9ELNS1_3repE0EEES8_NS1_28merge_sort_block_sort_configILj256ELj4ELNS0_20block_sort_algorithmE0EEENS0_14default_configENS1_37merge_sort_block_sort_config_selectorIiiEENS1_38merge_sort_block_merge_config_selectorIiiEEEEvv
    .private_segment_fixed_size: 0
    .sgpr_count:     6
    .sgpr_spill_count: 0
    .symbol:         _ZN7rocprim17ROCPRIM_400000_NS6detail44device_merge_sort_compile_time_verifier_archINS1_11comp_targetILNS1_3genE5ELNS1_11target_archE942ELNS1_3gpuE9ELNS1_3repE0EEES8_NS1_28merge_sort_block_sort_configILj256ELj4ELNS0_20block_sort_algorithmE0EEENS0_14default_configENS1_37merge_sort_block_sort_config_selectorIiiEENS1_38merge_sort_block_merge_config_selectorIiiEEEEvv.kd
    .uniform_work_group_size: 1
    .uses_dynamic_stack: false
    .vgpr_count:     0
    .vgpr_spill_count: 0
    .wavefront_size: 64
  - .agpr_count:     0
    .args:           []
    .group_segment_fixed_size: 0
    .kernarg_segment_align: 4
    .kernarg_segment_size: 0
    .language:       OpenCL C
    .language_version:
      - 2
      - 0
    .max_flat_workgroup_size: 1024
    .name:           _ZN7rocprim17ROCPRIM_400000_NS6detail44device_merge_sort_compile_time_verifier_archINS1_11comp_targetILNS1_3genE4ELNS1_11target_archE910ELNS1_3gpuE8ELNS1_3repE0EEES8_NS1_28merge_sort_block_sort_configILj256ELj4ELNS0_20block_sort_algorithmE0EEENS0_14default_configENS1_37merge_sort_block_sort_config_selectorIiiEENS1_38merge_sort_block_merge_config_selectorIiiEEEEvv
    .private_segment_fixed_size: 0
    .sgpr_count:     6
    .sgpr_spill_count: 0
    .symbol:         _ZN7rocprim17ROCPRIM_400000_NS6detail44device_merge_sort_compile_time_verifier_archINS1_11comp_targetILNS1_3genE4ELNS1_11target_archE910ELNS1_3gpuE8ELNS1_3repE0EEES8_NS1_28merge_sort_block_sort_configILj256ELj4ELNS0_20block_sort_algorithmE0EEENS0_14default_configENS1_37merge_sort_block_sort_config_selectorIiiEENS1_38merge_sort_block_merge_config_selectorIiiEEEEvv.kd
    .uniform_work_group_size: 1
    .uses_dynamic_stack: false
    .vgpr_count:     0
    .vgpr_spill_count: 0
    .wavefront_size: 64
  - .agpr_count:     0
    .args:           []
    .group_segment_fixed_size: 0
    .kernarg_segment_align: 4
    .kernarg_segment_size: 0
    .language:       OpenCL C
    .language_version:
      - 2
      - 0
    .max_flat_workgroup_size: 1024
    .name:           _ZN7rocprim17ROCPRIM_400000_NS6detail44device_merge_sort_compile_time_verifier_archINS1_11comp_targetILNS1_3genE3ELNS1_11target_archE908ELNS1_3gpuE7ELNS1_3repE0EEES8_NS1_28merge_sort_block_sort_configILj256ELj4ELNS0_20block_sort_algorithmE0EEENS0_14default_configENS1_37merge_sort_block_sort_config_selectorIiiEENS1_38merge_sort_block_merge_config_selectorIiiEEEEvv
    .private_segment_fixed_size: 0
    .sgpr_count:     6
    .sgpr_spill_count: 0
    .symbol:         _ZN7rocprim17ROCPRIM_400000_NS6detail44device_merge_sort_compile_time_verifier_archINS1_11comp_targetILNS1_3genE3ELNS1_11target_archE908ELNS1_3gpuE7ELNS1_3repE0EEES8_NS1_28merge_sort_block_sort_configILj256ELj4ELNS0_20block_sort_algorithmE0EEENS0_14default_configENS1_37merge_sort_block_sort_config_selectorIiiEENS1_38merge_sort_block_merge_config_selectorIiiEEEEvv.kd
    .uniform_work_group_size: 1
    .uses_dynamic_stack: false
    .vgpr_count:     0
    .vgpr_spill_count: 0
    .wavefront_size: 64
  - .agpr_count:     0
    .args:           []
    .group_segment_fixed_size: 0
    .kernarg_segment_align: 4
    .kernarg_segment_size: 0
    .language:       OpenCL C
    .language_version:
      - 2
      - 0
    .max_flat_workgroup_size: 1024
    .name:           _ZN7rocprim17ROCPRIM_400000_NS6detail44device_merge_sort_compile_time_verifier_archINS1_11comp_targetILNS1_3genE2ELNS1_11target_archE906ELNS1_3gpuE6ELNS1_3repE0EEES8_NS1_28merge_sort_block_sort_configILj256ELj4ELNS0_20block_sort_algorithmE0EEENS0_14default_configENS1_37merge_sort_block_sort_config_selectorIiiEENS1_38merge_sort_block_merge_config_selectorIiiEEEEvv
    .private_segment_fixed_size: 0
    .sgpr_count:     6
    .sgpr_spill_count: 0
    .symbol:         _ZN7rocprim17ROCPRIM_400000_NS6detail44device_merge_sort_compile_time_verifier_archINS1_11comp_targetILNS1_3genE2ELNS1_11target_archE906ELNS1_3gpuE6ELNS1_3repE0EEES8_NS1_28merge_sort_block_sort_configILj256ELj4ELNS0_20block_sort_algorithmE0EEENS0_14default_configENS1_37merge_sort_block_sort_config_selectorIiiEENS1_38merge_sort_block_merge_config_selectorIiiEEEEvv.kd
    .uniform_work_group_size: 1
    .uses_dynamic_stack: false
    .vgpr_count:     0
    .vgpr_spill_count: 0
    .wavefront_size: 64
  - .agpr_count:     0
    .args:           []
    .group_segment_fixed_size: 0
    .kernarg_segment_align: 4
    .kernarg_segment_size: 0
    .language:       OpenCL C
    .language_version:
      - 2
      - 0
    .max_flat_workgroup_size: 1024
    .name:           _ZN7rocprim17ROCPRIM_400000_NS6detail44device_merge_sort_compile_time_verifier_archINS1_11comp_targetILNS1_3genE10ELNS1_11target_archE1201ELNS1_3gpuE5ELNS1_3repE0EEES8_NS1_28merge_sort_block_sort_configILj256ELj4ELNS0_20block_sort_algorithmE0EEENS0_14default_configENS1_37merge_sort_block_sort_config_selectorIiiEENS1_38merge_sort_block_merge_config_selectorIiiEEEEvv
    .private_segment_fixed_size: 0
    .sgpr_count:     6
    .sgpr_spill_count: 0
    .symbol:         _ZN7rocprim17ROCPRIM_400000_NS6detail44device_merge_sort_compile_time_verifier_archINS1_11comp_targetILNS1_3genE10ELNS1_11target_archE1201ELNS1_3gpuE5ELNS1_3repE0EEES8_NS1_28merge_sort_block_sort_configILj256ELj4ELNS0_20block_sort_algorithmE0EEENS0_14default_configENS1_37merge_sort_block_sort_config_selectorIiiEENS1_38merge_sort_block_merge_config_selectorIiiEEEEvv.kd
    .uniform_work_group_size: 1
    .uses_dynamic_stack: false
    .vgpr_count:     0
    .vgpr_spill_count: 0
    .wavefront_size: 64
  - .agpr_count:     0
    .args:           []
    .group_segment_fixed_size: 0
    .kernarg_segment_align: 4
    .kernarg_segment_size: 0
    .language:       OpenCL C
    .language_version:
      - 2
      - 0
    .max_flat_workgroup_size: 1024
    .name:           _ZN7rocprim17ROCPRIM_400000_NS6detail44device_merge_sort_compile_time_verifier_archINS1_11comp_targetILNS1_3genE10ELNS1_11target_archE1200ELNS1_3gpuE4ELNS1_3repE0EEENS3_ILS4_10ELS5_1201ELS6_5ELS7_0EEENS1_28merge_sort_block_sort_configILj256ELj4ELNS0_20block_sort_algorithmE0EEENS0_14default_configENS1_37merge_sort_block_sort_config_selectorIiiEENS1_38merge_sort_block_merge_config_selectorIiiEEEEvv
    .private_segment_fixed_size: 0
    .sgpr_count:     6
    .sgpr_spill_count: 0
    .symbol:         _ZN7rocprim17ROCPRIM_400000_NS6detail44device_merge_sort_compile_time_verifier_archINS1_11comp_targetILNS1_3genE10ELNS1_11target_archE1200ELNS1_3gpuE4ELNS1_3repE0EEENS3_ILS4_10ELS5_1201ELS6_5ELS7_0EEENS1_28merge_sort_block_sort_configILj256ELj4ELNS0_20block_sort_algorithmE0EEENS0_14default_configENS1_37merge_sort_block_sort_config_selectorIiiEENS1_38merge_sort_block_merge_config_selectorIiiEEEEvv.kd
    .uniform_work_group_size: 1
    .uses_dynamic_stack: false
    .vgpr_count:     0
    .vgpr_spill_count: 0
    .wavefront_size: 64
  - .agpr_count:     0
    .args:           []
    .group_segment_fixed_size: 0
    .kernarg_segment_align: 4
    .kernarg_segment_size: 0
    .language:       OpenCL C
    .language_version:
      - 2
      - 0
    .max_flat_workgroup_size: 1024
    .name:           _ZN7rocprim17ROCPRIM_400000_NS6detail44device_merge_sort_compile_time_verifier_archINS1_11comp_targetILNS1_3genE9ELNS1_11target_archE1100ELNS1_3gpuE3ELNS1_3repE0EEES8_NS1_28merge_sort_block_sort_configILj256ELj4ELNS0_20block_sort_algorithmE0EEENS0_14default_configENS1_37merge_sort_block_sort_config_selectorIiiEENS1_38merge_sort_block_merge_config_selectorIiiEEEEvv
    .private_segment_fixed_size: 0
    .sgpr_count:     6
    .sgpr_spill_count: 0
    .symbol:         _ZN7rocprim17ROCPRIM_400000_NS6detail44device_merge_sort_compile_time_verifier_archINS1_11comp_targetILNS1_3genE9ELNS1_11target_archE1100ELNS1_3gpuE3ELNS1_3repE0EEES8_NS1_28merge_sort_block_sort_configILj256ELj4ELNS0_20block_sort_algorithmE0EEENS0_14default_configENS1_37merge_sort_block_sort_config_selectorIiiEENS1_38merge_sort_block_merge_config_selectorIiiEEEEvv.kd
    .uniform_work_group_size: 1
    .uses_dynamic_stack: false
    .vgpr_count:     0
    .vgpr_spill_count: 0
    .wavefront_size: 64
  - .agpr_count:     0
    .args:           []
    .group_segment_fixed_size: 0
    .kernarg_segment_align: 4
    .kernarg_segment_size: 0
    .language:       OpenCL C
    .language_version:
      - 2
      - 0
    .max_flat_workgroup_size: 1024
    .name:           _ZN7rocprim17ROCPRIM_400000_NS6detail44device_merge_sort_compile_time_verifier_archINS1_11comp_targetILNS1_3genE8ELNS1_11target_archE1030ELNS1_3gpuE2ELNS1_3repE0EEES8_NS1_28merge_sort_block_sort_configILj256ELj4ELNS0_20block_sort_algorithmE0EEENS0_14default_configENS1_37merge_sort_block_sort_config_selectorIiiEENS1_38merge_sort_block_merge_config_selectorIiiEEEEvv
    .private_segment_fixed_size: 0
    .sgpr_count:     6
    .sgpr_spill_count: 0
    .symbol:         _ZN7rocprim17ROCPRIM_400000_NS6detail44device_merge_sort_compile_time_verifier_archINS1_11comp_targetILNS1_3genE8ELNS1_11target_archE1030ELNS1_3gpuE2ELNS1_3repE0EEES8_NS1_28merge_sort_block_sort_configILj256ELj4ELNS0_20block_sort_algorithmE0EEENS0_14default_configENS1_37merge_sort_block_sort_config_selectorIiiEENS1_38merge_sort_block_merge_config_selectorIiiEEEEvv.kd
    .uniform_work_group_size: 1
    .uses_dynamic_stack: false
    .vgpr_count:     0
    .vgpr_spill_count: 0
    .wavefront_size: 64
  - .agpr_count:     0
    .args:
      - .offset:         0
        .size:           40
        .value_kind:     by_value
    .group_segment_fixed_size: 0
    .kernarg_segment_align: 8
    .kernarg_segment_size: 40
    .language:       OpenCL C
    .language_version:
      - 2
      - 0
    .max_flat_workgroup_size: 128
    .name:           _ZN7rocprim17ROCPRIM_400000_NS6detail17trampoline_kernelINS0_14default_configENS1_38merge_sort_block_merge_config_selectorIiiEEZZNS1_27merge_sort_block_merge_implIS3_N6thrust23THRUST_200600_302600_NS6detail15normal_iteratorINS8_10device_ptrIiEEEESD_jNS1_19radix_merge_compareILb0ELb0EiNS0_19identity_decomposerEEEEE10hipError_tT0_T1_T2_jT3_P12ihipStream_tbPNSt15iterator_traitsISI_E10value_typeEPNSO_ISJ_E10value_typeEPSK_NS1_7vsmem_tEENKUlT_SI_SJ_SK_E_clIPiSD_S10_SD_EESH_SX_SI_SJ_SK_EUlSX_E_NS1_11comp_targetILNS1_3genE0ELNS1_11target_archE4294967295ELNS1_3gpuE0ELNS1_3repE0EEENS1_48merge_mergepath_partition_config_static_selectorELNS0_4arch9wavefront6targetE1EEEvSJ_
    .private_segment_fixed_size: 0
    .sgpr_count:     14
    .sgpr_spill_count: 0
    .symbol:         _ZN7rocprim17ROCPRIM_400000_NS6detail17trampoline_kernelINS0_14default_configENS1_38merge_sort_block_merge_config_selectorIiiEEZZNS1_27merge_sort_block_merge_implIS3_N6thrust23THRUST_200600_302600_NS6detail15normal_iteratorINS8_10device_ptrIiEEEESD_jNS1_19radix_merge_compareILb0ELb0EiNS0_19identity_decomposerEEEEE10hipError_tT0_T1_T2_jT3_P12ihipStream_tbPNSt15iterator_traitsISI_E10value_typeEPNSO_ISJ_E10value_typeEPSK_NS1_7vsmem_tEENKUlT_SI_SJ_SK_E_clIPiSD_S10_SD_EESH_SX_SI_SJ_SK_EUlSX_E_NS1_11comp_targetILNS1_3genE0ELNS1_11target_archE4294967295ELNS1_3gpuE0ELNS1_3repE0EEENS1_48merge_mergepath_partition_config_static_selectorELNS0_4arch9wavefront6targetE1EEEvSJ_.kd
    .uniform_work_group_size: 1
    .uses_dynamic_stack: false
    .vgpr_count:     17
    .vgpr_spill_count: 0
    .wavefront_size: 64
  - .agpr_count:     0
    .args:
      - .offset:         0
        .size:           40
        .value_kind:     by_value
    .group_segment_fixed_size: 0
    .kernarg_segment_align: 8
    .kernarg_segment_size: 40
    .language:       OpenCL C
    .language_version:
      - 2
      - 0
    .max_flat_workgroup_size: 128
    .name:           _ZN7rocprim17ROCPRIM_400000_NS6detail17trampoline_kernelINS0_14default_configENS1_38merge_sort_block_merge_config_selectorIiiEEZZNS1_27merge_sort_block_merge_implIS3_N6thrust23THRUST_200600_302600_NS6detail15normal_iteratorINS8_10device_ptrIiEEEESD_jNS1_19radix_merge_compareILb0ELb0EiNS0_19identity_decomposerEEEEE10hipError_tT0_T1_T2_jT3_P12ihipStream_tbPNSt15iterator_traitsISI_E10value_typeEPNSO_ISJ_E10value_typeEPSK_NS1_7vsmem_tEENKUlT_SI_SJ_SK_E_clIPiSD_S10_SD_EESH_SX_SI_SJ_SK_EUlSX_E_NS1_11comp_targetILNS1_3genE10ELNS1_11target_archE1201ELNS1_3gpuE5ELNS1_3repE0EEENS1_48merge_mergepath_partition_config_static_selectorELNS0_4arch9wavefront6targetE1EEEvSJ_
    .private_segment_fixed_size: 0
    .sgpr_count:     6
    .sgpr_spill_count: 0
    .symbol:         _ZN7rocprim17ROCPRIM_400000_NS6detail17trampoline_kernelINS0_14default_configENS1_38merge_sort_block_merge_config_selectorIiiEEZZNS1_27merge_sort_block_merge_implIS3_N6thrust23THRUST_200600_302600_NS6detail15normal_iteratorINS8_10device_ptrIiEEEESD_jNS1_19radix_merge_compareILb0ELb0EiNS0_19identity_decomposerEEEEE10hipError_tT0_T1_T2_jT3_P12ihipStream_tbPNSt15iterator_traitsISI_E10value_typeEPNSO_ISJ_E10value_typeEPSK_NS1_7vsmem_tEENKUlT_SI_SJ_SK_E_clIPiSD_S10_SD_EESH_SX_SI_SJ_SK_EUlSX_E_NS1_11comp_targetILNS1_3genE10ELNS1_11target_archE1201ELNS1_3gpuE5ELNS1_3repE0EEENS1_48merge_mergepath_partition_config_static_selectorELNS0_4arch9wavefront6targetE1EEEvSJ_.kd
    .uniform_work_group_size: 1
    .uses_dynamic_stack: false
    .vgpr_count:     0
    .vgpr_spill_count: 0
    .wavefront_size: 64
  - .agpr_count:     0
    .args:
      - .offset:         0
        .size:           40
        .value_kind:     by_value
    .group_segment_fixed_size: 0
    .kernarg_segment_align: 8
    .kernarg_segment_size: 40
    .language:       OpenCL C
    .language_version:
      - 2
      - 0
    .max_flat_workgroup_size: 128
    .name:           _ZN7rocprim17ROCPRIM_400000_NS6detail17trampoline_kernelINS0_14default_configENS1_38merge_sort_block_merge_config_selectorIiiEEZZNS1_27merge_sort_block_merge_implIS3_N6thrust23THRUST_200600_302600_NS6detail15normal_iteratorINS8_10device_ptrIiEEEESD_jNS1_19radix_merge_compareILb0ELb0EiNS0_19identity_decomposerEEEEE10hipError_tT0_T1_T2_jT3_P12ihipStream_tbPNSt15iterator_traitsISI_E10value_typeEPNSO_ISJ_E10value_typeEPSK_NS1_7vsmem_tEENKUlT_SI_SJ_SK_E_clIPiSD_S10_SD_EESH_SX_SI_SJ_SK_EUlSX_E_NS1_11comp_targetILNS1_3genE5ELNS1_11target_archE942ELNS1_3gpuE9ELNS1_3repE0EEENS1_48merge_mergepath_partition_config_static_selectorELNS0_4arch9wavefront6targetE1EEEvSJ_
    .private_segment_fixed_size: 0
    .sgpr_count:     6
    .sgpr_spill_count: 0
    .symbol:         _ZN7rocprim17ROCPRIM_400000_NS6detail17trampoline_kernelINS0_14default_configENS1_38merge_sort_block_merge_config_selectorIiiEEZZNS1_27merge_sort_block_merge_implIS3_N6thrust23THRUST_200600_302600_NS6detail15normal_iteratorINS8_10device_ptrIiEEEESD_jNS1_19radix_merge_compareILb0ELb0EiNS0_19identity_decomposerEEEEE10hipError_tT0_T1_T2_jT3_P12ihipStream_tbPNSt15iterator_traitsISI_E10value_typeEPNSO_ISJ_E10value_typeEPSK_NS1_7vsmem_tEENKUlT_SI_SJ_SK_E_clIPiSD_S10_SD_EESH_SX_SI_SJ_SK_EUlSX_E_NS1_11comp_targetILNS1_3genE5ELNS1_11target_archE942ELNS1_3gpuE9ELNS1_3repE0EEENS1_48merge_mergepath_partition_config_static_selectorELNS0_4arch9wavefront6targetE1EEEvSJ_.kd
    .uniform_work_group_size: 1
    .uses_dynamic_stack: false
    .vgpr_count:     0
    .vgpr_spill_count: 0
    .wavefront_size: 64
  - .agpr_count:     0
    .args:
      - .offset:         0
        .size:           40
        .value_kind:     by_value
    .group_segment_fixed_size: 0
    .kernarg_segment_align: 8
    .kernarg_segment_size: 40
    .language:       OpenCL C
    .language_version:
      - 2
      - 0
    .max_flat_workgroup_size: 128
    .name:           _ZN7rocprim17ROCPRIM_400000_NS6detail17trampoline_kernelINS0_14default_configENS1_38merge_sort_block_merge_config_selectorIiiEEZZNS1_27merge_sort_block_merge_implIS3_N6thrust23THRUST_200600_302600_NS6detail15normal_iteratorINS8_10device_ptrIiEEEESD_jNS1_19radix_merge_compareILb0ELb0EiNS0_19identity_decomposerEEEEE10hipError_tT0_T1_T2_jT3_P12ihipStream_tbPNSt15iterator_traitsISI_E10value_typeEPNSO_ISJ_E10value_typeEPSK_NS1_7vsmem_tEENKUlT_SI_SJ_SK_E_clIPiSD_S10_SD_EESH_SX_SI_SJ_SK_EUlSX_E_NS1_11comp_targetILNS1_3genE4ELNS1_11target_archE910ELNS1_3gpuE8ELNS1_3repE0EEENS1_48merge_mergepath_partition_config_static_selectorELNS0_4arch9wavefront6targetE1EEEvSJ_
    .private_segment_fixed_size: 0
    .sgpr_count:     6
    .sgpr_spill_count: 0
    .symbol:         _ZN7rocprim17ROCPRIM_400000_NS6detail17trampoline_kernelINS0_14default_configENS1_38merge_sort_block_merge_config_selectorIiiEEZZNS1_27merge_sort_block_merge_implIS3_N6thrust23THRUST_200600_302600_NS6detail15normal_iteratorINS8_10device_ptrIiEEEESD_jNS1_19radix_merge_compareILb0ELb0EiNS0_19identity_decomposerEEEEE10hipError_tT0_T1_T2_jT3_P12ihipStream_tbPNSt15iterator_traitsISI_E10value_typeEPNSO_ISJ_E10value_typeEPSK_NS1_7vsmem_tEENKUlT_SI_SJ_SK_E_clIPiSD_S10_SD_EESH_SX_SI_SJ_SK_EUlSX_E_NS1_11comp_targetILNS1_3genE4ELNS1_11target_archE910ELNS1_3gpuE8ELNS1_3repE0EEENS1_48merge_mergepath_partition_config_static_selectorELNS0_4arch9wavefront6targetE1EEEvSJ_.kd
    .uniform_work_group_size: 1
    .uses_dynamic_stack: false
    .vgpr_count:     0
    .vgpr_spill_count: 0
    .wavefront_size: 64
  - .agpr_count:     0
    .args:
      - .offset:         0
        .size:           40
        .value_kind:     by_value
    .group_segment_fixed_size: 0
    .kernarg_segment_align: 8
    .kernarg_segment_size: 40
    .language:       OpenCL C
    .language_version:
      - 2
      - 0
    .max_flat_workgroup_size: 128
    .name:           _ZN7rocprim17ROCPRIM_400000_NS6detail17trampoline_kernelINS0_14default_configENS1_38merge_sort_block_merge_config_selectorIiiEEZZNS1_27merge_sort_block_merge_implIS3_N6thrust23THRUST_200600_302600_NS6detail15normal_iteratorINS8_10device_ptrIiEEEESD_jNS1_19radix_merge_compareILb0ELb0EiNS0_19identity_decomposerEEEEE10hipError_tT0_T1_T2_jT3_P12ihipStream_tbPNSt15iterator_traitsISI_E10value_typeEPNSO_ISJ_E10value_typeEPSK_NS1_7vsmem_tEENKUlT_SI_SJ_SK_E_clIPiSD_S10_SD_EESH_SX_SI_SJ_SK_EUlSX_E_NS1_11comp_targetILNS1_3genE3ELNS1_11target_archE908ELNS1_3gpuE7ELNS1_3repE0EEENS1_48merge_mergepath_partition_config_static_selectorELNS0_4arch9wavefront6targetE1EEEvSJ_
    .private_segment_fixed_size: 0
    .sgpr_count:     6
    .sgpr_spill_count: 0
    .symbol:         _ZN7rocprim17ROCPRIM_400000_NS6detail17trampoline_kernelINS0_14default_configENS1_38merge_sort_block_merge_config_selectorIiiEEZZNS1_27merge_sort_block_merge_implIS3_N6thrust23THRUST_200600_302600_NS6detail15normal_iteratorINS8_10device_ptrIiEEEESD_jNS1_19radix_merge_compareILb0ELb0EiNS0_19identity_decomposerEEEEE10hipError_tT0_T1_T2_jT3_P12ihipStream_tbPNSt15iterator_traitsISI_E10value_typeEPNSO_ISJ_E10value_typeEPSK_NS1_7vsmem_tEENKUlT_SI_SJ_SK_E_clIPiSD_S10_SD_EESH_SX_SI_SJ_SK_EUlSX_E_NS1_11comp_targetILNS1_3genE3ELNS1_11target_archE908ELNS1_3gpuE7ELNS1_3repE0EEENS1_48merge_mergepath_partition_config_static_selectorELNS0_4arch9wavefront6targetE1EEEvSJ_.kd
    .uniform_work_group_size: 1
    .uses_dynamic_stack: false
    .vgpr_count:     0
    .vgpr_spill_count: 0
    .wavefront_size: 64
  - .agpr_count:     0
    .args:
      - .offset:         0
        .size:           40
        .value_kind:     by_value
    .group_segment_fixed_size: 0
    .kernarg_segment_align: 8
    .kernarg_segment_size: 40
    .language:       OpenCL C
    .language_version:
      - 2
      - 0
    .max_flat_workgroup_size: 128
    .name:           _ZN7rocprim17ROCPRIM_400000_NS6detail17trampoline_kernelINS0_14default_configENS1_38merge_sort_block_merge_config_selectorIiiEEZZNS1_27merge_sort_block_merge_implIS3_N6thrust23THRUST_200600_302600_NS6detail15normal_iteratorINS8_10device_ptrIiEEEESD_jNS1_19radix_merge_compareILb0ELb0EiNS0_19identity_decomposerEEEEE10hipError_tT0_T1_T2_jT3_P12ihipStream_tbPNSt15iterator_traitsISI_E10value_typeEPNSO_ISJ_E10value_typeEPSK_NS1_7vsmem_tEENKUlT_SI_SJ_SK_E_clIPiSD_S10_SD_EESH_SX_SI_SJ_SK_EUlSX_E_NS1_11comp_targetILNS1_3genE2ELNS1_11target_archE906ELNS1_3gpuE6ELNS1_3repE0EEENS1_48merge_mergepath_partition_config_static_selectorELNS0_4arch9wavefront6targetE1EEEvSJ_
    .private_segment_fixed_size: 0
    .sgpr_count:     6
    .sgpr_spill_count: 0
    .symbol:         _ZN7rocprim17ROCPRIM_400000_NS6detail17trampoline_kernelINS0_14default_configENS1_38merge_sort_block_merge_config_selectorIiiEEZZNS1_27merge_sort_block_merge_implIS3_N6thrust23THRUST_200600_302600_NS6detail15normal_iteratorINS8_10device_ptrIiEEEESD_jNS1_19radix_merge_compareILb0ELb0EiNS0_19identity_decomposerEEEEE10hipError_tT0_T1_T2_jT3_P12ihipStream_tbPNSt15iterator_traitsISI_E10value_typeEPNSO_ISJ_E10value_typeEPSK_NS1_7vsmem_tEENKUlT_SI_SJ_SK_E_clIPiSD_S10_SD_EESH_SX_SI_SJ_SK_EUlSX_E_NS1_11comp_targetILNS1_3genE2ELNS1_11target_archE906ELNS1_3gpuE6ELNS1_3repE0EEENS1_48merge_mergepath_partition_config_static_selectorELNS0_4arch9wavefront6targetE1EEEvSJ_.kd
    .uniform_work_group_size: 1
    .uses_dynamic_stack: false
    .vgpr_count:     0
    .vgpr_spill_count: 0
    .wavefront_size: 64
  - .agpr_count:     0
    .args:
      - .offset:         0
        .size:           40
        .value_kind:     by_value
    .group_segment_fixed_size: 0
    .kernarg_segment_align: 8
    .kernarg_segment_size: 40
    .language:       OpenCL C
    .language_version:
      - 2
      - 0
    .max_flat_workgroup_size: 128
    .name:           _ZN7rocprim17ROCPRIM_400000_NS6detail17trampoline_kernelINS0_14default_configENS1_38merge_sort_block_merge_config_selectorIiiEEZZNS1_27merge_sort_block_merge_implIS3_N6thrust23THRUST_200600_302600_NS6detail15normal_iteratorINS8_10device_ptrIiEEEESD_jNS1_19radix_merge_compareILb0ELb0EiNS0_19identity_decomposerEEEEE10hipError_tT0_T1_T2_jT3_P12ihipStream_tbPNSt15iterator_traitsISI_E10value_typeEPNSO_ISJ_E10value_typeEPSK_NS1_7vsmem_tEENKUlT_SI_SJ_SK_E_clIPiSD_S10_SD_EESH_SX_SI_SJ_SK_EUlSX_E_NS1_11comp_targetILNS1_3genE9ELNS1_11target_archE1100ELNS1_3gpuE3ELNS1_3repE0EEENS1_48merge_mergepath_partition_config_static_selectorELNS0_4arch9wavefront6targetE1EEEvSJ_
    .private_segment_fixed_size: 0
    .sgpr_count:     6
    .sgpr_spill_count: 0
    .symbol:         _ZN7rocprim17ROCPRIM_400000_NS6detail17trampoline_kernelINS0_14default_configENS1_38merge_sort_block_merge_config_selectorIiiEEZZNS1_27merge_sort_block_merge_implIS3_N6thrust23THRUST_200600_302600_NS6detail15normal_iteratorINS8_10device_ptrIiEEEESD_jNS1_19radix_merge_compareILb0ELb0EiNS0_19identity_decomposerEEEEE10hipError_tT0_T1_T2_jT3_P12ihipStream_tbPNSt15iterator_traitsISI_E10value_typeEPNSO_ISJ_E10value_typeEPSK_NS1_7vsmem_tEENKUlT_SI_SJ_SK_E_clIPiSD_S10_SD_EESH_SX_SI_SJ_SK_EUlSX_E_NS1_11comp_targetILNS1_3genE9ELNS1_11target_archE1100ELNS1_3gpuE3ELNS1_3repE0EEENS1_48merge_mergepath_partition_config_static_selectorELNS0_4arch9wavefront6targetE1EEEvSJ_.kd
    .uniform_work_group_size: 1
    .uses_dynamic_stack: false
    .vgpr_count:     0
    .vgpr_spill_count: 0
    .wavefront_size: 64
  - .agpr_count:     0
    .args:
      - .offset:         0
        .size:           40
        .value_kind:     by_value
    .group_segment_fixed_size: 0
    .kernarg_segment_align: 8
    .kernarg_segment_size: 40
    .language:       OpenCL C
    .language_version:
      - 2
      - 0
    .max_flat_workgroup_size: 128
    .name:           _ZN7rocprim17ROCPRIM_400000_NS6detail17trampoline_kernelINS0_14default_configENS1_38merge_sort_block_merge_config_selectorIiiEEZZNS1_27merge_sort_block_merge_implIS3_N6thrust23THRUST_200600_302600_NS6detail15normal_iteratorINS8_10device_ptrIiEEEESD_jNS1_19radix_merge_compareILb0ELb0EiNS0_19identity_decomposerEEEEE10hipError_tT0_T1_T2_jT3_P12ihipStream_tbPNSt15iterator_traitsISI_E10value_typeEPNSO_ISJ_E10value_typeEPSK_NS1_7vsmem_tEENKUlT_SI_SJ_SK_E_clIPiSD_S10_SD_EESH_SX_SI_SJ_SK_EUlSX_E_NS1_11comp_targetILNS1_3genE8ELNS1_11target_archE1030ELNS1_3gpuE2ELNS1_3repE0EEENS1_48merge_mergepath_partition_config_static_selectorELNS0_4arch9wavefront6targetE1EEEvSJ_
    .private_segment_fixed_size: 0
    .sgpr_count:     6
    .sgpr_spill_count: 0
    .symbol:         _ZN7rocprim17ROCPRIM_400000_NS6detail17trampoline_kernelINS0_14default_configENS1_38merge_sort_block_merge_config_selectorIiiEEZZNS1_27merge_sort_block_merge_implIS3_N6thrust23THRUST_200600_302600_NS6detail15normal_iteratorINS8_10device_ptrIiEEEESD_jNS1_19radix_merge_compareILb0ELb0EiNS0_19identity_decomposerEEEEE10hipError_tT0_T1_T2_jT3_P12ihipStream_tbPNSt15iterator_traitsISI_E10value_typeEPNSO_ISJ_E10value_typeEPSK_NS1_7vsmem_tEENKUlT_SI_SJ_SK_E_clIPiSD_S10_SD_EESH_SX_SI_SJ_SK_EUlSX_E_NS1_11comp_targetILNS1_3genE8ELNS1_11target_archE1030ELNS1_3gpuE2ELNS1_3repE0EEENS1_48merge_mergepath_partition_config_static_selectorELNS0_4arch9wavefront6targetE1EEEvSJ_.kd
    .uniform_work_group_size: 1
    .uses_dynamic_stack: false
    .vgpr_count:     0
    .vgpr_spill_count: 0
    .wavefront_size: 64
  - .agpr_count:     0
    .args:
      - .offset:         0
        .size:           64
        .value_kind:     by_value
      - .offset:         64
        .size:           4
        .value_kind:     hidden_block_count_x
      - .offset:         68
        .size:           4
        .value_kind:     hidden_block_count_y
      - .offset:         72
        .size:           4
        .value_kind:     hidden_block_count_z
      - .offset:         76
        .size:           2
        .value_kind:     hidden_group_size_x
      - .offset:         78
        .size:           2
        .value_kind:     hidden_group_size_y
      - .offset:         80
        .size:           2
        .value_kind:     hidden_group_size_z
      - .offset:         82
        .size:           2
        .value_kind:     hidden_remainder_x
      - .offset:         84
        .size:           2
        .value_kind:     hidden_remainder_y
      - .offset:         86
        .size:           2
        .value_kind:     hidden_remainder_z
      - .offset:         104
        .size:           8
        .value_kind:     hidden_global_offset_x
      - .offset:         112
        .size:           8
        .value_kind:     hidden_global_offset_y
      - .offset:         120
        .size:           8
        .value_kind:     hidden_global_offset_z
      - .offset:         128
        .size:           2
        .value_kind:     hidden_grid_dims
    .group_segment_fixed_size: 4224
    .kernarg_segment_align: 8
    .kernarg_segment_size: 320
    .language:       OpenCL C
    .language_version:
      - 2
      - 0
    .max_flat_workgroup_size: 256
    .name:           _ZN7rocprim17ROCPRIM_400000_NS6detail17trampoline_kernelINS0_14default_configENS1_38merge_sort_block_merge_config_selectorIiiEEZZNS1_27merge_sort_block_merge_implIS3_N6thrust23THRUST_200600_302600_NS6detail15normal_iteratorINS8_10device_ptrIiEEEESD_jNS1_19radix_merge_compareILb0ELb0EiNS0_19identity_decomposerEEEEE10hipError_tT0_T1_T2_jT3_P12ihipStream_tbPNSt15iterator_traitsISI_E10value_typeEPNSO_ISJ_E10value_typeEPSK_NS1_7vsmem_tEENKUlT_SI_SJ_SK_E_clIPiSD_S10_SD_EESH_SX_SI_SJ_SK_EUlSX_E0_NS1_11comp_targetILNS1_3genE0ELNS1_11target_archE4294967295ELNS1_3gpuE0ELNS1_3repE0EEENS1_38merge_mergepath_config_static_selectorELNS0_4arch9wavefront6targetE1EEEvSJ_
    .private_segment_fixed_size: 0
    .sgpr_count:     36
    .sgpr_spill_count: 0
    .symbol:         _ZN7rocprim17ROCPRIM_400000_NS6detail17trampoline_kernelINS0_14default_configENS1_38merge_sort_block_merge_config_selectorIiiEEZZNS1_27merge_sort_block_merge_implIS3_N6thrust23THRUST_200600_302600_NS6detail15normal_iteratorINS8_10device_ptrIiEEEESD_jNS1_19radix_merge_compareILb0ELb0EiNS0_19identity_decomposerEEEEE10hipError_tT0_T1_T2_jT3_P12ihipStream_tbPNSt15iterator_traitsISI_E10value_typeEPNSO_ISJ_E10value_typeEPSK_NS1_7vsmem_tEENKUlT_SI_SJ_SK_E_clIPiSD_S10_SD_EESH_SX_SI_SJ_SK_EUlSX_E0_NS1_11comp_targetILNS1_3genE0ELNS1_11target_archE4294967295ELNS1_3gpuE0ELNS1_3repE0EEENS1_38merge_mergepath_config_static_selectorELNS0_4arch9wavefront6targetE1EEEvSJ_.kd
    .uniform_work_group_size: 1
    .uses_dynamic_stack: false
    .vgpr_count:     20
    .vgpr_spill_count: 0
    .wavefront_size: 64
  - .agpr_count:     0
    .args:
      - .offset:         0
        .size:           64
        .value_kind:     by_value
    .group_segment_fixed_size: 0
    .kernarg_segment_align: 8
    .kernarg_segment_size: 64
    .language:       OpenCL C
    .language_version:
      - 2
      - 0
    .max_flat_workgroup_size: 256
    .name:           _ZN7rocprim17ROCPRIM_400000_NS6detail17trampoline_kernelINS0_14default_configENS1_38merge_sort_block_merge_config_selectorIiiEEZZNS1_27merge_sort_block_merge_implIS3_N6thrust23THRUST_200600_302600_NS6detail15normal_iteratorINS8_10device_ptrIiEEEESD_jNS1_19radix_merge_compareILb0ELb0EiNS0_19identity_decomposerEEEEE10hipError_tT0_T1_T2_jT3_P12ihipStream_tbPNSt15iterator_traitsISI_E10value_typeEPNSO_ISJ_E10value_typeEPSK_NS1_7vsmem_tEENKUlT_SI_SJ_SK_E_clIPiSD_S10_SD_EESH_SX_SI_SJ_SK_EUlSX_E0_NS1_11comp_targetILNS1_3genE10ELNS1_11target_archE1201ELNS1_3gpuE5ELNS1_3repE0EEENS1_38merge_mergepath_config_static_selectorELNS0_4arch9wavefront6targetE1EEEvSJ_
    .private_segment_fixed_size: 0
    .sgpr_count:     6
    .sgpr_spill_count: 0
    .symbol:         _ZN7rocprim17ROCPRIM_400000_NS6detail17trampoline_kernelINS0_14default_configENS1_38merge_sort_block_merge_config_selectorIiiEEZZNS1_27merge_sort_block_merge_implIS3_N6thrust23THRUST_200600_302600_NS6detail15normal_iteratorINS8_10device_ptrIiEEEESD_jNS1_19radix_merge_compareILb0ELb0EiNS0_19identity_decomposerEEEEE10hipError_tT0_T1_T2_jT3_P12ihipStream_tbPNSt15iterator_traitsISI_E10value_typeEPNSO_ISJ_E10value_typeEPSK_NS1_7vsmem_tEENKUlT_SI_SJ_SK_E_clIPiSD_S10_SD_EESH_SX_SI_SJ_SK_EUlSX_E0_NS1_11comp_targetILNS1_3genE10ELNS1_11target_archE1201ELNS1_3gpuE5ELNS1_3repE0EEENS1_38merge_mergepath_config_static_selectorELNS0_4arch9wavefront6targetE1EEEvSJ_.kd
    .uniform_work_group_size: 1
    .uses_dynamic_stack: false
    .vgpr_count:     0
    .vgpr_spill_count: 0
    .wavefront_size: 64
  - .agpr_count:     0
    .args:
      - .offset:         0
        .size:           64
        .value_kind:     by_value
    .group_segment_fixed_size: 0
    .kernarg_segment_align: 8
    .kernarg_segment_size: 64
    .language:       OpenCL C
    .language_version:
      - 2
      - 0
    .max_flat_workgroup_size: 128
    .name:           _ZN7rocprim17ROCPRIM_400000_NS6detail17trampoline_kernelINS0_14default_configENS1_38merge_sort_block_merge_config_selectorIiiEEZZNS1_27merge_sort_block_merge_implIS3_N6thrust23THRUST_200600_302600_NS6detail15normal_iteratorINS8_10device_ptrIiEEEESD_jNS1_19radix_merge_compareILb0ELb0EiNS0_19identity_decomposerEEEEE10hipError_tT0_T1_T2_jT3_P12ihipStream_tbPNSt15iterator_traitsISI_E10value_typeEPNSO_ISJ_E10value_typeEPSK_NS1_7vsmem_tEENKUlT_SI_SJ_SK_E_clIPiSD_S10_SD_EESH_SX_SI_SJ_SK_EUlSX_E0_NS1_11comp_targetILNS1_3genE5ELNS1_11target_archE942ELNS1_3gpuE9ELNS1_3repE0EEENS1_38merge_mergepath_config_static_selectorELNS0_4arch9wavefront6targetE1EEEvSJ_
    .private_segment_fixed_size: 0
    .sgpr_count:     6
    .sgpr_spill_count: 0
    .symbol:         _ZN7rocprim17ROCPRIM_400000_NS6detail17trampoline_kernelINS0_14default_configENS1_38merge_sort_block_merge_config_selectorIiiEEZZNS1_27merge_sort_block_merge_implIS3_N6thrust23THRUST_200600_302600_NS6detail15normal_iteratorINS8_10device_ptrIiEEEESD_jNS1_19radix_merge_compareILb0ELb0EiNS0_19identity_decomposerEEEEE10hipError_tT0_T1_T2_jT3_P12ihipStream_tbPNSt15iterator_traitsISI_E10value_typeEPNSO_ISJ_E10value_typeEPSK_NS1_7vsmem_tEENKUlT_SI_SJ_SK_E_clIPiSD_S10_SD_EESH_SX_SI_SJ_SK_EUlSX_E0_NS1_11comp_targetILNS1_3genE5ELNS1_11target_archE942ELNS1_3gpuE9ELNS1_3repE0EEENS1_38merge_mergepath_config_static_selectorELNS0_4arch9wavefront6targetE1EEEvSJ_.kd
    .uniform_work_group_size: 1
    .uses_dynamic_stack: false
    .vgpr_count:     0
    .vgpr_spill_count: 0
    .wavefront_size: 64
  - .agpr_count:     0
    .args:
      - .offset:         0
        .size:           64
        .value_kind:     by_value
    .group_segment_fixed_size: 0
    .kernarg_segment_align: 8
    .kernarg_segment_size: 64
    .language:       OpenCL C
    .language_version:
      - 2
      - 0
    .max_flat_workgroup_size: 256
    .name:           _ZN7rocprim17ROCPRIM_400000_NS6detail17trampoline_kernelINS0_14default_configENS1_38merge_sort_block_merge_config_selectorIiiEEZZNS1_27merge_sort_block_merge_implIS3_N6thrust23THRUST_200600_302600_NS6detail15normal_iteratorINS8_10device_ptrIiEEEESD_jNS1_19radix_merge_compareILb0ELb0EiNS0_19identity_decomposerEEEEE10hipError_tT0_T1_T2_jT3_P12ihipStream_tbPNSt15iterator_traitsISI_E10value_typeEPNSO_ISJ_E10value_typeEPSK_NS1_7vsmem_tEENKUlT_SI_SJ_SK_E_clIPiSD_S10_SD_EESH_SX_SI_SJ_SK_EUlSX_E0_NS1_11comp_targetILNS1_3genE4ELNS1_11target_archE910ELNS1_3gpuE8ELNS1_3repE0EEENS1_38merge_mergepath_config_static_selectorELNS0_4arch9wavefront6targetE1EEEvSJ_
    .private_segment_fixed_size: 0
    .sgpr_count:     6
    .sgpr_spill_count: 0
    .symbol:         _ZN7rocprim17ROCPRIM_400000_NS6detail17trampoline_kernelINS0_14default_configENS1_38merge_sort_block_merge_config_selectorIiiEEZZNS1_27merge_sort_block_merge_implIS3_N6thrust23THRUST_200600_302600_NS6detail15normal_iteratorINS8_10device_ptrIiEEEESD_jNS1_19radix_merge_compareILb0ELb0EiNS0_19identity_decomposerEEEEE10hipError_tT0_T1_T2_jT3_P12ihipStream_tbPNSt15iterator_traitsISI_E10value_typeEPNSO_ISJ_E10value_typeEPSK_NS1_7vsmem_tEENKUlT_SI_SJ_SK_E_clIPiSD_S10_SD_EESH_SX_SI_SJ_SK_EUlSX_E0_NS1_11comp_targetILNS1_3genE4ELNS1_11target_archE910ELNS1_3gpuE8ELNS1_3repE0EEENS1_38merge_mergepath_config_static_selectorELNS0_4arch9wavefront6targetE1EEEvSJ_.kd
    .uniform_work_group_size: 1
    .uses_dynamic_stack: false
    .vgpr_count:     0
    .vgpr_spill_count: 0
    .wavefront_size: 64
  - .agpr_count:     0
    .args:
      - .offset:         0
        .size:           64
        .value_kind:     by_value
    .group_segment_fixed_size: 0
    .kernarg_segment_align: 8
    .kernarg_segment_size: 64
    .language:       OpenCL C
    .language_version:
      - 2
      - 0
    .max_flat_workgroup_size: 256
    .name:           _ZN7rocprim17ROCPRIM_400000_NS6detail17trampoline_kernelINS0_14default_configENS1_38merge_sort_block_merge_config_selectorIiiEEZZNS1_27merge_sort_block_merge_implIS3_N6thrust23THRUST_200600_302600_NS6detail15normal_iteratorINS8_10device_ptrIiEEEESD_jNS1_19radix_merge_compareILb0ELb0EiNS0_19identity_decomposerEEEEE10hipError_tT0_T1_T2_jT3_P12ihipStream_tbPNSt15iterator_traitsISI_E10value_typeEPNSO_ISJ_E10value_typeEPSK_NS1_7vsmem_tEENKUlT_SI_SJ_SK_E_clIPiSD_S10_SD_EESH_SX_SI_SJ_SK_EUlSX_E0_NS1_11comp_targetILNS1_3genE3ELNS1_11target_archE908ELNS1_3gpuE7ELNS1_3repE0EEENS1_38merge_mergepath_config_static_selectorELNS0_4arch9wavefront6targetE1EEEvSJ_
    .private_segment_fixed_size: 0
    .sgpr_count:     6
    .sgpr_spill_count: 0
    .symbol:         _ZN7rocprim17ROCPRIM_400000_NS6detail17trampoline_kernelINS0_14default_configENS1_38merge_sort_block_merge_config_selectorIiiEEZZNS1_27merge_sort_block_merge_implIS3_N6thrust23THRUST_200600_302600_NS6detail15normal_iteratorINS8_10device_ptrIiEEEESD_jNS1_19radix_merge_compareILb0ELb0EiNS0_19identity_decomposerEEEEE10hipError_tT0_T1_T2_jT3_P12ihipStream_tbPNSt15iterator_traitsISI_E10value_typeEPNSO_ISJ_E10value_typeEPSK_NS1_7vsmem_tEENKUlT_SI_SJ_SK_E_clIPiSD_S10_SD_EESH_SX_SI_SJ_SK_EUlSX_E0_NS1_11comp_targetILNS1_3genE3ELNS1_11target_archE908ELNS1_3gpuE7ELNS1_3repE0EEENS1_38merge_mergepath_config_static_selectorELNS0_4arch9wavefront6targetE1EEEvSJ_.kd
    .uniform_work_group_size: 1
    .uses_dynamic_stack: false
    .vgpr_count:     0
    .vgpr_spill_count: 0
    .wavefront_size: 64
  - .agpr_count:     0
    .args:
      - .offset:         0
        .size:           64
        .value_kind:     by_value
    .group_segment_fixed_size: 0
    .kernarg_segment_align: 8
    .kernarg_segment_size: 64
    .language:       OpenCL C
    .language_version:
      - 2
      - 0
    .max_flat_workgroup_size: 256
    .name:           _ZN7rocprim17ROCPRIM_400000_NS6detail17trampoline_kernelINS0_14default_configENS1_38merge_sort_block_merge_config_selectorIiiEEZZNS1_27merge_sort_block_merge_implIS3_N6thrust23THRUST_200600_302600_NS6detail15normal_iteratorINS8_10device_ptrIiEEEESD_jNS1_19radix_merge_compareILb0ELb0EiNS0_19identity_decomposerEEEEE10hipError_tT0_T1_T2_jT3_P12ihipStream_tbPNSt15iterator_traitsISI_E10value_typeEPNSO_ISJ_E10value_typeEPSK_NS1_7vsmem_tEENKUlT_SI_SJ_SK_E_clIPiSD_S10_SD_EESH_SX_SI_SJ_SK_EUlSX_E0_NS1_11comp_targetILNS1_3genE2ELNS1_11target_archE906ELNS1_3gpuE6ELNS1_3repE0EEENS1_38merge_mergepath_config_static_selectorELNS0_4arch9wavefront6targetE1EEEvSJ_
    .private_segment_fixed_size: 0
    .sgpr_count:     6
    .sgpr_spill_count: 0
    .symbol:         _ZN7rocprim17ROCPRIM_400000_NS6detail17trampoline_kernelINS0_14default_configENS1_38merge_sort_block_merge_config_selectorIiiEEZZNS1_27merge_sort_block_merge_implIS3_N6thrust23THRUST_200600_302600_NS6detail15normal_iteratorINS8_10device_ptrIiEEEESD_jNS1_19radix_merge_compareILb0ELb0EiNS0_19identity_decomposerEEEEE10hipError_tT0_T1_T2_jT3_P12ihipStream_tbPNSt15iterator_traitsISI_E10value_typeEPNSO_ISJ_E10value_typeEPSK_NS1_7vsmem_tEENKUlT_SI_SJ_SK_E_clIPiSD_S10_SD_EESH_SX_SI_SJ_SK_EUlSX_E0_NS1_11comp_targetILNS1_3genE2ELNS1_11target_archE906ELNS1_3gpuE6ELNS1_3repE0EEENS1_38merge_mergepath_config_static_selectorELNS0_4arch9wavefront6targetE1EEEvSJ_.kd
    .uniform_work_group_size: 1
    .uses_dynamic_stack: false
    .vgpr_count:     0
    .vgpr_spill_count: 0
    .wavefront_size: 64
  - .agpr_count:     0
    .args:
      - .offset:         0
        .size:           64
        .value_kind:     by_value
    .group_segment_fixed_size: 0
    .kernarg_segment_align: 8
    .kernarg_segment_size: 64
    .language:       OpenCL C
    .language_version:
      - 2
      - 0
    .max_flat_workgroup_size: 512
    .name:           _ZN7rocprim17ROCPRIM_400000_NS6detail17trampoline_kernelINS0_14default_configENS1_38merge_sort_block_merge_config_selectorIiiEEZZNS1_27merge_sort_block_merge_implIS3_N6thrust23THRUST_200600_302600_NS6detail15normal_iteratorINS8_10device_ptrIiEEEESD_jNS1_19radix_merge_compareILb0ELb0EiNS0_19identity_decomposerEEEEE10hipError_tT0_T1_T2_jT3_P12ihipStream_tbPNSt15iterator_traitsISI_E10value_typeEPNSO_ISJ_E10value_typeEPSK_NS1_7vsmem_tEENKUlT_SI_SJ_SK_E_clIPiSD_S10_SD_EESH_SX_SI_SJ_SK_EUlSX_E0_NS1_11comp_targetILNS1_3genE9ELNS1_11target_archE1100ELNS1_3gpuE3ELNS1_3repE0EEENS1_38merge_mergepath_config_static_selectorELNS0_4arch9wavefront6targetE1EEEvSJ_
    .private_segment_fixed_size: 0
    .sgpr_count:     6
    .sgpr_spill_count: 0
    .symbol:         _ZN7rocprim17ROCPRIM_400000_NS6detail17trampoline_kernelINS0_14default_configENS1_38merge_sort_block_merge_config_selectorIiiEEZZNS1_27merge_sort_block_merge_implIS3_N6thrust23THRUST_200600_302600_NS6detail15normal_iteratorINS8_10device_ptrIiEEEESD_jNS1_19radix_merge_compareILb0ELb0EiNS0_19identity_decomposerEEEEE10hipError_tT0_T1_T2_jT3_P12ihipStream_tbPNSt15iterator_traitsISI_E10value_typeEPNSO_ISJ_E10value_typeEPSK_NS1_7vsmem_tEENKUlT_SI_SJ_SK_E_clIPiSD_S10_SD_EESH_SX_SI_SJ_SK_EUlSX_E0_NS1_11comp_targetILNS1_3genE9ELNS1_11target_archE1100ELNS1_3gpuE3ELNS1_3repE0EEENS1_38merge_mergepath_config_static_selectorELNS0_4arch9wavefront6targetE1EEEvSJ_.kd
    .uniform_work_group_size: 1
    .uses_dynamic_stack: false
    .vgpr_count:     0
    .vgpr_spill_count: 0
    .wavefront_size: 64
  - .agpr_count:     0
    .args:
      - .offset:         0
        .size:           64
        .value_kind:     by_value
    .group_segment_fixed_size: 0
    .kernarg_segment_align: 8
    .kernarg_segment_size: 64
    .language:       OpenCL C
    .language_version:
      - 2
      - 0
    .max_flat_workgroup_size: 1024
    .name:           _ZN7rocprim17ROCPRIM_400000_NS6detail17trampoline_kernelINS0_14default_configENS1_38merge_sort_block_merge_config_selectorIiiEEZZNS1_27merge_sort_block_merge_implIS3_N6thrust23THRUST_200600_302600_NS6detail15normal_iteratorINS8_10device_ptrIiEEEESD_jNS1_19radix_merge_compareILb0ELb0EiNS0_19identity_decomposerEEEEE10hipError_tT0_T1_T2_jT3_P12ihipStream_tbPNSt15iterator_traitsISI_E10value_typeEPNSO_ISJ_E10value_typeEPSK_NS1_7vsmem_tEENKUlT_SI_SJ_SK_E_clIPiSD_S10_SD_EESH_SX_SI_SJ_SK_EUlSX_E0_NS1_11comp_targetILNS1_3genE8ELNS1_11target_archE1030ELNS1_3gpuE2ELNS1_3repE0EEENS1_38merge_mergepath_config_static_selectorELNS0_4arch9wavefront6targetE1EEEvSJ_
    .private_segment_fixed_size: 0
    .sgpr_count:     6
    .sgpr_spill_count: 0
    .symbol:         _ZN7rocprim17ROCPRIM_400000_NS6detail17trampoline_kernelINS0_14default_configENS1_38merge_sort_block_merge_config_selectorIiiEEZZNS1_27merge_sort_block_merge_implIS3_N6thrust23THRUST_200600_302600_NS6detail15normal_iteratorINS8_10device_ptrIiEEEESD_jNS1_19radix_merge_compareILb0ELb0EiNS0_19identity_decomposerEEEEE10hipError_tT0_T1_T2_jT3_P12ihipStream_tbPNSt15iterator_traitsISI_E10value_typeEPNSO_ISJ_E10value_typeEPSK_NS1_7vsmem_tEENKUlT_SI_SJ_SK_E_clIPiSD_S10_SD_EESH_SX_SI_SJ_SK_EUlSX_E0_NS1_11comp_targetILNS1_3genE8ELNS1_11target_archE1030ELNS1_3gpuE2ELNS1_3repE0EEENS1_38merge_mergepath_config_static_selectorELNS0_4arch9wavefront6targetE1EEEvSJ_.kd
    .uniform_work_group_size: 1
    .uses_dynamic_stack: false
    .vgpr_count:     0
    .vgpr_spill_count: 0
    .wavefront_size: 64
  - .agpr_count:     0
    .args:
      - .offset:         0
        .size:           48
        .value_kind:     by_value
    .group_segment_fixed_size: 0
    .kernarg_segment_align: 8
    .kernarg_segment_size: 48
    .language:       OpenCL C
    .language_version:
      - 2
      - 0
    .max_flat_workgroup_size: 256
    .name:           _ZN7rocprim17ROCPRIM_400000_NS6detail17trampoline_kernelINS0_14default_configENS1_38merge_sort_block_merge_config_selectorIiiEEZZNS1_27merge_sort_block_merge_implIS3_N6thrust23THRUST_200600_302600_NS6detail15normal_iteratorINS8_10device_ptrIiEEEESD_jNS1_19radix_merge_compareILb0ELb0EiNS0_19identity_decomposerEEEEE10hipError_tT0_T1_T2_jT3_P12ihipStream_tbPNSt15iterator_traitsISI_E10value_typeEPNSO_ISJ_E10value_typeEPSK_NS1_7vsmem_tEENKUlT_SI_SJ_SK_E_clIPiSD_S10_SD_EESH_SX_SI_SJ_SK_EUlSX_E1_NS1_11comp_targetILNS1_3genE0ELNS1_11target_archE4294967295ELNS1_3gpuE0ELNS1_3repE0EEENS1_36merge_oddeven_config_static_selectorELNS0_4arch9wavefront6targetE1EEEvSJ_
    .private_segment_fixed_size: 0
    .sgpr_count:     30
    .sgpr_spill_count: 0
    .symbol:         _ZN7rocprim17ROCPRIM_400000_NS6detail17trampoline_kernelINS0_14default_configENS1_38merge_sort_block_merge_config_selectorIiiEEZZNS1_27merge_sort_block_merge_implIS3_N6thrust23THRUST_200600_302600_NS6detail15normal_iteratorINS8_10device_ptrIiEEEESD_jNS1_19radix_merge_compareILb0ELb0EiNS0_19identity_decomposerEEEEE10hipError_tT0_T1_T2_jT3_P12ihipStream_tbPNSt15iterator_traitsISI_E10value_typeEPNSO_ISJ_E10value_typeEPSK_NS1_7vsmem_tEENKUlT_SI_SJ_SK_E_clIPiSD_S10_SD_EESH_SX_SI_SJ_SK_EUlSX_E1_NS1_11comp_targetILNS1_3genE0ELNS1_11target_archE4294967295ELNS1_3gpuE0ELNS1_3repE0EEENS1_36merge_oddeven_config_static_selectorELNS0_4arch9wavefront6targetE1EEEvSJ_.kd
    .uniform_work_group_size: 1
    .uses_dynamic_stack: false
    .vgpr_count:     10
    .vgpr_spill_count: 0
    .wavefront_size: 64
  - .agpr_count:     0
    .args:
      - .offset:         0
        .size:           48
        .value_kind:     by_value
    .group_segment_fixed_size: 0
    .kernarg_segment_align: 8
    .kernarg_segment_size: 48
    .language:       OpenCL C
    .language_version:
      - 2
      - 0
    .max_flat_workgroup_size: 256
    .name:           _ZN7rocprim17ROCPRIM_400000_NS6detail17trampoline_kernelINS0_14default_configENS1_38merge_sort_block_merge_config_selectorIiiEEZZNS1_27merge_sort_block_merge_implIS3_N6thrust23THRUST_200600_302600_NS6detail15normal_iteratorINS8_10device_ptrIiEEEESD_jNS1_19radix_merge_compareILb0ELb0EiNS0_19identity_decomposerEEEEE10hipError_tT0_T1_T2_jT3_P12ihipStream_tbPNSt15iterator_traitsISI_E10value_typeEPNSO_ISJ_E10value_typeEPSK_NS1_7vsmem_tEENKUlT_SI_SJ_SK_E_clIPiSD_S10_SD_EESH_SX_SI_SJ_SK_EUlSX_E1_NS1_11comp_targetILNS1_3genE10ELNS1_11target_archE1201ELNS1_3gpuE5ELNS1_3repE0EEENS1_36merge_oddeven_config_static_selectorELNS0_4arch9wavefront6targetE1EEEvSJ_
    .private_segment_fixed_size: 0
    .sgpr_count:     6
    .sgpr_spill_count: 0
    .symbol:         _ZN7rocprim17ROCPRIM_400000_NS6detail17trampoline_kernelINS0_14default_configENS1_38merge_sort_block_merge_config_selectorIiiEEZZNS1_27merge_sort_block_merge_implIS3_N6thrust23THRUST_200600_302600_NS6detail15normal_iteratorINS8_10device_ptrIiEEEESD_jNS1_19radix_merge_compareILb0ELb0EiNS0_19identity_decomposerEEEEE10hipError_tT0_T1_T2_jT3_P12ihipStream_tbPNSt15iterator_traitsISI_E10value_typeEPNSO_ISJ_E10value_typeEPSK_NS1_7vsmem_tEENKUlT_SI_SJ_SK_E_clIPiSD_S10_SD_EESH_SX_SI_SJ_SK_EUlSX_E1_NS1_11comp_targetILNS1_3genE10ELNS1_11target_archE1201ELNS1_3gpuE5ELNS1_3repE0EEENS1_36merge_oddeven_config_static_selectorELNS0_4arch9wavefront6targetE1EEEvSJ_.kd
    .uniform_work_group_size: 1
    .uses_dynamic_stack: false
    .vgpr_count:     0
    .vgpr_spill_count: 0
    .wavefront_size: 64
  - .agpr_count:     0
    .args:
      - .offset:         0
        .size:           48
        .value_kind:     by_value
    .group_segment_fixed_size: 0
    .kernarg_segment_align: 8
    .kernarg_segment_size: 48
    .language:       OpenCL C
    .language_version:
      - 2
      - 0
    .max_flat_workgroup_size: 256
    .name:           _ZN7rocprim17ROCPRIM_400000_NS6detail17trampoline_kernelINS0_14default_configENS1_38merge_sort_block_merge_config_selectorIiiEEZZNS1_27merge_sort_block_merge_implIS3_N6thrust23THRUST_200600_302600_NS6detail15normal_iteratorINS8_10device_ptrIiEEEESD_jNS1_19radix_merge_compareILb0ELb0EiNS0_19identity_decomposerEEEEE10hipError_tT0_T1_T2_jT3_P12ihipStream_tbPNSt15iterator_traitsISI_E10value_typeEPNSO_ISJ_E10value_typeEPSK_NS1_7vsmem_tEENKUlT_SI_SJ_SK_E_clIPiSD_S10_SD_EESH_SX_SI_SJ_SK_EUlSX_E1_NS1_11comp_targetILNS1_3genE5ELNS1_11target_archE942ELNS1_3gpuE9ELNS1_3repE0EEENS1_36merge_oddeven_config_static_selectorELNS0_4arch9wavefront6targetE1EEEvSJ_
    .private_segment_fixed_size: 0
    .sgpr_count:     6
    .sgpr_spill_count: 0
    .symbol:         _ZN7rocprim17ROCPRIM_400000_NS6detail17trampoline_kernelINS0_14default_configENS1_38merge_sort_block_merge_config_selectorIiiEEZZNS1_27merge_sort_block_merge_implIS3_N6thrust23THRUST_200600_302600_NS6detail15normal_iteratorINS8_10device_ptrIiEEEESD_jNS1_19radix_merge_compareILb0ELb0EiNS0_19identity_decomposerEEEEE10hipError_tT0_T1_T2_jT3_P12ihipStream_tbPNSt15iterator_traitsISI_E10value_typeEPNSO_ISJ_E10value_typeEPSK_NS1_7vsmem_tEENKUlT_SI_SJ_SK_E_clIPiSD_S10_SD_EESH_SX_SI_SJ_SK_EUlSX_E1_NS1_11comp_targetILNS1_3genE5ELNS1_11target_archE942ELNS1_3gpuE9ELNS1_3repE0EEENS1_36merge_oddeven_config_static_selectorELNS0_4arch9wavefront6targetE1EEEvSJ_.kd
    .uniform_work_group_size: 1
    .uses_dynamic_stack: false
    .vgpr_count:     0
    .vgpr_spill_count: 0
    .wavefront_size: 64
  - .agpr_count:     0
    .args:
      - .offset:         0
        .size:           48
        .value_kind:     by_value
    .group_segment_fixed_size: 0
    .kernarg_segment_align: 8
    .kernarg_segment_size: 48
    .language:       OpenCL C
    .language_version:
      - 2
      - 0
    .max_flat_workgroup_size: 256
    .name:           _ZN7rocprim17ROCPRIM_400000_NS6detail17trampoline_kernelINS0_14default_configENS1_38merge_sort_block_merge_config_selectorIiiEEZZNS1_27merge_sort_block_merge_implIS3_N6thrust23THRUST_200600_302600_NS6detail15normal_iteratorINS8_10device_ptrIiEEEESD_jNS1_19radix_merge_compareILb0ELb0EiNS0_19identity_decomposerEEEEE10hipError_tT0_T1_T2_jT3_P12ihipStream_tbPNSt15iterator_traitsISI_E10value_typeEPNSO_ISJ_E10value_typeEPSK_NS1_7vsmem_tEENKUlT_SI_SJ_SK_E_clIPiSD_S10_SD_EESH_SX_SI_SJ_SK_EUlSX_E1_NS1_11comp_targetILNS1_3genE4ELNS1_11target_archE910ELNS1_3gpuE8ELNS1_3repE0EEENS1_36merge_oddeven_config_static_selectorELNS0_4arch9wavefront6targetE1EEEvSJ_
    .private_segment_fixed_size: 0
    .sgpr_count:     6
    .sgpr_spill_count: 0
    .symbol:         _ZN7rocprim17ROCPRIM_400000_NS6detail17trampoline_kernelINS0_14default_configENS1_38merge_sort_block_merge_config_selectorIiiEEZZNS1_27merge_sort_block_merge_implIS3_N6thrust23THRUST_200600_302600_NS6detail15normal_iteratorINS8_10device_ptrIiEEEESD_jNS1_19radix_merge_compareILb0ELb0EiNS0_19identity_decomposerEEEEE10hipError_tT0_T1_T2_jT3_P12ihipStream_tbPNSt15iterator_traitsISI_E10value_typeEPNSO_ISJ_E10value_typeEPSK_NS1_7vsmem_tEENKUlT_SI_SJ_SK_E_clIPiSD_S10_SD_EESH_SX_SI_SJ_SK_EUlSX_E1_NS1_11comp_targetILNS1_3genE4ELNS1_11target_archE910ELNS1_3gpuE8ELNS1_3repE0EEENS1_36merge_oddeven_config_static_selectorELNS0_4arch9wavefront6targetE1EEEvSJ_.kd
    .uniform_work_group_size: 1
    .uses_dynamic_stack: false
    .vgpr_count:     0
    .vgpr_spill_count: 0
    .wavefront_size: 64
  - .agpr_count:     0
    .args:
      - .offset:         0
        .size:           48
        .value_kind:     by_value
    .group_segment_fixed_size: 0
    .kernarg_segment_align: 8
    .kernarg_segment_size: 48
    .language:       OpenCL C
    .language_version:
      - 2
      - 0
    .max_flat_workgroup_size: 256
    .name:           _ZN7rocprim17ROCPRIM_400000_NS6detail17trampoline_kernelINS0_14default_configENS1_38merge_sort_block_merge_config_selectorIiiEEZZNS1_27merge_sort_block_merge_implIS3_N6thrust23THRUST_200600_302600_NS6detail15normal_iteratorINS8_10device_ptrIiEEEESD_jNS1_19radix_merge_compareILb0ELb0EiNS0_19identity_decomposerEEEEE10hipError_tT0_T1_T2_jT3_P12ihipStream_tbPNSt15iterator_traitsISI_E10value_typeEPNSO_ISJ_E10value_typeEPSK_NS1_7vsmem_tEENKUlT_SI_SJ_SK_E_clIPiSD_S10_SD_EESH_SX_SI_SJ_SK_EUlSX_E1_NS1_11comp_targetILNS1_3genE3ELNS1_11target_archE908ELNS1_3gpuE7ELNS1_3repE0EEENS1_36merge_oddeven_config_static_selectorELNS0_4arch9wavefront6targetE1EEEvSJ_
    .private_segment_fixed_size: 0
    .sgpr_count:     6
    .sgpr_spill_count: 0
    .symbol:         _ZN7rocprim17ROCPRIM_400000_NS6detail17trampoline_kernelINS0_14default_configENS1_38merge_sort_block_merge_config_selectorIiiEEZZNS1_27merge_sort_block_merge_implIS3_N6thrust23THRUST_200600_302600_NS6detail15normal_iteratorINS8_10device_ptrIiEEEESD_jNS1_19radix_merge_compareILb0ELb0EiNS0_19identity_decomposerEEEEE10hipError_tT0_T1_T2_jT3_P12ihipStream_tbPNSt15iterator_traitsISI_E10value_typeEPNSO_ISJ_E10value_typeEPSK_NS1_7vsmem_tEENKUlT_SI_SJ_SK_E_clIPiSD_S10_SD_EESH_SX_SI_SJ_SK_EUlSX_E1_NS1_11comp_targetILNS1_3genE3ELNS1_11target_archE908ELNS1_3gpuE7ELNS1_3repE0EEENS1_36merge_oddeven_config_static_selectorELNS0_4arch9wavefront6targetE1EEEvSJ_.kd
    .uniform_work_group_size: 1
    .uses_dynamic_stack: false
    .vgpr_count:     0
    .vgpr_spill_count: 0
    .wavefront_size: 64
  - .agpr_count:     0
    .args:
      - .offset:         0
        .size:           48
        .value_kind:     by_value
    .group_segment_fixed_size: 0
    .kernarg_segment_align: 8
    .kernarg_segment_size: 48
    .language:       OpenCL C
    .language_version:
      - 2
      - 0
    .max_flat_workgroup_size: 256
    .name:           _ZN7rocprim17ROCPRIM_400000_NS6detail17trampoline_kernelINS0_14default_configENS1_38merge_sort_block_merge_config_selectorIiiEEZZNS1_27merge_sort_block_merge_implIS3_N6thrust23THRUST_200600_302600_NS6detail15normal_iteratorINS8_10device_ptrIiEEEESD_jNS1_19radix_merge_compareILb0ELb0EiNS0_19identity_decomposerEEEEE10hipError_tT0_T1_T2_jT3_P12ihipStream_tbPNSt15iterator_traitsISI_E10value_typeEPNSO_ISJ_E10value_typeEPSK_NS1_7vsmem_tEENKUlT_SI_SJ_SK_E_clIPiSD_S10_SD_EESH_SX_SI_SJ_SK_EUlSX_E1_NS1_11comp_targetILNS1_3genE2ELNS1_11target_archE906ELNS1_3gpuE6ELNS1_3repE0EEENS1_36merge_oddeven_config_static_selectorELNS0_4arch9wavefront6targetE1EEEvSJ_
    .private_segment_fixed_size: 0
    .sgpr_count:     6
    .sgpr_spill_count: 0
    .symbol:         _ZN7rocprim17ROCPRIM_400000_NS6detail17trampoline_kernelINS0_14default_configENS1_38merge_sort_block_merge_config_selectorIiiEEZZNS1_27merge_sort_block_merge_implIS3_N6thrust23THRUST_200600_302600_NS6detail15normal_iteratorINS8_10device_ptrIiEEEESD_jNS1_19radix_merge_compareILb0ELb0EiNS0_19identity_decomposerEEEEE10hipError_tT0_T1_T2_jT3_P12ihipStream_tbPNSt15iterator_traitsISI_E10value_typeEPNSO_ISJ_E10value_typeEPSK_NS1_7vsmem_tEENKUlT_SI_SJ_SK_E_clIPiSD_S10_SD_EESH_SX_SI_SJ_SK_EUlSX_E1_NS1_11comp_targetILNS1_3genE2ELNS1_11target_archE906ELNS1_3gpuE6ELNS1_3repE0EEENS1_36merge_oddeven_config_static_selectorELNS0_4arch9wavefront6targetE1EEEvSJ_.kd
    .uniform_work_group_size: 1
    .uses_dynamic_stack: false
    .vgpr_count:     0
    .vgpr_spill_count: 0
    .wavefront_size: 64
  - .agpr_count:     0
    .args:
      - .offset:         0
        .size:           48
        .value_kind:     by_value
    .group_segment_fixed_size: 0
    .kernarg_segment_align: 8
    .kernarg_segment_size: 48
    .language:       OpenCL C
    .language_version:
      - 2
      - 0
    .max_flat_workgroup_size: 256
    .name:           _ZN7rocprim17ROCPRIM_400000_NS6detail17trampoline_kernelINS0_14default_configENS1_38merge_sort_block_merge_config_selectorIiiEEZZNS1_27merge_sort_block_merge_implIS3_N6thrust23THRUST_200600_302600_NS6detail15normal_iteratorINS8_10device_ptrIiEEEESD_jNS1_19radix_merge_compareILb0ELb0EiNS0_19identity_decomposerEEEEE10hipError_tT0_T1_T2_jT3_P12ihipStream_tbPNSt15iterator_traitsISI_E10value_typeEPNSO_ISJ_E10value_typeEPSK_NS1_7vsmem_tEENKUlT_SI_SJ_SK_E_clIPiSD_S10_SD_EESH_SX_SI_SJ_SK_EUlSX_E1_NS1_11comp_targetILNS1_3genE9ELNS1_11target_archE1100ELNS1_3gpuE3ELNS1_3repE0EEENS1_36merge_oddeven_config_static_selectorELNS0_4arch9wavefront6targetE1EEEvSJ_
    .private_segment_fixed_size: 0
    .sgpr_count:     6
    .sgpr_spill_count: 0
    .symbol:         _ZN7rocprim17ROCPRIM_400000_NS6detail17trampoline_kernelINS0_14default_configENS1_38merge_sort_block_merge_config_selectorIiiEEZZNS1_27merge_sort_block_merge_implIS3_N6thrust23THRUST_200600_302600_NS6detail15normal_iteratorINS8_10device_ptrIiEEEESD_jNS1_19radix_merge_compareILb0ELb0EiNS0_19identity_decomposerEEEEE10hipError_tT0_T1_T2_jT3_P12ihipStream_tbPNSt15iterator_traitsISI_E10value_typeEPNSO_ISJ_E10value_typeEPSK_NS1_7vsmem_tEENKUlT_SI_SJ_SK_E_clIPiSD_S10_SD_EESH_SX_SI_SJ_SK_EUlSX_E1_NS1_11comp_targetILNS1_3genE9ELNS1_11target_archE1100ELNS1_3gpuE3ELNS1_3repE0EEENS1_36merge_oddeven_config_static_selectorELNS0_4arch9wavefront6targetE1EEEvSJ_.kd
    .uniform_work_group_size: 1
    .uses_dynamic_stack: false
    .vgpr_count:     0
    .vgpr_spill_count: 0
    .wavefront_size: 64
  - .agpr_count:     0
    .args:
      - .offset:         0
        .size:           48
        .value_kind:     by_value
    .group_segment_fixed_size: 0
    .kernarg_segment_align: 8
    .kernarg_segment_size: 48
    .language:       OpenCL C
    .language_version:
      - 2
      - 0
    .max_flat_workgroup_size: 256
    .name:           _ZN7rocprim17ROCPRIM_400000_NS6detail17trampoline_kernelINS0_14default_configENS1_38merge_sort_block_merge_config_selectorIiiEEZZNS1_27merge_sort_block_merge_implIS3_N6thrust23THRUST_200600_302600_NS6detail15normal_iteratorINS8_10device_ptrIiEEEESD_jNS1_19radix_merge_compareILb0ELb0EiNS0_19identity_decomposerEEEEE10hipError_tT0_T1_T2_jT3_P12ihipStream_tbPNSt15iterator_traitsISI_E10value_typeEPNSO_ISJ_E10value_typeEPSK_NS1_7vsmem_tEENKUlT_SI_SJ_SK_E_clIPiSD_S10_SD_EESH_SX_SI_SJ_SK_EUlSX_E1_NS1_11comp_targetILNS1_3genE8ELNS1_11target_archE1030ELNS1_3gpuE2ELNS1_3repE0EEENS1_36merge_oddeven_config_static_selectorELNS0_4arch9wavefront6targetE1EEEvSJ_
    .private_segment_fixed_size: 0
    .sgpr_count:     6
    .sgpr_spill_count: 0
    .symbol:         _ZN7rocprim17ROCPRIM_400000_NS6detail17trampoline_kernelINS0_14default_configENS1_38merge_sort_block_merge_config_selectorIiiEEZZNS1_27merge_sort_block_merge_implIS3_N6thrust23THRUST_200600_302600_NS6detail15normal_iteratorINS8_10device_ptrIiEEEESD_jNS1_19radix_merge_compareILb0ELb0EiNS0_19identity_decomposerEEEEE10hipError_tT0_T1_T2_jT3_P12ihipStream_tbPNSt15iterator_traitsISI_E10value_typeEPNSO_ISJ_E10value_typeEPSK_NS1_7vsmem_tEENKUlT_SI_SJ_SK_E_clIPiSD_S10_SD_EESH_SX_SI_SJ_SK_EUlSX_E1_NS1_11comp_targetILNS1_3genE8ELNS1_11target_archE1030ELNS1_3gpuE2ELNS1_3repE0EEENS1_36merge_oddeven_config_static_selectorELNS0_4arch9wavefront6targetE1EEEvSJ_.kd
    .uniform_work_group_size: 1
    .uses_dynamic_stack: false
    .vgpr_count:     0
    .vgpr_spill_count: 0
    .wavefront_size: 64
  - .agpr_count:     0
    .args:
      - .offset:         0
        .size:           40
        .value_kind:     by_value
    .group_segment_fixed_size: 0
    .kernarg_segment_align: 8
    .kernarg_segment_size: 40
    .language:       OpenCL C
    .language_version:
      - 2
      - 0
    .max_flat_workgroup_size: 128
    .name:           _ZN7rocprim17ROCPRIM_400000_NS6detail17trampoline_kernelINS0_14default_configENS1_38merge_sort_block_merge_config_selectorIiiEEZZNS1_27merge_sort_block_merge_implIS3_N6thrust23THRUST_200600_302600_NS6detail15normal_iteratorINS8_10device_ptrIiEEEESD_jNS1_19radix_merge_compareILb0ELb0EiNS0_19identity_decomposerEEEEE10hipError_tT0_T1_T2_jT3_P12ihipStream_tbPNSt15iterator_traitsISI_E10value_typeEPNSO_ISJ_E10value_typeEPSK_NS1_7vsmem_tEENKUlT_SI_SJ_SK_E_clISD_PiSD_S10_EESH_SX_SI_SJ_SK_EUlSX_E_NS1_11comp_targetILNS1_3genE0ELNS1_11target_archE4294967295ELNS1_3gpuE0ELNS1_3repE0EEENS1_48merge_mergepath_partition_config_static_selectorELNS0_4arch9wavefront6targetE1EEEvSJ_
    .private_segment_fixed_size: 0
    .sgpr_count:     14
    .sgpr_spill_count: 0
    .symbol:         _ZN7rocprim17ROCPRIM_400000_NS6detail17trampoline_kernelINS0_14default_configENS1_38merge_sort_block_merge_config_selectorIiiEEZZNS1_27merge_sort_block_merge_implIS3_N6thrust23THRUST_200600_302600_NS6detail15normal_iteratorINS8_10device_ptrIiEEEESD_jNS1_19radix_merge_compareILb0ELb0EiNS0_19identity_decomposerEEEEE10hipError_tT0_T1_T2_jT3_P12ihipStream_tbPNSt15iterator_traitsISI_E10value_typeEPNSO_ISJ_E10value_typeEPSK_NS1_7vsmem_tEENKUlT_SI_SJ_SK_E_clISD_PiSD_S10_EESH_SX_SI_SJ_SK_EUlSX_E_NS1_11comp_targetILNS1_3genE0ELNS1_11target_archE4294967295ELNS1_3gpuE0ELNS1_3repE0EEENS1_48merge_mergepath_partition_config_static_selectorELNS0_4arch9wavefront6targetE1EEEvSJ_.kd
    .uniform_work_group_size: 1
    .uses_dynamic_stack: false
    .vgpr_count:     17
    .vgpr_spill_count: 0
    .wavefront_size: 64
  - .agpr_count:     0
    .args:
      - .offset:         0
        .size:           40
        .value_kind:     by_value
    .group_segment_fixed_size: 0
    .kernarg_segment_align: 8
    .kernarg_segment_size: 40
    .language:       OpenCL C
    .language_version:
      - 2
      - 0
    .max_flat_workgroup_size: 128
    .name:           _ZN7rocprim17ROCPRIM_400000_NS6detail17trampoline_kernelINS0_14default_configENS1_38merge_sort_block_merge_config_selectorIiiEEZZNS1_27merge_sort_block_merge_implIS3_N6thrust23THRUST_200600_302600_NS6detail15normal_iteratorINS8_10device_ptrIiEEEESD_jNS1_19radix_merge_compareILb0ELb0EiNS0_19identity_decomposerEEEEE10hipError_tT0_T1_T2_jT3_P12ihipStream_tbPNSt15iterator_traitsISI_E10value_typeEPNSO_ISJ_E10value_typeEPSK_NS1_7vsmem_tEENKUlT_SI_SJ_SK_E_clISD_PiSD_S10_EESH_SX_SI_SJ_SK_EUlSX_E_NS1_11comp_targetILNS1_3genE10ELNS1_11target_archE1201ELNS1_3gpuE5ELNS1_3repE0EEENS1_48merge_mergepath_partition_config_static_selectorELNS0_4arch9wavefront6targetE1EEEvSJ_
    .private_segment_fixed_size: 0
    .sgpr_count:     6
    .sgpr_spill_count: 0
    .symbol:         _ZN7rocprim17ROCPRIM_400000_NS6detail17trampoline_kernelINS0_14default_configENS1_38merge_sort_block_merge_config_selectorIiiEEZZNS1_27merge_sort_block_merge_implIS3_N6thrust23THRUST_200600_302600_NS6detail15normal_iteratorINS8_10device_ptrIiEEEESD_jNS1_19radix_merge_compareILb0ELb0EiNS0_19identity_decomposerEEEEE10hipError_tT0_T1_T2_jT3_P12ihipStream_tbPNSt15iterator_traitsISI_E10value_typeEPNSO_ISJ_E10value_typeEPSK_NS1_7vsmem_tEENKUlT_SI_SJ_SK_E_clISD_PiSD_S10_EESH_SX_SI_SJ_SK_EUlSX_E_NS1_11comp_targetILNS1_3genE10ELNS1_11target_archE1201ELNS1_3gpuE5ELNS1_3repE0EEENS1_48merge_mergepath_partition_config_static_selectorELNS0_4arch9wavefront6targetE1EEEvSJ_.kd
    .uniform_work_group_size: 1
    .uses_dynamic_stack: false
    .vgpr_count:     0
    .vgpr_spill_count: 0
    .wavefront_size: 64
  - .agpr_count:     0
    .args:
      - .offset:         0
        .size:           40
        .value_kind:     by_value
    .group_segment_fixed_size: 0
    .kernarg_segment_align: 8
    .kernarg_segment_size: 40
    .language:       OpenCL C
    .language_version:
      - 2
      - 0
    .max_flat_workgroup_size: 128
    .name:           _ZN7rocprim17ROCPRIM_400000_NS6detail17trampoline_kernelINS0_14default_configENS1_38merge_sort_block_merge_config_selectorIiiEEZZNS1_27merge_sort_block_merge_implIS3_N6thrust23THRUST_200600_302600_NS6detail15normal_iteratorINS8_10device_ptrIiEEEESD_jNS1_19radix_merge_compareILb0ELb0EiNS0_19identity_decomposerEEEEE10hipError_tT0_T1_T2_jT3_P12ihipStream_tbPNSt15iterator_traitsISI_E10value_typeEPNSO_ISJ_E10value_typeEPSK_NS1_7vsmem_tEENKUlT_SI_SJ_SK_E_clISD_PiSD_S10_EESH_SX_SI_SJ_SK_EUlSX_E_NS1_11comp_targetILNS1_3genE5ELNS1_11target_archE942ELNS1_3gpuE9ELNS1_3repE0EEENS1_48merge_mergepath_partition_config_static_selectorELNS0_4arch9wavefront6targetE1EEEvSJ_
    .private_segment_fixed_size: 0
    .sgpr_count:     6
    .sgpr_spill_count: 0
    .symbol:         _ZN7rocprim17ROCPRIM_400000_NS6detail17trampoline_kernelINS0_14default_configENS1_38merge_sort_block_merge_config_selectorIiiEEZZNS1_27merge_sort_block_merge_implIS3_N6thrust23THRUST_200600_302600_NS6detail15normal_iteratorINS8_10device_ptrIiEEEESD_jNS1_19radix_merge_compareILb0ELb0EiNS0_19identity_decomposerEEEEE10hipError_tT0_T1_T2_jT3_P12ihipStream_tbPNSt15iterator_traitsISI_E10value_typeEPNSO_ISJ_E10value_typeEPSK_NS1_7vsmem_tEENKUlT_SI_SJ_SK_E_clISD_PiSD_S10_EESH_SX_SI_SJ_SK_EUlSX_E_NS1_11comp_targetILNS1_3genE5ELNS1_11target_archE942ELNS1_3gpuE9ELNS1_3repE0EEENS1_48merge_mergepath_partition_config_static_selectorELNS0_4arch9wavefront6targetE1EEEvSJ_.kd
    .uniform_work_group_size: 1
    .uses_dynamic_stack: false
    .vgpr_count:     0
    .vgpr_spill_count: 0
    .wavefront_size: 64
  - .agpr_count:     0
    .args:
      - .offset:         0
        .size:           40
        .value_kind:     by_value
    .group_segment_fixed_size: 0
    .kernarg_segment_align: 8
    .kernarg_segment_size: 40
    .language:       OpenCL C
    .language_version:
      - 2
      - 0
    .max_flat_workgroup_size: 128
    .name:           _ZN7rocprim17ROCPRIM_400000_NS6detail17trampoline_kernelINS0_14default_configENS1_38merge_sort_block_merge_config_selectorIiiEEZZNS1_27merge_sort_block_merge_implIS3_N6thrust23THRUST_200600_302600_NS6detail15normal_iteratorINS8_10device_ptrIiEEEESD_jNS1_19radix_merge_compareILb0ELb0EiNS0_19identity_decomposerEEEEE10hipError_tT0_T1_T2_jT3_P12ihipStream_tbPNSt15iterator_traitsISI_E10value_typeEPNSO_ISJ_E10value_typeEPSK_NS1_7vsmem_tEENKUlT_SI_SJ_SK_E_clISD_PiSD_S10_EESH_SX_SI_SJ_SK_EUlSX_E_NS1_11comp_targetILNS1_3genE4ELNS1_11target_archE910ELNS1_3gpuE8ELNS1_3repE0EEENS1_48merge_mergepath_partition_config_static_selectorELNS0_4arch9wavefront6targetE1EEEvSJ_
    .private_segment_fixed_size: 0
    .sgpr_count:     6
    .sgpr_spill_count: 0
    .symbol:         _ZN7rocprim17ROCPRIM_400000_NS6detail17trampoline_kernelINS0_14default_configENS1_38merge_sort_block_merge_config_selectorIiiEEZZNS1_27merge_sort_block_merge_implIS3_N6thrust23THRUST_200600_302600_NS6detail15normal_iteratorINS8_10device_ptrIiEEEESD_jNS1_19radix_merge_compareILb0ELb0EiNS0_19identity_decomposerEEEEE10hipError_tT0_T1_T2_jT3_P12ihipStream_tbPNSt15iterator_traitsISI_E10value_typeEPNSO_ISJ_E10value_typeEPSK_NS1_7vsmem_tEENKUlT_SI_SJ_SK_E_clISD_PiSD_S10_EESH_SX_SI_SJ_SK_EUlSX_E_NS1_11comp_targetILNS1_3genE4ELNS1_11target_archE910ELNS1_3gpuE8ELNS1_3repE0EEENS1_48merge_mergepath_partition_config_static_selectorELNS0_4arch9wavefront6targetE1EEEvSJ_.kd
    .uniform_work_group_size: 1
    .uses_dynamic_stack: false
    .vgpr_count:     0
    .vgpr_spill_count: 0
    .wavefront_size: 64
  - .agpr_count:     0
    .args:
      - .offset:         0
        .size:           40
        .value_kind:     by_value
    .group_segment_fixed_size: 0
    .kernarg_segment_align: 8
    .kernarg_segment_size: 40
    .language:       OpenCL C
    .language_version:
      - 2
      - 0
    .max_flat_workgroup_size: 128
    .name:           _ZN7rocprim17ROCPRIM_400000_NS6detail17trampoline_kernelINS0_14default_configENS1_38merge_sort_block_merge_config_selectorIiiEEZZNS1_27merge_sort_block_merge_implIS3_N6thrust23THRUST_200600_302600_NS6detail15normal_iteratorINS8_10device_ptrIiEEEESD_jNS1_19radix_merge_compareILb0ELb0EiNS0_19identity_decomposerEEEEE10hipError_tT0_T1_T2_jT3_P12ihipStream_tbPNSt15iterator_traitsISI_E10value_typeEPNSO_ISJ_E10value_typeEPSK_NS1_7vsmem_tEENKUlT_SI_SJ_SK_E_clISD_PiSD_S10_EESH_SX_SI_SJ_SK_EUlSX_E_NS1_11comp_targetILNS1_3genE3ELNS1_11target_archE908ELNS1_3gpuE7ELNS1_3repE0EEENS1_48merge_mergepath_partition_config_static_selectorELNS0_4arch9wavefront6targetE1EEEvSJ_
    .private_segment_fixed_size: 0
    .sgpr_count:     6
    .sgpr_spill_count: 0
    .symbol:         _ZN7rocprim17ROCPRIM_400000_NS6detail17trampoline_kernelINS0_14default_configENS1_38merge_sort_block_merge_config_selectorIiiEEZZNS1_27merge_sort_block_merge_implIS3_N6thrust23THRUST_200600_302600_NS6detail15normal_iteratorINS8_10device_ptrIiEEEESD_jNS1_19radix_merge_compareILb0ELb0EiNS0_19identity_decomposerEEEEE10hipError_tT0_T1_T2_jT3_P12ihipStream_tbPNSt15iterator_traitsISI_E10value_typeEPNSO_ISJ_E10value_typeEPSK_NS1_7vsmem_tEENKUlT_SI_SJ_SK_E_clISD_PiSD_S10_EESH_SX_SI_SJ_SK_EUlSX_E_NS1_11comp_targetILNS1_3genE3ELNS1_11target_archE908ELNS1_3gpuE7ELNS1_3repE0EEENS1_48merge_mergepath_partition_config_static_selectorELNS0_4arch9wavefront6targetE1EEEvSJ_.kd
    .uniform_work_group_size: 1
    .uses_dynamic_stack: false
    .vgpr_count:     0
    .vgpr_spill_count: 0
    .wavefront_size: 64
  - .agpr_count:     0
    .args:
      - .offset:         0
        .size:           40
        .value_kind:     by_value
    .group_segment_fixed_size: 0
    .kernarg_segment_align: 8
    .kernarg_segment_size: 40
    .language:       OpenCL C
    .language_version:
      - 2
      - 0
    .max_flat_workgroup_size: 128
    .name:           _ZN7rocprim17ROCPRIM_400000_NS6detail17trampoline_kernelINS0_14default_configENS1_38merge_sort_block_merge_config_selectorIiiEEZZNS1_27merge_sort_block_merge_implIS3_N6thrust23THRUST_200600_302600_NS6detail15normal_iteratorINS8_10device_ptrIiEEEESD_jNS1_19radix_merge_compareILb0ELb0EiNS0_19identity_decomposerEEEEE10hipError_tT0_T1_T2_jT3_P12ihipStream_tbPNSt15iterator_traitsISI_E10value_typeEPNSO_ISJ_E10value_typeEPSK_NS1_7vsmem_tEENKUlT_SI_SJ_SK_E_clISD_PiSD_S10_EESH_SX_SI_SJ_SK_EUlSX_E_NS1_11comp_targetILNS1_3genE2ELNS1_11target_archE906ELNS1_3gpuE6ELNS1_3repE0EEENS1_48merge_mergepath_partition_config_static_selectorELNS0_4arch9wavefront6targetE1EEEvSJ_
    .private_segment_fixed_size: 0
    .sgpr_count:     6
    .sgpr_spill_count: 0
    .symbol:         _ZN7rocprim17ROCPRIM_400000_NS6detail17trampoline_kernelINS0_14default_configENS1_38merge_sort_block_merge_config_selectorIiiEEZZNS1_27merge_sort_block_merge_implIS3_N6thrust23THRUST_200600_302600_NS6detail15normal_iteratorINS8_10device_ptrIiEEEESD_jNS1_19radix_merge_compareILb0ELb0EiNS0_19identity_decomposerEEEEE10hipError_tT0_T1_T2_jT3_P12ihipStream_tbPNSt15iterator_traitsISI_E10value_typeEPNSO_ISJ_E10value_typeEPSK_NS1_7vsmem_tEENKUlT_SI_SJ_SK_E_clISD_PiSD_S10_EESH_SX_SI_SJ_SK_EUlSX_E_NS1_11comp_targetILNS1_3genE2ELNS1_11target_archE906ELNS1_3gpuE6ELNS1_3repE0EEENS1_48merge_mergepath_partition_config_static_selectorELNS0_4arch9wavefront6targetE1EEEvSJ_.kd
    .uniform_work_group_size: 1
    .uses_dynamic_stack: false
    .vgpr_count:     0
    .vgpr_spill_count: 0
    .wavefront_size: 64
  - .agpr_count:     0
    .args:
      - .offset:         0
        .size:           40
        .value_kind:     by_value
    .group_segment_fixed_size: 0
    .kernarg_segment_align: 8
    .kernarg_segment_size: 40
    .language:       OpenCL C
    .language_version:
      - 2
      - 0
    .max_flat_workgroup_size: 128
    .name:           _ZN7rocprim17ROCPRIM_400000_NS6detail17trampoline_kernelINS0_14default_configENS1_38merge_sort_block_merge_config_selectorIiiEEZZNS1_27merge_sort_block_merge_implIS3_N6thrust23THRUST_200600_302600_NS6detail15normal_iteratorINS8_10device_ptrIiEEEESD_jNS1_19radix_merge_compareILb0ELb0EiNS0_19identity_decomposerEEEEE10hipError_tT0_T1_T2_jT3_P12ihipStream_tbPNSt15iterator_traitsISI_E10value_typeEPNSO_ISJ_E10value_typeEPSK_NS1_7vsmem_tEENKUlT_SI_SJ_SK_E_clISD_PiSD_S10_EESH_SX_SI_SJ_SK_EUlSX_E_NS1_11comp_targetILNS1_3genE9ELNS1_11target_archE1100ELNS1_3gpuE3ELNS1_3repE0EEENS1_48merge_mergepath_partition_config_static_selectorELNS0_4arch9wavefront6targetE1EEEvSJ_
    .private_segment_fixed_size: 0
    .sgpr_count:     6
    .sgpr_spill_count: 0
    .symbol:         _ZN7rocprim17ROCPRIM_400000_NS6detail17trampoline_kernelINS0_14default_configENS1_38merge_sort_block_merge_config_selectorIiiEEZZNS1_27merge_sort_block_merge_implIS3_N6thrust23THRUST_200600_302600_NS6detail15normal_iteratorINS8_10device_ptrIiEEEESD_jNS1_19radix_merge_compareILb0ELb0EiNS0_19identity_decomposerEEEEE10hipError_tT0_T1_T2_jT3_P12ihipStream_tbPNSt15iterator_traitsISI_E10value_typeEPNSO_ISJ_E10value_typeEPSK_NS1_7vsmem_tEENKUlT_SI_SJ_SK_E_clISD_PiSD_S10_EESH_SX_SI_SJ_SK_EUlSX_E_NS1_11comp_targetILNS1_3genE9ELNS1_11target_archE1100ELNS1_3gpuE3ELNS1_3repE0EEENS1_48merge_mergepath_partition_config_static_selectorELNS0_4arch9wavefront6targetE1EEEvSJ_.kd
    .uniform_work_group_size: 1
    .uses_dynamic_stack: false
    .vgpr_count:     0
    .vgpr_spill_count: 0
    .wavefront_size: 64
  - .agpr_count:     0
    .args:
      - .offset:         0
        .size:           40
        .value_kind:     by_value
    .group_segment_fixed_size: 0
    .kernarg_segment_align: 8
    .kernarg_segment_size: 40
    .language:       OpenCL C
    .language_version:
      - 2
      - 0
    .max_flat_workgroup_size: 128
    .name:           _ZN7rocprim17ROCPRIM_400000_NS6detail17trampoline_kernelINS0_14default_configENS1_38merge_sort_block_merge_config_selectorIiiEEZZNS1_27merge_sort_block_merge_implIS3_N6thrust23THRUST_200600_302600_NS6detail15normal_iteratorINS8_10device_ptrIiEEEESD_jNS1_19radix_merge_compareILb0ELb0EiNS0_19identity_decomposerEEEEE10hipError_tT0_T1_T2_jT3_P12ihipStream_tbPNSt15iterator_traitsISI_E10value_typeEPNSO_ISJ_E10value_typeEPSK_NS1_7vsmem_tEENKUlT_SI_SJ_SK_E_clISD_PiSD_S10_EESH_SX_SI_SJ_SK_EUlSX_E_NS1_11comp_targetILNS1_3genE8ELNS1_11target_archE1030ELNS1_3gpuE2ELNS1_3repE0EEENS1_48merge_mergepath_partition_config_static_selectorELNS0_4arch9wavefront6targetE1EEEvSJ_
    .private_segment_fixed_size: 0
    .sgpr_count:     6
    .sgpr_spill_count: 0
    .symbol:         _ZN7rocprim17ROCPRIM_400000_NS6detail17trampoline_kernelINS0_14default_configENS1_38merge_sort_block_merge_config_selectorIiiEEZZNS1_27merge_sort_block_merge_implIS3_N6thrust23THRUST_200600_302600_NS6detail15normal_iteratorINS8_10device_ptrIiEEEESD_jNS1_19radix_merge_compareILb0ELb0EiNS0_19identity_decomposerEEEEE10hipError_tT0_T1_T2_jT3_P12ihipStream_tbPNSt15iterator_traitsISI_E10value_typeEPNSO_ISJ_E10value_typeEPSK_NS1_7vsmem_tEENKUlT_SI_SJ_SK_E_clISD_PiSD_S10_EESH_SX_SI_SJ_SK_EUlSX_E_NS1_11comp_targetILNS1_3genE8ELNS1_11target_archE1030ELNS1_3gpuE2ELNS1_3repE0EEENS1_48merge_mergepath_partition_config_static_selectorELNS0_4arch9wavefront6targetE1EEEvSJ_.kd
    .uniform_work_group_size: 1
    .uses_dynamic_stack: false
    .vgpr_count:     0
    .vgpr_spill_count: 0
    .wavefront_size: 64
  - .agpr_count:     0
    .args:
      - .offset:         0
        .size:           64
        .value_kind:     by_value
      - .offset:         64
        .size:           4
        .value_kind:     hidden_block_count_x
      - .offset:         68
        .size:           4
        .value_kind:     hidden_block_count_y
      - .offset:         72
        .size:           4
        .value_kind:     hidden_block_count_z
      - .offset:         76
        .size:           2
        .value_kind:     hidden_group_size_x
      - .offset:         78
        .size:           2
        .value_kind:     hidden_group_size_y
      - .offset:         80
        .size:           2
        .value_kind:     hidden_group_size_z
      - .offset:         82
        .size:           2
        .value_kind:     hidden_remainder_x
      - .offset:         84
        .size:           2
        .value_kind:     hidden_remainder_y
      - .offset:         86
        .size:           2
        .value_kind:     hidden_remainder_z
      - .offset:         104
        .size:           8
        .value_kind:     hidden_global_offset_x
      - .offset:         112
        .size:           8
        .value_kind:     hidden_global_offset_y
      - .offset:         120
        .size:           8
        .value_kind:     hidden_global_offset_z
      - .offset:         128
        .size:           2
        .value_kind:     hidden_grid_dims
    .group_segment_fixed_size: 4224
    .kernarg_segment_align: 8
    .kernarg_segment_size: 320
    .language:       OpenCL C
    .language_version:
      - 2
      - 0
    .max_flat_workgroup_size: 256
    .name:           _ZN7rocprim17ROCPRIM_400000_NS6detail17trampoline_kernelINS0_14default_configENS1_38merge_sort_block_merge_config_selectorIiiEEZZNS1_27merge_sort_block_merge_implIS3_N6thrust23THRUST_200600_302600_NS6detail15normal_iteratorINS8_10device_ptrIiEEEESD_jNS1_19radix_merge_compareILb0ELb0EiNS0_19identity_decomposerEEEEE10hipError_tT0_T1_T2_jT3_P12ihipStream_tbPNSt15iterator_traitsISI_E10value_typeEPNSO_ISJ_E10value_typeEPSK_NS1_7vsmem_tEENKUlT_SI_SJ_SK_E_clISD_PiSD_S10_EESH_SX_SI_SJ_SK_EUlSX_E0_NS1_11comp_targetILNS1_3genE0ELNS1_11target_archE4294967295ELNS1_3gpuE0ELNS1_3repE0EEENS1_38merge_mergepath_config_static_selectorELNS0_4arch9wavefront6targetE1EEEvSJ_
    .private_segment_fixed_size: 0
    .sgpr_count:     36
    .sgpr_spill_count: 0
    .symbol:         _ZN7rocprim17ROCPRIM_400000_NS6detail17trampoline_kernelINS0_14default_configENS1_38merge_sort_block_merge_config_selectorIiiEEZZNS1_27merge_sort_block_merge_implIS3_N6thrust23THRUST_200600_302600_NS6detail15normal_iteratorINS8_10device_ptrIiEEEESD_jNS1_19radix_merge_compareILb0ELb0EiNS0_19identity_decomposerEEEEE10hipError_tT0_T1_T2_jT3_P12ihipStream_tbPNSt15iterator_traitsISI_E10value_typeEPNSO_ISJ_E10value_typeEPSK_NS1_7vsmem_tEENKUlT_SI_SJ_SK_E_clISD_PiSD_S10_EESH_SX_SI_SJ_SK_EUlSX_E0_NS1_11comp_targetILNS1_3genE0ELNS1_11target_archE4294967295ELNS1_3gpuE0ELNS1_3repE0EEENS1_38merge_mergepath_config_static_selectorELNS0_4arch9wavefront6targetE1EEEvSJ_.kd
    .uniform_work_group_size: 1
    .uses_dynamic_stack: false
    .vgpr_count:     21
    .vgpr_spill_count: 0
    .wavefront_size: 64
  - .agpr_count:     0
    .args:
      - .offset:         0
        .size:           64
        .value_kind:     by_value
    .group_segment_fixed_size: 0
    .kernarg_segment_align: 8
    .kernarg_segment_size: 64
    .language:       OpenCL C
    .language_version:
      - 2
      - 0
    .max_flat_workgroup_size: 256
    .name:           _ZN7rocprim17ROCPRIM_400000_NS6detail17trampoline_kernelINS0_14default_configENS1_38merge_sort_block_merge_config_selectorIiiEEZZNS1_27merge_sort_block_merge_implIS3_N6thrust23THRUST_200600_302600_NS6detail15normal_iteratorINS8_10device_ptrIiEEEESD_jNS1_19radix_merge_compareILb0ELb0EiNS0_19identity_decomposerEEEEE10hipError_tT0_T1_T2_jT3_P12ihipStream_tbPNSt15iterator_traitsISI_E10value_typeEPNSO_ISJ_E10value_typeEPSK_NS1_7vsmem_tEENKUlT_SI_SJ_SK_E_clISD_PiSD_S10_EESH_SX_SI_SJ_SK_EUlSX_E0_NS1_11comp_targetILNS1_3genE10ELNS1_11target_archE1201ELNS1_3gpuE5ELNS1_3repE0EEENS1_38merge_mergepath_config_static_selectorELNS0_4arch9wavefront6targetE1EEEvSJ_
    .private_segment_fixed_size: 0
    .sgpr_count:     6
    .sgpr_spill_count: 0
    .symbol:         _ZN7rocprim17ROCPRIM_400000_NS6detail17trampoline_kernelINS0_14default_configENS1_38merge_sort_block_merge_config_selectorIiiEEZZNS1_27merge_sort_block_merge_implIS3_N6thrust23THRUST_200600_302600_NS6detail15normal_iteratorINS8_10device_ptrIiEEEESD_jNS1_19radix_merge_compareILb0ELb0EiNS0_19identity_decomposerEEEEE10hipError_tT0_T1_T2_jT3_P12ihipStream_tbPNSt15iterator_traitsISI_E10value_typeEPNSO_ISJ_E10value_typeEPSK_NS1_7vsmem_tEENKUlT_SI_SJ_SK_E_clISD_PiSD_S10_EESH_SX_SI_SJ_SK_EUlSX_E0_NS1_11comp_targetILNS1_3genE10ELNS1_11target_archE1201ELNS1_3gpuE5ELNS1_3repE0EEENS1_38merge_mergepath_config_static_selectorELNS0_4arch9wavefront6targetE1EEEvSJ_.kd
    .uniform_work_group_size: 1
    .uses_dynamic_stack: false
    .vgpr_count:     0
    .vgpr_spill_count: 0
    .wavefront_size: 64
  - .agpr_count:     0
    .args:
      - .offset:         0
        .size:           64
        .value_kind:     by_value
    .group_segment_fixed_size: 0
    .kernarg_segment_align: 8
    .kernarg_segment_size: 64
    .language:       OpenCL C
    .language_version:
      - 2
      - 0
    .max_flat_workgroup_size: 128
    .name:           _ZN7rocprim17ROCPRIM_400000_NS6detail17trampoline_kernelINS0_14default_configENS1_38merge_sort_block_merge_config_selectorIiiEEZZNS1_27merge_sort_block_merge_implIS3_N6thrust23THRUST_200600_302600_NS6detail15normal_iteratorINS8_10device_ptrIiEEEESD_jNS1_19radix_merge_compareILb0ELb0EiNS0_19identity_decomposerEEEEE10hipError_tT0_T1_T2_jT3_P12ihipStream_tbPNSt15iterator_traitsISI_E10value_typeEPNSO_ISJ_E10value_typeEPSK_NS1_7vsmem_tEENKUlT_SI_SJ_SK_E_clISD_PiSD_S10_EESH_SX_SI_SJ_SK_EUlSX_E0_NS1_11comp_targetILNS1_3genE5ELNS1_11target_archE942ELNS1_3gpuE9ELNS1_3repE0EEENS1_38merge_mergepath_config_static_selectorELNS0_4arch9wavefront6targetE1EEEvSJ_
    .private_segment_fixed_size: 0
    .sgpr_count:     6
    .sgpr_spill_count: 0
    .symbol:         _ZN7rocprim17ROCPRIM_400000_NS6detail17trampoline_kernelINS0_14default_configENS1_38merge_sort_block_merge_config_selectorIiiEEZZNS1_27merge_sort_block_merge_implIS3_N6thrust23THRUST_200600_302600_NS6detail15normal_iteratorINS8_10device_ptrIiEEEESD_jNS1_19radix_merge_compareILb0ELb0EiNS0_19identity_decomposerEEEEE10hipError_tT0_T1_T2_jT3_P12ihipStream_tbPNSt15iterator_traitsISI_E10value_typeEPNSO_ISJ_E10value_typeEPSK_NS1_7vsmem_tEENKUlT_SI_SJ_SK_E_clISD_PiSD_S10_EESH_SX_SI_SJ_SK_EUlSX_E0_NS1_11comp_targetILNS1_3genE5ELNS1_11target_archE942ELNS1_3gpuE9ELNS1_3repE0EEENS1_38merge_mergepath_config_static_selectorELNS0_4arch9wavefront6targetE1EEEvSJ_.kd
    .uniform_work_group_size: 1
    .uses_dynamic_stack: false
    .vgpr_count:     0
    .vgpr_spill_count: 0
    .wavefront_size: 64
  - .agpr_count:     0
    .args:
      - .offset:         0
        .size:           64
        .value_kind:     by_value
    .group_segment_fixed_size: 0
    .kernarg_segment_align: 8
    .kernarg_segment_size: 64
    .language:       OpenCL C
    .language_version:
      - 2
      - 0
    .max_flat_workgroup_size: 256
    .name:           _ZN7rocprim17ROCPRIM_400000_NS6detail17trampoline_kernelINS0_14default_configENS1_38merge_sort_block_merge_config_selectorIiiEEZZNS1_27merge_sort_block_merge_implIS3_N6thrust23THRUST_200600_302600_NS6detail15normal_iteratorINS8_10device_ptrIiEEEESD_jNS1_19radix_merge_compareILb0ELb0EiNS0_19identity_decomposerEEEEE10hipError_tT0_T1_T2_jT3_P12ihipStream_tbPNSt15iterator_traitsISI_E10value_typeEPNSO_ISJ_E10value_typeEPSK_NS1_7vsmem_tEENKUlT_SI_SJ_SK_E_clISD_PiSD_S10_EESH_SX_SI_SJ_SK_EUlSX_E0_NS1_11comp_targetILNS1_3genE4ELNS1_11target_archE910ELNS1_3gpuE8ELNS1_3repE0EEENS1_38merge_mergepath_config_static_selectorELNS0_4arch9wavefront6targetE1EEEvSJ_
    .private_segment_fixed_size: 0
    .sgpr_count:     6
    .sgpr_spill_count: 0
    .symbol:         _ZN7rocprim17ROCPRIM_400000_NS6detail17trampoline_kernelINS0_14default_configENS1_38merge_sort_block_merge_config_selectorIiiEEZZNS1_27merge_sort_block_merge_implIS3_N6thrust23THRUST_200600_302600_NS6detail15normal_iteratorINS8_10device_ptrIiEEEESD_jNS1_19radix_merge_compareILb0ELb0EiNS0_19identity_decomposerEEEEE10hipError_tT0_T1_T2_jT3_P12ihipStream_tbPNSt15iterator_traitsISI_E10value_typeEPNSO_ISJ_E10value_typeEPSK_NS1_7vsmem_tEENKUlT_SI_SJ_SK_E_clISD_PiSD_S10_EESH_SX_SI_SJ_SK_EUlSX_E0_NS1_11comp_targetILNS1_3genE4ELNS1_11target_archE910ELNS1_3gpuE8ELNS1_3repE0EEENS1_38merge_mergepath_config_static_selectorELNS0_4arch9wavefront6targetE1EEEvSJ_.kd
    .uniform_work_group_size: 1
    .uses_dynamic_stack: false
    .vgpr_count:     0
    .vgpr_spill_count: 0
    .wavefront_size: 64
  - .agpr_count:     0
    .args:
      - .offset:         0
        .size:           64
        .value_kind:     by_value
    .group_segment_fixed_size: 0
    .kernarg_segment_align: 8
    .kernarg_segment_size: 64
    .language:       OpenCL C
    .language_version:
      - 2
      - 0
    .max_flat_workgroup_size: 256
    .name:           _ZN7rocprim17ROCPRIM_400000_NS6detail17trampoline_kernelINS0_14default_configENS1_38merge_sort_block_merge_config_selectorIiiEEZZNS1_27merge_sort_block_merge_implIS3_N6thrust23THRUST_200600_302600_NS6detail15normal_iteratorINS8_10device_ptrIiEEEESD_jNS1_19radix_merge_compareILb0ELb0EiNS0_19identity_decomposerEEEEE10hipError_tT0_T1_T2_jT3_P12ihipStream_tbPNSt15iterator_traitsISI_E10value_typeEPNSO_ISJ_E10value_typeEPSK_NS1_7vsmem_tEENKUlT_SI_SJ_SK_E_clISD_PiSD_S10_EESH_SX_SI_SJ_SK_EUlSX_E0_NS1_11comp_targetILNS1_3genE3ELNS1_11target_archE908ELNS1_3gpuE7ELNS1_3repE0EEENS1_38merge_mergepath_config_static_selectorELNS0_4arch9wavefront6targetE1EEEvSJ_
    .private_segment_fixed_size: 0
    .sgpr_count:     6
    .sgpr_spill_count: 0
    .symbol:         _ZN7rocprim17ROCPRIM_400000_NS6detail17trampoline_kernelINS0_14default_configENS1_38merge_sort_block_merge_config_selectorIiiEEZZNS1_27merge_sort_block_merge_implIS3_N6thrust23THRUST_200600_302600_NS6detail15normal_iteratorINS8_10device_ptrIiEEEESD_jNS1_19radix_merge_compareILb0ELb0EiNS0_19identity_decomposerEEEEE10hipError_tT0_T1_T2_jT3_P12ihipStream_tbPNSt15iterator_traitsISI_E10value_typeEPNSO_ISJ_E10value_typeEPSK_NS1_7vsmem_tEENKUlT_SI_SJ_SK_E_clISD_PiSD_S10_EESH_SX_SI_SJ_SK_EUlSX_E0_NS1_11comp_targetILNS1_3genE3ELNS1_11target_archE908ELNS1_3gpuE7ELNS1_3repE0EEENS1_38merge_mergepath_config_static_selectorELNS0_4arch9wavefront6targetE1EEEvSJ_.kd
    .uniform_work_group_size: 1
    .uses_dynamic_stack: false
    .vgpr_count:     0
    .vgpr_spill_count: 0
    .wavefront_size: 64
  - .agpr_count:     0
    .args:
      - .offset:         0
        .size:           64
        .value_kind:     by_value
    .group_segment_fixed_size: 0
    .kernarg_segment_align: 8
    .kernarg_segment_size: 64
    .language:       OpenCL C
    .language_version:
      - 2
      - 0
    .max_flat_workgroup_size: 256
    .name:           _ZN7rocprim17ROCPRIM_400000_NS6detail17trampoline_kernelINS0_14default_configENS1_38merge_sort_block_merge_config_selectorIiiEEZZNS1_27merge_sort_block_merge_implIS3_N6thrust23THRUST_200600_302600_NS6detail15normal_iteratorINS8_10device_ptrIiEEEESD_jNS1_19radix_merge_compareILb0ELb0EiNS0_19identity_decomposerEEEEE10hipError_tT0_T1_T2_jT3_P12ihipStream_tbPNSt15iterator_traitsISI_E10value_typeEPNSO_ISJ_E10value_typeEPSK_NS1_7vsmem_tEENKUlT_SI_SJ_SK_E_clISD_PiSD_S10_EESH_SX_SI_SJ_SK_EUlSX_E0_NS1_11comp_targetILNS1_3genE2ELNS1_11target_archE906ELNS1_3gpuE6ELNS1_3repE0EEENS1_38merge_mergepath_config_static_selectorELNS0_4arch9wavefront6targetE1EEEvSJ_
    .private_segment_fixed_size: 0
    .sgpr_count:     6
    .sgpr_spill_count: 0
    .symbol:         _ZN7rocprim17ROCPRIM_400000_NS6detail17trampoline_kernelINS0_14default_configENS1_38merge_sort_block_merge_config_selectorIiiEEZZNS1_27merge_sort_block_merge_implIS3_N6thrust23THRUST_200600_302600_NS6detail15normal_iteratorINS8_10device_ptrIiEEEESD_jNS1_19radix_merge_compareILb0ELb0EiNS0_19identity_decomposerEEEEE10hipError_tT0_T1_T2_jT3_P12ihipStream_tbPNSt15iterator_traitsISI_E10value_typeEPNSO_ISJ_E10value_typeEPSK_NS1_7vsmem_tEENKUlT_SI_SJ_SK_E_clISD_PiSD_S10_EESH_SX_SI_SJ_SK_EUlSX_E0_NS1_11comp_targetILNS1_3genE2ELNS1_11target_archE906ELNS1_3gpuE6ELNS1_3repE0EEENS1_38merge_mergepath_config_static_selectorELNS0_4arch9wavefront6targetE1EEEvSJ_.kd
    .uniform_work_group_size: 1
    .uses_dynamic_stack: false
    .vgpr_count:     0
    .vgpr_spill_count: 0
    .wavefront_size: 64
  - .agpr_count:     0
    .args:
      - .offset:         0
        .size:           64
        .value_kind:     by_value
    .group_segment_fixed_size: 0
    .kernarg_segment_align: 8
    .kernarg_segment_size: 64
    .language:       OpenCL C
    .language_version:
      - 2
      - 0
    .max_flat_workgroup_size: 512
    .name:           _ZN7rocprim17ROCPRIM_400000_NS6detail17trampoline_kernelINS0_14default_configENS1_38merge_sort_block_merge_config_selectorIiiEEZZNS1_27merge_sort_block_merge_implIS3_N6thrust23THRUST_200600_302600_NS6detail15normal_iteratorINS8_10device_ptrIiEEEESD_jNS1_19radix_merge_compareILb0ELb0EiNS0_19identity_decomposerEEEEE10hipError_tT0_T1_T2_jT3_P12ihipStream_tbPNSt15iterator_traitsISI_E10value_typeEPNSO_ISJ_E10value_typeEPSK_NS1_7vsmem_tEENKUlT_SI_SJ_SK_E_clISD_PiSD_S10_EESH_SX_SI_SJ_SK_EUlSX_E0_NS1_11comp_targetILNS1_3genE9ELNS1_11target_archE1100ELNS1_3gpuE3ELNS1_3repE0EEENS1_38merge_mergepath_config_static_selectorELNS0_4arch9wavefront6targetE1EEEvSJ_
    .private_segment_fixed_size: 0
    .sgpr_count:     6
    .sgpr_spill_count: 0
    .symbol:         _ZN7rocprim17ROCPRIM_400000_NS6detail17trampoline_kernelINS0_14default_configENS1_38merge_sort_block_merge_config_selectorIiiEEZZNS1_27merge_sort_block_merge_implIS3_N6thrust23THRUST_200600_302600_NS6detail15normal_iteratorINS8_10device_ptrIiEEEESD_jNS1_19radix_merge_compareILb0ELb0EiNS0_19identity_decomposerEEEEE10hipError_tT0_T1_T2_jT3_P12ihipStream_tbPNSt15iterator_traitsISI_E10value_typeEPNSO_ISJ_E10value_typeEPSK_NS1_7vsmem_tEENKUlT_SI_SJ_SK_E_clISD_PiSD_S10_EESH_SX_SI_SJ_SK_EUlSX_E0_NS1_11comp_targetILNS1_3genE9ELNS1_11target_archE1100ELNS1_3gpuE3ELNS1_3repE0EEENS1_38merge_mergepath_config_static_selectorELNS0_4arch9wavefront6targetE1EEEvSJ_.kd
    .uniform_work_group_size: 1
    .uses_dynamic_stack: false
    .vgpr_count:     0
    .vgpr_spill_count: 0
    .wavefront_size: 64
  - .agpr_count:     0
    .args:
      - .offset:         0
        .size:           64
        .value_kind:     by_value
    .group_segment_fixed_size: 0
    .kernarg_segment_align: 8
    .kernarg_segment_size: 64
    .language:       OpenCL C
    .language_version:
      - 2
      - 0
    .max_flat_workgroup_size: 1024
    .name:           _ZN7rocprim17ROCPRIM_400000_NS6detail17trampoline_kernelINS0_14default_configENS1_38merge_sort_block_merge_config_selectorIiiEEZZNS1_27merge_sort_block_merge_implIS3_N6thrust23THRUST_200600_302600_NS6detail15normal_iteratorINS8_10device_ptrIiEEEESD_jNS1_19radix_merge_compareILb0ELb0EiNS0_19identity_decomposerEEEEE10hipError_tT0_T1_T2_jT3_P12ihipStream_tbPNSt15iterator_traitsISI_E10value_typeEPNSO_ISJ_E10value_typeEPSK_NS1_7vsmem_tEENKUlT_SI_SJ_SK_E_clISD_PiSD_S10_EESH_SX_SI_SJ_SK_EUlSX_E0_NS1_11comp_targetILNS1_3genE8ELNS1_11target_archE1030ELNS1_3gpuE2ELNS1_3repE0EEENS1_38merge_mergepath_config_static_selectorELNS0_4arch9wavefront6targetE1EEEvSJ_
    .private_segment_fixed_size: 0
    .sgpr_count:     6
    .sgpr_spill_count: 0
    .symbol:         _ZN7rocprim17ROCPRIM_400000_NS6detail17trampoline_kernelINS0_14default_configENS1_38merge_sort_block_merge_config_selectorIiiEEZZNS1_27merge_sort_block_merge_implIS3_N6thrust23THRUST_200600_302600_NS6detail15normal_iteratorINS8_10device_ptrIiEEEESD_jNS1_19radix_merge_compareILb0ELb0EiNS0_19identity_decomposerEEEEE10hipError_tT0_T1_T2_jT3_P12ihipStream_tbPNSt15iterator_traitsISI_E10value_typeEPNSO_ISJ_E10value_typeEPSK_NS1_7vsmem_tEENKUlT_SI_SJ_SK_E_clISD_PiSD_S10_EESH_SX_SI_SJ_SK_EUlSX_E0_NS1_11comp_targetILNS1_3genE8ELNS1_11target_archE1030ELNS1_3gpuE2ELNS1_3repE0EEENS1_38merge_mergepath_config_static_selectorELNS0_4arch9wavefront6targetE1EEEvSJ_.kd
    .uniform_work_group_size: 1
    .uses_dynamic_stack: false
    .vgpr_count:     0
    .vgpr_spill_count: 0
    .wavefront_size: 64
  - .agpr_count:     0
    .args:
      - .offset:         0
        .size:           48
        .value_kind:     by_value
    .group_segment_fixed_size: 0
    .kernarg_segment_align: 8
    .kernarg_segment_size: 48
    .language:       OpenCL C
    .language_version:
      - 2
      - 0
    .max_flat_workgroup_size: 256
    .name:           _ZN7rocprim17ROCPRIM_400000_NS6detail17trampoline_kernelINS0_14default_configENS1_38merge_sort_block_merge_config_selectorIiiEEZZNS1_27merge_sort_block_merge_implIS3_N6thrust23THRUST_200600_302600_NS6detail15normal_iteratorINS8_10device_ptrIiEEEESD_jNS1_19radix_merge_compareILb0ELb0EiNS0_19identity_decomposerEEEEE10hipError_tT0_T1_T2_jT3_P12ihipStream_tbPNSt15iterator_traitsISI_E10value_typeEPNSO_ISJ_E10value_typeEPSK_NS1_7vsmem_tEENKUlT_SI_SJ_SK_E_clISD_PiSD_S10_EESH_SX_SI_SJ_SK_EUlSX_E1_NS1_11comp_targetILNS1_3genE0ELNS1_11target_archE4294967295ELNS1_3gpuE0ELNS1_3repE0EEENS1_36merge_oddeven_config_static_selectorELNS0_4arch9wavefront6targetE1EEEvSJ_
    .private_segment_fixed_size: 0
    .sgpr_count:     30
    .sgpr_spill_count: 0
    .symbol:         _ZN7rocprim17ROCPRIM_400000_NS6detail17trampoline_kernelINS0_14default_configENS1_38merge_sort_block_merge_config_selectorIiiEEZZNS1_27merge_sort_block_merge_implIS3_N6thrust23THRUST_200600_302600_NS6detail15normal_iteratorINS8_10device_ptrIiEEEESD_jNS1_19radix_merge_compareILb0ELb0EiNS0_19identity_decomposerEEEEE10hipError_tT0_T1_T2_jT3_P12ihipStream_tbPNSt15iterator_traitsISI_E10value_typeEPNSO_ISJ_E10value_typeEPSK_NS1_7vsmem_tEENKUlT_SI_SJ_SK_E_clISD_PiSD_S10_EESH_SX_SI_SJ_SK_EUlSX_E1_NS1_11comp_targetILNS1_3genE0ELNS1_11target_archE4294967295ELNS1_3gpuE0ELNS1_3repE0EEENS1_36merge_oddeven_config_static_selectorELNS0_4arch9wavefront6targetE1EEEvSJ_.kd
    .uniform_work_group_size: 1
    .uses_dynamic_stack: false
    .vgpr_count:     10
    .vgpr_spill_count: 0
    .wavefront_size: 64
  - .agpr_count:     0
    .args:
      - .offset:         0
        .size:           48
        .value_kind:     by_value
    .group_segment_fixed_size: 0
    .kernarg_segment_align: 8
    .kernarg_segment_size: 48
    .language:       OpenCL C
    .language_version:
      - 2
      - 0
    .max_flat_workgroup_size: 256
    .name:           _ZN7rocprim17ROCPRIM_400000_NS6detail17trampoline_kernelINS0_14default_configENS1_38merge_sort_block_merge_config_selectorIiiEEZZNS1_27merge_sort_block_merge_implIS3_N6thrust23THRUST_200600_302600_NS6detail15normal_iteratorINS8_10device_ptrIiEEEESD_jNS1_19radix_merge_compareILb0ELb0EiNS0_19identity_decomposerEEEEE10hipError_tT0_T1_T2_jT3_P12ihipStream_tbPNSt15iterator_traitsISI_E10value_typeEPNSO_ISJ_E10value_typeEPSK_NS1_7vsmem_tEENKUlT_SI_SJ_SK_E_clISD_PiSD_S10_EESH_SX_SI_SJ_SK_EUlSX_E1_NS1_11comp_targetILNS1_3genE10ELNS1_11target_archE1201ELNS1_3gpuE5ELNS1_3repE0EEENS1_36merge_oddeven_config_static_selectorELNS0_4arch9wavefront6targetE1EEEvSJ_
    .private_segment_fixed_size: 0
    .sgpr_count:     6
    .sgpr_spill_count: 0
    .symbol:         _ZN7rocprim17ROCPRIM_400000_NS6detail17trampoline_kernelINS0_14default_configENS1_38merge_sort_block_merge_config_selectorIiiEEZZNS1_27merge_sort_block_merge_implIS3_N6thrust23THRUST_200600_302600_NS6detail15normal_iteratorINS8_10device_ptrIiEEEESD_jNS1_19radix_merge_compareILb0ELb0EiNS0_19identity_decomposerEEEEE10hipError_tT0_T1_T2_jT3_P12ihipStream_tbPNSt15iterator_traitsISI_E10value_typeEPNSO_ISJ_E10value_typeEPSK_NS1_7vsmem_tEENKUlT_SI_SJ_SK_E_clISD_PiSD_S10_EESH_SX_SI_SJ_SK_EUlSX_E1_NS1_11comp_targetILNS1_3genE10ELNS1_11target_archE1201ELNS1_3gpuE5ELNS1_3repE0EEENS1_36merge_oddeven_config_static_selectorELNS0_4arch9wavefront6targetE1EEEvSJ_.kd
    .uniform_work_group_size: 1
    .uses_dynamic_stack: false
    .vgpr_count:     0
    .vgpr_spill_count: 0
    .wavefront_size: 64
  - .agpr_count:     0
    .args:
      - .offset:         0
        .size:           48
        .value_kind:     by_value
    .group_segment_fixed_size: 0
    .kernarg_segment_align: 8
    .kernarg_segment_size: 48
    .language:       OpenCL C
    .language_version:
      - 2
      - 0
    .max_flat_workgroup_size: 256
    .name:           _ZN7rocprim17ROCPRIM_400000_NS6detail17trampoline_kernelINS0_14default_configENS1_38merge_sort_block_merge_config_selectorIiiEEZZNS1_27merge_sort_block_merge_implIS3_N6thrust23THRUST_200600_302600_NS6detail15normal_iteratorINS8_10device_ptrIiEEEESD_jNS1_19radix_merge_compareILb0ELb0EiNS0_19identity_decomposerEEEEE10hipError_tT0_T1_T2_jT3_P12ihipStream_tbPNSt15iterator_traitsISI_E10value_typeEPNSO_ISJ_E10value_typeEPSK_NS1_7vsmem_tEENKUlT_SI_SJ_SK_E_clISD_PiSD_S10_EESH_SX_SI_SJ_SK_EUlSX_E1_NS1_11comp_targetILNS1_3genE5ELNS1_11target_archE942ELNS1_3gpuE9ELNS1_3repE0EEENS1_36merge_oddeven_config_static_selectorELNS0_4arch9wavefront6targetE1EEEvSJ_
    .private_segment_fixed_size: 0
    .sgpr_count:     6
    .sgpr_spill_count: 0
    .symbol:         _ZN7rocprim17ROCPRIM_400000_NS6detail17trampoline_kernelINS0_14default_configENS1_38merge_sort_block_merge_config_selectorIiiEEZZNS1_27merge_sort_block_merge_implIS3_N6thrust23THRUST_200600_302600_NS6detail15normal_iteratorINS8_10device_ptrIiEEEESD_jNS1_19radix_merge_compareILb0ELb0EiNS0_19identity_decomposerEEEEE10hipError_tT0_T1_T2_jT3_P12ihipStream_tbPNSt15iterator_traitsISI_E10value_typeEPNSO_ISJ_E10value_typeEPSK_NS1_7vsmem_tEENKUlT_SI_SJ_SK_E_clISD_PiSD_S10_EESH_SX_SI_SJ_SK_EUlSX_E1_NS1_11comp_targetILNS1_3genE5ELNS1_11target_archE942ELNS1_3gpuE9ELNS1_3repE0EEENS1_36merge_oddeven_config_static_selectorELNS0_4arch9wavefront6targetE1EEEvSJ_.kd
    .uniform_work_group_size: 1
    .uses_dynamic_stack: false
    .vgpr_count:     0
    .vgpr_spill_count: 0
    .wavefront_size: 64
  - .agpr_count:     0
    .args:
      - .offset:         0
        .size:           48
        .value_kind:     by_value
    .group_segment_fixed_size: 0
    .kernarg_segment_align: 8
    .kernarg_segment_size: 48
    .language:       OpenCL C
    .language_version:
      - 2
      - 0
    .max_flat_workgroup_size: 256
    .name:           _ZN7rocprim17ROCPRIM_400000_NS6detail17trampoline_kernelINS0_14default_configENS1_38merge_sort_block_merge_config_selectorIiiEEZZNS1_27merge_sort_block_merge_implIS3_N6thrust23THRUST_200600_302600_NS6detail15normal_iteratorINS8_10device_ptrIiEEEESD_jNS1_19radix_merge_compareILb0ELb0EiNS0_19identity_decomposerEEEEE10hipError_tT0_T1_T2_jT3_P12ihipStream_tbPNSt15iterator_traitsISI_E10value_typeEPNSO_ISJ_E10value_typeEPSK_NS1_7vsmem_tEENKUlT_SI_SJ_SK_E_clISD_PiSD_S10_EESH_SX_SI_SJ_SK_EUlSX_E1_NS1_11comp_targetILNS1_3genE4ELNS1_11target_archE910ELNS1_3gpuE8ELNS1_3repE0EEENS1_36merge_oddeven_config_static_selectorELNS0_4arch9wavefront6targetE1EEEvSJ_
    .private_segment_fixed_size: 0
    .sgpr_count:     6
    .sgpr_spill_count: 0
    .symbol:         _ZN7rocprim17ROCPRIM_400000_NS6detail17trampoline_kernelINS0_14default_configENS1_38merge_sort_block_merge_config_selectorIiiEEZZNS1_27merge_sort_block_merge_implIS3_N6thrust23THRUST_200600_302600_NS6detail15normal_iteratorINS8_10device_ptrIiEEEESD_jNS1_19radix_merge_compareILb0ELb0EiNS0_19identity_decomposerEEEEE10hipError_tT0_T1_T2_jT3_P12ihipStream_tbPNSt15iterator_traitsISI_E10value_typeEPNSO_ISJ_E10value_typeEPSK_NS1_7vsmem_tEENKUlT_SI_SJ_SK_E_clISD_PiSD_S10_EESH_SX_SI_SJ_SK_EUlSX_E1_NS1_11comp_targetILNS1_3genE4ELNS1_11target_archE910ELNS1_3gpuE8ELNS1_3repE0EEENS1_36merge_oddeven_config_static_selectorELNS0_4arch9wavefront6targetE1EEEvSJ_.kd
    .uniform_work_group_size: 1
    .uses_dynamic_stack: false
    .vgpr_count:     0
    .vgpr_spill_count: 0
    .wavefront_size: 64
  - .agpr_count:     0
    .args:
      - .offset:         0
        .size:           48
        .value_kind:     by_value
    .group_segment_fixed_size: 0
    .kernarg_segment_align: 8
    .kernarg_segment_size: 48
    .language:       OpenCL C
    .language_version:
      - 2
      - 0
    .max_flat_workgroup_size: 256
    .name:           _ZN7rocprim17ROCPRIM_400000_NS6detail17trampoline_kernelINS0_14default_configENS1_38merge_sort_block_merge_config_selectorIiiEEZZNS1_27merge_sort_block_merge_implIS3_N6thrust23THRUST_200600_302600_NS6detail15normal_iteratorINS8_10device_ptrIiEEEESD_jNS1_19radix_merge_compareILb0ELb0EiNS0_19identity_decomposerEEEEE10hipError_tT0_T1_T2_jT3_P12ihipStream_tbPNSt15iterator_traitsISI_E10value_typeEPNSO_ISJ_E10value_typeEPSK_NS1_7vsmem_tEENKUlT_SI_SJ_SK_E_clISD_PiSD_S10_EESH_SX_SI_SJ_SK_EUlSX_E1_NS1_11comp_targetILNS1_3genE3ELNS1_11target_archE908ELNS1_3gpuE7ELNS1_3repE0EEENS1_36merge_oddeven_config_static_selectorELNS0_4arch9wavefront6targetE1EEEvSJ_
    .private_segment_fixed_size: 0
    .sgpr_count:     6
    .sgpr_spill_count: 0
    .symbol:         _ZN7rocprim17ROCPRIM_400000_NS6detail17trampoline_kernelINS0_14default_configENS1_38merge_sort_block_merge_config_selectorIiiEEZZNS1_27merge_sort_block_merge_implIS3_N6thrust23THRUST_200600_302600_NS6detail15normal_iteratorINS8_10device_ptrIiEEEESD_jNS1_19radix_merge_compareILb0ELb0EiNS0_19identity_decomposerEEEEE10hipError_tT0_T1_T2_jT3_P12ihipStream_tbPNSt15iterator_traitsISI_E10value_typeEPNSO_ISJ_E10value_typeEPSK_NS1_7vsmem_tEENKUlT_SI_SJ_SK_E_clISD_PiSD_S10_EESH_SX_SI_SJ_SK_EUlSX_E1_NS1_11comp_targetILNS1_3genE3ELNS1_11target_archE908ELNS1_3gpuE7ELNS1_3repE0EEENS1_36merge_oddeven_config_static_selectorELNS0_4arch9wavefront6targetE1EEEvSJ_.kd
    .uniform_work_group_size: 1
    .uses_dynamic_stack: false
    .vgpr_count:     0
    .vgpr_spill_count: 0
    .wavefront_size: 64
  - .agpr_count:     0
    .args:
      - .offset:         0
        .size:           48
        .value_kind:     by_value
    .group_segment_fixed_size: 0
    .kernarg_segment_align: 8
    .kernarg_segment_size: 48
    .language:       OpenCL C
    .language_version:
      - 2
      - 0
    .max_flat_workgroup_size: 256
    .name:           _ZN7rocprim17ROCPRIM_400000_NS6detail17trampoline_kernelINS0_14default_configENS1_38merge_sort_block_merge_config_selectorIiiEEZZNS1_27merge_sort_block_merge_implIS3_N6thrust23THRUST_200600_302600_NS6detail15normal_iteratorINS8_10device_ptrIiEEEESD_jNS1_19radix_merge_compareILb0ELb0EiNS0_19identity_decomposerEEEEE10hipError_tT0_T1_T2_jT3_P12ihipStream_tbPNSt15iterator_traitsISI_E10value_typeEPNSO_ISJ_E10value_typeEPSK_NS1_7vsmem_tEENKUlT_SI_SJ_SK_E_clISD_PiSD_S10_EESH_SX_SI_SJ_SK_EUlSX_E1_NS1_11comp_targetILNS1_3genE2ELNS1_11target_archE906ELNS1_3gpuE6ELNS1_3repE0EEENS1_36merge_oddeven_config_static_selectorELNS0_4arch9wavefront6targetE1EEEvSJ_
    .private_segment_fixed_size: 0
    .sgpr_count:     6
    .sgpr_spill_count: 0
    .symbol:         _ZN7rocprim17ROCPRIM_400000_NS6detail17trampoline_kernelINS0_14default_configENS1_38merge_sort_block_merge_config_selectorIiiEEZZNS1_27merge_sort_block_merge_implIS3_N6thrust23THRUST_200600_302600_NS6detail15normal_iteratorINS8_10device_ptrIiEEEESD_jNS1_19radix_merge_compareILb0ELb0EiNS0_19identity_decomposerEEEEE10hipError_tT0_T1_T2_jT3_P12ihipStream_tbPNSt15iterator_traitsISI_E10value_typeEPNSO_ISJ_E10value_typeEPSK_NS1_7vsmem_tEENKUlT_SI_SJ_SK_E_clISD_PiSD_S10_EESH_SX_SI_SJ_SK_EUlSX_E1_NS1_11comp_targetILNS1_3genE2ELNS1_11target_archE906ELNS1_3gpuE6ELNS1_3repE0EEENS1_36merge_oddeven_config_static_selectorELNS0_4arch9wavefront6targetE1EEEvSJ_.kd
    .uniform_work_group_size: 1
    .uses_dynamic_stack: false
    .vgpr_count:     0
    .vgpr_spill_count: 0
    .wavefront_size: 64
  - .agpr_count:     0
    .args:
      - .offset:         0
        .size:           48
        .value_kind:     by_value
    .group_segment_fixed_size: 0
    .kernarg_segment_align: 8
    .kernarg_segment_size: 48
    .language:       OpenCL C
    .language_version:
      - 2
      - 0
    .max_flat_workgroup_size: 256
    .name:           _ZN7rocprim17ROCPRIM_400000_NS6detail17trampoline_kernelINS0_14default_configENS1_38merge_sort_block_merge_config_selectorIiiEEZZNS1_27merge_sort_block_merge_implIS3_N6thrust23THRUST_200600_302600_NS6detail15normal_iteratorINS8_10device_ptrIiEEEESD_jNS1_19radix_merge_compareILb0ELb0EiNS0_19identity_decomposerEEEEE10hipError_tT0_T1_T2_jT3_P12ihipStream_tbPNSt15iterator_traitsISI_E10value_typeEPNSO_ISJ_E10value_typeEPSK_NS1_7vsmem_tEENKUlT_SI_SJ_SK_E_clISD_PiSD_S10_EESH_SX_SI_SJ_SK_EUlSX_E1_NS1_11comp_targetILNS1_3genE9ELNS1_11target_archE1100ELNS1_3gpuE3ELNS1_3repE0EEENS1_36merge_oddeven_config_static_selectorELNS0_4arch9wavefront6targetE1EEEvSJ_
    .private_segment_fixed_size: 0
    .sgpr_count:     6
    .sgpr_spill_count: 0
    .symbol:         _ZN7rocprim17ROCPRIM_400000_NS6detail17trampoline_kernelINS0_14default_configENS1_38merge_sort_block_merge_config_selectorIiiEEZZNS1_27merge_sort_block_merge_implIS3_N6thrust23THRUST_200600_302600_NS6detail15normal_iteratorINS8_10device_ptrIiEEEESD_jNS1_19radix_merge_compareILb0ELb0EiNS0_19identity_decomposerEEEEE10hipError_tT0_T1_T2_jT3_P12ihipStream_tbPNSt15iterator_traitsISI_E10value_typeEPNSO_ISJ_E10value_typeEPSK_NS1_7vsmem_tEENKUlT_SI_SJ_SK_E_clISD_PiSD_S10_EESH_SX_SI_SJ_SK_EUlSX_E1_NS1_11comp_targetILNS1_3genE9ELNS1_11target_archE1100ELNS1_3gpuE3ELNS1_3repE0EEENS1_36merge_oddeven_config_static_selectorELNS0_4arch9wavefront6targetE1EEEvSJ_.kd
    .uniform_work_group_size: 1
    .uses_dynamic_stack: false
    .vgpr_count:     0
    .vgpr_spill_count: 0
    .wavefront_size: 64
  - .agpr_count:     0
    .args:
      - .offset:         0
        .size:           48
        .value_kind:     by_value
    .group_segment_fixed_size: 0
    .kernarg_segment_align: 8
    .kernarg_segment_size: 48
    .language:       OpenCL C
    .language_version:
      - 2
      - 0
    .max_flat_workgroup_size: 256
    .name:           _ZN7rocprim17ROCPRIM_400000_NS6detail17trampoline_kernelINS0_14default_configENS1_38merge_sort_block_merge_config_selectorIiiEEZZNS1_27merge_sort_block_merge_implIS3_N6thrust23THRUST_200600_302600_NS6detail15normal_iteratorINS8_10device_ptrIiEEEESD_jNS1_19radix_merge_compareILb0ELb0EiNS0_19identity_decomposerEEEEE10hipError_tT0_T1_T2_jT3_P12ihipStream_tbPNSt15iterator_traitsISI_E10value_typeEPNSO_ISJ_E10value_typeEPSK_NS1_7vsmem_tEENKUlT_SI_SJ_SK_E_clISD_PiSD_S10_EESH_SX_SI_SJ_SK_EUlSX_E1_NS1_11comp_targetILNS1_3genE8ELNS1_11target_archE1030ELNS1_3gpuE2ELNS1_3repE0EEENS1_36merge_oddeven_config_static_selectorELNS0_4arch9wavefront6targetE1EEEvSJ_
    .private_segment_fixed_size: 0
    .sgpr_count:     6
    .sgpr_spill_count: 0
    .symbol:         _ZN7rocprim17ROCPRIM_400000_NS6detail17trampoline_kernelINS0_14default_configENS1_38merge_sort_block_merge_config_selectorIiiEEZZNS1_27merge_sort_block_merge_implIS3_N6thrust23THRUST_200600_302600_NS6detail15normal_iteratorINS8_10device_ptrIiEEEESD_jNS1_19radix_merge_compareILb0ELb0EiNS0_19identity_decomposerEEEEE10hipError_tT0_T1_T2_jT3_P12ihipStream_tbPNSt15iterator_traitsISI_E10value_typeEPNSO_ISJ_E10value_typeEPSK_NS1_7vsmem_tEENKUlT_SI_SJ_SK_E_clISD_PiSD_S10_EESH_SX_SI_SJ_SK_EUlSX_E1_NS1_11comp_targetILNS1_3genE8ELNS1_11target_archE1030ELNS1_3gpuE2ELNS1_3repE0EEENS1_36merge_oddeven_config_static_selectorELNS0_4arch9wavefront6targetE1EEEvSJ_.kd
    .uniform_work_group_size: 1
    .uses_dynamic_stack: false
    .vgpr_count:     0
    .vgpr_spill_count: 0
    .wavefront_size: 64
  - .agpr_count:     0
    .args:
      - .offset:         0
        .size:           40
        .value_kind:     by_value
    .group_segment_fixed_size: 0
    .kernarg_segment_align: 8
    .kernarg_segment_size: 40
    .language:       OpenCL C
    .language_version:
      - 2
      - 0
    .max_flat_workgroup_size: 128
    .name:           _ZN7rocprim17ROCPRIM_400000_NS6detail17trampoline_kernelINS0_14default_configENS1_38merge_sort_block_merge_config_selectorIiiEEZZNS1_27merge_sort_block_merge_implIS3_N6thrust23THRUST_200600_302600_NS6detail15normal_iteratorINS8_10device_ptrIiEEEESD_jNS1_19radix_merge_compareILb0ELb1EiNS0_19identity_decomposerEEEEE10hipError_tT0_T1_T2_jT3_P12ihipStream_tbPNSt15iterator_traitsISI_E10value_typeEPNSO_ISJ_E10value_typeEPSK_NS1_7vsmem_tEENKUlT_SI_SJ_SK_E_clIPiSD_S10_SD_EESH_SX_SI_SJ_SK_EUlSX_E_NS1_11comp_targetILNS1_3genE0ELNS1_11target_archE4294967295ELNS1_3gpuE0ELNS1_3repE0EEENS1_48merge_mergepath_partition_config_static_selectorELNS0_4arch9wavefront6targetE1EEEvSJ_
    .private_segment_fixed_size: 0
    .sgpr_count:     16
    .sgpr_spill_count: 0
    .symbol:         _ZN7rocprim17ROCPRIM_400000_NS6detail17trampoline_kernelINS0_14default_configENS1_38merge_sort_block_merge_config_selectorIiiEEZZNS1_27merge_sort_block_merge_implIS3_N6thrust23THRUST_200600_302600_NS6detail15normal_iteratorINS8_10device_ptrIiEEEESD_jNS1_19radix_merge_compareILb0ELb1EiNS0_19identity_decomposerEEEEE10hipError_tT0_T1_T2_jT3_P12ihipStream_tbPNSt15iterator_traitsISI_E10value_typeEPNSO_ISJ_E10value_typeEPSK_NS1_7vsmem_tEENKUlT_SI_SJ_SK_E_clIPiSD_S10_SD_EESH_SX_SI_SJ_SK_EUlSX_E_NS1_11comp_targetILNS1_3genE0ELNS1_11target_archE4294967295ELNS1_3gpuE0ELNS1_3repE0EEENS1_48merge_mergepath_partition_config_static_selectorELNS0_4arch9wavefront6targetE1EEEvSJ_.kd
    .uniform_work_group_size: 1
    .uses_dynamic_stack: false
    .vgpr_count:     17
    .vgpr_spill_count: 0
    .wavefront_size: 64
  - .agpr_count:     0
    .args:
      - .offset:         0
        .size:           40
        .value_kind:     by_value
    .group_segment_fixed_size: 0
    .kernarg_segment_align: 8
    .kernarg_segment_size: 40
    .language:       OpenCL C
    .language_version:
      - 2
      - 0
    .max_flat_workgroup_size: 128
    .name:           _ZN7rocprim17ROCPRIM_400000_NS6detail17trampoline_kernelINS0_14default_configENS1_38merge_sort_block_merge_config_selectorIiiEEZZNS1_27merge_sort_block_merge_implIS3_N6thrust23THRUST_200600_302600_NS6detail15normal_iteratorINS8_10device_ptrIiEEEESD_jNS1_19radix_merge_compareILb0ELb1EiNS0_19identity_decomposerEEEEE10hipError_tT0_T1_T2_jT3_P12ihipStream_tbPNSt15iterator_traitsISI_E10value_typeEPNSO_ISJ_E10value_typeEPSK_NS1_7vsmem_tEENKUlT_SI_SJ_SK_E_clIPiSD_S10_SD_EESH_SX_SI_SJ_SK_EUlSX_E_NS1_11comp_targetILNS1_3genE10ELNS1_11target_archE1201ELNS1_3gpuE5ELNS1_3repE0EEENS1_48merge_mergepath_partition_config_static_selectorELNS0_4arch9wavefront6targetE1EEEvSJ_
    .private_segment_fixed_size: 0
    .sgpr_count:     6
    .sgpr_spill_count: 0
    .symbol:         _ZN7rocprim17ROCPRIM_400000_NS6detail17trampoline_kernelINS0_14default_configENS1_38merge_sort_block_merge_config_selectorIiiEEZZNS1_27merge_sort_block_merge_implIS3_N6thrust23THRUST_200600_302600_NS6detail15normal_iteratorINS8_10device_ptrIiEEEESD_jNS1_19radix_merge_compareILb0ELb1EiNS0_19identity_decomposerEEEEE10hipError_tT0_T1_T2_jT3_P12ihipStream_tbPNSt15iterator_traitsISI_E10value_typeEPNSO_ISJ_E10value_typeEPSK_NS1_7vsmem_tEENKUlT_SI_SJ_SK_E_clIPiSD_S10_SD_EESH_SX_SI_SJ_SK_EUlSX_E_NS1_11comp_targetILNS1_3genE10ELNS1_11target_archE1201ELNS1_3gpuE5ELNS1_3repE0EEENS1_48merge_mergepath_partition_config_static_selectorELNS0_4arch9wavefront6targetE1EEEvSJ_.kd
    .uniform_work_group_size: 1
    .uses_dynamic_stack: false
    .vgpr_count:     0
    .vgpr_spill_count: 0
    .wavefront_size: 64
  - .agpr_count:     0
    .args:
      - .offset:         0
        .size:           40
        .value_kind:     by_value
    .group_segment_fixed_size: 0
    .kernarg_segment_align: 8
    .kernarg_segment_size: 40
    .language:       OpenCL C
    .language_version:
      - 2
      - 0
    .max_flat_workgroup_size: 128
    .name:           _ZN7rocprim17ROCPRIM_400000_NS6detail17trampoline_kernelINS0_14default_configENS1_38merge_sort_block_merge_config_selectorIiiEEZZNS1_27merge_sort_block_merge_implIS3_N6thrust23THRUST_200600_302600_NS6detail15normal_iteratorINS8_10device_ptrIiEEEESD_jNS1_19radix_merge_compareILb0ELb1EiNS0_19identity_decomposerEEEEE10hipError_tT0_T1_T2_jT3_P12ihipStream_tbPNSt15iterator_traitsISI_E10value_typeEPNSO_ISJ_E10value_typeEPSK_NS1_7vsmem_tEENKUlT_SI_SJ_SK_E_clIPiSD_S10_SD_EESH_SX_SI_SJ_SK_EUlSX_E_NS1_11comp_targetILNS1_3genE5ELNS1_11target_archE942ELNS1_3gpuE9ELNS1_3repE0EEENS1_48merge_mergepath_partition_config_static_selectorELNS0_4arch9wavefront6targetE1EEEvSJ_
    .private_segment_fixed_size: 0
    .sgpr_count:     6
    .sgpr_spill_count: 0
    .symbol:         _ZN7rocprim17ROCPRIM_400000_NS6detail17trampoline_kernelINS0_14default_configENS1_38merge_sort_block_merge_config_selectorIiiEEZZNS1_27merge_sort_block_merge_implIS3_N6thrust23THRUST_200600_302600_NS6detail15normal_iteratorINS8_10device_ptrIiEEEESD_jNS1_19radix_merge_compareILb0ELb1EiNS0_19identity_decomposerEEEEE10hipError_tT0_T1_T2_jT3_P12ihipStream_tbPNSt15iterator_traitsISI_E10value_typeEPNSO_ISJ_E10value_typeEPSK_NS1_7vsmem_tEENKUlT_SI_SJ_SK_E_clIPiSD_S10_SD_EESH_SX_SI_SJ_SK_EUlSX_E_NS1_11comp_targetILNS1_3genE5ELNS1_11target_archE942ELNS1_3gpuE9ELNS1_3repE0EEENS1_48merge_mergepath_partition_config_static_selectorELNS0_4arch9wavefront6targetE1EEEvSJ_.kd
    .uniform_work_group_size: 1
    .uses_dynamic_stack: false
    .vgpr_count:     0
    .vgpr_spill_count: 0
    .wavefront_size: 64
  - .agpr_count:     0
    .args:
      - .offset:         0
        .size:           40
        .value_kind:     by_value
    .group_segment_fixed_size: 0
    .kernarg_segment_align: 8
    .kernarg_segment_size: 40
    .language:       OpenCL C
    .language_version:
      - 2
      - 0
    .max_flat_workgroup_size: 128
    .name:           _ZN7rocprim17ROCPRIM_400000_NS6detail17trampoline_kernelINS0_14default_configENS1_38merge_sort_block_merge_config_selectorIiiEEZZNS1_27merge_sort_block_merge_implIS3_N6thrust23THRUST_200600_302600_NS6detail15normal_iteratorINS8_10device_ptrIiEEEESD_jNS1_19radix_merge_compareILb0ELb1EiNS0_19identity_decomposerEEEEE10hipError_tT0_T1_T2_jT3_P12ihipStream_tbPNSt15iterator_traitsISI_E10value_typeEPNSO_ISJ_E10value_typeEPSK_NS1_7vsmem_tEENKUlT_SI_SJ_SK_E_clIPiSD_S10_SD_EESH_SX_SI_SJ_SK_EUlSX_E_NS1_11comp_targetILNS1_3genE4ELNS1_11target_archE910ELNS1_3gpuE8ELNS1_3repE0EEENS1_48merge_mergepath_partition_config_static_selectorELNS0_4arch9wavefront6targetE1EEEvSJ_
    .private_segment_fixed_size: 0
    .sgpr_count:     6
    .sgpr_spill_count: 0
    .symbol:         _ZN7rocprim17ROCPRIM_400000_NS6detail17trampoline_kernelINS0_14default_configENS1_38merge_sort_block_merge_config_selectorIiiEEZZNS1_27merge_sort_block_merge_implIS3_N6thrust23THRUST_200600_302600_NS6detail15normal_iteratorINS8_10device_ptrIiEEEESD_jNS1_19radix_merge_compareILb0ELb1EiNS0_19identity_decomposerEEEEE10hipError_tT0_T1_T2_jT3_P12ihipStream_tbPNSt15iterator_traitsISI_E10value_typeEPNSO_ISJ_E10value_typeEPSK_NS1_7vsmem_tEENKUlT_SI_SJ_SK_E_clIPiSD_S10_SD_EESH_SX_SI_SJ_SK_EUlSX_E_NS1_11comp_targetILNS1_3genE4ELNS1_11target_archE910ELNS1_3gpuE8ELNS1_3repE0EEENS1_48merge_mergepath_partition_config_static_selectorELNS0_4arch9wavefront6targetE1EEEvSJ_.kd
    .uniform_work_group_size: 1
    .uses_dynamic_stack: false
    .vgpr_count:     0
    .vgpr_spill_count: 0
    .wavefront_size: 64
  - .agpr_count:     0
    .args:
      - .offset:         0
        .size:           40
        .value_kind:     by_value
    .group_segment_fixed_size: 0
    .kernarg_segment_align: 8
    .kernarg_segment_size: 40
    .language:       OpenCL C
    .language_version:
      - 2
      - 0
    .max_flat_workgroup_size: 128
    .name:           _ZN7rocprim17ROCPRIM_400000_NS6detail17trampoline_kernelINS0_14default_configENS1_38merge_sort_block_merge_config_selectorIiiEEZZNS1_27merge_sort_block_merge_implIS3_N6thrust23THRUST_200600_302600_NS6detail15normal_iteratorINS8_10device_ptrIiEEEESD_jNS1_19radix_merge_compareILb0ELb1EiNS0_19identity_decomposerEEEEE10hipError_tT0_T1_T2_jT3_P12ihipStream_tbPNSt15iterator_traitsISI_E10value_typeEPNSO_ISJ_E10value_typeEPSK_NS1_7vsmem_tEENKUlT_SI_SJ_SK_E_clIPiSD_S10_SD_EESH_SX_SI_SJ_SK_EUlSX_E_NS1_11comp_targetILNS1_3genE3ELNS1_11target_archE908ELNS1_3gpuE7ELNS1_3repE0EEENS1_48merge_mergepath_partition_config_static_selectorELNS0_4arch9wavefront6targetE1EEEvSJ_
    .private_segment_fixed_size: 0
    .sgpr_count:     6
    .sgpr_spill_count: 0
    .symbol:         _ZN7rocprim17ROCPRIM_400000_NS6detail17trampoline_kernelINS0_14default_configENS1_38merge_sort_block_merge_config_selectorIiiEEZZNS1_27merge_sort_block_merge_implIS3_N6thrust23THRUST_200600_302600_NS6detail15normal_iteratorINS8_10device_ptrIiEEEESD_jNS1_19radix_merge_compareILb0ELb1EiNS0_19identity_decomposerEEEEE10hipError_tT0_T1_T2_jT3_P12ihipStream_tbPNSt15iterator_traitsISI_E10value_typeEPNSO_ISJ_E10value_typeEPSK_NS1_7vsmem_tEENKUlT_SI_SJ_SK_E_clIPiSD_S10_SD_EESH_SX_SI_SJ_SK_EUlSX_E_NS1_11comp_targetILNS1_3genE3ELNS1_11target_archE908ELNS1_3gpuE7ELNS1_3repE0EEENS1_48merge_mergepath_partition_config_static_selectorELNS0_4arch9wavefront6targetE1EEEvSJ_.kd
    .uniform_work_group_size: 1
    .uses_dynamic_stack: false
    .vgpr_count:     0
    .vgpr_spill_count: 0
    .wavefront_size: 64
  - .agpr_count:     0
    .args:
      - .offset:         0
        .size:           40
        .value_kind:     by_value
    .group_segment_fixed_size: 0
    .kernarg_segment_align: 8
    .kernarg_segment_size: 40
    .language:       OpenCL C
    .language_version:
      - 2
      - 0
    .max_flat_workgroup_size: 128
    .name:           _ZN7rocprim17ROCPRIM_400000_NS6detail17trampoline_kernelINS0_14default_configENS1_38merge_sort_block_merge_config_selectorIiiEEZZNS1_27merge_sort_block_merge_implIS3_N6thrust23THRUST_200600_302600_NS6detail15normal_iteratorINS8_10device_ptrIiEEEESD_jNS1_19radix_merge_compareILb0ELb1EiNS0_19identity_decomposerEEEEE10hipError_tT0_T1_T2_jT3_P12ihipStream_tbPNSt15iterator_traitsISI_E10value_typeEPNSO_ISJ_E10value_typeEPSK_NS1_7vsmem_tEENKUlT_SI_SJ_SK_E_clIPiSD_S10_SD_EESH_SX_SI_SJ_SK_EUlSX_E_NS1_11comp_targetILNS1_3genE2ELNS1_11target_archE906ELNS1_3gpuE6ELNS1_3repE0EEENS1_48merge_mergepath_partition_config_static_selectorELNS0_4arch9wavefront6targetE1EEEvSJ_
    .private_segment_fixed_size: 0
    .sgpr_count:     6
    .sgpr_spill_count: 0
    .symbol:         _ZN7rocprim17ROCPRIM_400000_NS6detail17trampoline_kernelINS0_14default_configENS1_38merge_sort_block_merge_config_selectorIiiEEZZNS1_27merge_sort_block_merge_implIS3_N6thrust23THRUST_200600_302600_NS6detail15normal_iteratorINS8_10device_ptrIiEEEESD_jNS1_19radix_merge_compareILb0ELb1EiNS0_19identity_decomposerEEEEE10hipError_tT0_T1_T2_jT3_P12ihipStream_tbPNSt15iterator_traitsISI_E10value_typeEPNSO_ISJ_E10value_typeEPSK_NS1_7vsmem_tEENKUlT_SI_SJ_SK_E_clIPiSD_S10_SD_EESH_SX_SI_SJ_SK_EUlSX_E_NS1_11comp_targetILNS1_3genE2ELNS1_11target_archE906ELNS1_3gpuE6ELNS1_3repE0EEENS1_48merge_mergepath_partition_config_static_selectorELNS0_4arch9wavefront6targetE1EEEvSJ_.kd
    .uniform_work_group_size: 1
    .uses_dynamic_stack: false
    .vgpr_count:     0
    .vgpr_spill_count: 0
    .wavefront_size: 64
  - .agpr_count:     0
    .args:
      - .offset:         0
        .size:           40
        .value_kind:     by_value
    .group_segment_fixed_size: 0
    .kernarg_segment_align: 8
    .kernarg_segment_size: 40
    .language:       OpenCL C
    .language_version:
      - 2
      - 0
    .max_flat_workgroup_size: 128
    .name:           _ZN7rocprim17ROCPRIM_400000_NS6detail17trampoline_kernelINS0_14default_configENS1_38merge_sort_block_merge_config_selectorIiiEEZZNS1_27merge_sort_block_merge_implIS3_N6thrust23THRUST_200600_302600_NS6detail15normal_iteratorINS8_10device_ptrIiEEEESD_jNS1_19radix_merge_compareILb0ELb1EiNS0_19identity_decomposerEEEEE10hipError_tT0_T1_T2_jT3_P12ihipStream_tbPNSt15iterator_traitsISI_E10value_typeEPNSO_ISJ_E10value_typeEPSK_NS1_7vsmem_tEENKUlT_SI_SJ_SK_E_clIPiSD_S10_SD_EESH_SX_SI_SJ_SK_EUlSX_E_NS1_11comp_targetILNS1_3genE9ELNS1_11target_archE1100ELNS1_3gpuE3ELNS1_3repE0EEENS1_48merge_mergepath_partition_config_static_selectorELNS0_4arch9wavefront6targetE1EEEvSJ_
    .private_segment_fixed_size: 0
    .sgpr_count:     6
    .sgpr_spill_count: 0
    .symbol:         _ZN7rocprim17ROCPRIM_400000_NS6detail17trampoline_kernelINS0_14default_configENS1_38merge_sort_block_merge_config_selectorIiiEEZZNS1_27merge_sort_block_merge_implIS3_N6thrust23THRUST_200600_302600_NS6detail15normal_iteratorINS8_10device_ptrIiEEEESD_jNS1_19radix_merge_compareILb0ELb1EiNS0_19identity_decomposerEEEEE10hipError_tT0_T1_T2_jT3_P12ihipStream_tbPNSt15iterator_traitsISI_E10value_typeEPNSO_ISJ_E10value_typeEPSK_NS1_7vsmem_tEENKUlT_SI_SJ_SK_E_clIPiSD_S10_SD_EESH_SX_SI_SJ_SK_EUlSX_E_NS1_11comp_targetILNS1_3genE9ELNS1_11target_archE1100ELNS1_3gpuE3ELNS1_3repE0EEENS1_48merge_mergepath_partition_config_static_selectorELNS0_4arch9wavefront6targetE1EEEvSJ_.kd
    .uniform_work_group_size: 1
    .uses_dynamic_stack: false
    .vgpr_count:     0
    .vgpr_spill_count: 0
    .wavefront_size: 64
  - .agpr_count:     0
    .args:
      - .offset:         0
        .size:           40
        .value_kind:     by_value
    .group_segment_fixed_size: 0
    .kernarg_segment_align: 8
    .kernarg_segment_size: 40
    .language:       OpenCL C
    .language_version:
      - 2
      - 0
    .max_flat_workgroup_size: 128
    .name:           _ZN7rocprim17ROCPRIM_400000_NS6detail17trampoline_kernelINS0_14default_configENS1_38merge_sort_block_merge_config_selectorIiiEEZZNS1_27merge_sort_block_merge_implIS3_N6thrust23THRUST_200600_302600_NS6detail15normal_iteratorINS8_10device_ptrIiEEEESD_jNS1_19radix_merge_compareILb0ELb1EiNS0_19identity_decomposerEEEEE10hipError_tT0_T1_T2_jT3_P12ihipStream_tbPNSt15iterator_traitsISI_E10value_typeEPNSO_ISJ_E10value_typeEPSK_NS1_7vsmem_tEENKUlT_SI_SJ_SK_E_clIPiSD_S10_SD_EESH_SX_SI_SJ_SK_EUlSX_E_NS1_11comp_targetILNS1_3genE8ELNS1_11target_archE1030ELNS1_3gpuE2ELNS1_3repE0EEENS1_48merge_mergepath_partition_config_static_selectorELNS0_4arch9wavefront6targetE1EEEvSJ_
    .private_segment_fixed_size: 0
    .sgpr_count:     6
    .sgpr_spill_count: 0
    .symbol:         _ZN7rocprim17ROCPRIM_400000_NS6detail17trampoline_kernelINS0_14default_configENS1_38merge_sort_block_merge_config_selectorIiiEEZZNS1_27merge_sort_block_merge_implIS3_N6thrust23THRUST_200600_302600_NS6detail15normal_iteratorINS8_10device_ptrIiEEEESD_jNS1_19radix_merge_compareILb0ELb1EiNS0_19identity_decomposerEEEEE10hipError_tT0_T1_T2_jT3_P12ihipStream_tbPNSt15iterator_traitsISI_E10value_typeEPNSO_ISJ_E10value_typeEPSK_NS1_7vsmem_tEENKUlT_SI_SJ_SK_E_clIPiSD_S10_SD_EESH_SX_SI_SJ_SK_EUlSX_E_NS1_11comp_targetILNS1_3genE8ELNS1_11target_archE1030ELNS1_3gpuE2ELNS1_3repE0EEENS1_48merge_mergepath_partition_config_static_selectorELNS0_4arch9wavefront6targetE1EEEvSJ_.kd
    .uniform_work_group_size: 1
    .uses_dynamic_stack: false
    .vgpr_count:     0
    .vgpr_spill_count: 0
    .wavefront_size: 64
  - .agpr_count:     0
    .args:
      - .offset:         0
        .size:           64
        .value_kind:     by_value
      - .offset:         64
        .size:           4
        .value_kind:     hidden_block_count_x
      - .offset:         68
        .size:           4
        .value_kind:     hidden_block_count_y
      - .offset:         72
        .size:           4
        .value_kind:     hidden_block_count_z
      - .offset:         76
        .size:           2
        .value_kind:     hidden_group_size_x
      - .offset:         78
        .size:           2
        .value_kind:     hidden_group_size_y
      - .offset:         80
        .size:           2
        .value_kind:     hidden_group_size_z
      - .offset:         82
        .size:           2
        .value_kind:     hidden_remainder_x
      - .offset:         84
        .size:           2
        .value_kind:     hidden_remainder_y
      - .offset:         86
        .size:           2
        .value_kind:     hidden_remainder_z
      - .offset:         104
        .size:           8
        .value_kind:     hidden_global_offset_x
      - .offset:         112
        .size:           8
        .value_kind:     hidden_global_offset_y
      - .offset:         120
        .size:           8
        .value_kind:     hidden_global_offset_z
      - .offset:         128
        .size:           2
        .value_kind:     hidden_grid_dims
    .group_segment_fixed_size: 4224
    .kernarg_segment_align: 8
    .kernarg_segment_size: 320
    .language:       OpenCL C
    .language_version:
      - 2
      - 0
    .max_flat_workgroup_size: 256
    .name:           _ZN7rocprim17ROCPRIM_400000_NS6detail17trampoline_kernelINS0_14default_configENS1_38merge_sort_block_merge_config_selectorIiiEEZZNS1_27merge_sort_block_merge_implIS3_N6thrust23THRUST_200600_302600_NS6detail15normal_iteratorINS8_10device_ptrIiEEEESD_jNS1_19radix_merge_compareILb0ELb1EiNS0_19identity_decomposerEEEEE10hipError_tT0_T1_T2_jT3_P12ihipStream_tbPNSt15iterator_traitsISI_E10value_typeEPNSO_ISJ_E10value_typeEPSK_NS1_7vsmem_tEENKUlT_SI_SJ_SK_E_clIPiSD_S10_SD_EESH_SX_SI_SJ_SK_EUlSX_E0_NS1_11comp_targetILNS1_3genE0ELNS1_11target_archE4294967295ELNS1_3gpuE0ELNS1_3repE0EEENS1_38merge_mergepath_config_static_selectorELNS0_4arch9wavefront6targetE1EEEvSJ_
    .private_segment_fixed_size: 0
    .sgpr_count:     37
    .sgpr_spill_count: 0
    .symbol:         _ZN7rocprim17ROCPRIM_400000_NS6detail17trampoline_kernelINS0_14default_configENS1_38merge_sort_block_merge_config_selectorIiiEEZZNS1_27merge_sort_block_merge_implIS3_N6thrust23THRUST_200600_302600_NS6detail15normal_iteratorINS8_10device_ptrIiEEEESD_jNS1_19radix_merge_compareILb0ELb1EiNS0_19identity_decomposerEEEEE10hipError_tT0_T1_T2_jT3_P12ihipStream_tbPNSt15iterator_traitsISI_E10value_typeEPNSO_ISJ_E10value_typeEPSK_NS1_7vsmem_tEENKUlT_SI_SJ_SK_E_clIPiSD_S10_SD_EESH_SX_SI_SJ_SK_EUlSX_E0_NS1_11comp_targetILNS1_3genE0ELNS1_11target_archE4294967295ELNS1_3gpuE0ELNS1_3repE0EEENS1_38merge_mergepath_config_static_selectorELNS0_4arch9wavefront6targetE1EEEvSJ_.kd
    .uniform_work_group_size: 1
    .uses_dynamic_stack: false
    .vgpr_count:     20
    .vgpr_spill_count: 0
    .wavefront_size: 64
  - .agpr_count:     0
    .args:
      - .offset:         0
        .size:           64
        .value_kind:     by_value
    .group_segment_fixed_size: 0
    .kernarg_segment_align: 8
    .kernarg_segment_size: 64
    .language:       OpenCL C
    .language_version:
      - 2
      - 0
    .max_flat_workgroup_size: 256
    .name:           _ZN7rocprim17ROCPRIM_400000_NS6detail17trampoline_kernelINS0_14default_configENS1_38merge_sort_block_merge_config_selectorIiiEEZZNS1_27merge_sort_block_merge_implIS3_N6thrust23THRUST_200600_302600_NS6detail15normal_iteratorINS8_10device_ptrIiEEEESD_jNS1_19radix_merge_compareILb0ELb1EiNS0_19identity_decomposerEEEEE10hipError_tT0_T1_T2_jT3_P12ihipStream_tbPNSt15iterator_traitsISI_E10value_typeEPNSO_ISJ_E10value_typeEPSK_NS1_7vsmem_tEENKUlT_SI_SJ_SK_E_clIPiSD_S10_SD_EESH_SX_SI_SJ_SK_EUlSX_E0_NS1_11comp_targetILNS1_3genE10ELNS1_11target_archE1201ELNS1_3gpuE5ELNS1_3repE0EEENS1_38merge_mergepath_config_static_selectorELNS0_4arch9wavefront6targetE1EEEvSJ_
    .private_segment_fixed_size: 0
    .sgpr_count:     6
    .sgpr_spill_count: 0
    .symbol:         _ZN7rocprim17ROCPRIM_400000_NS6detail17trampoline_kernelINS0_14default_configENS1_38merge_sort_block_merge_config_selectorIiiEEZZNS1_27merge_sort_block_merge_implIS3_N6thrust23THRUST_200600_302600_NS6detail15normal_iteratorINS8_10device_ptrIiEEEESD_jNS1_19radix_merge_compareILb0ELb1EiNS0_19identity_decomposerEEEEE10hipError_tT0_T1_T2_jT3_P12ihipStream_tbPNSt15iterator_traitsISI_E10value_typeEPNSO_ISJ_E10value_typeEPSK_NS1_7vsmem_tEENKUlT_SI_SJ_SK_E_clIPiSD_S10_SD_EESH_SX_SI_SJ_SK_EUlSX_E0_NS1_11comp_targetILNS1_3genE10ELNS1_11target_archE1201ELNS1_3gpuE5ELNS1_3repE0EEENS1_38merge_mergepath_config_static_selectorELNS0_4arch9wavefront6targetE1EEEvSJ_.kd
    .uniform_work_group_size: 1
    .uses_dynamic_stack: false
    .vgpr_count:     0
    .vgpr_spill_count: 0
    .wavefront_size: 64
  - .agpr_count:     0
    .args:
      - .offset:         0
        .size:           64
        .value_kind:     by_value
    .group_segment_fixed_size: 0
    .kernarg_segment_align: 8
    .kernarg_segment_size: 64
    .language:       OpenCL C
    .language_version:
      - 2
      - 0
    .max_flat_workgroup_size: 128
    .name:           _ZN7rocprim17ROCPRIM_400000_NS6detail17trampoline_kernelINS0_14default_configENS1_38merge_sort_block_merge_config_selectorIiiEEZZNS1_27merge_sort_block_merge_implIS3_N6thrust23THRUST_200600_302600_NS6detail15normal_iteratorINS8_10device_ptrIiEEEESD_jNS1_19radix_merge_compareILb0ELb1EiNS0_19identity_decomposerEEEEE10hipError_tT0_T1_T2_jT3_P12ihipStream_tbPNSt15iterator_traitsISI_E10value_typeEPNSO_ISJ_E10value_typeEPSK_NS1_7vsmem_tEENKUlT_SI_SJ_SK_E_clIPiSD_S10_SD_EESH_SX_SI_SJ_SK_EUlSX_E0_NS1_11comp_targetILNS1_3genE5ELNS1_11target_archE942ELNS1_3gpuE9ELNS1_3repE0EEENS1_38merge_mergepath_config_static_selectorELNS0_4arch9wavefront6targetE1EEEvSJ_
    .private_segment_fixed_size: 0
    .sgpr_count:     6
    .sgpr_spill_count: 0
    .symbol:         _ZN7rocprim17ROCPRIM_400000_NS6detail17trampoline_kernelINS0_14default_configENS1_38merge_sort_block_merge_config_selectorIiiEEZZNS1_27merge_sort_block_merge_implIS3_N6thrust23THRUST_200600_302600_NS6detail15normal_iteratorINS8_10device_ptrIiEEEESD_jNS1_19radix_merge_compareILb0ELb1EiNS0_19identity_decomposerEEEEE10hipError_tT0_T1_T2_jT3_P12ihipStream_tbPNSt15iterator_traitsISI_E10value_typeEPNSO_ISJ_E10value_typeEPSK_NS1_7vsmem_tEENKUlT_SI_SJ_SK_E_clIPiSD_S10_SD_EESH_SX_SI_SJ_SK_EUlSX_E0_NS1_11comp_targetILNS1_3genE5ELNS1_11target_archE942ELNS1_3gpuE9ELNS1_3repE0EEENS1_38merge_mergepath_config_static_selectorELNS0_4arch9wavefront6targetE1EEEvSJ_.kd
    .uniform_work_group_size: 1
    .uses_dynamic_stack: false
    .vgpr_count:     0
    .vgpr_spill_count: 0
    .wavefront_size: 64
  - .agpr_count:     0
    .args:
      - .offset:         0
        .size:           64
        .value_kind:     by_value
    .group_segment_fixed_size: 0
    .kernarg_segment_align: 8
    .kernarg_segment_size: 64
    .language:       OpenCL C
    .language_version:
      - 2
      - 0
    .max_flat_workgroup_size: 256
    .name:           _ZN7rocprim17ROCPRIM_400000_NS6detail17trampoline_kernelINS0_14default_configENS1_38merge_sort_block_merge_config_selectorIiiEEZZNS1_27merge_sort_block_merge_implIS3_N6thrust23THRUST_200600_302600_NS6detail15normal_iteratorINS8_10device_ptrIiEEEESD_jNS1_19radix_merge_compareILb0ELb1EiNS0_19identity_decomposerEEEEE10hipError_tT0_T1_T2_jT3_P12ihipStream_tbPNSt15iterator_traitsISI_E10value_typeEPNSO_ISJ_E10value_typeEPSK_NS1_7vsmem_tEENKUlT_SI_SJ_SK_E_clIPiSD_S10_SD_EESH_SX_SI_SJ_SK_EUlSX_E0_NS1_11comp_targetILNS1_3genE4ELNS1_11target_archE910ELNS1_3gpuE8ELNS1_3repE0EEENS1_38merge_mergepath_config_static_selectorELNS0_4arch9wavefront6targetE1EEEvSJ_
    .private_segment_fixed_size: 0
    .sgpr_count:     6
    .sgpr_spill_count: 0
    .symbol:         _ZN7rocprim17ROCPRIM_400000_NS6detail17trampoline_kernelINS0_14default_configENS1_38merge_sort_block_merge_config_selectorIiiEEZZNS1_27merge_sort_block_merge_implIS3_N6thrust23THRUST_200600_302600_NS6detail15normal_iteratorINS8_10device_ptrIiEEEESD_jNS1_19radix_merge_compareILb0ELb1EiNS0_19identity_decomposerEEEEE10hipError_tT0_T1_T2_jT3_P12ihipStream_tbPNSt15iterator_traitsISI_E10value_typeEPNSO_ISJ_E10value_typeEPSK_NS1_7vsmem_tEENKUlT_SI_SJ_SK_E_clIPiSD_S10_SD_EESH_SX_SI_SJ_SK_EUlSX_E0_NS1_11comp_targetILNS1_3genE4ELNS1_11target_archE910ELNS1_3gpuE8ELNS1_3repE0EEENS1_38merge_mergepath_config_static_selectorELNS0_4arch9wavefront6targetE1EEEvSJ_.kd
    .uniform_work_group_size: 1
    .uses_dynamic_stack: false
    .vgpr_count:     0
    .vgpr_spill_count: 0
    .wavefront_size: 64
  - .agpr_count:     0
    .args:
      - .offset:         0
        .size:           64
        .value_kind:     by_value
    .group_segment_fixed_size: 0
    .kernarg_segment_align: 8
    .kernarg_segment_size: 64
    .language:       OpenCL C
    .language_version:
      - 2
      - 0
    .max_flat_workgroup_size: 256
    .name:           _ZN7rocprim17ROCPRIM_400000_NS6detail17trampoline_kernelINS0_14default_configENS1_38merge_sort_block_merge_config_selectorIiiEEZZNS1_27merge_sort_block_merge_implIS3_N6thrust23THRUST_200600_302600_NS6detail15normal_iteratorINS8_10device_ptrIiEEEESD_jNS1_19radix_merge_compareILb0ELb1EiNS0_19identity_decomposerEEEEE10hipError_tT0_T1_T2_jT3_P12ihipStream_tbPNSt15iterator_traitsISI_E10value_typeEPNSO_ISJ_E10value_typeEPSK_NS1_7vsmem_tEENKUlT_SI_SJ_SK_E_clIPiSD_S10_SD_EESH_SX_SI_SJ_SK_EUlSX_E0_NS1_11comp_targetILNS1_3genE3ELNS1_11target_archE908ELNS1_3gpuE7ELNS1_3repE0EEENS1_38merge_mergepath_config_static_selectorELNS0_4arch9wavefront6targetE1EEEvSJ_
    .private_segment_fixed_size: 0
    .sgpr_count:     6
    .sgpr_spill_count: 0
    .symbol:         _ZN7rocprim17ROCPRIM_400000_NS6detail17trampoline_kernelINS0_14default_configENS1_38merge_sort_block_merge_config_selectorIiiEEZZNS1_27merge_sort_block_merge_implIS3_N6thrust23THRUST_200600_302600_NS6detail15normal_iteratorINS8_10device_ptrIiEEEESD_jNS1_19radix_merge_compareILb0ELb1EiNS0_19identity_decomposerEEEEE10hipError_tT0_T1_T2_jT3_P12ihipStream_tbPNSt15iterator_traitsISI_E10value_typeEPNSO_ISJ_E10value_typeEPSK_NS1_7vsmem_tEENKUlT_SI_SJ_SK_E_clIPiSD_S10_SD_EESH_SX_SI_SJ_SK_EUlSX_E0_NS1_11comp_targetILNS1_3genE3ELNS1_11target_archE908ELNS1_3gpuE7ELNS1_3repE0EEENS1_38merge_mergepath_config_static_selectorELNS0_4arch9wavefront6targetE1EEEvSJ_.kd
    .uniform_work_group_size: 1
    .uses_dynamic_stack: false
    .vgpr_count:     0
    .vgpr_spill_count: 0
    .wavefront_size: 64
  - .agpr_count:     0
    .args:
      - .offset:         0
        .size:           64
        .value_kind:     by_value
    .group_segment_fixed_size: 0
    .kernarg_segment_align: 8
    .kernarg_segment_size: 64
    .language:       OpenCL C
    .language_version:
      - 2
      - 0
    .max_flat_workgroup_size: 256
    .name:           _ZN7rocprim17ROCPRIM_400000_NS6detail17trampoline_kernelINS0_14default_configENS1_38merge_sort_block_merge_config_selectorIiiEEZZNS1_27merge_sort_block_merge_implIS3_N6thrust23THRUST_200600_302600_NS6detail15normal_iteratorINS8_10device_ptrIiEEEESD_jNS1_19radix_merge_compareILb0ELb1EiNS0_19identity_decomposerEEEEE10hipError_tT0_T1_T2_jT3_P12ihipStream_tbPNSt15iterator_traitsISI_E10value_typeEPNSO_ISJ_E10value_typeEPSK_NS1_7vsmem_tEENKUlT_SI_SJ_SK_E_clIPiSD_S10_SD_EESH_SX_SI_SJ_SK_EUlSX_E0_NS1_11comp_targetILNS1_3genE2ELNS1_11target_archE906ELNS1_3gpuE6ELNS1_3repE0EEENS1_38merge_mergepath_config_static_selectorELNS0_4arch9wavefront6targetE1EEEvSJ_
    .private_segment_fixed_size: 0
    .sgpr_count:     6
    .sgpr_spill_count: 0
    .symbol:         _ZN7rocprim17ROCPRIM_400000_NS6detail17trampoline_kernelINS0_14default_configENS1_38merge_sort_block_merge_config_selectorIiiEEZZNS1_27merge_sort_block_merge_implIS3_N6thrust23THRUST_200600_302600_NS6detail15normal_iteratorINS8_10device_ptrIiEEEESD_jNS1_19radix_merge_compareILb0ELb1EiNS0_19identity_decomposerEEEEE10hipError_tT0_T1_T2_jT3_P12ihipStream_tbPNSt15iterator_traitsISI_E10value_typeEPNSO_ISJ_E10value_typeEPSK_NS1_7vsmem_tEENKUlT_SI_SJ_SK_E_clIPiSD_S10_SD_EESH_SX_SI_SJ_SK_EUlSX_E0_NS1_11comp_targetILNS1_3genE2ELNS1_11target_archE906ELNS1_3gpuE6ELNS1_3repE0EEENS1_38merge_mergepath_config_static_selectorELNS0_4arch9wavefront6targetE1EEEvSJ_.kd
    .uniform_work_group_size: 1
    .uses_dynamic_stack: false
    .vgpr_count:     0
    .vgpr_spill_count: 0
    .wavefront_size: 64
  - .agpr_count:     0
    .args:
      - .offset:         0
        .size:           64
        .value_kind:     by_value
    .group_segment_fixed_size: 0
    .kernarg_segment_align: 8
    .kernarg_segment_size: 64
    .language:       OpenCL C
    .language_version:
      - 2
      - 0
    .max_flat_workgroup_size: 512
    .name:           _ZN7rocprim17ROCPRIM_400000_NS6detail17trampoline_kernelINS0_14default_configENS1_38merge_sort_block_merge_config_selectorIiiEEZZNS1_27merge_sort_block_merge_implIS3_N6thrust23THRUST_200600_302600_NS6detail15normal_iteratorINS8_10device_ptrIiEEEESD_jNS1_19radix_merge_compareILb0ELb1EiNS0_19identity_decomposerEEEEE10hipError_tT0_T1_T2_jT3_P12ihipStream_tbPNSt15iterator_traitsISI_E10value_typeEPNSO_ISJ_E10value_typeEPSK_NS1_7vsmem_tEENKUlT_SI_SJ_SK_E_clIPiSD_S10_SD_EESH_SX_SI_SJ_SK_EUlSX_E0_NS1_11comp_targetILNS1_3genE9ELNS1_11target_archE1100ELNS1_3gpuE3ELNS1_3repE0EEENS1_38merge_mergepath_config_static_selectorELNS0_4arch9wavefront6targetE1EEEvSJ_
    .private_segment_fixed_size: 0
    .sgpr_count:     6
    .sgpr_spill_count: 0
    .symbol:         _ZN7rocprim17ROCPRIM_400000_NS6detail17trampoline_kernelINS0_14default_configENS1_38merge_sort_block_merge_config_selectorIiiEEZZNS1_27merge_sort_block_merge_implIS3_N6thrust23THRUST_200600_302600_NS6detail15normal_iteratorINS8_10device_ptrIiEEEESD_jNS1_19radix_merge_compareILb0ELb1EiNS0_19identity_decomposerEEEEE10hipError_tT0_T1_T2_jT3_P12ihipStream_tbPNSt15iterator_traitsISI_E10value_typeEPNSO_ISJ_E10value_typeEPSK_NS1_7vsmem_tEENKUlT_SI_SJ_SK_E_clIPiSD_S10_SD_EESH_SX_SI_SJ_SK_EUlSX_E0_NS1_11comp_targetILNS1_3genE9ELNS1_11target_archE1100ELNS1_3gpuE3ELNS1_3repE0EEENS1_38merge_mergepath_config_static_selectorELNS0_4arch9wavefront6targetE1EEEvSJ_.kd
    .uniform_work_group_size: 1
    .uses_dynamic_stack: false
    .vgpr_count:     0
    .vgpr_spill_count: 0
    .wavefront_size: 64
  - .agpr_count:     0
    .args:
      - .offset:         0
        .size:           64
        .value_kind:     by_value
    .group_segment_fixed_size: 0
    .kernarg_segment_align: 8
    .kernarg_segment_size: 64
    .language:       OpenCL C
    .language_version:
      - 2
      - 0
    .max_flat_workgroup_size: 1024
    .name:           _ZN7rocprim17ROCPRIM_400000_NS6detail17trampoline_kernelINS0_14default_configENS1_38merge_sort_block_merge_config_selectorIiiEEZZNS1_27merge_sort_block_merge_implIS3_N6thrust23THRUST_200600_302600_NS6detail15normal_iteratorINS8_10device_ptrIiEEEESD_jNS1_19radix_merge_compareILb0ELb1EiNS0_19identity_decomposerEEEEE10hipError_tT0_T1_T2_jT3_P12ihipStream_tbPNSt15iterator_traitsISI_E10value_typeEPNSO_ISJ_E10value_typeEPSK_NS1_7vsmem_tEENKUlT_SI_SJ_SK_E_clIPiSD_S10_SD_EESH_SX_SI_SJ_SK_EUlSX_E0_NS1_11comp_targetILNS1_3genE8ELNS1_11target_archE1030ELNS1_3gpuE2ELNS1_3repE0EEENS1_38merge_mergepath_config_static_selectorELNS0_4arch9wavefront6targetE1EEEvSJ_
    .private_segment_fixed_size: 0
    .sgpr_count:     6
    .sgpr_spill_count: 0
    .symbol:         _ZN7rocprim17ROCPRIM_400000_NS6detail17trampoline_kernelINS0_14default_configENS1_38merge_sort_block_merge_config_selectorIiiEEZZNS1_27merge_sort_block_merge_implIS3_N6thrust23THRUST_200600_302600_NS6detail15normal_iteratorINS8_10device_ptrIiEEEESD_jNS1_19radix_merge_compareILb0ELb1EiNS0_19identity_decomposerEEEEE10hipError_tT0_T1_T2_jT3_P12ihipStream_tbPNSt15iterator_traitsISI_E10value_typeEPNSO_ISJ_E10value_typeEPSK_NS1_7vsmem_tEENKUlT_SI_SJ_SK_E_clIPiSD_S10_SD_EESH_SX_SI_SJ_SK_EUlSX_E0_NS1_11comp_targetILNS1_3genE8ELNS1_11target_archE1030ELNS1_3gpuE2ELNS1_3repE0EEENS1_38merge_mergepath_config_static_selectorELNS0_4arch9wavefront6targetE1EEEvSJ_.kd
    .uniform_work_group_size: 1
    .uses_dynamic_stack: false
    .vgpr_count:     0
    .vgpr_spill_count: 0
    .wavefront_size: 64
  - .agpr_count:     0
    .args:
      - .offset:         0
        .size:           48
        .value_kind:     by_value
    .group_segment_fixed_size: 0
    .kernarg_segment_align: 8
    .kernarg_segment_size: 48
    .language:       OpenCL C
    .language_version:
      - 2
      - 0
    .max_flat_workgroup_size: 256
    .name:           _ZN7rocprim17ROCPRIM_400000_NS6detail17trampoline_kernelINS0_14default_configENS1_38merge_sort_block_merge_config_selectorIiiEEZZNS1_27merge_sort_block_merge_implIS3_N6thrust23THRUST_200600_302600_NS6detail15normal_iteratorINS8_10device_ptrIiEEEESD_jNS1_19radix_merge_compareILb0ELb1EiNS0_19identity_decomposerEEEEE10hipError_tT0_T1_T2_jT3_P12ihipStream_tbPNSt15iterator_traitsISI_E10value_typeEPNSO_ISJ_E10value_typeEPSK_NS1_7vsmem_tEENKUlT_SI_SJ_SK_E_clIPiSD_S10_SD_EESH_SX_SI_SJ_SK_EUlSX_E1_NS1_11comp_targetILNS1_3genE0ELNS1_11target_archE4294967295ELNS1_3gpuE0ELNS1_3repE0EEENS1_36merge_oddeven_config_static_selectorELNS0_4arch9wavefront6targetE1EEEvSJ_
    .private_segment_fixed_size: 0
    .sgpr_count:     30
    .sgpr_spill_count: 0
    .symbol:         _ZN7rocprim17ROCPRIM_400000_NS6detail17trampoline_kernelINS0_14default_configENS1_38merge_sort_block_merge_config_selectorIiiEEZZNS1_27merge_sort_block_merge_implIS3_N6thrust23THRUST_200600_302600_NS6detail15normal_iteratorINS8_10device_ptrIiEEEESD_jNS1_19radix_merge_compareILb0ELb1EiNS0_19identity_decomposerEEEEE10hipError_tT0_T1_T2_jT3_P12ihipStream_tbPNSt15iterator_traitsISI_E10value_typeEPNSO_ISJ_E10value_typeEPSK_NS1_7vsmem_tEENKUlT_SI_SJ_SK_E_clIPiSD_S10_SD_EESH_SX_SI_SJ_SK_EUlSX_E1_NS1_11comp_targetILNS1_3genE0ELNS1_11target_archE4294967295ELNS1_3gpuE0ELNS1_3repE0EEENS1_36merge_oddeven_config_static_selectorELNS0_4arch9wavefront6targetE1EEEvSJ_.kd
    .uniform_work_group_size: 1
    .uses_dynamic_stack: false
    .vgpr_count:     11
    .vgpr_spill_count: 0
    .wavefront_size: 64
  - .agpr_count:     0
    .args:
      - .offset:         0
        .size:           48
        .value_kind:     by_value
    .group_segment_fixed_size: 0
    .kernarg_segment_align: 8
    .kernarg_segment_size: 48
    .language:       OpenCL C
    .language_version:
      - 2
      - 0
    .max_flat_workgroup_size: 256
    .name:           _ZN7rocprim17ROCPRIM_400000_NS6detail17trampoline_kernelINS0_14default_configENS1_38merge_sort_block_merge_config_selectorIiiEEZZNS1_27merge_sort_block_merge_implIS3_N6thrust23THRUST_200600_302600_NS6detail15normal_iteratorINS8_10device_ptrIiEEEESD_jNS1_19radix_merge_compareILb0ELb1EiNS0_19identity_decomposerEEEEE10hipError_tT0_T1_T2_jT3_P12ihipStream_tbPNSt15iterator_traitsISI_E10value_typeEPNSO_ISJ_E10value_typeEPSK_NS1_7vsmem_tEENKUlT_SI_SJ_SK_E_clIPiSD_S10_SD_EESH_SX_SI_SJ_SK_EUlSX_E1_NS1_11comp_targetILNS1_3genE10ELNS1_11target_archE1201ELNS1_3gpuE5ELNS1_3repE0EEENS1_36merge_oddeven_config_static_selectorELNS0_4arch9wavefront6targetE1EEEvSJ_
    .private_segment_fixed_size: 0
    .sgpr_count:     6
    .sgpr_spill_count: 0
    .symbol:         _ZN7rocprim17ROCPRIM_400000_NS6detail17trampoline_kernelINS0_14default_configENS1_38merge_sort_block_merge_config_selectorIiiEEZZNS1_27merge_sort_block_merge_implIS3_N6thrust23THRUST_200600_302600_NS6detail15normal_iteratorINS8_10device_ptrIiEEEESD_jNS1_19radix_merge_compareILb0ELb1EiNS0_19identity_decomposerEEEEE10hipError_tT0_T1_T2_jT3_P12ihipStream_tbPNSt15iterator_traitsISI_E10value_typeEPNSO_ISJ_E10value_typeEPSK_NS1_7vsmem_tEENKUlT_SI_SJ_SK_E_clIPiSD_S10_SD_EESH_SX_SI_SJ_SK_EUlSX_E1_NS1_11comp_targetILNS1_3genE10ELNS1_11target_archE1201ELNS1_3gpuE5ELNS1_3repE0EEENS1_36merge_oddeven_config_static_selectorELNS0_4arch9wavefront6targetE1EEEvSJ_.kd
    .uniform_work_group_size: 1
    .uses_dynamic_stack: false
    .vgpr_count:     0
    .vgpr_spill_count: 0
    .wavefront_size: 64
  - .agpr_count:     0
    .args:
      - .offset:         0
        .size:           48
        .value_kind:     by_value
    .group_segment_fixed_size: 0
    .kernarg_segment_align: 8
    .kernarg_segment_size: 48
    .language:       OpenCL C
    .language_version:
      - 2
      - 0
    .max_flat_workgroup_size: 256
    .name:           _ZN7rocprim17ROCPRIM_400000_NS6detail17trampoline_kernelINS0_14default_configENS1_38merge_sort_block_merge_config_selectorIiiEEZZNS1_27merge_sort_block_merge_implIS3_N6thrust23THRUST_200600_302600_NS6detail15normal_iteratorINS8_10device_ptrIiEEEESD_jNS1_19radix_merge_compareILb0ELb1EiNS0_19identity_decomposerEEEEE10hipError_tT0_T1_T2_jT3_P12ihipStream_tbPNSt15iterator_traitsISI_E10value_typeEPNSO_ISJ_E10value_typeEPSK_NS1_7vsmem_tEENKUlT_SI_SJ_SK_E_clIPiSD_S10_SD_EESH_SX_SI_SJ_SK_EUlSX_E1_NS1_11comp_targetILNS1_3genE5ELNS1_11target_archE942ELNS1_3gpuE9ELNS1_3repE0EEENS1_36merge_oddeven_config_static_selectorELNS0_4arch9wavefront6targetE1EEEvSJ_
    .private_segment_fixed_size: 0
    .sgpr_count:     6
    .sgpr_spill_count: 0
    .symbol:         _ZN7rocprim17ROCPRIM_400000_NS6detail17trampoline_kernelINS0_14default_configENS1_38merge_sort_block_merge_config_selectorIiiEEZZNS1_27merge_sort_block_merge_implIS3_N6thrust23THRUST_200600_302600_NS6detail15normal_iteratorINS8_10device_ptrIiEEEESD_jNS1_19radix_merge_compareILb0ELb1EiNS0_19identity_decomposerEEEEE10hipError_tT0_T1_T2_jT3_P12ihipStream_tbPNSt15iterator_traitsISI_E10value_typeEPNSO_ISJ_E10value_typeEPSK_NS1_7vsmem_tEENKUlT_SI_SJ_SK_E_clIPiSD_S10_SD_EESH_SX_SI_SJ_SK_EUlSX_E1_NS1_11comp_targetILNS1_3genE5ELNS1_11target_archE942ELNS1_3gpuE9ELNS1_3repE0EEENS1_36merge_oddeven_config_static_selectorELNS0_4arch9wavefront6targetE1EEEvSJ_.kd
    .uniform_work_group_size: 1
    .uses_dynamic_stack: false
    .vgpr_count:     0
    .vgpr_spill_count: 0
    .wavefront_size: 64
  - .agpr_count:     0
    .args:
      - .offset:         0
        .size:           48
        .value_kind:     by_value
    .group_segment_fixed_size: 0
    .kernarg_segment_align: 8
    .kernarg_segment_size: 48
    .language:       OpenCL C
    .language_version:
      - 2
      - 0
    .max_flat_workgroup_size: 256
    .name:           _ZN7rocprim17ROCPRIM_400000_NS6detail17trampoline_kernelINS0_14default_configENS1_38merge_sort_block_merge_config_selectorIiiEEZZNS1_27merge_sort_block_merge_implIS3_N6thrust23THRUST_200600_302600_NS6detail15normal_iteratorINS8_10device_ptrIiEEEESD_jNS1_19radix_merge_compareILb0ELb1EiNS0_19identity_decomposerEEEEE10hipError_tT0_T1_T2_jT3_P12ihipStream_tbPNSt15iterator_traitsISI_E10value_typeEPNSO_ISJ_E10value_typeEPSK_NS1_7vsmem_tEENKUlT_SI_SJ_SK_E_clIPiSD_S10_SD_EESH_SX_SI_SJ_SK_EUlSX_E1_NS1_11comp_targetILNS1_3genE4ELNS1_11target_archE910ELNS1_3gpuE8ELNS1_3repE0EEENS1_36merge_oddeven_config_static_selectorELNS0_4arch9wavefront6targetE1EEEvSJ_
    .private_segment_fixed_size: 0
    .sgpr_count:     6
    .sgpr_spill_count: 0
    .symbol:         _ZN7rocprim17ROCPRIM_400000_NS6detail17trampoline_kernelINS0_14default_configENS1_38merge_sort_block_merge_config_selectorIiiEEZZNS1_27merge_sort_block_merge_implIS3_N6thrust23THRUST_200600_302600_NS6detail15normal_iteratorINS8_10device_ptrIiEEEESD_jNS1_19radix_merge_compareILb0ELb1EiNS0_19identity_decomposerEEEEE10hipError_tT0_T1_T2_jT3_P12ihipStream_tbPNSt15iterator_traitsISI_E10value_typeEPNSO_ISJ_E10value_typeEPSK_NS1_7vsmem_tEENKUlT_SI_SJ_SK_E_clIPiSD_S10_SD_EESH_SX_SI_SJ_SK_EUlSX_E1_NS1_11comp_targetILNS1_3genE4ELNS1_11target_archE910ELNS1_3gpuE8ELNS1_3repE0EEENS1_36merge_oddeven_config_static_selectorELNS0_4arch9wavefront6targetE1EEEvSJ_.kd
    .uniform_work_group_size: 1
    .uses_dynamic_stack: false
    .vgpr_count:     0
    .vgpr_spill_count: 0
    .wavefront_size: 64
  - .agpr_count:     0
    .args:
      - .offset:         0
        .size:           48
        .value_kind:     by_value
    .group_segment_fixed_size: 0
    .kernarg_segment_align: 8
    .kernarg_segment_size: 48
    .language:       OpenCL C
    .language_version:
      - 2
      - 0
    .max_flat_workgroup_size: 256
    .name:           _ZN7rocprim17ROCPRIM_400000_NS6detail17trampoline_kernelINS0_14default_configENS1_38merge_sort_block_merge_config_selectorIiiEEZZNS1_27merge_sort_block_merge_implIS3_N6thrust23THRUST_200600_302600_NS6detail15normal_iteratorINS8_10device_ptrIiEEEESD_jNS1_19radix_merge_compareILb0ELb1EiNS0_19identity_decomposerEEEEE10hipError_tT0_T1_T2_jT3_P12ihipStream_tbPNSt15iterator_traitsISI_E10value_typeEPNSO_ISJ_E10value_typeEPSK_NS1_7vsmem_tEENKUlT_SI_SJ_SK_E_clIPiSD_S10_SD_EESH_SX_SI_SJ_SK_EUlSX_E1_NS1_11comp_targetILNS1_3genE3ELNS1_11target_archE908ELNS1_3gpuE7ELNS1_3repE0EEENS1_36merge_oddeven_config_static_selectorELNS0_4arch9wavefront6targetE1EEEvSJ_
    .private_segment_fixed_size: 0
    .sgpr_count:     6
    .sgpr_spill_count: 0
    .symbol:         _ZN7rocprim17ROCPRIM_400000_NS6detail17trampoline_kernelINS0_14default_configENS1_38merge_sort_block_merge_config_selectorIiiEEZZNS1_27merge_sort_block_merge_implIS3_N6thrust23THRUST_200600_302600_NS6detail15normal_iteratorINS8_10device_ptrIiEEEESD_jNS1_19radix_merge_compareILb0ELb1EiNS0_19identity_decomposerEEEEE10hipError_tT0_T1_T2_jT3_P12ihipStream_tbPNSt15iterator_traitsISI_E10value_typeEPNSO_ISJ_E10value_typeEPSK_NS1_7vsmem_tEENKUlT_SI_SJ_SK_E_clIPiSD_S10_SD_EESH_SX_SI_SJ_SK_EUlSX_E1_NS1_11comp_targetILNS1_3genE3ELNS1_11target_archE908ELNS1_3gpuE7ELNS1_3repE0EEENS1_36merge_oddeven_config_static_selectorELNS0_4arch9wavefront6targetE1EEEvSJ_.kd
    .uniform_work_group_size: 1
    .uses_dynamic_stack: false
    .vgpr_count:     0
    .vgpr_spill_count: 0
    .wavefront_size: 64
  - .agpr_count:     0
    .args:
      - .offset:         0
        .size:           48
        .value_kind:     by_value
    .group_segment_fixed_size: 0
    .kernarg_segment_align: 8
    .kernarg_segment_size: 48
    .language:       OpenCL C
    .language_version:
      - 2
      - 0
    .max_flat_workgroup_size: 256
    .name:           _ZN7rocprim17ROCPRIM_400000_NS6detail17trampoline_kernelINS0_14default_configENS1_38merge_sort_block_merge_config_selectorIiiEEZZNS1_27merge_sort_block_merge_implIS3_N6thrust23THRUST_200600_302600_NS6detail15normal_iteratorINS8_10device_ptrIiEEEESD_jNS1_19radix_merge_compareILb0ELb1EiNS0_19identity_decomposerEEEEE10hipError_tT0_T1_T2_jT3_P12ihipStream_tbPNSt15iterator_traitsISI_E10value_typeEPNSO_ISJ_E10value_typeEPSK_NS1_7vsmem_tEENKUlT_SI_SJ_SK_E_clIPiSD_S10_SD_EESH_SX_SI_SJ_SK_EUlSX_E1_NS1_11comp_targetILNS1_3genE2ELNS1_11target_archE906ELNS1_3gpuE6ELNS1_3repE0EEENS1_36merge_oddeven_config_static_selectorELNS0_4arch9wavefront6targetE1EEEvSJ_
    .private_segment_fixed_size: 0
    .sgpr_count:     6
    .sgpr_spill_count: 0
    .symbol:         _ZN7rocprim17ROCPRIM_400000_NS6detail17trampoline_kernelINS0_14default_configENS1_38merge_sort_block_merge_config_selectorIiiEEZZNS1_27merge_sort_block_merge_implIS3_N6thrust23THRUST_200600_302600_NS6detail15normal_iteratorINS8_10device_ptrIiEEEESD_jNS1_19radix_merge_compareILb0ELb1EiNS0_19identity_decomposerEEEEE10hipError_tT0_T1_T2_jT3_P12ihipStream_tbPNSt15iterator_traitsISI_E10value_typeEPNSO_ISJ_E10value_typeEPSK_NS1_7vsmem_tEENKUlT_SI_SJ_SK_E_clIPiSD_S10_SD_EESH_SX_SI_SJ_SK_EUlSX_E1_NS1_11comp_targetILNS1_3genE2ELNS1_11target_archE906ELNS1_3gpuE6ELNS1_3repE0EEENS1_36merge_oddeven_config_static_selectorELNS0_4arch9wavefront6targetE1EEEvSJ_.kd
    .uniform_work_group_size: 1
    .uses_dynamic_stack: false
    .vgpr_count:     0
    .vgpr_spill_count: 0
    .wavefront_size: 64
  - .agpr_count:     0
    .args:
      - .offset:         0
        .size:           48
        .value_kind:     by_value
    .group_segment_fixed_size: 0
    .kernarg_segment_align: 8
    .kernarg_segment_size: 48
    .language:       OpenCL C
    .language_version:
      - 2
      - 0
    .max_flat_workgroup_size: 256
    .name:           _ZN7rocprim17ROCPRIM_400000_NS6detail17trampoline_kernelINS0_14default_configENS1_38merge_sort_block_merge_config_selectorIiiEEZZNS1_27merge_sort_block_merge_implIS3_N6thrust23THRUST_200600_302600_NS6detail15normal_iteratorINS8_10device_ptrIiEEEESD_jNS1_19radix_merge_compareILb0ELb1EiNS0_19identity_decomposerEEEEE10hipError_tT0_T1_T2_jT3_P12ihipStream_tbPNSt15iterator_traitsISI_E10value_typeEPNSO_ISJ_E10value_typeEPSK_NS1_7vsmem_tEENKUlT_SI_SJ_SK_E_clIPiSD_S10_SD_EESH_SX_SI_SJ_SK_EUlSX_E1_NS1_11comp_targetILNS1_3genE9ELNS1_11target_archE1100ELNS1_3gpuE3ELNS1_3repE0EEENS1_36merge_oddeven_config_static_selectorELNS0_4arch9wavefront6targetE1EEEvSJ_
    .private_segment_fixed_size: 0
    .sgpr_count:     6
    .sgpr_spill_count: 0
    .symbol:         _ZN7rocprim17ROCPRIM_400000_NS6detail17trampoline_kernelINS0_14default_configENS1_38merge_sort_block_merge_config_selectorIiiEEZZNS1_27merge_sort_block_merge_implIS3_N6thrust23THRUST_200600_302600_NS6detail15normal_iteratorINS8_10device_ptrIiEEEESD_jNS1_19radix_merge_compareILb0ELb1EiNS0_19identity_decomposerEEEEE10hipError_tT0_T1_T2_jT3_P12ihipStream_tbPNSt15iterator_traitsISI_E10value_typeEPNSO_ISJ_E10value_typeEPSK_NS1_7vsmem_tEENKUlT_SI_SJ_SK_E_clIPiSD_S10_SD_EESH_SX_SI_SJ_SK_EUlSX_E1_NS1_11comp_targetILNS1_3genE9ELNS1_11target_archE1100ELNS1_3gpuE3ELNS1_3repE0EEENS1_36merge_oddeven_config_static_selectorELNS0_4arch9wavefront6targetE1EEEvSJ_.kd
    .uniform_work_group_size: 1
    .uses_dynamic_stack: false
    .vgpr_count:     0
    .vgpr_spill_count: 0
    .wavefront_size: 64
  - .agpr_count:     0
    .args:
      - .offset:         0
        .size:           48
        .value_kind:     by_value
    .group_segment_fixed_size: 0
    .kernarg_segment_align: 8
    .kernarg_segment_size: 48
    .language:       OpenCL C
    .language_version:
      - 2
      - 0
    .max_flat_workgroup_size: 256
    .name:           _ZN7rocprim17ROCPRIM_400000_NS6detail17trampoline_kernelINS0_14default_configENS1_38merge_sort_block_merge_config_selectorIiiEEZZNS1_27merge_sort_block_merge_implIS3_N6thrust23THRUST_200600_302600_NS6detail15normal_iteratorINS8_10device_ptrIiEEEESD_jNS1_19radix_merge_compareILb0ELb1EiNS0_19identity_decomposerEEEEE10hipError_tT0_T1_T2_jT3_P12ihipStream_tbPNSt15iterator_traitsISI_E10value_typeEPNSO_ISJ_E10value_typeEPSK_NS1_7vsmem_tEENKUlT_SI_SJ_SK_E_clIPiSD_S10_SD_EESH_SX_SI_SJ_SK_EUlSX_E1_NS1_11comp_targetILNS1_3genE8ELNS1_11target_archE1030ELNS1_3gpuE2ELNS1_3repE0EEENS1_36merge_oddeven_config_static_selectorELNS0_4arch9wavefront6targetE1EEEvSJ_
    .private_segment_fixed_size: 0
    .sgpr_count:     6
    .sgpr_spill_count: 0
    .symbol:         _ZN7rocprim17ROCPRIM_400000_NS6detail17trampoline_kernelINS0_14default_configENS1_38merge_sort_block_merge_config_selectorIiiEEZZNS1_27merge_sort_block_merge_implIS3_N6thrust23THRUST_200600_302600_NS6detail15normal_iteratorINS8_10device_ptrIiEEEESD_jNS1_19radix_merge_compareILb0ELb1EiNS0_19identity_decomposerEEEEE10hipError_tT0_T1_T2_jT3_P12ihipStream_tbPNSt15iterator_traitsISI_E10value_typeEPNSO_ISJ_E10value_typeEPSK_NS1_7vsmem_tEENKUlT_SI_SJ_SK_E_clIPiSD_S10_SD_EESH_SX_SI_SJ_SK_EUlSX_E1_NS1_11comp_targetILNS1_3genE8ELNS1_11target_archE1030ELNS1_3gpuE2ELNS1_3repE0EEENS1_36merge_oddeven_config_static_selectorELNS0_4arch9wavefront6targetE1EEEvSJ_.kd
    .uniform_work_group_size: 1
    .uses_dynamic_stack: false
    .vgpr_count:     0
    .vgpr_spill_count: 0
    .wavefront_size: 64
  - .agpr_count:     0
    .args:
      - .offset:         0
        .size:           40
        .value_kind:     by_value
    .group_segment_fixed_size: 0
    .kernarg_segment_align: 8
    .kernarg_segment_size: 40
    .language:       OpenCL C
    .language_version:
      - 2
      - 0
    .max_flat_workgroup_size: 128
    .name:           _ZN7rocprim17ROCPRIM_400000_NS6detail17trampoline_kernelINS0_14default_configENS1_38merge_sort_block_merge_config_selectorIiiEEZZNS1_27merge_sort_block_merge_implIS3_N6thrust23THRUST_200600_302600_NS6detail15normal_iteratorINS8_10device_ptrIiEEEESD_jNS1_19radix_merge_compareILb0ELb1EiNS0_19identity_decomposerEEEEE10hipError_tT0_T1_T2_jT3_P12ihipStream_tbPNSt15iterator_traitsISI_E10value_typeEPNSO_ISJ_E10value_typeEPSK_NS1_7vsmem_tEENKUlT_SI_SJ_SK_E_clISD_PiSD_S10_EESH_SX_SI_SJ_SK_EUlSX_E_NS1_11comp_targetILNS1_3genE0ELNS1_11target_archE4294967295ELNS1_3gpuE0ELNS1_3repE0EEENS1_48merge_mergepath_partition_config_static_selectorELNS0_4arch9wavefront6targetE1EEEvSJ_
    .private_segment_fixed_size: 0
    .sgpr_count:     16
    .sgpr_spill_count: 0
    .symbol:         _ZN7rocprim17ROCPRIM_400000_NS6detail17trampoline_kernelINS0_14default_configENS1_38merge_sort_block_merge_config_selectorIiiEEZZNS1_27merge_sort_block_merge_implIS3_N6thrust23THRUST_200600_302600_NS6detail15normal_iteratorINS8_10device_ptrIiEEEESD_jNS1_19radix_merge_compareILb0ELb1EiNS0_19identity_decomposerEEEEE10hipError_tT0_T1_T2_jT3_P12ihipStream_tbPNSt15iterator_traitsISI_E10value_typeEPNSO_ISJ_E10value_typeEPSK_NS1_7vsmem_tEENKUlT_SI_SJ_SK_E_clISD_PiSD_S10_EESH_SX_SI_SJ_SK_EUlSX_E_NS1_11comp_targetILNS1_3genE0ELNS1_11target_archE4294967295ELNS1_3gpuE0ELNS1_3repE0EEENS1_48merge_mergepath_partition_config_static_selectorELNS0_4arch9wavefront6targetE1EEEvSJ_.kd
    .uniform_work_group_size: 1
    .uses_dynamic_stack: false
    .vgpr_count:     17
    .vgpr_spill_count: 0
    .wavefront_size: 64
  - .agpr_count:     0
    .args:
      - .offset:         0
        .size:           40
        .value_kind:     by_value
    .group_segment_fixed_size: 0
    .kernarg_segment_align: 8
    .kernarg_segment_size: 40
    .language:       OpenCL C
    .language_version:
      - 2
      - 0
    .max_flat_workgroup_size: 128
    .name:           _ZN7rocprim17ROCPRIM_400000_NS6detail17trampoline_kernelINS0_14default_configENS1_38merge_sort_block_merge_config_selectorIiiEEZZNS1_27merge_sort_block_merge_implIS3_N6thrust23THRUST_200600_302600_NS6detail15normal_iteratorINS8_10device_ptrIiEEEESD_jNS1_19radix_merge_compareILb0ELb1EiNS0_19identity_decomposerEEEEE10hipError_tT0_T1_T2_jT3_P12ihipStream_tbPNSt15iterator_traitsISI_E10value_typeEPNSO_ISJ_E10value_typeEPSK_NS1_7vsmem_tEENKUlT_SI_SJ_SK_E_clISD_PiSD_S10_EESH_SX_SI_SJ_SK_EUlSX_E_NS1_11comp_targetILNS1_3genE10ELNS1_11target_archE1201ELNS1_3gpuE5ELNS1_3repE0EEENS1_48merge_mergepath_partition_config_static_selectorELNS0_4arch9wavefront6targetE1EEEvSJ_
    .private_segment_fixed_size: 0
    .sgpr_count:     6
    .sgpr_spill_count: 0
    .symbol:         _ZN7rocprim17ROCPRIM_400000_NS6detail17trampoline_kernelINS0_14default_configENS1_38merge_sort_block_merge_config_selectorIiiEEZZNS1_27merge_sort_block_merge_implIS3_N6thrust23THRUST_200600_302600_NS6detail15normal_iteratorINS8_10device_ptrIiEEEESD_jNS1_19radix_merge_compareILb0ELb1EiNS0_19identity_decomposerEEEEE10hipError_tT0_T1_T2_jT3_P12ihipStream_tbPNSt15iterator_traitsISI_E10value_typeEPNSO_ISJ_E10value_typeEPSK_NS1_7vsmem_tEENKUlT_SI_SJ_SK_E_clISD_PiSD_S10_EESH_SX_SI_SJ_SK_EUlSX_E_NS1_11comp_targetILNS1_3genE10ELNS1_11target_archE1201ELNS1_3gpuE5ELNS1_3repE0EEENS1_48merge_mergepath_partition_config_static_selectorELNS0_4arch9wavefront6targetE1EEEvSJ_.kd
    .uniform_work_group_size: 1
    .uses_dynamic_stack: false
    .vgpr_count:     0
    .vgpr_spill_count: 0
    .wavefront_size: 64
  - .agpr_count:     0
    .args:
      - .offset:         0
        .size:           40
        .value_kind:     by_value
    .group_segment_fixed_size: 0
    .kernarg_segment_align: 8
    .kernarg_segment_size: 40
    .language:       OpenCL C
    .language_version:
      - 2
      - 0
    .max_flat_workgroup_size: 128
    .name:           _ZN7rocprim17ROCPRIM_400000_NS6detail17trampoline_kernelINS0_14default_configENS1_38merge_sort_block_merge_config_selectorIiiEEZZNS1_27merge_sort_block_merge_implIS3_N6thrust23THRUST_200600_302600_NS6detail15normal_iteratorINS8_10device_ptrIiEEEESD_jNS1_19radix_merge_compareILb0ELb1EiNS0_19identity_decomposerEEEEE10hipError_tT0_T1_T2_jT3_P12ihipStream_tbPNSt15iterator_traitsISI_E10value_typeEPNSO_ISJ_E10value_typeEPSK_NS1_7vsmem_tEENKUlT_SI_SJ_SK_E_clISD_PiSD_S10_EESH_SX_SI_SJ_SK_EUlSX_E_NS1_11comp_targetILNS1_3genE5ELNS1_11target_archE942ELNS1_3gpuE9ELNS1_3repE0EEENS1_48merge_mergepath_partition_config_static_selectorELNS0_4arch9wavefront6targetE1EEEvSJ_
    .private_segment_fixed_size: 0
    .sgpr_count:     6
    .sgpr_spill_count: 0
    .symbol:         _ZN7rocprim17ROCPRIM_400000_NS6detail17trampoline_kernelINS0_14default_configENS1_38merge_sort_block_merge_config_selectorIiiEEZZNS1_27merge_sort_block_merge_implIS3_N6thrust23THRUST_200600_302600_NS6detail15normal_iteratorINS8_10device_ptrIiEEEESD_jNS1_19radix_merge_compareILb0ELb1EiNS0_19identity_decomposerEEEEE10hipError_tT0_T1_T2_jT3_P12ihipStream_tbPNSt15iterator_traitsISI_E10value_typeEPNSO_ISJ_E10value_typeEPSK_NS1_7vsmem_tEENKUlT_SI_SJ_SK_E_clISD_PiSD_S10_EESH_SX_SI_SJ_SK_EUlSX_E_NS1_11comp_targetILNS1_3genE5ELNS1_11target_archE942ELNS1_3gpuE9ELNS1_3repE0EEENS1_48merge_mergepath_partition_config_static_selectorELNS0_4arch9wavefront6targetE1EEEvSJ_.kd
    .uniform_work_group_size: 1
    .uses_dynamic_stack: false
    .vgpr_count:     0
    .vgpr_spill_count: 0
    .wavefront_size: 64
  - .agpr_count:     0
    .args:
      - .offset:         0
        .size:           40
        .value_kind:     by_value
    .group_segment_fixed_size: 0
    .kernarg_segment_align: 8
    .kernarg_segment_size: 40
    .language:       OpenCL C
    .language_version:
      - 2
      - 0
    .max_flat_workgroup_size: 128
    .name:           _ZN7rocprim17ROCPRIM_400000_NS6detail17trampoline_kernelINS0_14default_configENS1_38merge_sort_block_merge_config_selectorIiiEEZZNS1_27merge_sort_block_merge_implIS3_N6thrust23THRUST_200600_302600_NS6detail15normal_iteratorINS8_10device_ptrIiEEEESD_jNS1_19radix_merge_compareILb0ELb1EiNS0_19identity_decomposerEEEEE10hipError_tT0_T1_T2_jT3_P12ihipStream_tbPNSt15iterator_traitsISI_E10value_typeEPNSO_ISJ_E10value_typeEPSK_NS1_7vsmem_tEENKUlT_SI_SJ_SK_E_clISD_PiSD_S10_EESH_SX_SI_SJ_SK_EUlSX_E_NS1_11comp_targetILNS1_3genE4ELNS1_11target_archE910ELNS1_3gpuE8ELNS1_3repE0EEENS1_48merge_mergepath_partition_config_static_selectorELNS0_4arch9wavefront6targetE1EEEvSJ_
    .private_segment_fixed_size: 0
    .sgpr_count:     6
    .sgpr_spill_count: 0
    .symbol:         _ZN7rocprim17ROCPRIM_400000_NS6detail17trampoline_kernelINS0_14default_configENS1_38merge_sort_block_merge_config_selectorIiiEEZZNS1_27merge_sort_block_merge_implIS3_N6thrust23THRUST_200600_302600_NS6detail15normal_iteratorINS8_10device_ptrIiEEEESD_jNS1_19radix_merge_compareILb0ELb1EiNS0_19identity_decomposerEEEEE10hipError_tT0_T1_T2_jT3_P12ihipStream_tbPNSt15iterator_traitsISI_E10value_typeEPNSO_ISJ_E10value_typeEPSK_NS1_7vsmem_tEENKUlT_SI_SJ_SK_E_clISD_PiSD_S10_EESH_SX_SI_SJ_SK_EUlSX_E_NS1_11comp_targetILNS1_3genE4ELNS1_11target_archE910ELNS1_3gpuE8ELNS1_3repE0EEENS1_48merge_mergepath_partition_config_static_selectorELNS0_4arch9wavefront6targetE1EEEvSJ_.kd
    .uniform_work_group_size: 1
    .uses_dynamic_stack: false
    .vgpr_count:     0
    .vgpr_spill_count: 0
    .wavefront_size: 64
  - .agpr_count:     0
    .args:
      - .offset:         0
        .size:           40
        .value_kind:     by_value
    .group_segment_fixed_size: 0
    .kernarg_segment_align: 8
    .kernarg_segment_size: 40
    .language:       OpenCL C
    .language_version:
      - 2
      - 0
    .max_flat_workgroup_size: 128
    .name:           _ZN7rocprim17ROCPRIM_400000_NS6detail17trampoline_kernelINS0_14default_configENS1_38merge_sort_block_merge_config_selectorIiiEEZZNS1_27merge_sort_block_merge_implIS3_N6thrust23THRUST_200600_302600_NS6detail15normal_iteratorINS8_10device_ptrIiEEEESD_jNS1_19radix_merge_compareILb0ELb1EiNS0_19identity_decomposerEEEEE10hipError_tT0_T1_T2_jT3_P12ihipStream_tbPNSt15iterator_traitsISI_E10value_typeEPNSO_ISJ_E10value_typeEPSK_NS1_7vsmem_tEENKUlT_SI_SJ_SK_E_clISD_PiSD_S10_EESH_SX_SI_SJ_SK_EUlSX_E_NS1_11comp_targetILNS1_3genE3ELNS1_11target_archE908ELNS1_3gpuE7ELNS1_3repE0EEENS1_48merge_mergepath_partition_config_static_selectorELNS0_4arch9wavefront6targetE1EEEvSJ_
    .private_segment_fixed_size: 0
    .sgpr_count:     6
    .sgpr_spill_count: 0
    .symbol:         _ZN7rocprim17ROCPRIM_400000_NS6detail17trampoline_kernelINS0_14default_configENS1_38merge_sort_block_merge_config_selectorIiiEEZZNS1_27merge_sort_block_merge_implIS3_N6thrust23THRUST_200600_302600_NS6detail15normal_iteratorINS8_10device_ptrIiEEEESD_jNS1_19radix_merge_compareILb0ELb1EiNS0_19identity_decomposerEEEEE10hipError_tT0_T1_T2_jT3_P12ihipStream_tbPNSt15iterator_traitsISI_E10value_typeEPNSO_ISJ_E10value_typeEPSK_NS1_7vsmem_tEENKUlT_SI_SJ_SK_E_clISD_PiSD_S10_EESH_SX_SI_SJ_SK_EUlSX_E_NS1_11comp_targetILNS1_3genE3ELNS1_11target_archE908ELNS1_3gpuE7ELNS1_3repE0EEENS1_48merge_mergepath_partition_config_static_selectorELNS0_4arch9wavefront6targetE1EEEvSJ_.kd
    .uniform_work_group_size: 1
    .uses_dynamic_stack: false
    .vgpr_count:     0
    .vgpr_spill_count: 0
    .wavefront_size: 64
  - .agpr_count:     0
    .args:
      - .offset:         0
        .size:           40
        .value_kind:     by_value
    .group_segment_fixed_size: 0
    .kernarg_segment_align: 8
    .kernarg_segment_size: 40
    .language:       OpenCL C
    .language_version:
      - 2
      - 0
    .max_flat_workgroup_size: 128
    .name:           _ZN7rocprim17ROCPRIM_400000_NS6detail17trampoline_kernelINS0_14default_configENS1_38merge_sort_block_merge_config_selectorIiiEEZZNS1_27merge_sort_block_merge_implIS3_N6thrust23THRUST_200600_302600_NS6detail15normal_iteratorINS8_10device_ptrIiEEEESD_jNS1_19radix_merge_compareILb0ELb1EiNS0_19identity_decomposerEEEEE10hipError_tT0_T1_T2_jT3_P12ihipStream_tbPNSt15iterator_traitsISI_E10value_typeEPNSO_ISJ_E10value_typeEPSK_NS1_7vsmem_tEENKUlT_SI_SJ_SK_E_clISD_PiSD_S10_EESH_SX_SI_SJ_SK_EUlSX_E_NS1_11comp_targetILNS1_3genE2ELNS1_11target_archE906ELNS1_3gpuE6ELNS1_3repE0EEENS1_48merge_mergepath_partition_config_static_selectorELNS0_4arch9wavefront6targetE1EEEvSJ_
    .private_segment_fixed_size: 0
    .sgpr_count:     6
    .sgpr_spill_count: 0
    .symbol:         _ZN7rocprim17ROCPRIM_400000_NS6detail17trampoline_kernelINS0_14default_configENS1_38merge_sort_block_merge_config_selectorIiiEEZZNS1_27merge_sort_block_merge_implIS3_N6thrust23THRUST_200600_302600_NS6detail15normal_iteratorINS8_10device_ptrIiEEEESD_jNS1_19radix_merge_compareILb0ELb1EiNS0_19identity_decomposerEEEEE10hipError_tT0_T1_T2_jT3_P12ihipStream_tbPNSt15iterator_traitsISI_E10value_typeEPNSO_ISJ_E10value_typeEPSK_NS1_7vsmem_tEENKUlT_SI_SJ_SK_E_clISD_PiSD_S10_EESH_SX_SI_SJ_SK_EUlSX_E_NS1_11comp_targetILNS1_3genE2ELNS1_11target_archE906ELNS1_3gpuE6ELNS1_3repE0EEENS1_48merge_mergepath_partition_config_static_selectorELNS0_4arch9wavefront6targetE1EEEvSJ_.kd
    .uniform_work_group_size: 1
    .uses_dynamic_stack: false
    .vgpr_count:     0
    .vgpr_spill_count: 0
    .wavefront_size: 64
  - .agpr_count:     0
    .args:
      - .offset:         0
        .size:           40
        .value_kind:     by_value
    .group_segment_fixed_size: 0
    .kernarg_segment_align: 8
    .kernarg_segment_size: 40
    .language:       OpenCL C
    .language_version:
      - 2
      - 0
    .max_flat_workgroup_size: 128
    .name:           _ZN7rocprim17ROCPRIM_400000_NS6detail17trampoline_kernelINS0_14default_configENS1_38merge_sort_block_merge_config_selectorIiiEEZZNS1_27merge_sort_block_merge_implIS3_N6thrust23THRUST_200600_302600_NS6detail15normal_iteratorINS8_10device_ptrIiEEEESD_jNS1_19radix_merge_compareILb0ELb1EiNS0_19identity_decomposerEEEEE10hipError_tT0_T1_T2_jT3_P12ihipStream_tbPNSt15iterator_traitsISI_E10value_typeEPNSO_ISJ_E10value_typeEPSK_NS1_7vsmem_tEENKUlT_SI_SJ_SK_E_clISD_PiSD_S10_EESH_SX_SI_SJ_SK_EUlSX_E_NS1_11comp_targetILNS1_3genE9ELNS1_11target_archE1100ELNS1_3gpuE3ELNS1_3repE0EEENS1_48merge_mergepath_partition_config_static_selectorELNS0_4arch9wavefront6targetE1EEEvSJ_
    .private_segment_fixed_size: 0
    .sgpr_count:     6
    .sgpr_spill_count: 0
    .symbol:         _ZN7rocprim17ROCPRIM_400000_NS6detail17trampoline_kernelINS0_14default_configENS1_38merge_sort_block_merge_config_selectorIiiEEZZNS1_27merge_sort_block_merge_implIS3_N6thrust23THRUST_200600_302600_NS6detail15normal_iteratorINS8_10device_ptrIiEEEESD_jNS1_19radix_merge_compareILb0ELb1EiNS0_19identity_decomposerEEEEE10hipError_tT0_T1_T2_jT3_P12ihipStream_tbPNSt15iterator_traitsISI_E10value_typeEPNSO_ISJ_E10value_typeEPSK_NS1_7vsmem_tEENKUlT_SI_SJ_SK_E_clISD_PiSD_S10_EESH_SX_SI_SJ_SK_EUlSX_E_NS1_11comp_targetILNS1_3genE9ELNS1_11target_archE1100ELNS1_3gpuE3ELNS1_3repE0EEENS1_48merge_mergepath_partition_config_static_selectorELNS0_4arch9wavefront6targetE1EEEvSJ_.kd
    .uniform_work_group_size: 1
    .uses_dynamic_stack: false
    .vgpr_count:     0
    .vgpr_spill_count: 0
    .wavefront_size: 64
  - .agpr_count:     0
    .args:
      - .offset:         0
        .size:           40
        .value_kind:     by_value
    .group_segment_fixed_size: 0
    .kernarg_segment_align: 8
    .kernarg_segment_size: 40
    .language:       OpenCL C
    .language_version:
      - 2
      - 0
    .max_flat_workgroup_size: 128
    .name:           _ZN7rocprim17ROCPRIM_400000_NS6detail17trampoline_kernelINS0_14default_configENS1_38merge_sort_block_merge_config_selectorIiiEEZZNS1_27merge_sort_block_merge_implIS3_N6thrust23THRUST_200600_302600_NS6detail15normal_iteratorINS8_10device_ptrIiEEEESD_jNS1_19radix_merge_compareILb0ELb1EiNS0_19identity_decomposerEEEEE10hipError_tT0_T1_T2_jT3_P12ihipStream_tbPNSt15iterator_traitsISI_E10value_typeEPNSO_ISJ_E10value_typeEPSK_NS1_7vsmem_tEENKUlT_SI_SJ_SK_E_clISD_PiSD_S10_EESH_SX_SI_SJ_SK_EUlSX_E_NS1_11comp_targetILNS1_3genE8ELNS1_11target_archE1030ELNS1_3gpuE2ELNS1_3repE0EEENS1_48merge_mergepath_partition_config_static_selectorELNS0_4arch9wavefront6targetE1EEEvSJ_
    .private_segment_fixed_size: 0
    .sgpr_count:     6
    .sgpr_spill_count: 0
    .symbol:         _ZN7rocprim17ROCPRIM_400000_NS6detail17trampoline_kernelINS0_14default_configENS1_38merge_sort_block_merge_config_selectorIiiEEZZNS1_27merge_sort_block_merge_implIS3_N6thrust23THRUST_200600_302600_NS6detail15normal_iteratorINS8_10device_ptrIiEEEESD_jNS1_19radix_merge_compareILb0ELb1EiNS0_19identity_decomposerEEEEE10hipError_tT0_T1_T2_jT3_P12ihipStream_tbPNSt15iterator_traitsISI_E10value_typeEPNSO_ISJ_E10value_typeEPSK_NS1_7vsmem_tEENKUlT_SI_SJ_SK_E_clISD_PiSD_S10_EESH_SX_SI_SJ_SK_EUlSX_E_NS1_11comp_targetILNS1_3genE8ELNS1_11target_archE1030ELNS1_3gpuE2ELNS1_3repE0EEENS1_48merge_mergepath_partition_config_static_selectorELNS0_4arch9wavefront6targetE1EEEvSJ_.kd
    .uniform_work_group_size: 1
    .uses_dynamic_stack: false
    .vgpr_count:     0
    .vgpr_spill_count: 0
    .wavefront_size: 64
  - .agpr_count:     0
    .args:
      - .offset:         0
        .size:           64
        .value_kind:     by_value
      - .offset:         64
        .size:           4
        .value_kind:     hidden_block_count_x
      - .offset:         68
        .size:           4
        .value_kind:     hidden_block_count_y
      - .offset:         72
        .size:           4
        .value_kind:     hidden_block_count_z
      - .offset:         76
        .size:           2
        .value_kind:     hidden_group_size_x
      - .offset:         78
        .size:           2
        .value_kind:     hidden_group_size_y
      - .offset:         80
        .size:           2
        .value_kind:     hidden_group_size_z
      - .offset:         82
        .size:           2
        .value_kind:     hidden_remainder_x
      - .offset:         84
        .size:           2
        .value_kind:     hidden_remainder_y
      - .offset:         86
        .size:           2
        .value_kind:     hidden_remainder_z
      - .offset:         104
        .size:           8
        .value_kind:     hidden_global_offset_x
      - .offset:         112
        .size:           8
        .value_kind:     hidden_global_offset_y
      - .offset:         120
        .size:           8
        .value_kind:     hidden_global_offset_z
      - .offset:         128
        .size:           2
        .value_kind:     hidden_grid_dims
    .group_segment_fixed_size: 4224
    .kernarg_segment_align: 8
    .kernarg_segment_size: 320
    .language:       OpenCL C
    .language_version:
      - 2
      - 0
    .max_flat_workgroup_size: 256
    .name:           _ZN7rocprim17ROCPRIM_400000_NS6detail17trampoline_kernelINS0_14default_configENS1_38merge_sort_block_merge_config_selectorIiiEEZZNS1_27merge_sort_block_merge_implIS3_N6thrust23THRUST_200600_302600_NS6detail15normal_iteratorINS8_10device_ptrIiEEEESD_jNS1_19radix_merge_compareILb0ELb1EiNS0_19identity_decomposerEEEEE10hipError_tT0_T1_T2_jT3_P12ihipStream_tbPNSt15iterator_traitsISI_E10value_typeEPNSO_ISJ_E10value_typeEPSK_NS1_7vsmem_tEENKUlT_SI_SJ_SK_E_clISD_PiSD_S10_EESH_SX_SI_SJ_SK_EUlSX_E0_NS1_11comp_targetILNS1_3genE0ELNS1_11target_archE4294967295ELNS1_3gpuE0ELNS1_3repE0EEENS1_38merge_mergepath_config_static_selectorELNS0_4arch9wavefront6targetE1EEEvSJ_
    .private_segment_fixed_size: 0
    .sgpr_count:     37
    .sgpr_spill_count: 0
    .symbol:         _ZN7rocprim17ROCPRIM_400000_NS6detail17trampoline_kernelINS0_14default_configENS1_38merge_sort_block_merge_config_selectorIiiEEZZNS1_27merge_sort_block_merge_implIS3_N6thrust23THRUST_200600_302600_NS6detail15normal_iteratorINS8_10device_ptrIiEEEESD_jNS1_19radix_merge_compareILb0ELb1EiNS0_19identity_decomposerEEEEE10hipError_tT0_T1_T2_jT3_P12ihipStream_tbPNSt15iterator_traitsISI_E10value_typeEPNSO_ISJ_E10value_typeEPSK_NS1_7vsmem_tEENKUlT_SI_SJ_SK_E_clISD_PiSD_S10_EESH_SX_SI_SJ_SK_EUlSX_E0_NS1_11comp_targetILNS1_3genE0ELNS1_11target_archE4294967295ELNS1_3gpuE0ELNS1_3repE0EEENS1_38merge_mergepath_config_static_selectorELNS0_4arch9wavefront6targetE1EEEvSJ_.kd
    .uniform_work_group_size: 1
    .uses_dynamic_stack: false
    .vgpr_count:     21
    .vgpr_spill_count: 0
    .wavefront_size: 64
  - .agpr_count:     0
    .args:
      - .offset:         0
        .size:           64
        .value_kind:     by_value
    .group_segment_fixed_size: 0
    .kernarg_segment_align: 8
    .kernarg_segment_size: 64
    .language:       OpenCL C
    .language_version:
      - 2
      - 0
    .max_flat_workgroup_size: 256
    .name:           _ZN7rocprim17ROCPRIM_400000_NS6detail17trampoline_kernelINS0_14default_configENS1_38merge_sort_block_merge_config_selectorIiiEEZZNS1_27merge_sort_block_merge_implIS3_N6thrust23THRUST_200600_302600_NS6detail15normal_iteratorINS8_10device_ptrIiEEEESD_jNS1_19radix_merge_compareILb0ELb1EiNS0_19identity_decomposerEEEEE10hipError_tT0_T1_T2_jT3_P12ihipStream_tbPNSt15iterator_traitsISI_E10value_typeEPNSO_ISJ_E10value_typeEPSK_NS1_7vsmem_tEENKUlT_SI_SJ_SK_E_clISD_PiSD_S10_EESH_SX_SI_SJ_SK_EUlSX_E0_NS1_11comp_targetILNS1_3genE10ELNS1_11target_archE1201ELNS1_3gpuE5ELNS1_3repE0EEENS1_38merge_mergepath_config_static_selectorELNS0_4arch9wavefront6targetE1EEEvSJ_
    .private_segment_fixed_size: 0
    .sgpr_count:     6
    .sgpr_spill_count: 0
    .symbol:         _ZN7rocprim17ROCPRIM_400000_NS6detail17trampoline_kernelINS0_14default_configENS1_38merge_sort_block_merge_config_selectorIiiEEZZNS1_27merge_sort_block_merge_implIS3_N6thrust23THRUST_200600_302600_NS6detail15normal_iteratorINS8_10device_ptrIiEEEESD_jNS1_19radix_merge_compareILb0ELb1EiNS0_19identity_decomposerEEEEE10hipError_tT0_T1_T2_jT3_P12ihipStream_tbPNSt15iterator_traitsISI_E10value_typeEPNSO_ISJ_E10value_typeEPSK_NS1_7vsmem_tEENKUlT_SI_SJ_SK_E_clISD_PiSD_S10_EESH_SX_SI_SJ_SK_EUlSX_E0_NS1_11comp_targetILNS1_3genE10ELNS1_11target_archE1201ELNS1_3gpuE5ELNS1_3repE0EEENS1_38merge_mergepath_config_static_selectorELNS0_4arch9wavefront6targetE1EEEvSJ_.kd
    .uniform_work_group_size: 1
    .uses_dynamic_stack: false
    .vgpr_count:     0
    .vgpr_spill_count: 0
    .wavefront_size: 64
  - .agpr_count:     0
    .args:
      - .offset:         0
        .size:           64
        .value_kind:     by_value
    .group_segment_fixed_size: 0
    .kernarg_segment_align: 8
    .kernarg_segment_size: 64
    .language:       OpenCL C
    .language_version:
      - 2
      - 0
    .max_flat_workgroup_size: 128
    .name:           _ZN7rocprim17ROCPRIM_400000_NS6detail17trampoline_kernelINS0_14default_configENS1_38merge_sort_block_merge_config_selectorIiiEEZZNS1_27merge_sort_block_merge_implIS3_N6thrust23THRUST_200600_302600_NS6detail15normal_iteratorINS8_10device_ptrIiEEEESD_jNS1_19radix_merge_compareILb0ELb1EiNS0_19identity_decomposerEEEEE10hipError_tT0_T1_T2_jT3_P12ihipStream_tbPNSt15iterator_traitsISI_E10value_typeEPNSO_ISJ_E10value_typeEPSK_NS1_7vsmem_tEENKUlT_SI_SJ_SK_E_clISD_PiSD_S10_EESH_SX_SI_SJ_SK_EUlSX_E0_NS1_11comp_targetILNS1_3genE5ELNS1_11target_archE942ELNS1_3gpuE9ELNS1_3repE0EEENS1_38merge_mergepath_config_static_selectorELNS0_4arch9wavefront6targetE1EEEvSJ_
    .private_segment_fixed_size: 0
    .sgpr_count:     6
    .sgpr_spill_count: 0
    .symbol:         _ZN7rocprim17ROCPRIM_400000_NS6detail17trampoline_kernelINS0_14default_configENS1_38merge_sort_block_merge_config_selectorIiiEEZZNS1_27merge_sort_block_merge_implIS3_N6thrust23THRUST_200600_302600_NS6detail15normal_iteratorINS8_10device_ptrIiEEEESD_jNS1_19radix_merge_compareILb0ELb1EiNS0_19identity_decomposerEEEEE10hipError_tT0_T1_T2_jT3_P12ihipStream_tbPNSt15iterator_traitsISI_E10value_typeEPNSO_ISJ_E10value_typeEPSK_NS1_7vsmem_tEENKUlT_SI_SJ_SK_E_clISD_PiSD_S10_EESH_SX_SI_SJ_SK_EUlSX_E0_NS1_11comp_targetILNS1_3genE5ELNS1_11target_archE942ELNS1_3gpuE9ELNS1_3repE0EEENS1_38merge_mergepath_config_static_selectorELNS0_4arch9wavefront6targetE1EEEvSJ_.kd
    .uniform_work_group_size: 1
    .uses_dynamic_stack: false
    .vgpr_count:     0
    .vgpr_spill_count: 0
    .wavefront_size: 64
  - .agpr_count:     0
    .args:
      - .offset:         0
        .size:           64
        .value_kind:     by_value
    .group_segment_fixed_size: 0
    .kernarg_segment_align: 8
    .kernarg_segment_size: 64
    .language:       OpenCL C
    .language_version:
      - 2
      - 0
    .max_flat_workgroup_size: 256
    .name:           _ZN7rocprim17ROCPRIM_400000_NS6detail17trampoline_kernelINS0_14default_configENS1_38merge_sort_block_merge_config_selectorIiiEEZZNS1_27merge_sort_block_merge_implIS3_N6thrust23THRUST_200600_302600_NS6detail15normal_iteratorINS8_10device_ptrIiEEEESD_jNS1_19radix_merge_compareILb0ELb1EiNS0_19identity_decomposerEEEEE10hipError_tT0_T1_T2_jT3_P12ihipStream_tbPNSt15iterator_traitsISI_E10value_typeEPNSO_ISJ_E10value_typeEPSK_NS1_7vsmem_tEENKUlT_SI_SJ_SK_E_clISD_PiSD_S10_EESH_SX_SI_SJ_SK_EUlSX_E0_NS1_11comp_targetILNS1_3genE4ELNS1_11target_archE910ELNS1_3gpuE8ELNS1_3repE0EEENS1_38merge_mergepath_config_static_selectorELNS0_4arch9wavefront6targetE1EEEvSJ_
    .private_segment_fixed_size: 0
    .sgpr_count:     6
    .sgpr_spill_count: 0
    .symbol:         _ZN7rocprim17ROCPRIM_400000_NS6detail17trampoline_kernelINS0_14default_configENS1_38merge_sort_block_merge_config_selectorIiiEEZZNS1_27merge_sort_block_merge_implIS3_N6thrust23THRUST_200600_302600_NS6detail15normal_iteratorINS8_10device_ptrIiEEEESD_jNS1_19radix_merge_compareILb0ELb1EiNS0_19identity_decomposerEEEEE10hipError_tT0_T1_T2_jT3_P12ihipStream_tbPNSt15iterator_traitsISI_E10value_typeEPNSO_ISJ_E10value_typeEPSK_NS1_7vsmem_tEENKUlT_SI_SJ_SK_E_clISD_PiSD_S10_EESH_SX_SI_SJ_SK_EUlSX_E0_NS1_11comp_targetILNS1_3genE4ELNS1_11target_archE910ELNS1_3gpuE8ELNS1_3repE0EEENS1_38merge_mergepath_config_static_selectorELNS0_4arch9wavefront6targetE1EEEvSJ_.kd
    .uniform_work_group_size: 1
    .uses_dynamic_stack: false
    .vgpr_count:     0
    .vgpr_spill_count: 0
    .wavefront_size: 64
  - .agpr_count:     0
    .args:
      - .offset:         0
        .size:           64
        .value_kind:     by_value
    .group_segment_fixed_size: 0
    .kernarg_segment_align: 8
    .kernarg_segment_size: 64
    .language:       OpenCL C
    .language_version:
      - 2
      - 0
    .max_flat_workgroup_size: 256
    .name:           _ZN7rocprim17ROCPRIM_400000_NS6detail17trampoline_kernelINS0_14default_configENS1_38merge_sort_block_merge_config_selectorIiiEEZZNS1_27merge_sort_block_merge_implIS3_N6thrust23THRUST_200600_302600_NS6detail15normal_iteratorINS8_10device_ptrIiEEEESD_jNS1_19radix_merge_compareILb0ELb1EiNS0_19identity_decomposerEEEEE10hipError_tT0_T1_T2_jT3_P12ihipStream_tbPNSt15iterator_traitsISI_E10value_typeEPNSO_ISJ_E10value_typeEPSK_NS1_7vsmem_tEENKUlT_SI_SJ_SK_E_clISD_PiSD_S10_EESH_SX_SI_SJ_SK_EUlSX_E0_NS1_11comp_targetILNS1_3genE3ELNS1_11target_archE908ELNS1_3gpuE7ELNS1_3repE0EEENS1_38merge_mergepath_config_static_selectorELNS0_4arch9wavefront6targetE1EEEvSJ_
    .private_segment_fixed_size: 0
    .sgpr_count:     6
    .sgpr_spill_count: 0
    .symbol:         _ZN7rocprim17ROCPRIM_400000_NS6detail17trampoline_kernelINS0_14default_configENS1_38merge_sort_block_merge_config_selectorIiiEEZZNS1_27merge_sort_block_merge_implIS3_N6thrust23THRUST_200600_302600_NS6detail15normal_iteratorINS8_10device_ptrIiEEEESD_jNS1_19radix_merge_compareILb0ELb1EiNS0_19identity_decomposerEEEEE10hipError_tT0_T1_T2_jT3_P12ihipStream_tbPNSt15iterator_traitsISI_E10value_typeEPNSO_ISJ_E10value_typeEPSK_NS1_7vsmem_tEENKUlT_SI_SJ_SK_E_clISD_PiSD_S10_EESH_SX_SI_SJ_SK_EUlSX_E0_NS1_11comp_targetILNS1_3genE3ELNS1_11target_archE908ELNS1_3gpuE7ELNS1_3repE0EEENS1_38merge_mergepath_config_static_selectorELNS0_4arch9wavefront6targetE1EEEvSJ_.kd
    .uniform_work_group_size: 1
    .uses_dynamic_stack: false
    .vgpr_count:     0
    .vgpr_spill_count: 0
    .wavefront_size: 64
  - .agpr_count:     0
    .args:
      - .offset:         0
        .size:           64
        .value_kind:     by_value
    .group_segment_fixed_size: 0
    .kernarg_segment_align: 8
    .kernarg_segment_size: 64
    .language:       OpenCL C
    .language_version:
      - 2
      - 0
    .max_flat_workgroup_size: 256
    .name:           _ZN7rocprim17ROCPRIM_400000_NS6detail17trampoline_kernelINS0_14default_configENS1_38merge_sort_block_merge_config_selectorIiiEEZZNS1_27merge_sort_block_merge_implIS3_N6thrust23THRUST_200600_302600_NS6detail15normal_iteratorINS8_10device_ptrIiEEEESD_jNS1_19radix_merge_compareILb0ELb1EiNS0_19identity_decomposerEEEEE10hipError_tT0_T1_T2_jT3_P12ihipStream_tbPNSt15iterator_traitsISI_E10value_typeEPNSO_ISJ_E10value_typeEPSK_NS1_7vsmem_tEENKUlT_SI_SJ_SK_E_clISD_PiSD_S10_EESH_SX_SI_SJ_SK_EUlSX_E0_NS1_11comp_targetILNS1_3genE2ELNS1_11target_archE906ELNS1_3gpuE6ELNS1_3repE0EEENS1_38merge_mergepath_config_static_selectorELNS0_4arch9wavefront6targetE1EEEvSJ_
    .private_segment_fixed_size: 0
    .sgpr_count:     6
    .sgpr_spill_count: 0
    .symbol:         _ZN7rocprim17ROCPRIM_400000_NS6detail17trampoline_kernelINS0_14default_configENS1_38merge_sort_block_merge_config_selectorIiiEEZZNS1_27merge_sort_block_merge_implIS3_N6thrust23THRUST_200600_302600_NS6detail15normal_iteratorINS8_10device_ptrIiEEEESD_jNS1_19radix_merge_compareILb0ELb1EiNS0_19identity_decomposerEEEEE10hipError_tT0_T1_T2_jT3_P12ihipStream_tbPNSt15iterator_traitsISI_E10value_typeEPNSO_ISJ_E10value_typeEPSK_NS1_7vsmem_tEENKUlT_SI_SJ_SK_E_clISD_PiSD_S10_EESH_SX_SI_SJ_SK_EUlSX_E0_NS1_11comp_targetILNS1_3genE2ELNS1_11target_archE906ELNS1_3gpuE6ELNS1_3repE0EEENS1_38merge_mergepath_config_static_selectorELNS0_4arch9wavefront6targetE1EEEvSJ_.kd
    .uniform_work_group_size: 1
    .uses_dynamic_stack: false
    .vgpr_count:     0
    .vgpr_spill_count: 0
    .wavefront_size: 64
  - .agpr_count:     0
    .args:
      - .offset:         0
        .size:           64
        .value_kind:     by_value
    .group_segment_fixed_size: 0
    .kernarg_segment_align: 8
    .kernarg_segment_size: 64
    .language:       OpenCL C
    .language_version:
      - 2
      - 0
    .max_flat_workgroup_size: 512
    .name:           _ZN7rocprim17ROCPRIM_400000_NS6detail17trampoline_kernelINS0_14default_configENS1_38merge_sort_block_merge_config_selectorIiiEEZZNS1_27merge_sort_block_merge_implIS3_N6thrust23THRUST_200600_302600_NS6detail15normal_iteratorINS8_10device_ptrIiEEEESD_jNS1_19radix_merge_compareILb0ELb1EiNS0_19identity_decomposerEEEEE10hipError_tT0_T1_T2_jT3_P12ihipStream_tbPNSt15iterator_traitsISI_E10value_typeEPNSO_ISJ_E10value_typeEPSK_NS1_7vsmem_tEENKUlT_SI_SJ_SK_E_clISD_PiSD_S10_EESH_SX_SI_SJ_SK_EUlSX_E0_NS1_11comp_targetILNS1_3genE9ELNS1_11target_archE1100ELNS1_3gpuE3ELNS1_3repE0EEENS1_38merge_mergepath_config_static_selectorELNS0_4arch9wavefront6targetE1EEEvSJ_
    .private_segment_fixed_size: 0
    .sgpr_count:     6
    .sgpr_spill_count: 0
    .symbol:         _ZN7rocprim17ROCPRIM_400000_NS6detail17trampoline_kernelINS0_14default_configENS1_38merge_sort_block_merge_config_selectorIiiEEZZNS1_27merge_sort_block_merge_implIS3_N6thrust23THRUST_200600_302600_NS6detail15normal_iteratorINS8_10device_ptrIiEEEESD_jNS1_19radix_merge_compareILb0ELb1EiNS0_19identity_decomposerEEEEE10hipError_tT0_T1_T2_jT3_P12ihipStream_tbPNSt15iterator_traitsISI_E10value_typeEPNSO_ISJ_E10value_typeEPSK_NS1_7vsmem_tEENKUlT_SI_SJ_SK_E_clISD_PiSD_S10_EESH_SX_SI_SJ_SK_EUlSX_E0_NS1_11comp_targetILNS1_3genE9ELNS1_11target_archE1100ELNS1_3gpuE3ELNS1_3repE0EEENS1_38merge_mergepath_config_static_selectorELNS0_4arch9wavefront6targetE1EEEvSJ_.kd
    .uniform_work_group_size: 1
    .uses_dynamic_stack: false
    .vgpr_count:     0
    .vgpr_spill_count: 0
    .wavefront_size: 64
  - .agpr_count:     0
    .args:
      - .offset:         0
        .size:           64
        .value_kind:     by_value
    .group_segment_fixed_size: 0
    .kernarg_segment_align: 8
    .kernarg_segment_size: 64
    .language:       OpenCL C
    .language_version:
      - 2
      - 0
    .max_flat_workgroup_size: 1024
    .name:           _ZN7rocprim17ROCPRIM_400000_NS6detail17trampoline_kernelINS0_14default_configENS1_38merge_sort_block_merge_config_selectorIiiEEZZNS1_27merge_sort_block_merge_implIS3_N6thrust23THRUST_200600_302600_NS6detail15normal_iteratorINS8_10device_ptrIiEEEESD_jNS1_19radix_merge_compareILb0ELb1EiNS0_19identity_decomposerEEEEE10hipError_tT0_T1_T2_jT3_P12ihipStream_tbPNSt15iterator_traitsISI_E10value_typeEPNSO_ISJ_E10value_typeEPSK_NS1_7vsmem_tEENKUlT_SI_SJ_SK_E_clISD_PiSD_S10_EESH_SX_SI_SJ_SK_EUlSX_E0_NS1_11comp_targetILNS1_3genE8ELNS1_11target_archE1030ELNS1_3gpuE2ELNS1_3repE0EEENS1_38merge_mergepath_config_static_selectorELNS0_4arch9wavefront6targetE1EEEvSJ_
    .private_segment_fixed_size: 0
    .sgpr_count:     6
    .sgpr_spill_count: 0
    .symbol:         _ZN7rocprim17ROCPRIM_400000_NS6detail17trampoline_kernelINS0_14default_configENS1_38merge_sort_block_merge_config_selectorIiiEEZZNS1_27merge_sort_block_merge_implIS3_N6thrust23THRUST_200600_302600_NS6detail15normal_iteratorINS8_10device_ptrIiEEEESD_jNS1_19radix_merge_compareILb0ELb1EiNS0_19identity_decomposerEEEEE10hipError_tT0_T1_T2_jT3_P12ihipStream_tbPNSt15iterator_traitsISI_E10value_typeEPNSO_ISJ_E10value_typeEPSK_NS1_7vsmem_tEENKUlT_SI_SJ_SK_E_clISD_PiSD_S10_EESH_SX_SI_SJ_SK_EUlSX_E0_NS1_11comp_targetILNS1_3genE8ELNS1_11target_archE1030ELNS1_3gpuE2ELNS1_3repE0EEENS1_38merge_mergepath_config_static_selectorELNS0_4arch9wavefront6targetE1EEEvSJ_.kd
    .uniform_work_group_size: 1
    .uses_dynamic_stack: false
    .vgpr_count:     0
    .vgpr_spill_count: 0
    .wavefront_size: 64
  - .agpr_count:     0
    .args:
      - .offset:         0
        .size:           48
        .value_kind:     by_value
    .group_segment_fixed_size: 0
    .kernarg_segment_align: 8
    .kernarg_segment_size: 48
    .language:       OpenCL C
    .language_version:
      - 2
      - 0
    .max_flat_workgroup_size: 256
    .name:           _ZN7rocprim17ROCPRIM_400000_NS6detail17trampoline_kernelINS0_14default_configENS1_38merge_sort_block_merge_config_selectorIiiEEZZNS1_27merge_sort_block_merge_implIS3_N6thrust23THRUST_200600_302600_NS6detail15normal_iteratorINS8_10device_ptrIiEEEESD_jNS1_19radix_merge_compareILb0ELb1EiNS0_19identity_decomposerEEEEE10hipError_tT0_T1_T2_jT3_P12ihipStream_tbPNSt15iterator_traitsISI_E10value_typeEPNSO_ISJ_E10value_typeEPSK_NS1_7vsmem_tEENKUlT_SI_SJ_SK_E_clISD_PiSD_S10_EESH_SX_SI_SJ_SK_EUlSX_E1_NS1_11comp_targetILNS1_3genE0ELNS1_11target_archE4294967295ELNS1_3gpuE0ELNS1_3repE0EEENS1_36merge_oddeven_config_static_selectorELNS0_4arch9wavefront6targetE1EEEvSJ_
    .private_segment_fixed_size: 0
    .sgpr_count:     30
    .sgpr_spill_count: 0
    .symbol:         _ZN7rocprim17ROCPRIM_400000_NS6detail17trampoline_kernelINS0_14default_configENS1_38merge_sort_block_merge_config_selectorIiiEEZZNS1_27merge_sort_block_merge_implIS3_N6thrust23THRUST_200600_302600_NS6detail15normal_iteratorINS8_10device_ptrIiEEEESD_jNS1_19radix_merge_compareILb0ELb1EiNS0_19identity_decomposerEEEEE10hipError_tT0_T1_T2_jT3_P12ihipStream_tbPNSt15iterator_traitsISI_E10value_typeEPNSO_ISJ_E10value_typeEPSK_NS1_7vsmem_tEENKUlT_SI_SJ_SK_E_clISD_PiSD_S10_EESH_SX_SI_SJ_SK_EUlSX_E1_NS1_11comp_targetILNS1_3genE0ELNS1_11target_archE4294967295ELNS1_3gpuE0ELNS1_3repE0EEENS1_36merge_oddeven_config_static_selectorELNS0_4arch9wavefront6targetE1EEEvSJ_.kd
    .uniform_work_group_size: 1
    .uses_dynamic_stack: false
    .vgpr_count:     11
    .vgpr_spill_count: 0
    .wavefront_size: 64
  - .agpr_count:     0
    .args:
      - .offset:         0
        .size:           48
        .value_kind:     by_value
    .group_segment_fixed_size: 0
    .kernarg_segment_align: 8
    .kernarg_segment_size: 48
    .language:       OpenCL C
    .language_version:
      - 2
      - 0
    .max_flat_workgroup_size: 256
    .name:           _ZN7rocprim17ROCPRIM_400000_NS6detail17trampoline_kernelINS0_14default_configENS1_38merge_sort_block_merge_config_selectorIiiEEZZNS1_27merge_sort_block_merge_implIS3_N6thrust23THRUST_200600_302600_NS6detail15normal_iteratorINS8_10device_ptrIiEEEESD_jNS1_19radix_merge_compareILb0ELb1EiNS0_19identity_decomposerEEEEE10hipError_tT0_T1_T2_jT3_P12ihipStream_tbPNSt15iterator_traitsISI_E10value_typeEPNSO_ISJ_E10value_typeEPSK_NS1_7vsmem_tEENKUlT_SI_SJ_SK_E_clISD_PiSD_S10_EESH_SX_SI_SJ_SK_EUlSX_E1_NS1_11comp_targetILNS1_3genE10ELNS1_11target_archE1201ELNS1_3gpuE5ELNS1_3repE0EEENS1_36merge_oddeven_config_static_selectorELNS0_4arch9wavefront6targetE1EEEvSJ_
    .private_segment_fixed_size: 0
    .sgpr_count:     6
    .sgpr_spill_count: 0
    .symbol:         _ZN7rocprim17ROCPRIM_400000_NS6detail17trampoline_kernelINS0_14default_configENS1_38merge_sort_block_merge_config_selectorIiiEEZZNS1_27merge_sort_block_merge_implIS3_N6thrust23THRUST_200600_302600_NS6detail15normal_iteratorINS8_10device_ptrIiEEEESD_jNS1_19radix_merge_compareILb0ELb1EiNS0_19identity_decomposerEEEEE10hipError_tT0_T1_T2_jT3_P12ihipStream_tbPNSt15iterator_traitsISI_E10value_typeEPNSO_ISJ_E10value_typeEPSK_NS1_7vsmem_tEENKUlT_SI_SJ_SK_E_clISD_PiSD_S10_EESH_SX_SI_SJ_SK_EUlSX_E1_NS1_11comp_targetILNS1_3genE10ELNS1_11target_archE1201ELNS1_3gpuE5ELNS1_3repE0EEENS1_36merge_oddeven_config_static_selectorELNS0_4arch9wavefront6targetE1EEEvSJ_.kd
    .uniform_work_group_size: 1
    .uses_dynamic_stack: false
    .vgpr_count:     0
    .vgpr_spill_count: 0
    .wavefront_size: 64
  - .agpr_count:     0
    .args:
      - .offset:         0
        .size:           48
        .value_kind:     by_value
    .group_segment_fixed_size: 0
    .kernarg_segment_align: 8
    .kernarg_segment_size: 48
    .language:       OpenCL C
    .language_version:
      - 2
      - 0
    .max_flat_workgroup_size: 256
    .name:           _ZN7rocprim17ROCPRIM_400000_NS6detail17trampoline_kernelINS0_14default_configENS1_38merge_sort_block_merge_config_selectorIiiEEZZNS1_27merge_sort_block_merge_implIS3_N6thrust23THRUST_200600_302600_NS6detail15normal_iteratorINS8_10device_ptrIiEEEESD_jNS1_19radix_merge_compareILb0ELb1EiNS0_19identity_decomposerEEEEE10hipError_tT0_T1_T2_jT3_P12ihipStream_tbPNSt15iterator_traitsISI_E10value_typeEPNSO_ISJ_E10value_typeEPSK_NS1_7vsmem_tEENKUlT_SI_SJ_SK_E_clISD_PiSD_S10_EESH_SX_SI_SJ_SK_EUlSX_E1_NS1_11comp_targetILNS1_3genE5ELNS1_11target_archE942ELNS1_3gpuE9ELNS1_3repE0EEENS1_36merge_oddeven_config_static_selectorELNS0_4arch9wavefront6targetE1EEEvSJ_
    .private_segment_fixed_size: 0
    .sgpr_count:     6
    .sgpr_spill_count: 0
    .symbol:         _ZN7rocprim17ROCPRIM_400000_NS6detail17trampoline_kernelINS0_14default_configENS1_38merge_sort_block_merge_config_selectorIiiEEZZNS1_27merge_sort_block_merge_implIS3_N6thrust23THRUST_200600_302600_NS6detail15normal_iteratorINS8_10device_ptrIiEEEESD_jNS1_19radix_merge_compareILb0ELb1EiNS0_19identity_decomposerEEEEE10hipError_tT0_T1_T2_jT3_P12ihipStream_tbPNSt15iterator_traitsISI_E10value_typeEPNSO_ISJ_E10value_typeEPSK_NS1_7vsmem_tEENKUlT_SI_SJ_SK_E_clISD_PiSD_S10_EESH_SX_SI_SJ_SK_EUlSX_E1_NS1_11comp_targetILNS1_3genE5ELNS1_11target_archE942ELNS1_3gpuE9ELNS1_3repE0EEENS1_36merge_oddeven_config_static_selectorELNS0_4arch9wavefront6targetE1EEEvSJ_.kd
    .uniform_work_group_size: 1
    .uses_dynamic_stack: false
    .vgpr_count:     0
    .vgpr_spill_count: 0
    .wavefront_size: 64
  - .agpr_count:     0
    .args:
      - .offset:         0
        .size:           48
        .value_kind:     by_value
    .group_segment_fixed_size: 0
    .kernarg_segment_align: 8
    .kernarg_segment_size: 48
    .language:       OpenCL C
    .language_version:
      - 2
      - 0
    .max_flat_workgroup_size: 256
    .name:           _ZN7rocprim17ROCPRIM_400000_NS6detail17trampoline_kernelINS0_14default_configENS1_38merge_sort_block_merge_config_selectorIiiEEZZNS1_27merge_sort_block_merge_implIS3_N6thrust23THRUST_200600_302600_NS6detail15normal_iteratorINS8_10device_ptrIiEEEESD_jNS1_19radix_merge_compareILb0ELb1EiNS0_19identity_decomposerEEEEE10hipError_tT0_T1_T2_jT3_P12ihipStream_tbPNSt15iterator_traitsISI_E10value_typeEPNSO_ISJ_E10value_typeEPSK_NS1_7vsmem_tEENKUlT_SI_SJ_SK_E_clISD_PiSD_S10_EESH_SX_SI_SJ_SK_EUlSX_E1_NS1_11comp_targetILNS1_3genE4ELNS1_11target_archE910ELNS1_3gpuE8ELNS1_3repE0EEENS1_36merge_oddeven_config_static_selectorELNS0_4arch9wavefront6targetE1EEEvSJ_
    .private_segment_fixed_size: 0
    .sgpr_count:     6
    .sgpr_spill_count: 0
    .symbol:         _ZN7rocprim17ROCPRIM_400000_NS6detail17trampoline_kernelINS0_14default_configENS1_38merge_sort_block_merge_config_selectorIiiEEZZNS1_27merge_sort_block_merge_implIS3_N6thrust23THRUST_200600_302600_NS6detail15normal_iteratorINS8_10device_ptrIiEEEESD_jNS1_19radix_merge_compareILb0ELb1EiNS0_19identity_decomposerEEEEE10hipError_tT0_T1_T2_jT3_P12ihipStream_tbPNSt15iterator_traitsISI_E10value_typeEPNSO_ISJ_E10value_typeEPSK_NS1_7vsmem_tEENKUlT_SI_SJ_SK_E_clISD_PiSD_S10_EESH_SX_SI_SJ_SK_EUlSX_E1_NS1_11comp_targetILNS1_3genE4ELNS1_11target_archE910ELNS1_3gpuE8ELNS1_3repE0EEENS1_36merge_oddeven_config_static_selectorELNS0_4arch9wavefront6targetE1EEEvSJ_.kd
    .uniform_work_group_size: 1
    .uses_dynamic_stack: false
    .vgpr_count:     0
    .vgpr_spill_count: 0
    .wavefront_size: 64
  - .agpr_count:     0
    .args:
      - .offset:         0
        .size:           48
        .value_kind:     by_value
    .group_segment_fixed_size: 0
    .kernarg_segment_align: 8
    .kernarg_segment_size: 48
    .language:       OpenCL C
    .language_version:
      - 2
      - 0
    .max_flat_workgroup_size: 256
    .name:           _ZN7rocprim17ROCPRIM_400000_NS6detail17trampoline_kernelINS0_14default_configENS1_38merge_sort_block_merge_config_selectorIiiEEZZNS1_27merge_sort_block_merge_implIS3_N6thrust23THRUST_200600_302600_NS6detail15normal_iteratorINS8_10device_ptrIiEEEESD_jNS1_19radix_merge_compareILb0ELb1EiNS0_19identity_decomposerEEEEE10hipError_tT0_T1_T2_jT3_P12ihipStream_tbPNSt15iterator_traitsISI_E10value_typeEPNSO_ISJ_E10value_typeEPSK_NS1_7vsmem_tEENKUlT_SI_SJ_SK_E_clISD_PiSD_S10_EESH_SX_SI_SJ_SK_EUlSX_E1_NS1_11comp_targetILNS1_3genE3ELNS1_11target_archE908ELNS1_3gpuE7ELNS1_3repE0EEENS1_36merge_oddeven_config_static_selectorELNS0_4arch9wavefront6targetE1EEEvSJ_
    .private_segment_fixed_size: 0
    .sgpr_count:     6
    .sgpr_spill_count: 0
    .symbol:         _ZN7rocprim17ROCPRIM_400000_NS6detail17trampoline_kernelINS0_14default_configENS1_38merge_sort_block_merge_config_selectorIiiEEZZNS1_27merge_sort_block_merge_implIS3_N6thrust23THRUST_200600_302600_NS6detail15normal_iteratorINS8_10device_ptrIiEEEESD_jNS1_19radix_merge_compareILb0ELb1EiNS0_19identity_decomposerEEEEE10hipError_tT0_T1_T2_jT3_P12ihipStream_tbPNSt15iterator_traitsISI_E10value_typeEPNSO_ISJ_E10value_typeEPSK_NS1_7vsmem_tEENKUlT_SI_SJ_SK_E_clISD_PiSD_S10_EESH_SX_SI_SJ_SK_EUlSX_E1_NS1_11comp_targetILNS1_3genE3ELNS1_11target_archE908ELNS1_3gpuE7ELNS1_3repE0EEENS1_36merge_oddeven_config_static_selectorELNS0_4arch9wavefront6targetE1EEEvSJ_.kd
    .uniform_work_group_size: 1
    .uses_dynamic_stack: false
    .vgpr_count:     0
    .vgpr_spill_count: 0
    .wavefront_size: 64
  - .agpr_count:     0
    .args:
      - .offset:         0
        .size:           48
        .value_kind:     by_value
    .group_segment_fixed_size: 0
    .kernarg_segment_align: 8
    .kernarg_segment_size: 48
    .language:       OpenCL C
    .language_version:
      - 2
      - 0
    .max_flat_workgroup_size: 256
    .name:           _ZN7rocprim17ROCPRIM_400000_NS6detail17trampoline_kernelINS0_14default_configENS1_38merge_sort_block_merge_config_selectorIiiEEZZNS1_27merge_sort_block_merge_implIS3_N6thrust23THRUST_200600_302600_NS6detail15normal_iteratorINS8_10device_ptrIiEEEESD_jNS1_19radix_merge_compareILb0ELb1EiNS0_19identity_decomposerEEEEE10hipError_tT0_T1_T2_jT3_P12ihipStream_tbPNSt15iterator_traitsISI_E10value_typeEPNSO_ISJ_E10value_typeEPSK_NS1_7vsmem_tEENKUlT_SI_SJ_SK_E_clISD_PiSD_S10_EESH_SX_SI_SJ_SK_EUlSX_E1_NS1_11comp_targetILNS1_3genE2ELNS1_11target_archE906ELNS1_3gpuE6ELNS1_3repE0EEENS1_36merge_oddeven_config_static_selectorELNS0_4arch9wavefront6targetE1EEEvSJ_
    .private_segment_fixed_size: 0
    .sgpr_count:     6
    .sgpr_spill_count: 0
    .symbol:         _ZN7rocprim17ROCPRIM_400000_NS6detail17trampoline_kernelINS0_14default_configENS1_38merge_sort_block_merge_config_selectorIiiEEZZNS1_27merge_sort_block_merge_implIS3_N6thrust23THRUST_200600_302600_NS6detail15normal_iteratorINS8_10device_ptrIiEEEESD_jNS1_19radix_merge_compareILb0ELb1EiNS0_19identity_decomposerEEEEE10hipError_tT0_T1_T2_jT3_P12ihipStream_tbPNSt15iterator_traitsISI_E10value_typeEPNSO_ISJ_E10value_typeEPSK_NS1_7vsmem_tEENKUlT_SI_SJ_SK_E_clISD_PiSD_S10_EESH_SX_SI_SJ_SK_EUlSX_E1_NS1_11comp_targetILNS1_3genE2ELNS1_11target_archE906ELNS1_3gpuE6ELNS1_3repE0EEENS1_36merge_oddeven_config_static_selectorELNS0_4arch9wavefront6targetE1EEEvSJ_.kd
    .uniform_work_group_size: 1
    .uses_dynamic_stack: false
    .vgpr_count:     0
    .vgpr_spill_count: 0
    .wavefront_size: 64
  - .agpr_count:     0
    .args:
      - .offset:         0
        .size:           48
        .value_kind:     by_value
    .group_segment_fixed_size: 0
    .kernarg_segment_align: 8
    .kernarg_segment_size: 48
    .language:       OpenCL C
    .language_version:
      - 2
      - 0
    .max_flat_workgroup_size: 256
    .name:           _ZN7rocprim17ROCPRIM_400000_NS6detail17trampoline_kernelINS0_14default_configENS1_38merge_sort_block_merge_config_selectorIiiEEZZNS1_27merge_sort_block_merge_implIS3_N6thrust23THRUST_200600_302600_NS6detail15normal_iteratorINS8_10device_ptrIiEEEESD_jNS1_19radix_merge_compareILb0ELb1EiNS0_19identity_decomposerEEEEE10hipError_tT0_T1_T2_jT3_P12ihipStream_tbPNSt15iterator_traitsISI_E10value_typeEPNSO_ISJ_E10value_typeEPSK_NS1_7vsmem_tEENKUlT_SI_SJ_SK_E_clISD_PiSD_S10_EESH_SX_SI_SJ_SK_EUlSX_E1_NS1_11comp_targetILNS1_3genE9ELNS1_11target_archE1100ELNS1_3gpuE3ELNS1_3repE0EEENS1_36merge_oddeven_config_static_selectorELNS0_4arch9wavefront6targetE1EEEvSJ_
    .private_segment_fixed_size: 0
    .sgpr_count:     6
    .sgpr_spill_count: 0
    .symbol:         _ZN7rocprim17ROCPRIM_400000_NS6detail17trampoline_kernelINS0_14default_configENS1_38merge_sort_block_merge_config_selectorIiiEEZZNS1_27merge_sort_block_merge_implIS3_N6thrust23THRUST_200600_302600_NS6detail15normal_iteratorINS8_10device_ptrIiEEEESD_jNS1_19radix_merge_compareILb0ELb1EiNS0_19identity_decomposerEEEEE10hipError_tT0_T1_T2_jT3_P12ihipStream_tbPNSt15iterator_traitsISI_E10value_typeEPNSO_ISJ_E10value_typeEPSK_NS1_7vsmem_tEENKUlT_SI_SJ_SK_E_clISD_PiSD_S10_EESH_SX_SI_SJ_SK_EUlSX_E1_NS1_11comp_targetILNS1_3genE9ELNS1_11target_archE1100ELNS1_3gpuE3ELNS1_3repE0EEENS1_36merge_oddeven_config_static_selectorELNS0_4arch9wavefront6targetE1EEEvSJ_.kd
    .uniform_work_group_size: 1
    .uses_dynamic_stack: false
    .vgpr_count:     0
    .vgpr_spill_count: 0
    .wavefront_size: 64
  - .agpr_count:     0
    .args:
      - .offset:         0
        .size:           48
        .value_kind:     by_value
    .group_segment_fixed_size: 0
    .kernarg_segment_align: 8
    .kernarg_segment_size: 48
    .language:       OpenCL C
    .language_version:
      - 2
      - 0
    .max_flat_workgroup_size: 256
    .name:           _ZN7rocprim17ROCPRIM_400000_NS6detail17trampoline_kernelINS0_14default_configENS1_38merge_sort_block_merge_config_selectorIiiEEZZNS1_27merge_sort_block_merge_implIS3_N6thrust23THRUST_200600_302600_NS6detail15normal_iteratorINS8_10device_ptrIiEEEESD_jNS1_19radix_merge_compareILb0ELb1EiNS0_19identity_decomposerEEEEE10hipError_tT0_T1_T2_jT3_P12ihipStream_tbPNSt15iterator_traitsISI_E10value_typeEPNSO_ISJ_E10value_typeEPSK_NS1_7vsmem_tEENKUlT_SI_SJ_SK_E_clISD_PiSD_S10_EESH_SX_SI_SJ_SK_EUlSX_E1_NS1_11comp_targetILNS1_3genE8ELNS1_11target_archE1030ELNS1_3gpuE2ELNS1_3repE0EEENS1_36merge_oddeven_config_static_selectorELNS0_4arch9wavefront6targetE1EEEvSJ_
    .private_segment_fixed_size: 0
    .sgpr_count:     6
    .sgpr_spill_count: 0
    .symbol:         _ZN7rocprim17ROCPRIM_400000_NS6detail17trampoline_kernelINS0_14default_configENS1_38merge_sort_block_merge_config_selectorIiiEEZZNS1_27merge_sort_block_merge_implIS3_N6thrust23THRUST_200600_302600_NS6detail15normal_iteratorINS8_10device_ptrIiEEEESD_jNS1_19radix_merge_compareILb0ELb1EiNS0_19identity_decomposerEEEEE10hipError_tT0_T1_T2_jT3_P12ihipStream_tbPNSt15iterator_traitsISI_E10value_typeEPNSO_ISJ_E10value_typeEPSK_NS1_7vsmem_tEENKUlT_SI_SJ_SK_E_clISD_PiSD_S10_EESH_SX_SI_SJ_SK_EUlSX_E1_NS1_11comp_targetILNS1_3genE8ELNS1_11target_archE1030ELNS1_3gpuE2ELNS1_3repE0EEENS1_36merge_oddeven_config_static_selectorELNS0_4arch9wavefront6targetE1EEEvSJ_.kd
    .uniform_work_group_size: 1
    .uses_dynamic_stack: false
    .vgpr_count:     0
    .vgpr_spill_count: 0
    .wavefront_size: 64
  - .agpr_count:     0
    .args:
      - .offset:         0
        .size:           40
        .value_kind:     by_value
    .group_segment_fixed_size: 0
    .kernarg_segment_align: 8
    .kernarg_segment_size: 40
    .language:       OpenCL C
    .language_version:
      - 2
      - 0
    .max_flat_workgroup_size: 256
    .name:           _ZN7rocprim17ROCPRIM_400000_NS6detail17trampoline_kernelINS0_14default_configENS1_35radix_sort_onesweep_config_selectorIiiEEZNS1_34radix_sort_onesweep_global_offsetsIS3_Lb0EN6thrust23THRUST_200600_302600_NS6detail15normal_iteratorINS8_10device_ptrIiEEEESD_jNS0_19identity_decomposerEEE10hipError_tT1_T2_PT3_SI_jT4_jjP12ihipStream_tbEUlT_E_NS1_11comp_targetILNS1_3genE0ELNS1_11target_archE4294967295ELNS1_3gpuE0ELNS1_3repE0EEENS1_52radix_sort_onesweep_histogram_config_static_selectorELNS0_4arch9wavefront6targetE1EEEvSG_
    .private_segment_fixed_size: 0
    .sgpr_count:     6
    .sgpr_spill_count: 0
    .symbol:         _ZN7rocprim17ROCPRIM_400000_NS6detail17trampoline_kernelINS0_14default_configENS1_35radix_sort_onesweep_config_selectorIiiEEZNS1_34radix_sort_onesweep_global_offsetsIS3_Lb0EN6thrust23THRUST_200600_302600_NS6detail15normal_iteratorINS8_10device_ptrIiEEEESD_jNS0_19identity_decomposerEEE10hipError_tT1_T2_PT3_SI_jT4_jjP12ihipStream_tbEUlT_E_NS1_11comp_targetILNS1_3genE0ELNS1_11target_archE4294967295ELNS1_3gpuE0ELNS1_3repE0EEENS1_52radix_sort_onesweep_histogram_config_static_selectorELNS0_4arch9wavefront6targetE1EEEvSG_.kd
    .uniform_work_group_size: 1
    .uses_dynamic_stack: false
    .vgpr_count:     0
    .vgpr_spill_count: 0
    .wavefront_size: 64
  - .agpr_count:     0
    .args:
      - .offset:         0
        .size:           40
        .value_kind:     by_value
    .group_segment_fixed_size: 16384
    .kernarg_segment_align: 8
    .kernarg_segment_size: 40
    .language:       OpenCL C
    .language_version:
      - 2
      - 0
    .max_flat_workgroup_size: 1024
    .name:           _ZN7rocprim17ROCPRIM_400000_NS6detail17trampoline_kernelINS0_14default_configENS1_35radix_sort_onesweep_config_selectorIiiEEZNS1_34radix_sort_onesweep_global_offsetsIS3_Lb0EN6thrust23THRUST_200600_302600_NS6detail15normal_iteratorINS8_10device_ptrIiEEEESD_jNS0_19identity_decomposerEEE10hipError_tT1_T2_PT3_SI_jT4_jjP12ihipStream_tbEUlT_E_NS1_11comp_targetILNS1_3genE6ELNS1_11target_archE950ELNS1_3gpuE13ELNS1_3repE0EEENS1_52radix_sort_onesweep_histogram_config_static_selectorELNS0_4arch9wavefront6targetE1EEEvSG_
    .private_segment_fixed_size: 0
    .sgpr_count:     25
    .sgpr_spill_count: 0
    .symbol:         _ZN7rocprim17ROCPRIM_400000_NS6detail17trampoline_kernelINS0_14default_configENS1_35radix_sort_onesweep_config_selectorIiiEEZNS1_34radix_sort_onesweep_global_offsetsIS3_Lb0EN6thrust23THRUST_200600_302600_NS6detail15normal_iteratorINS8_10device_ptrIiEEEESD_jNS0_19identity_decomposerEEE10hipError_tT1_T2_PT3_SI_jT4_jjP12ihipStream_tbEUlT_E_NS1_11comp_targetILNS1_3genE6ELNS1_11target_archE950ELNS1_3gpuE13ELNS1_3repE0EEENS1_52radix_sort_onesweep_histogram_config_static_selectorELNS0_4arch9wavefront6targetE1EEEvSG_.kd
    .uniform_work_group_size: 1
    .uses_dynamic_stack: false
    .vgpr_count:     36
    .vgpr_spill_count: 0
    .wavefront_size: 64
  - .agpr_count:     0
    .args:
      - .offset:         0
        .size:           40
        .value_kind:     by_value
    .group_segment_fixed_size: 0
    .kernarg_segment_align: 8
    .kernarg_segment_size: 40
    .language:       OpenCL C
    .language_version:
      - 2
      - 0
    .max_flat_workgroup_size: 1024
    .name:           _ZN7rocprim17ROCPRIM_400000_NS6detail17trampoline_kernelINS0_14default_configENS1_35radix_sort_onesweep_config_selectorIiiEEZNS1_34radix_sort_onesweep_global_offsetsIS3_Lb0EN6thrust23THRUST_200600_302600_NS6detail15normal_iteratorINS8_10device_ptrIiEEEESD_jNS0_19identity_decomposerEEE10hipError_tT1_T2_PT3_SI_jT4_jjP12ihipStream_tbEUlT_E_NS1_11comp_targetILNS1_3genE5ELNS1_11target_archE942ELNS1_3gpuE9ELNS1_3repE0EEENS1_52radix_sort_onesweep_histogram_config_static_selectorELNS0_4arch9wavefront6targetE1EEEvSG_
    .private_segment_fixed_size: 0
    .sgpr_count:     6
    .sgpr_spill_count: 0
    .symbol:         _ZN7rocprim17ROCPRIM_400000_NS6detail17trampoline_kernelINS0_14default_configENS1_35radix_sort_onesweep_config_selectorIiiEEZNS1_34radix_sort_onesweep_global_offsetsIS3_Lb0EN6thrust23THRUST_200600_302600_NS6detail15normal_iteratorINS8_10device_ptrIiEEEESD_jNS0_19identity_decomposerEEE10hipError_tT1_T2_PT3_SI_jT4_jjP12ihipStream_tbEUlT_E_NS1_11comp_targetILNS1_3genE5ELNS1_11target_archE942ELNS1_3gpuE9ELNS1_3repE0EEENS1_52radix_sort_onesweep_histogram_config_static_selectorELNS0_4arch9wavefront6targetE1EEEvSG_.kd
    .uniform_work_group_size: 1
    .uses_dynamic_stack: false
    .vgpr_count:     0
    .vgpr_spill_count: 0
    .wavefront_size: 64
  - .agpr_count:     0
    .args:
      - .offset:         0
        .size:           40
        .value_kind:     by_value
    .group_segment_fixed_size: 0
    .kernarg_segment_align: 8
    .kernarg_segment_size: 40
    .language:       OpenCL C
    .language_version:
      - 2
      - 0
    .max_flat_workgroup_size: 512
    .name:           _ZN7rocprim17ROCPRIM_400000_NS6detail17trampoline_kernelINS0_14default_configENS1_35radix_sort_onesweep_config_selectorIiiEEZNS1_34radix_sort_onesweep_global_offsetsIS3_Lb0EN6thrust23THRUST_200600_302600_NS6detail15normal_iteratorINS8_10device_ptrIiEEEESD_jNS0_19identity_decomposerEEE10hipError_tT1_T2_PT3_SI_jT4_jjP12ihipStream_tbEUlT_E_NS1_11comp_targetILNS1_3genE2ELNS1_11target_archE906ELNS1_3gpuE6ELNS1_3repE0EEENS1_52radix_sort_onesweep_histogram_config_static_selectorELNS0_4arch9wavefront6targetE1EEEvSG_
    .private_segment_fixed_size: 0
    .sgpr_count:     6
    .sgpr_spill_count: 0
    .symbol:         _ZN7rocprim17ROCPRIM_400000_NS6detail17trampoline_kernelINS0_14default_configENS1_35radix_sort_onesweep_config_selectorIiiEEZNS1_34radix_sort_onesweep_global_offsetsIS3_Lb0EN6thrust23THRUST_200600_302600_NS6detail15normal_iteratorINS8_10device_ptrIiEEEESD_jNS0_19identity_decomposerEEE10hipError_tT1_T2_PT3_SI_jT4_jjP12ihipStream_tbEUlT_E_NS1_11comp_targetILNS1_3genE2ELNS1_11target_archE906ELNS1_3gpuE6ELNS1_3repE0EEENS1_52radix_sort_onesweep_histogram_config_static_selectorELNS0_4arch9wavefront6targetE1EEEvSG_.kd
    .uniform_work_group_size: 1
    .uses_dynamic_stack: false
    .vgpr_count:     0
    .vgpr_spill_count: 0
    .wavefront_size: 64
  - .agpr_count:     0
    .args:
      - .offset:         0
        .size:           40
        .value_kind:     by_value
    .group_segment_fixed_size: 0
    .kernarg_segment_align: 8
    .kernarg_segment_size: 40
    .language:       OpenCL C
    .language_version:
      - 2
      - 0
    .max_flat_workgroup_size: 512
    .name:           _ZN7rocprim17ROCPRIM_400000_NS6detail17trampoline_kernelINS0_14default_configENS1_35radix_sort_onesweep_config_selectorIiiEEZNS1_34radix_sort_onesweep_global_offsetsIS3_Lb0EN6thrust23THRUST_200600_302600_NS6detail15normal_iteratorINS8_10device_ptrIiEEEESD_jNS0_19identity_decomposerEEE10hipError_tT1_T2_PT3_SI_jT4_jjP12ihipStream_tbEUlT_E_NS1_11comp_targetILNS1_3genE4ELNS1_11target_archE910ELNS1_3gpuE8ELNS1_3repE0EEENS1_52radix_sort_onesweep_histogram_config_static_selectorELNS0_4arch9wavefront6targetE1EEEvSG_
    .private_segment_fixed_size: 0
    .sgpr_count:     6
    .sgpr_spill_count: 0
    .symbol:         _ZN7rocprim17ROCPRIM_400000_NS6detail17trampoline_kernelINS0_14default_configENS1_35radix_sort_onesweep_config_selectorIiiEEZNS1_34radix_sort_onesweep_global_offsetsIS3_Lb0EN6thrust23THRUST_200600_302600_NS6detail15normal_iteratorINS8_10device_ptrIiEEEESD_jNS0_19identity_decomposerEEE10hipError_tT1_T2_PT3_SI_jT4_jjP12ihipStream_tbEUlT_E_NS1_11comp_targetILNS1_3genE4ELNS1_11target_archE910ELNS1_3gpuE8ELNS1_3repE0EEENS1_52radix_sort_onesweep_histogram_config_static_selectorELNS0_4arch9wavefront6targetE1EEEvSG_.kd
    .uniform_work_group_size: 1
    .uses_dynamic_stack: false
    .vgpr_count:     0
    .vgpr_spill_count: 0
    .wavefront_size: 64
  - .agpr_count:     0
    .args:
      - .offset:         0
        .size:           40
        .value_kind:     by_value
    .group_segment_fixed_size: 0
    .kernarg_segment_align: 8
    .kernarg_segment_size: 40
    .language:       OpenCL C
    .language_version:
      - 2
      - 0
    .max_flat_workgroup_size: 256
    .name:           _ZN7rocprim17ROCPRIM_400000_NS6detail17trampoline_kernelINS0_14default_configENS1_35radix_sort_onesweep_config_selectorIiiEEZNS1_34radix_sort_onesweep_global_offsetsIS3_Lb0EN6thrust23THRUST_200600_302600_NS6detail15normal_iteratorINS8_10device_ptrIiEEEESD_jNS0_19identity_decomposerEEE10hipError_tT1_T2_PT3_SI_jT4_jjP12ihipStream_tbEUlT_E_NS1_11comp_targetILNS1_3genE3ELNS1_11target_archE908ELNS1_3gpuE7ELNS1_3repE0EEENS1_52radix_sort_onesweep_histogram_config_static_selectorELNS0_4arch9wavefront6targetE1EEEvSG_
    .private_segment_fixed_size: 0
    .sgpr_count:     6
    .sgpr_spill_count: 0
    .symbol:         _ZN7rocprim17ROCPRIM_400000_NS6detail17trampoline_kernelINS0_14default_configENS1_35radix_sort_onesweep_config_selectorIiiEEZNS1_34radix_sort_onesweep_global_offsetsIS3_Lb0EN6thrust23THRUST_200600_302600_NS6detail15normal_iteratorINS8_10device_ptrIiEEEESD_jNS0_19identity_decomposerEEE10hipError_tT1_T2_PT3_SI_jT4_jjP12ihipStream_tbEUlT_E_NS1_11comp_targetILNS1_3genE3ELNS1_11target_archE908ELNS1_3gpuE7ELNS1_3repE0EEENS1_52radix_sort_onesweep_histogram_config_static_selectorELNS0_4arch9wavefront6targetE1EEEvSG_.kd
    .uniform_work_group_size: 1
    .uses_dynamic_stack: false
    .vgpr_count:     0
    .vgpr_spill_count: 0
    .wavefront_size: 64
  - .agpr_count:     0
    .args:
      - .offset:         0
        .size:           40
        .value_kind:     by_value
    .group_segment_fixed_size: 0
    .kernarg_segment_align: 8
    .kernarg_segment_size: 40
    .language:       OpenCL C
    .language_version:
      - 2
      - 0
    .max_flat_workgroup_size: 1024
    .name:           _ZN7rocprim17ROCPRIM_400000_NS6detail17trampoline_kernelINS0_14default_configENS1_35radix_sort_onesweep_config_selectorIiiEEZNS1_34radix_sort_onesweep_global_offsetsIS3_Lb0EN6thrust23THRUST_200600_302600_NS6detail15normal_iteratorINS8_10device_ptrIiEEEESD_jNS0_19identity_decomposerEEE10hipError_tT1_T2_PT3_SI_jT4_jjP12ihipStream_tbEUlT_E_NS1_11comp_targetILNS1_3genE10ELNS1_11target_archE1201ELNS1_3gpuE5ELNS1_3repE0EEENS1_52radix_sort_onesweep_histogram_config_static_selectorELNS0_4arch9wavefront6targetE1EEEvSG_
    .private_segment_fixed_size: 0
    .sgpr_count:     6
    .sgpr_spill_count: 0
    .symbol:         _ZN7rocprim17ROCPRIM_400000_NS6detail17trampoline_kernelINS0_14default_configENS1_35radix_sort_onesweep_config_selectorIiiEEZNS1_34radix_sort_onesweep_global_offsetsIS3_Lb0EN6thrust23THRUST_200600_302600_NS6detail15normal_iteratorINS8_10device_ptrIiEEEESD_jNS0_19identity_decomposerEEE10hipError_tT1_T2_PT3_SI_jT4_jjP12ihipStream_tbEUlT_E_NS1_11comp_targetILNS1_3genE10ELNS1_11target_archE1201ELNS1_3gpuE5ELNS1_3repE0EEENS1_52radix_sort_onesweep_histogram_config_static_selectorELNS0_4arch9wavefront6targetE1EEEvSG_.kd
    .uniform_work_group_size: 1
    .uses_dynamic_stack: false
    .vgpr_count:     0
    .vgpr_spill_count: 0
    .wavefront_size: 64
  - .agpr_count:     0
    .args:
      - .offset:         0
        .size:           40
        .value_kind:     by_value
    .group_segment_fixed_size: 0
    .kernarg_segment_align: 8
    .kernarg_segment_size: 40
    .language:       OpenCL C
    .language_version:
      - 2
      - 0
    .max_flat_workgroup_size: 1024
    .name:           _ZN7rocprim17ROCPRIM_400000_NS6detail17trampoline_kernelINS0_14default_configENS1_35radix_sort_onesweep_config_selectorIiiEEZNS1_34radix_sort_onesweep_global_offsetsIS3_Lb0EN6thrust23THRUST_200600_302600_NS6detail15normal_iteratorINS8_10device_ptrIiEEEESD_jNS0_19identity_decomposerEEE10hipError_tT1_T2_PT3_SI_jT4_jjP12ihipStream_tbEUlT_E_NS1_11comp_targetILNS1_3genE9ELNS1_11target_archE1100ELNS1_3gpuE3ELNS1_3repE0EEENS1_52radix_sort_onesweep_histogram_config_static_selectorELNS0_4arch9wavefront6targetE1EEEvSG_
    .private_segment_fixed_size: 0
    .sgpr_count:     6
    .sgpr_spill_count: 0
    .symbol:         _ZN7rocprim17ROCPRIM_400000_NS6detail17trampoline_kernelINS0_14default_configENS1_35radix_sort_onesweep_config_selectorIiiEEZNS1_34radix_sort_onesweep_global_offsetsIS3_Lb0EN6thrust23THRUST_200600_302600_NS6detail15normal_iteratorINS8_10device_ptrIiEEEESD_jNS0_19identity_decomposerEEE10hipError_tT1_T2_PT3_SI_jT4_jjP12ihipStream_tbEUlT_E_NS1_11comp_targetILNS1_3genE9ELNS1_11target_archE1100ELNS1_3gpuE3ELNS1_3repE0EEENS1_52radix_sort_onesweep_histogram_config_static_selectorELNS0_4arch9wavefront6targetE1EEEvSG_.kd
    .uniform_work_group_size: 1
    .uses_dynamic_stack: false
    .vgpr_count:     0
    .vgpr_spill_count: 0
    .wavefront_size: 64
  - .agpr_count:     0
    .args:
      - .offset:         0
        .size:           40
        .value_kind:     by_value
    .group_segment_fixed_size: 0
    .kernarg_segment_align: 8
    .kernarg_segment_size: 40
    .language:       OpenCL C
    .language_version:
      - 2
      - 0
    .max_flat_workgroup_size: 1024
    .name:           _ZN7rocprim17ROCPRIM_400000_NS6detail17trampoline_kernelINS0_14default_configENS1_35radix_sort_onesweep_config_selectorIiiEEZNS1_34radix_sort_onesweep_global_offsetsIS3_Lb0EN6thrust23THRUST_200600_302600_NS6detail15normal_iteratorINS8_10device_ptrIiEEEESD_jNS0_19identity_decomposerEEE10hipError_tT1_T2_PT3_SI_jT4_jjP12ihipStream_tbEUlT_E_NS1_11comp_targetILNS1_3genE8ELNS1_11target_archE1030ELNS1_3gpuE2ELNS1_3repE0EEENS1_52radix_sort_onesweep_histogram_config_static_selectorELNS0_4arch9wavefront6targetE1EEEvSG_
    .private_segment_fixed_size: 0
    .sgpr_count:     6
    .sgpr_spill_count: 0
    .symbol:         _ZN7rocprim17ROCPRIM_400000_NS6detail17trampoline_kernelINS0_14default_configENS1_35radix_sort_onesweep_config_selectorIiiEEZNS1_34radix_sort_onesweep_global_offsetsIS3_Lb0EN6thrust23THRUST_200600_302600_NS6detail15normal_iteratorINS8_10device_ptrIiEEEESD_jNS0_19identity_decomposerEEE10hipError_tT1_T2_PT3_SI_jT4_jjP12ihipStream_tbEUlT_E_NS1_11comp_targetILNS1_3genE8ELNS1_11target_archE1030ELNS1_3gpuE2ELNS1_3repE0EEENS1_52radix_sort_onesweep_histogram_config_static_selectorELNS0_4arch9wavefront6targetE1EEEvSG_.kd
    .uniform_work_group_size: 1
    .uses_dynamic_stack: false
    .vgpr_count:     0
    .vgpr_spill_count: 0
    .wavefront_size: 64
  - .agpr_count:     0
    .args:
      - .address_space:  global
        .offset:         0
        .size:           8
        .value_kind:     global_buffer
    .group_segment_fixed_size: 0
    .kernarg_segment_align: 8
    .kernarg_segment_size: 8
    .language:       OpenCL C
    .language_version:
      - 2
      - 0
    .max_flat_workgroup_size: 256
    .name:           _ZN7rocprim17ROCPRIM_400000_NS6detail17trampoline_kernelINS0_14default_configENS1_35radix_sort_onesweep_config_selectorIiiEEZNS1_34radix_sort_onesweep_global_offsetsIS3_Lb0EN6thrust23THRUST_200600_302600_NS6detail15normal_iteratorINS8_10device_ptrIiEEEESD_jNS0_19identity_decomposerEEE10hipError_tT1_T2_PT3_SI_jT4_jjP12ihipStream_tbEUlT_E0_NS1_11comp_targetILNS1_3genE0ELNS1_11target_archE4294967295ELNS1_3gpuE0ELNS1_3repE0EEENS1_52radix_sort_onesweep_histogram_config_static_selectorELNS0_4arch9wavefront6targetE1EEEvSG_
    .private_segment_fixed_size: 0
    .sgpr_count:     6
    .sgpr_spill_count: 0
    .symbol:         _ZN7rocprim17ROCPRIM_400000_NS6detail17trampoline_kernelINS0_14default_configENS1_35radix_sort_onesweep_config_selectorIiiEEZNS1_34radix_sort_onesweep_global_offsetsIS3_Lb0EN6thrust23THRUST_200600_302600_NS6detail15normal_iteratorINS8_10device_ptrIiEEEESD_jNS0_19identity_decomposerEEE10hipError_tT1_T2_PT3_SI_jT4_jjP12ihipStream_tbEUlT_E0_NS1_11comp_targetILNS1_3genE0ELNS1_11target_archE4294967295ELNS1_3gpuE0ELNS1_3repE0EEENS1_52radix_sort_onesweep_histogram_config_static_selectorELNS0_4arch9wavefront6targetE1EEEvSG_.kd
    .uniform_work_group_size: 1
    .uses_dynamic_stack: false
    .vgpr_count:     0
    .vgpr_spill_count: 0
    .wavefront_size: 64
  - .agpr_count:     0
    .args:
      - .address_space:  global
        .offset:         0
        .size:           8
        .value_kind:     global_buffer
    .group_segment_fixed_size: 64
    .kernarg_segment_align: 8
    .kernarg_segment_size: 8
    .language:       OpenCL C
    .language_version:
      - 2
      - 0
    .max_flat_workgroup_size: 1024
    .name:           _ZN7rocprim17ROCPRIM_400000_NS6detail17trampoline_kernelINS0_14default_configENS1_35radix_sort_onesweep_config_selectorIiiEEZNS1_34radix_sort_onesweep_global_offsetsIS3_Lb0EN6thrust23THRUST_200600_302600_NS6detail15normal_iteratorINS8_10device_ptrIiEEEESD_jNS0_19identity_decomposerEEE10hipError_tT1_T2_PT3_SI_jT4_jjP12ihipStream_tbEUlT_E0_NS1_11comp_targetILNS1_3genE6ELNS1_11target_archE950ELNS1_3gpuE13ELNS1_3repE0EEENS1_52radix_sort_onesweep_histogram_config_static_selectorELNS0_4arch9wavefront6targetE1EEEvSG_
    .private_segment_fixed_size: 0
    .sgpr_count:     20
    .sgpr_spill_count: 0
    .symbol:         _ZN7rocprim17ROCPRIM_400000_NS6detail17trampoline_kernelINS0_14default_configENS1_35radix_sort_onesweep_config_selectorIiiEEZNS1_34radix_sort_onesweep_global_offsetsIS3_Lb0EN6thrust23THRUST_200600_302600_NS6detail15normal_iteratorINS8_10device_ptrIiEEEESD_jNS0_19identity_decomposerEEE10hipError_tT1_T2_PT3_SI_jT4_jjP12ihipStream_tbEUlT_E0_NS1_11comp_targetILNS1_3genE6ELNS1_11target_archE950ELNS1_3gpuE13ELNS1_3repE0EEENS1_52radix_sort_onesweep_histogram_config_static_selectorELNS0_4arch9wavefront6targetE1EEEvSG_.kd
    .uniform_work_group_size: 1
    .uses_dynamic_stack: false
    .vgpr_count:     7
    .vgpr_spill_count: 0
    .wavefront_size: 64
  - .agpr_count:     0
    .args:
      - .address_space:  global
        .offset:         0
        .size:           8
        .value_kind:     global_buffer
    .group_segment_fixed_size: 0
    .kernarg_segment_align: 8
    .kernarg_segment_size: 8
    .language:       OpenCL C
    .language_version:
      - 2
      - 0
    .max_flat_workgroup_size: 1024
    .name:           _ZN7rocprim17ROCPRIM_400000_NS6detail17trampoline_kernelINS0_14default_configENS1_35radix_sort_onesweep_config_selectorIiiEEZNS1_34radix_sort_onesweep_global_offsetsIS3_Lb0EN6thrust23THRUST_200600_302600_NS6detail15normal_iteratorINS8_10device_ptrIiEEEESD_jNS0_19identity_decomposerEEE10hipError_tT1_T2_PT3_SI_jT4_jjP12ihipStream_tbEUlT_E0_NS1_11comp_targetILNS1_3genE5ELNS1_11target_archE942ELNS1_3gpuE9ELNS1_3repE0EEENS1_52radix_sort_onesweep_histogram_config_static_selectorELNS0_4arch9wavefront6targetE1EEEvSG_
    .private_segment_fixed_size: 0
    .sgpr_count:     6
    .sgpr_spill_count: 0
    .symbol:         _ZN7rocprim17ROCPRIM_400000_NS6detail17trampoline_kernelINS0_14default_configENS1_35radix_sort_onesweep_config_selectorIiiEEZNS1_34radix_sort_onesweep_global_offsetsIS3_Lb0EN6thrust23THRUST_200600_302600_NS6detail15normal_iteratorINS8_10device_ptrIiEEEESD_jNS0_19identity_decomposerEEE10hipError_tT1_T2_PT3_SI_jT4_jjP12ihipStream_tbEUlT_E0_NS1_11comp_targetILNS1_3genE5ELNS1_11target_archE942ELNS1_3gpuE9ELNS1_3repE0EEENS1_52radix_sort_onesweep_histogram_config_static_selectorELNS0_4arch9wavefront6targetE1EEEvSG_.kd
    .uniform_work_group_size: 1
    .uses_dynamic_stack: false
    .vgpr_count:     0
    .vgpr_spill_count: 0
    .wavefront_size: 64
  - .agpr_count:     0
    .args:
      - .address_space:  global
        .offset:         0
        .size:           8
        .value_kind:     global_buffer
    .group_segment_fixed_size: 0
    .kernarg_segment_align: 8
    .kernarg_segment_size: 8
    .language:       OpenCL C
    .language_version:
      - 2
      - 0
    .max_flat_workgroup_size: 512
    .name:           _ZN7rocprim17ROCPRIM_400000_NS6detail17trampoline_kernelINS0_14default_configENS1_35radix_sort_onesweep_config_selectorIiiEEZNS1_34radix_sort_onesweep_global_offsetsIS3_Lb0EN6thrust23THRUST_200600_302600_NS6detail15normal_iteratorINS8_10device_ptrIiEEEESD_jNS0_19identity_decomposerEEE10hipError_tT1_T2_PT3_SI_jT4_jjP12ihipStream_tbEUlT_E0_NS1_11comp_targetILNS1_3genE2ELNS1_11target_archE906ELNS1_3gpuE6ELNS1_3repE0EEENS1_52radix_sort_onesweep_histogram_config_static_selectorELNS0_4arch9wavefront6targetE1EEEvSG_
    .private_segment_fixed_size: 0
    .sgpr_count:     6
    .sgpr_spill_count: 0
    .symbol:         _ZN7rocprim17ROCPRIM_400000_NS6detail17trampoline_kernelINS0_14default_configENS1_35radix_sort_onesweep_config_selectorIiiEEZNS1_34radix_sort_onesweep_global_offsetsIS3_Lb0EN6thrust23THRUST_200600_302600_NS6detail15normal_iteratorINS8_10device_ptrIiEEEESD_jNS0_19identity_decomposerEEE10hipError_tT1_T2_PT3_SI_jT4_jjP12ihipStream_tbEUlT_E0_NS1_11comp_targetILNS1_3genE2ELNS1_11target_archE906ELNS1_3gpuE6ELNS1_3repE0EEENS1_52radix_sort_onesweep_histogram_config_static_selectorELNS0_4arch9wavefront6targetE1EEEvSG_.kd
    .uniform_work_group_size: 1
    .uses_dynamic_stack: false
    .vgpr_count:     0
    .vgpr_spill_count: 0
    .wavefront_size: 64
  - .agpr_count:     0
    .args:
      - .address_space:  global
        .offset:         0
        .size:           8
        .value_kind:     global_buffer
    .group_segment_fixed_size: 0
    .kernarg_segment_align: 8
    .kernarg_segment_size: 8
    .language:       OpenCL C
    .language_version:
      - 2
      - 0
    .max_flat_workgroup_size: 512
    .name:           _ZN7rocprim17ROCPRIM_400000_NS6detail17trampoline_kernelINS0_14default_configENS1_35radix_sort_onesweep_config_selectorIiiEEZNS1_34radix_sort_onesweep_global_offsetsIS3_Lb0EN6thrust23THRUST_200600_302600_NS6detail15normal_iteratorINS8_10device_ptrIiEEEESD_jNS0_19identity_decomposerEEE10hipError_tT1_T2_PT3_SI_jT4_jjP12ihipStream_tbEUlT_E0_NS1_11comp_targetILNS1_3genE4ELNS1_11target_archE910ELNS1_3gpuE8ELNS1_3repE0EEENS1_52radix_sort_onesweep_histogram_config_static_selectorELNS0_4arch9wavefront6targetE1EEEvSG_
    .private_segment_fixed_size: 0
    .sgpr_count:     6
    .sgpr_spill_count: 0
    .symbol:         _ZN7rocprim17ROCPRIM_400000_NS6detail17trampoline_kernelINS0_14default_configENS1_35radix_sort_onesweep_config_selectorIiiEEZNS1_34radix_sort_onesweep_global_offsetsIS3_Lb0EN6thrust23THRUST_200600_302600_NS6detail15normal_iteratorINS8_10device_ptrIiEEEESD_jNS0_19identity_decomposerEEE10hipError_tT1_T2_PT3_SI_jT4_jjP12ihipStream_tbEUlT_E0_NS1_11comp_targetILNS1_3genE4ELNS1_11target_archE910ELNS1_3gpuE8ELNS1_3repE0EEENS1_52radix_sort_onesweep_histogram_config_static_selectorELNS0_4arch9wavefront6targetE1EEEvSG_.kd
    .uniform_work_group_size: 1
    .uses_dynamic_stack: false
    .vgpr_count:     0
    .vgpr_spill_count: 0
    .wavefront_size: 64
  - .agpr_count:     0
    .args:
      - .address_space:  global
        .offset:         0
        .size:           8
        .value_kind:     global_buffer
    .group_segment_fixed_size: 0
    .kernarg_segment_align: 8
    .kernarg_segment_size: 8
    .language:       OpenCL C
    .language_version:
      - 2
      - 0
    .max_flat_workgroup_size: 256
    .name:           _ZN7rocprim17ROCPRIM_400000_NS6detail17trampoline_kernelINS0_14default_configENS1_35radix_sort_onesweep_config_selectorIiiEEZNS1_34radix_sort_onesweep_global_offsetsIS3_Lb0EN6thrust23THRUST_200600_302600_NS6detail15normal_iteratorINS8_10device_ptrIiEEEESD_jNS0_19identity_decomposerEEE10hipError_tT1_T2_PT3_SI_jT4_jjP12ihipStream_tbEUlT_E0_NS1_11comp_targetILNS1_3genE3ELNS1_11target_archE908ELNS1_3gpuE7ELNS1_3repE0EEENS1_52radix_sort_onesweep_histogram_config_static_selectorELNS0_4arch9wavefront6targetE1EEEvSG_
    .private_segment_fixed_size: 0
    .sgpr_count:     6
    .sgpr_spill_count: 0
    .symbol:         _ZN7rocprim17ROCPRIM_400000_NS6detail17trampoline_kernelINS0_14default_configENS1_35radix_sort_onesweep_config_selectorIiiEEZNS1_34radix_sort_onesweep_global_offsetsIS3_Lb0EN6thrust23THRUST_200600_302600_NS6detail15normal_iteratorINS8_10device_ptrIiEEEESD_jNS0_19identity_decomposerEEE10hipError_tT1_T2_PT3_SI_jT4_jjP12ihipStream_tbEUlT_E0_NS1_11comp_targetILNS1_3genE3ELNS1_11target_archE908ELNS1_3gpuE7ELNS1_3repE0EEENS1_52radix_sort_onesweep_histogram_config_static_selectorELNS0_4arch9wavefront6targetE1EEEvSG_.kd
    .uniform_work_group_size: 1
    .uses_dynamic_stack: false
    .vgpr_count:     0
    .vgpr_spill_count: 0
    .wavefront_size: 64
  - .agpr_count:     0
    .args:
      - .address_space:  global
        .offset:         0
        .size:           8
        .value_kind:     global_buffer
    .group_segment_fixed_size: 0
    .kernarg_segment_align: 8
    .kernarg_segment_size: 8
    .language:       OpenCL C
    .language_version:
      - 2
      - 0
    .max_flat_workgroup_size: 1024
    .name:           _ZN7rocprim17ROCPRIM_400000_NS6detail17trampoline_kernelINS0_14default_configENS1_35radix_sort_onesweep_config_selectorIiiEEZNS1_34radix_sort_onesweep_global_offsetsIS3_Lb0EN6thrust23THRUST_200600_302600_NS6detail15normal_iteratorINS8_10device_ptrIiEEEESD_jNS0_19identity_decomposerEEE10hipError_tT1_T2_PT3_SI_jT4_jjP12ihipStream_tbEUlT_E0_NS1_11comp_targetILNS1_3genE10ELNS1_11target_archE1201ELNS1_3gpuE5ELNS1_3repE0EEENS1_52radix_sort_onesweep_histogram_config_static_selectorELNS0_4arch9wavefront6targetE1EEEvSG_
    .private_segment_fixed_size: 0
    .sgpr_count:     6
    .sgpr_spill_count: 0
    .symbol:         _ZN7rocprim17ROCPRIM_400000_NS6detail17trampoline_kernelINS0_14default_configENS1_35radix_sort_onesweep_config_selectorIiiEEZNS1_34radix_sort_onesweep_global_offsetsIS3_Lb0EN6thrust23THRUST_200600_302600_NS6detail15normal_iteratorINS8_10device_ptrIiEEEESD_jNS0_19identity_decomposerEEE10hipError_tT1_T2_PT3_SI_jT4_jjP12ihipStream_tbEUlT_E0_NS1_11comp_targetILNS1_3genE10ELNS1_11target_archE1201ELNS1_3gpuE5ELNS1_3repE0EEENS1_52radix_sort_onesweep_histogram_config_static_selectorELNS0_4arch9wavefront6targetE1EEEvSG_.kd
    .uniform_work_group_size: 1
    .uses_dynamic_stack: false
    .vgpr_count:     0
    .vgpr_spill_count: 0
    .wavefront_size: 64
  - .agpr_count:     0
    .args:
      - .address_space:  global
        .offset:         0
        .size:           8
        .value_kind:     global_buffer
    .group_segment_fixed_size: 0
    .kernarg_segment_align: 8
    .kernarg_segment_size: 8
    .language:       OpenCL C
    .language_version:
      - 2
      - 0
    .max_flat_workgroup_size: 1024
    .name:           _ZN7rocprim17ROCPRIM_400000_NS6detail17trampoline_kernelINS0_14default_configENS1_35radix_sort_onesweep_config_selectorIiiEEZNS1_34radix_sort_onesweep_global_offsetsIS3_Lb0EN6thrust23THRUST_200600_302600_NS6detail15normal_iteratorINS8_10device_ptrIiEEEESD_jNS0_19identity_decomposerEEE10hipError_tT1_T2_PT3_SI_jT4_jjP12ihipStream_tbEUlT_E0_NS1_11comp_targetILNS1_3genE9ELNS1_11target_archE1100ELNS1_3gpuE3ELNS1_3repE0EEENS1_52radix_sort_onesweep_histogram_config_static_selectorELNS0_4arch9wavefront6targetE1EEEvSG_
    .private_segment_fixed_size: 0
    .sgpr_count:     6
    .sgpr_spill_count: 0
    .symbol:         _ZN7rocprim17ROCPRIM_400000_NS6detail17trampoline_kernelINS0_14default_configENS1_35radix_sort_onesweep_config_selectorIiiEEZNS1_34radix_sort_onesweep_global_offsetsIS3_Lb0EN6thrust23THRUST_200600_302600_NS6detail15normal_iteratorINS8_10device_ptrIiEEEESD_jNS0_19identity_decomposerEEE10hipError_tT1_T2_PT3_SI_jT4_jjP12ihipStream_tbEUlT_E0_NS1_11comp_targetILNS1_3genE9ELNS1_11target_archE1100ELNS1_3gpuE3ELNS1_3repE0EEENS1_52radix_sort_onesweep_histogram_config_static_selectorELNS0_4arch9wavefront6targetE1EEEvSG_.kd
    .uniform_work_group_size: 1
    .uses_dynamic_stack: false
    .vgpr_count:     0
    .vgpr_spill_count: 0
    .wavefront_size: 64
  - .agpr_count:     0
    .args:
      - .address_space:  global
        .offset:         0
        .size:           8
        .value_kind:     global_buffer
    .group_segment_fixed_size: 0
    .kernarg_segment_align: 8
    .kernarg_segment_size: 8
    .language:       OpenCL C
    .language_version:
      - 2
      - 0
    .max_flat_workgroup_size: 1024
    .name:           _ZN7rocprim17ROCPRIM_400000_NS6detail17trampoline_kernelINS0_14default_configENS1_35radix_sort_onesweep_config_selectorIiiEEZNS1_34radix_sort_onesweep_global_offsetsIS3_Lb0EN6thrust23THRUST_200600_302600_NS6detail15normal_iteratorINS8_10device_ptrIiEEEESD_jNS0_19identity_decomposerEEE10hipError_tT1_T2_PT3_SI_jT4_jjP12ihipStream_tbEUlT_E0_NS1_11comp_targetILNS1_3genE8ELNS1_11target_archE1030ELNS1_3gpuE2ELNS1_3repE0EEENS1_52radix_sort_onesweep_histogram_config_static_selectorELNS0_4arch9wavefront6targetE1EEEvSG_
    .private_segment_fixed_size: 0
    .sgpr_count:     6
    .sgpr_spill_count: 0
    .symbol:         _ZN7rocprim17ROCPRIM_400000_NS6detail17trampoline_kernelINS0_14default_configENS1_35radix_sort_onesweep_config_selectorIiiEEZNS1_34radix_sort_onesweep_global_offsetsIS3_Lb0EN6thrust23THRUST_200600_302600_NS6detail15normal_iteratorINS8_10device_ptrIiEEEESD_jNS0_19identity_decomposerEEE10hipError_tT1_T2_PT3_SI_jT4_jjP12ihipStream_tbEUlT_E0_NS1_11comp_targetILNS1_3genE8ELNS1_11target_archE1030ELNS1_3gpuE2ELNS1_3repE0EEENS1_52radix_sort_onesweep_histogram_config_static_selectorELNS0_4arch9wavefront6targetE1EEEvSG_.kd
    .uniform_work_group_size: 1
    .uses_dynamic_stack: false
    .vgpr_count:     0
    .vgpr_spill_count: 0
    .wavefront_size: 64
  - .agpr_count:     0
    .args:
      - .offset:         0
        .size:           88
        .value_kind:     by_value
    .group_segment_fixed_size: 0
    .kernarg_segment_align: 8
    .kernarg_segment_size: 88
    .language:       OpenCL C
    .language_version:
      - 2
      - 0
    .max_flat_workgroup_size: 256
    .name:           _ZN7rocprim17ROCPRIM_400000_NS6detail17trampoline_kernelINS0_14default_configENS1_35radix_sort_onesweep_config_selectorIiiEEZZNS1_29radix_sort_onesweep_iterationIS3_Lb0EN6thrust23THRUST_200600_302600_NS6detail15normal_iteratorINS8_10device_ptrIiEEEESD_SD_SD_jNS0_19identity_decomposerENS1_16block_id_wrapperIjLb1EEEEE10hipError_tT1_PNSt15iterator_traitsISI_E10value_typeET2_T3_PNSJ_ISO_E10value_typeET4_T5_PST_SU_PNS1_23onesweep_lookback_stateEbbT6_jjT7_P12ihipStream_tbENKUlT_T0_SI_SN_E_clISD_SD_SD_SD_EEDaS11_S12_SI_SN_EUlS11_E_NS1_11comp_targetILNS1_3genE0ELNS1_11target_archE4294967295ELNS1_3gpuE0ELNS1_3repE0EEENS1_47radix_sort_onesweep_sort_config_static_selectorELNS0_4arch9wavefront6targetE1EEEvSI_
    .private_segment_fixed_size: 0
    .sgpr_count:     6
    .sgpr_spill_count: 0
    .symbol:         _ZN7rocprim17ROCPRIM_400000_NS6detail17trampoline_kernelINS0_14default_configENS1_35radix_sort_onesweep_config_selectorIiiEEZZNS1_29radix_sort_onesweep_iterationIS3_Lb0EN6thrust23THRUST_200600_302600_NS6detail15normal_iteratorINS8_10device_ptrIiEEEESD_SD_SD_jNS0_19identity_decomposerENS1_16block_id_wrapperIjLb1EEEEE10hipError_tT1_PNSt15iterator_traitsISI_E10value_typeET2_T3_PNSJ_ISO_E10value_typeET4_T5_PST_SU_PNS1_23onesweep_lookback_stateEbbT6_jjT7_P12ihipStream_tbENKUlT_T0_SI_SN_E_clISD_SD_SD_SD_EEDaS11_S12_SI_SN_EUlS11_E_NS1_11comp_targetILNS1_3genE0ELNS1_11target_archE4294967295ELNS1_3gpuE0ELNS1_3repE0EEENS1_47radix_sort_onesweep_sort_config_static_selectorELNS0_4arch9wavefront6targetE1EEEvSI_.kd
    .uniform_work_group_size: 1
    .uses_dynamic_stack: false
    .vgpr_count:     0
    .vgpr_spill_count: 0
    .wavefront_size: 64
  - .agpr_count:     0
    .args:
      - .offset:         0
        .size:           88
        .value_kind:     by_value
      - .offset:         88
        .size:           4
        .value_kind:     hidden_block_count_x
      - .offset:         92
        .size:           4
        .value_kind:     hidden_block_count_y
      - .offset:         96
        .size:           4
        .value_kind:     hidden_block_count_z
      - .offset:         100
        .size:           2
        .value_kind:     hidden_group_size_x
      - .offset:         102
        .size:           2
        .value_kind:     hidden_group_size_y
      - .offset:         104
        .size:           2
        .value_kind:     hidden_group_size_z
      - .offset:         106
        .size:           2
        .value_kind:     hidden_remainder_x
      - .offset:         108
        .size:           2
        .value_kind:     hidden_remainder_y
      - .offset:         110
        .size:           2
        .value_kind:     hidden_remainder_z
      - .offset:         128
        .size:           8
        .value_kind:     hidden_global_offset_x
      - .offset:         136
        .size:           8
        .value_kind:     hidden_global_offset_y
      - .offset:         144
        .size:           8
        .value_kind:     hidden_global_offset_z
      - .offset:         152
        .size:           2
        .value_kind:     hidden_grid_dims
    .group_segment_fixed_size: 20552
    .kernarg_segment_align: 8
    .kernarg_segment_size: 344
    .language:       OpenCL C
    .language_version:
      - 2
      - 0
    .max_flat_workgroup_size: 1024
    .name:           _ZN7rocprim17ROCPRIM_400000_NS6detail17trampoline_kernelINS0_14default_configENS1_35radix_sort_onesweep_config_selectorIiiEEZZNS1_29radix_sort_onesweep_iterationIS3_Lb0EN6thrust23THRUST_200600_302600_NS6detail15normal_iteratorINS8_10device_ptrIiEEEESD_SD_SD_jNS0_19identity_decomposerENS1_16block_id_wrapperIjLb1EEEEE10hipError_tT1_PNSt15iterator_traitsISI_E10value_typeET2_T3_PNSJ_ISO_E10value_typeET4_T5_PST_SU_PNS1_23onesweep_lookback_stateEbbT6_jjT7_P12ihipStream_tbENKUlT_T0_SI_SN_E_clISD_SD_SD_SD_EEDaS11_S12_SI_SN_EUlS11_E_NS1_11comp_targetILNS1_3genE6ELNS1_11target_archE950ELNS1_3gpuE13ELNS1_3repE0EEENS1_47radix_sort_onesweep_sort_config_static_selectorELNS0_4arch9wavefront6targetE1EEEvSI_
    .private_segment_fixed_size: 80
    .sgpr_count:     79
    .sgpr_spill_count: 0
    .symbol:         _ZN7rocprim17ROCPRIM_400000_NS6detail17trampoline_kernelINS0_14default_configENS1_35radix_sort_onesweep_config_selectorIiiEEZZNS1_29radix_sort_onesweep_iterationIS3_Lb0EN6thrust23THRUST_200600_302600_NS6detail15normal_iteratorINS8_10device_ptrIiEEEESD_SD_SD_jNS0_19identity_decomposerENS1_16block_id_wrapperIjLb1EEEEE10hipError_tT1_PNSt15iterator_traitsISI_E10value_typeET2_T3_PNSJ_ISO_E10value_typeET4_T5_PST_SU_PNS1_23onesweep_lookback_stateEbbT6_jjT7_P12ihipStream_tbENKUlT_T0_SI_SN_E_clISD_SD_SD_SD_EEDaS11_S12_SI_SN_EUlS11_E_NS1_11comp_targetILNS1_3genE6ELNS1_11target_archE950ELNS1_3gpuE13ELNS1_3repE0EEENS1_47radix_sort_onesweep_sort_config_static_selectorELNS0_4arch9wavefront6targetE1EEEvSI_.kd
    .uniform_work_group_size: 1
    .uses_dynamic_stack: false
    .vgpr_count:     89
    .vgpr_spill_count: 0
    .wavefront_size: 64
  - .agpr_count:     0
    .args:
      - .offset:         0
        .size:           88
        .value_kind:     by_value
    .group_segment_fixed_size: 0
    .kernarg_segment_align: 8
    .kernarg_segment_size: 88
    .language:       OpenCL C
    .language_version:
      - 2
      - 0
    .max_flat_workgroup_size: 1024
    .name:           _ZN7rocprim17ROCPRIM_400000_NS6detail17trampoline_kernelINS0_14default_configENS1_35radix_sort_onesweep_config_selectorIiiEEZZNS1_29radix_sort_onesweep_iterationIS3_Lb0EN6thrust23THRUST_200600_302600_NS6detail15normal_iteratorINS8_10device_ptrIiEEEESD_SD_SD_jNS0_19identity_decomposerENS1_16block_id_wrapperIjLb1EEEEE10hipError_tT1_PNSt15iterator_traitsISI_E10value_typeET2_T3_PNSJ_ISO_E10value_typeET4_T5_PST_SU_PNS1_23onesweep_lookback_stateEbbT6_jjT7_P12ihipStream_tbENKUlT_T0_SI_SN_E_clISD_SD_SD_SD_EEDaS11_S12_SI_SN_EUlS11_E_NS1_11comp_targetILNS1_3genE5ELNS1_11target_archE942ELNS1_3gpuE9ELNS1_3repE0EEENS1_47radix_sort_onesweep_sort_config_static_selectorELNS0_4arch9wavefront6targetE1EEEvSI_
    .private_segment_fixed_size: 0
    .sgpr_count:     6
    .sgpr_spill_count: 0
    .symbol:         _ZN7rocprim17ROCPRIM_400000_NS6detail17trampoline_kernelINS0_14default_configENS1_35radix_sort_onesweep_config_selectorIiiEEZZNS1_29radix_sort_onesweep_iterationIS3_Lb0EN6thrust23THRUST_200600_302600_NS6detail15normal_iteratorINS8_10device_ptrIiEEEESD_SD_SD_jNS0_19identity_decomposerENS1_16block_id_wrapperIjLb1EEEEE10hipError_tT1_PNSt15iterator_traitsISI_E10value_typeET2_T3_PNSJ_ISO_E10value_typeET4_T5_PST_SU_PNS1_23onesweep_lookback_stateEbbT6_jjT7_P12ihipStream_tbENKUlT_T0_SI_SN_E_clISD_SD_SD_SD_EEDaS11_S12_SI_SN_EUlS11_E_NS1_11comp_targetILNS1_3genE5ELNS1_11target_archE942ELNS1_3gpuE9ELNS1_3repE0EEENS1_47radix_sort_onesweep_sort_config_static_selectorELNS0_4arch9wavefront6targetE1EEEvSI_.kd
    .uniform_work_group_size: 1
    .uses_dynamic_stack: false
    .vgpr_count:     0
    .vgpr_spill_count: 0
    .wavefront_size: 64
  - .agpr_count:     0
    .args:
      - .offset:         0
        .size:           88
        .value_kind:     by_value
    .group_segment_fixed_size: 0
    .kernarg_segment_align: 8
    .kernarg_segment_size: 88
    .language:       OpenCL C
    .language_version:
      - 2
      - 0
    .max_flat_workgroup_size: 512
    .name:           _ZN7rocprim17ROCPRIM_400000_NS6detail17trampoline_kernelINS0_14default_configENS1_35radix_sort_onesweep_config_selectorIiiEEZZNS1_29radix_sort_onesweep_iterationIS3_Lb0EN6thrust23THRUST_200600_302600_NS6detail15normal_iteratorINS8_10device_ptrIiEEEESD_SD_SD_jNS0_19identity_decomposerENS1_16block_id_wrapperIjLb1EEEEE10hipError_tT1_PNSt15iterator_traitsISI_E10value_typeET2_T3_PNSJ_ISO_E10value_typeET4_T5_PST_SU_PNS1_23onesweep_lookback_stateEbbT6_jjT7_P12ihipStream_tbENKUlT_T0_SI_SN_E_clISD_SD_SD_SD_EEDaS11_S12_SI_SN_EUlS11_E_NS1_11comp_targetILNS1_3genE2ELNS1_11target_archE906ELNS1_3gpuE6ELNS1_3repE0EEENS1_47radix_sort_onesweep_sort_config_static_selectorELNS0_4arch9wavefront6targetE1EEEvSI_
    .private_segment_fixed_size: 0
    .sgpr_count:     6
    .sgpr_spill_count: 0
    .symbol:         _ZN7rocprim17ROCPRIM_400000_NS6detail17trampoline_kernelINS0_14default_configENS1_35radix_sort_onesweep_config_selectorIiiEEZZNS1_29radix_sort_onesweep_iterationIS3_Lb0EN6thrust23THRUST_200600_302600_NS6detail15normal_iteratorINS8_10device_ptrIiEEEESD_SD_SD_jNS0_19identity_decomposerENS1_16block_id_wrapperIjLb1EEEEE10hipError_tT1_PNSt15iterator_traitsISI_E10value_typeET2_T3_PNSJ_ISO_E10value_typeET4_T5_PST_SU_PNS1_23onesweep_lookback_stateEbbT6_jjT7_P12ihipStream_tbENKUlT_T0_SI_SN_E_clISD_SD_SD_SD_EEDaS11_S12_SI_SN_EUlS11_E_NS1_11comp_targetILNS1_3genE2ELNS1_11target_archE906ELNS1_3gpuE6ELNS1_3repE0EEENS1_47radix_sort_onesweep_sort_config_static_selectorELNS0_4arch9wavefront6targetE1EEEvSI_.kd
    .uniform_work_group_size: 1
    .uses_dynamic_stack: false
    .vgpr_count:     0
    .vgpr_spill_count: 0
    .wavefront_size: 64
  - .agpr_count:     0
    .args:
      - .offset:         0
        .size:           88
        .value_kind:     by_value
    .group_segment_fixed_size: 0
    .kernarg_segment_align: 8
    .kernarg_segment_size: 88
    .language:       OpenCL C
    .language_version:
      - 2
      - 0
    .max_flat_workgroup_size: 512
    .name:           _ZN7rocprim17ROCPRIM_400000_NS6detail17trampoline_kernelINS0_14default_configENS1_35radix_sort_onesweep_config_selectorIiiEEZZNS1_29radix_sort_onesweep_iterationIS3_Lb0EN6thrust23THRUST_200600_302600_NS6detail15normal_iteratorINS8_10device_ptrIiEEEESD_SD_SD_jNS0_19identity_decomposerENS1_16block_id_wrapperIjLb1EEEEE10hipError_tT1_PNSt15iterator_traitsISI_E10value_typeET2_T3_PNSJ_ISO_E10value_typeET4_T5_PST_SU_PNS1_23onesweep_lookback_stateEbbT6_jjT7_P12ihipStream_tbENKUlT_T0_SI_SN_E_clISD_SD_SD_SD_EEDaS11_S12_SI_SN_EUlS11_E_NS1_11comp_targetILNS1_3genE4ELNS1_11target_archE910ELNS1_3gpuE8ELNS1_3repE0EEENS1_47radix_sort_onesweep_sort_config_static_selectorELNS0_4arch9wavefront6targetE1EEEvSI_
    .private_segment_fixed_size: 0
    .sgpr_count:     6
    .sgpr_spill_count: 0
    .symbol:         _ZN7rocprim17ROCPRIM_400000_NS6detail17trampoline_kernelINS0_14default_configENS1_35radix_sort_onesweep_config_selectorIiiEEZZNS1_29radix_sort_onesweep_iterationIS3_Lb0EN6thrust23THRUST_200600_302600_NS6detail15normal_iteratorINS8_10device_ptrIiEEEESD_SD_SD_jNS0_19identity_decomposerENS1_16block_id_wrapperIjLb1EEEEE10hipError_tT1_PNSt15iterator_traitsISI_E10value_typeET2_T3_PNSJ_ISO_E10value_typeET4_T5_PST_SU_PNS1_23onesweep_lookback_stateEbbT6_jjT7_P12ihipStream_tbENKUlT_T0_SI_SN_E_clISD_SD_SD_SD_EEDaS11_S12_SI_SN_EUlS11_E_NS1_11comp_targetILNS1_3genE4ELNS1_11target_archE910ELNS1_3gpuE8ELNS1_3repE0EEENS1_47radix_sort_onesweep_sort_config_static_selectorELNS0_4arch9wavefront6targetE1EEEvSI_.kd
    .uniform_work_group_size: 1
    .uses_dynamic_stack: false
    .vgpr_count:     0
    .vgpr_spill_count: 0
    .wavefront_size: 64
  - .agpr_count:     0
    .args:
      - .offset:         0
        .size:           88
        .value_kind:     by_value
    .group_segment_fixed_size: 0
    .kernarg_segment_align: 8
    .kernarg_segment_size: 88
    .language:       OpenCL C
    .language_version:
      - 2
      - 0
    .max_flat_workgroup_size: 256
    .name:           _ZN7rocprim17ROCPRIM_400000_NS6detail17trampoline_kernelINS0_14default_configENS1_35radix_sort_onesweep_config_selectorIiiEEZZNS1_29radix_sort_onesweep_iterationIS3_Lb0EN6thrust23THRUST_200600_302600_NS6detail15normal_iteratorINS8_10device_ptrIiEEEESD_SD_SD_jNS0_19identity_decomposerENS1_16block_id_wrapperIjLb1EEEEE10hipError_tT1_PNSt15iterator_traitsISI_E10value_typeET2_T3_PNSJ_ISO_E10value_typeET4_T5_PST_SU_PNS1_23onesweep_lookback_stateEbbT6_jjT7_P12ihipStream_tbENKUlT_T0_SI_SN_E_clISD_SD_SD_SD_EEDaS11_S12_SI_SN_EUlS11_E_NS1_11comp_targetILNS1_3genE3ELNS1_11target_archE908ELNS1_3gpuE7ELNS1_3repE0EEENS1_47radix_sort_onesweep_sort_config_static_selectorELNS0_4arch9wavefront6targetE1EEEvSI_
    .private_segment_fixed_size: 0
    .sgpr_count:     6
    .sgpr_spill_count: 0
    .symbol:         _ZN7rocprim17ROCPRIM_400000_NS6detail17trampoline_kernelINS0_14default_configENS1_35radix_sort_onesweep_config_selectorIiiEEZZNS1_29radix_sort_onesweep_iterationIS3_Lb0EN6thrust23THRUST_200600_302600_NS6detail15normal_iteratorINS8_10device_ptrIiEEEESD_SD_SD_jNS0_19identity_decomposerENS1_16block_id_wrapperIjLb1EEEEE10hipError_tT1_PNSt15iterator_traitsISI_E10value_typeET2_T3_PNSJ_ISO_E10value_typeET4_T5_PST_SU_PNS1_23onesweep_lookback_stateEbbT6_jjT7_P12ihipStream_tbENKUlT_T0_SI_SN_E_clISD_SD_SD_SD_EEDaS11_S12_SI_SN_EUlS11_E_NS1_11comp_targetILNS1_3genE3ELNS1_11target_archE908ELNS1_3gpuE7ELNS1_3repE0EEENS1_47radix_sort_onesweep_sort_config_static_selectorELNS0_4arch9wavefront6targetE1EEEvSI_.kd
    .uniform_work_group_size: 1
    .uses_dynamic_stack: false
    .vgpr_count:     0
    .vgpr_spill_count: 0
    .wavefront_size: 64
  - .agpr_count:     0
    .args:
      - .offset:         0
        .size:           88
        .value_kind:     by_value
    .group_segment_fixed_size: 0
    .kernarg_segment_align: 8
    .kernarg_segment_size: 88
    .language:       OpenCL C
    .language_version:
      - 2
      - 0
    .max_flat_workgroup_size: 1024
    .name:           _ZN7rocprim17ROCPRIM_400000_NS6detail17trampoline_kernelINS0_14default_configENS1_35radix_sort_onesweep_config_selectorIiiEEZZNS1_29radix_sort_onesweep_iterationIS3_Lb0EN6thrust23THRUST_200600_302600_NS6detail15normal_iteratorINS8_10device_ptrIiEEEESD_SD_SD_jNS0_19identity_decomposerENS1_16block_id_wrapperIjLb1EEEEE10hipError_tT1_PNSt15iterator_traitsISI_E10value_typeET2_T3_PNSJ_ISO_E10value_typeET4_T5_PST_SU_PNS1_23onesweep_lookback_stateEbbT6_jjT7_P12ihipStream_tbENKUlT_T0_SI_SN_E_clISD_SD_SD_SD_EEDaS11_S12_SI_SN_EUlS11_E_NS1_11comp_targetILNS1_3genE10ELNS1_11target_archE1201ELNS1_3gpuE5ELNS1_3repE0EEENS1_47radix_sort_onesweep_sort_config_static_selectorELNS0_4arch9wavefront6targetE1EEEvSI_
    .private_segment_fixed_size: 0
    .sgpr_count:     6
    .sgpr_spill_count: 0
    .symbol:         _ZN7rocprim17ROCPRIM_400000_NS6detail17trampoline_kernelINS0_14default_configENS1_35radix_sort_onesweep_config_selectorIiiEEZZNS1_29radix_sort_onesweep_iterationIS3_Lb0EN6thrust23THRUST_200600_302600_NS6detail15normal_iteratorINS8_10device_ptrIiEEEESD_SD_SD_jNS0_19identity_decomposerENS1_16block_id_wrapperIjLb1EEEEE10hipError_tT1_PNSt15iterator_traitsISI_E10value_typeET2_T3_PNSJ_ISO_E10value_typeET4_T5_PST_SU_PNS1_23onesweep_lookback_stateEbbT6_jjT7_P12ihipStream_tbENKUlT_T0_SI_SN_E_clISD_SD_SD_SD_EEDaS11_S12_SI_SN_EUlS11_E_NS1_11comp_targetILNS1_3genE10ELNS1_11target_archE1201ELNS1_3gpuE5ELNS1_3repE0EEENS1_47radix_sort_onesweep_sort_config_static_selectorELNS0_4arch9wavefront6targetE1EEEvSI_.kd
    .uniform_work_group_size: 1
    .uses_dynamic_stack: false
    .vgpr_count:     0
    .vgpr_spill_count: 0
    .wavefront_size: 64
  - .agpr_count:     0
    .args:
      - .offset:         0
        .size:           88
        .value_kind:     by_value
    .group_segment_fixed_size: 0
    .kernarg_segment_align: 8
    .kernarg_segment_size: 88
    .language:       OpenCL C
    .language_version:
      - 2
      - 0
    .max_flat_workgroup_size: 1024
    .name:           _ZN7rocprim17ROCPRIM_400000_NS6detail17trampoline_kernelINS0_14default_configENS1_35radix_sort_onesweep_config_selectorIiiEEZZNS1_29radix_sort_onesweep_iterationIS3_Lb0EN6thrust23THRUST_200600_302600_NS6detail15normal_iteratorINS8_10device_ptrIiEEEESD_SD_SD_jNS0_19identity_decomposerENS1_16block_id_wrapperIjLb1EEEEE10hipError_tT1_PNSt15iterator_traitsISI_E10value_typeET2_T3_PNSJ_ISO_E10value_typeET4_T5_PST_SU_PNS1_23onesweep_lookback_stateEbbT6_jjT7_P12ihipStream_tbENKUlT_T0_SI_SN_E_clISD_SD_SD_SD_EEDaS11_S12_SI_SN_EUlS11_E_NS1_11comp_targetILNS1_3genE9ELNS1_11target_archE1100ELNS1_3gpuE3ELNS1_3repE0EEENS1_47radix_sort_onesweep_sort_config_static_selectorELNS0_4arch9wavefront6targetE1EEEvSI_
    .private_segment_fixed_size: 0
    .sgpr_count:     6
    .sgpr_spill_count: 0
    .symbol:         _ZN7rocprim17ROCPRIM_400000_NS6detail17trampoline_kernelINS0_14default_configENS1_35radix_sort_onesweep_config_selectorIiiEEZZNS1_29radix_sort_onesweep_iterationIS3_Lb0EN6thrust23THRUST_200600_302600_NS6detail15normal_iteratorINS8_10device_ptrIiEEEESD_SD_SD_jNS0_19identity_decomposerENS1_16block_id_wrapperIjLb1EEEEE10hipError_tT1_PNSt15iterator_traitsISI_E10value_typeET2_T3_PNSJ_ISO_E10value_typeET4_T5_PST_SU_PNS1_23onesweep_lookback_stateEbbT6_jjT7_P12ihipStream_tbENKUlT_T0_SI_SN_E_clISD_SD_SD_SD_EEDaS11_S12_SI_SN_EUlS11_E_NS1_11comp_targetILNS1_3genE9ELNS1_11target_archE1100ELNS1_3gpuE3ELNS1_3repE0EEENS1_47radix_sort_onesweep_sort_config_static_selectorELNS0_4arch9wavefront6targetE1EEEvSI_.kd
    .uniform_work_group_size: 1
    .uses_dynamic_stack: false
    .vgpr_count:     0
    .vgpr_spill_count: 0
    .wavefront_size: 64
  - .agpr_count:     0
    .args:
      - .offset:         0
        .size:           88
        .value_kind:     by_value
    .group_segment_fixed_size: 0
    .kernarg_segment_align: 8
    .kernarg_segment_size: 88
    .language:       OpenCL C
    .language_version:
      - 2
      - 0
    .max_flat_workgroup_size: 1024
    .name:           _ZN7rocprim17ROCPRIM_400000_NS6detail17trampoline_kernelINS0_14default_configENS1_35radix_sort_onesweep_config_selectorIiiEEZZNS1_29radix_sort_onesweep_iterationIS3_Lb0EN6thrust23THRUST_200600_302600_NS6detail15normal_iteratorINS8_10device_ptrIiEEEESD_SD_SD_jNS0_19identity_decomposerENS1_16block_id_wrapperIjLb1EEEEE10hipError_tT1_PNSt15iterator_traitsISI_E10value_typeET2_T3_PNSJ_ISO_E10value_typeET4_T5_PST_SU_PNS1_23onesweep_lookback_stateEbbT6_jjT7_P12ihipStream_tbENKUlT_T0_SI_SN_E_clISD_SD_SD_SD_EEDaS11_S12_SI_SN_EUlS11_E_NS1_11comp_targetILNS1_3genE8ELNS1_11target_archE1030ELNS1_3gpuE2ELNS1_3repE0EEENS1_47radix_sort_onesweep_sort_config_static_selectorELNS0_4arch9wavefront6targetE1EEEvSI_
    .private_segment_fixed_size: 0
    .sgpr_count:     6
    .sgpr_spill_count: 0
    .symbol:         _ZN7rocprim17ROCPRIM_400000_NS6detail17trampoline_kernelINS0_14default_configENS1_35radix_sort_onesweep_config_selectorIiiEEZZNS1_29radix_sort_onesweep_iterationIS3_Lb0EN6thrust23THRUST_200600_302600_NS6detail15normal_iteratorINS8_10device_ptrIiEEEESD_SD_SD_jNS0_19identity_decomposerENS1_16block_id_wrapperIjLb1EEEEE10hipError_tT1_PNSt15iterator_traitsISI_E10value_typeET2_T3_PNSJ_ISO_E10value_typeET4_T5_PST_SU_PNS1_23onesweep_lookback_stateEbbT6_jjT7_P12ihipStream_tbENKUlT_T0_SI_SN_E_clISD_SD_SD_SD_EEDaS11_S12_SI_SN_EUlS11_E_NS1_11comp_targetILNS1_3genE8ELNS1_11target_archE1030ELNS1_3gpuE2ELNS1_3repE0EEENS1_47radix_sort_onesweep_sort_config_static_selectorELNS0_4arch9wavefront6targetE1EEEvSI_.kd
    .uniform_work_group_size: 1
    .uses_dynamic_stack: false
    .vgpr_count:     0
    .vgpr_spill_count: 0
    .wavefront_size: 64
  - .agpr_count:     0
    .args:
      - .offset:         0
        .size:           88
        .value_kind:     by_value
    .group_segment_fixed_size: 0
    .kernarg_segment_align: 8
    .kernarg_segment_size: 88
    .language:       OpenCL C
    .language_version:
      - 2
      - 0
    .max_flat_workgroup_size: 256
    .name:           _ZN7rocprim17ROCPRIM_400000_NS6detail17trampoline_kernelINS0_14default_configENS1_35radix_sort_onesweep_config_selectorIiiEEZZNS1_29radix_sort_onesweep_iterationIS3_Lb0EN6thrust23THRUST_200600_302600_NS6detail15normal_iteratorINS8_10device_ptrIiEEEESD_SD_SD_jNS0_19identity_decomposerENS1_16block_id_wrapperIjLb1EEEEE10hipError_tT1_PNSt15iterator_traitsISI_E10value_typeET2_T3_PNSJ_ISO_E10value_typeET4_T5_PST_SU_PNS1_23onesweep_lookback_stateEbbT6_jjT7_P12ihipStream_tbENKUlT_T0_SI_SN_E_clISD_PiSD_S15_EEDaS11_S12_SI_SN_EUlS11_E_NS1_11comp_targetILNS1_3genE0ELNS1_11target_archE4294967295ELNS1_3gpuE0ELNS1_3repE0EEENS1_47radix_sort_onesweep_sort_config_static_selectorELNS0_4arch9wavefront6targetE1EEEvSI_
    .private_segment_fixed_size: 0
    .sgpr_count:     6
    .sgpr_spill_count: 0
    .symbol:         _ZN7rocprim17ROCPRIM_400000_NS6detail17trampoline_kernelINS0_14default_configENS1_35radix_sort_onesweep_config_selectorIiiEEZZNS1_29radix_sort_onesweep_iterationIS3_Lb0EN6thrust23THRUST_200600_302600_NS6detail15normal_iteratorINS8_10device_ptrIiEEEESD_SD_SD_jNS0_19identity_decomposerENS1_16block_id_wrapperIjLb1EEEEE10hipError_tT1_PNSt15iterator_traitsISI_E10value_typeET2_T3_PNSJ_ISO_E10value_typeET4_T5_PST_SU_PNS1_23onesweep_lookback_stateEbbT6_jjT7_P12ihipStream_tbENKUlT_T0_SI_SN_E_clISD_PiSD_S15_EEDaS11_S12_SI_SN_EUlS11_E_NS1_11comp_targetILNS1_3genE0ELNS1_11target_archE4294967295ELNS1_3gpuE0ELNS1_3repE0EEENS1_47radix_sort_onesweep_sort_config_static_selectorELNS0_4arch9wavefront6targetE1EEEvSI_.kd
    .uniform_work_group_size: 1
    .uses_dynamic_stack: false
    .vgpr_count:     0
    .vgpr_spill_count: 0
    .wavefront_size: 64
  - .agpr_count:     0
    .args:
      - .offset:         0
        .size:           88
        .value_kind:     by_value
      - .offset:         88
        .size:           4
        .value_kind:     hidden_block_count_x
      - .offset:         92
        .size:           4
        .value_kind:     hidden_block_count_y
      - .offset:         96
        .size:           4
        .value_kind:     hidden_block_count_z
      - .offset:         100
        .size:           2
        .value_kind:     hidden_group_size_x
      - .offset:         102
        .size:           2
        .value_kind:     hidden_group_size_y
      - .offset:         104
        .size:           2
        .value_kind:     hidden_group_size_z
      - .offset:         106
        .size:           2
        .value_kind:     hidden_remainder_x
      - .offset:         108
        .size:           2
        .value_kind:     hidden_remainder_y
      - .offset:         110
        .size:           2
        .value_kind:     hidden_remainder_z
      - .offset:         128
        .size:           8
        .value_kind:     hidden_global_offset_x
      - .offset:         136
        .size:           8
        .value_kind:     hidden_global_offset_y
      - .offset:         144
        .size:           8
        .value_kind:     hidden_global_offset_z
      - .offset:         152
        .size:           2
        .value_kind:     hidden_grid_dims
    .group_segment_fixed_size: 20552
    .kernarg_segment_align: 8
    .kernarg_segment_size: 344
    .language:       OpenCL C
    .language_version:
      - 2
      - 0
    .max_flat_workgroup_size: 1024
    .name:           _ZN7rocprim17ROCPRIM_400000_NS6detail17trampoline_kernelINS0_14default_configENS1_35radix_sort_onesweep_config_selectorIiiEEZZNS1_29radix_sort_onesweep_iterationIS3_Lb0EN6thrust23THRUST_200600_302600_NS6detail15normal_iteratorINS8_10device_ptrIiEEEESD_SD_SD_jNS0_19identity_decomposerENS1_16block_id_wrapperIjLb1EEEEE10hipError_tT1_PNSt15iterator_traitsISI_E10value_typeET2_T3_PNSJ_ISO_E10value_typeET4_T5_PST_SU_PNS1_23onesweep_lookback_stateEbbT6_jjT7_P12ihipStream_tbENKUlT_T0_SI_SN_E_clISD_PiSD_S15_EEDaS11_S12_SI_SN_EUlS11_E_NS1_11comp_targetILNS1_3genE6ELNS1_11target_archE950ELNS1_3gpuE13ELNS1_3repE0EEENS1_47radix_sort_onesweep_sort_config_static_selectorELNS0_4arch9wavefront6targetE1EEEvSI_
    .private_segment_fixed_size: 80
    .sgpr_count:     79
    .sgpr_spill_count: 0
    .symbol:         _ZN7rocprim17ROCPRIM_400000_NS6detail17trampoline_kernelINS0_14default_configENS1_35radix_sort_onesweep_config_selectorIiiEEZZNS1_29radix_sort_onesweep_iterationIS3_Lb0EN6thrust23THRUST_200600_302600_NS6detail15normal_iteratorINS8_10device_ptrIiEEEESD_SD_SD_jNS0_19identity_decomposerENS1_16block_id_wrapperIjLb1EEEEE10hipError_tT1_PNSt15iterator_traitsISI_E10value_typeET2_T3_PNSJ_ISO_E10value_typeET4_T5_PST_SU_PNS1_23onesweep_lookback_stateEbbT6_jjT7_P12ihipStream_tbENKUlT_T0_SI_SN_E_clISD_PiSD_S15_EEDaS11_S12_SI_SN_EUlS11_E_NS1_11comp_targetILNS1_3genE6ELNS1_11target_archE950ELNS1_3gpuE13ELNS1_3repE0EEENS1_47radix_sort_onesweep_sort_config_static_selectorELNS0_4arch9wavefront6targetE1EEEvSI_.kd
    .uniform_work_group_size: 1
    .uses_dynamic_stack: false
    .vgpr_count:     89
    .vgpr_spill_count: 0
    .wavefront_size: 64
  - .agpr_count:     0
    .args:
      - .offset:         0
        .size:           88
        .value_kind:     by_value
    .group_segment_fixed_size: 0
    .kernarg_segment_align: 8
    .kernarg_segment_size: 88
    .language:       OpenCL C
    .language_version:
      - 2
      - 0
    .max_flat_workgroup_size: 1024
    .name:           _ZN7rocprim17ROCPRIM_400000_NS6detail17trampoline_kernelINS0_14default_configENS1_35radix_sort_onesweep_config_selectorIiiEEZZNS1_29radix_sort_onesweep_iterationIS3_Lb0EN6thrust23THRUST_200600_302600_NS6detail15normal_iteratorINS8_10device_ptrIiEEEESD_SD_SD_jNS0_19identity_decomposerENS1_16block_id_wrapperIjLb1EEEEE10hipError_tT1_PNSt15iterator_traitsISI_E10value_typeET2_T3_PNSJ_ISO_E10value_typeET4_T5_PST_SU_PNS1_23onesweep_lookback_stateEbbT6_jjT7_P12ihipStream_tbENKUlT_T0_SI_SN_E_clISD_PiSD_S15_EEDaS11_S12_SI_SN_EUlS11_E_NS1_11comp_targetILNS1_3genE5ELNS1_11target_archE942ELNS1_3gpuE9ELNS1_3repE0EEENS1_47radix_sort_onesweep_sort_config_static_selectorELNS0_4arch9wavefront6targetE1EEEvSI_
    .private_segment_fixed_size: 0
    .sgpr_count:     6
    .sgpr_spill_count: 0
    .symbol:         _ZN7rocprim17ROCPRIM_400000_NS6detail17trampoline_kernelINS0_14default_configENS1_35radix_sort_onesweep_config_selectorIiiEEZZNS1_29radix_sort_onesweep_iterationIS3_Lb0EN6thrust23THRUST_200600_302600_NS6detail15normal_iteratorINS8_10device_ptrIiEEEESD_SD_SD_jNS0_19identity_decomposerENS1_16block_id_wrapperIjLb1EEEEE10hipError_tT1_PNSt15iterator_traitsISI_E10value_typeET2_T3_PNSJ_ISO_E10value_typeET4_T5_PST_SU_PNS1_23onesweep_lookback_stateEbbT6_jjT7_P12ihipStream_tbENKUlT_T0_SI_SN_E_clISD_PiSD_S15_EEDaS11_S12_SI_SN_EUlS11_E_NS1_11comp_targetILNS1_3genE5ELNS1_11target_archE942ELNS1_3gpuE9ELNS1_3repE0EEENS1_47radix_sort_onesweep_sort_config_static_selectorELNS0_4arch9wavefront6targetE1EEEvSI_.kd
    .uniform_work_group_size: 1
    .uses_dynamic_stack: false
    .vgpr_count:     0
    .vgpr_spill_count: 0
    .wavefront_size: 64
  - .agpr_count:     0
    .args:
      - .offset:         0
        .size:           88
        .value_kind:     by_value
    .group_segment_fixed_size: 0
    .kernarg_segment_align: 8
    .kernarg_segment_size: 88
    .language:       OpenCL C
    .language_version:
      - 2
      - 0
    .max_flat_workgroup_size: 512
    .name:           _ZN7rocprim17ROCPRIM_400000_NS6detail17trampoline_kernelINS0_14default_configENS1_35radix_sort_onesweep_config_selectorIiiEEZZNS1_29radix_sort_onesweep_iterationIS3_Lb0EN6thrust23THRUST_200600_302600_NS6detail15normal_iteratorINS8_10device_ptrIiEEEESD_SD_SD_jNS0_19identity_decomposerENS1_16block_id_wrapperIjLb1EEEEE10hipError_tT1_PNSt15iterator_traitsISI_E10value_typeET2_T3_PNSJ_ISO_E10value_typeET4_T5_PST_SU_PNS1_23onesweep_lookback_stateEbbT6_jjT7_P12ihipStream_tbENKUlT_T0_SI_SN_E_clISD_PiSD_S15_EEDaS11_S12_SI_SN_EUlS11_E_NS1_11comp_targetILNS1_3genE2ELNS1_11target_archE906ELNS1_3gpuE6ELNS1_3repE0EEENS1_47radix_sort_onesweep_sort_config_static_selectorELNS0_4arch9wavefront6targetE1EEEvSI_
    .private_segment_fixed_size: 0
    .sgpr_count:     6
    .sgpr_spill_count: 0
    .symbol:         _ZN7rocprim17ROCPRIM_400000_NS6detail17trampoline_kernelINS0_14default_configENS1_35radix_sort_onesweep_config_selectorIiiEEZZNS1_29radix_sort_onesweep_iterationIS3_Lb0EN6thrust23THRUST_200600_302600_NS6detail15normal_iteratorINS8_10device_ptrIiEEEESD_SD_SD_jNS0_19identity_decomposerENS1_16block_id_wrapperIjLb1EEEEE10hipError_tT1_PNSt15iterator_traitsISI_E10value_typeET2_T3_PNSJ_ISO_E10value_typeET4_T5_PST_SU_PNS1_23onesweep_lookback_stateEbbT6_jjT7_P12ihipStream_tbENKUlT_T0_SI_SN_E_clISD_PiSD_S15_EEDaS11_S12_SI_SN_EUlS11_E_NS1_11comp_targetILNS1_3genE2ELNS1_11target_archE906ELNS1_3gpuE6ELNS1_3repE0EEENS1_47radix_sort_onesweep_sort_config_static_selectorELNS0_4arch9wavefront6targetE1EEEvSI_.kd
    .uniform_work_group_size: 1
    .uses_dynamic_stack: false
    .vgpr_count:     0
    .vgpr_spill_count: 0
    .wavefront_size: 64
  - .agpr_count:     0
    .args:
      - .offset:         0
        .size:           88
        .value_kind:     by_value
    .group_segment_fixed_size: 0
    .kernarg_segment_align: 8
    .kernarg_segment_size: 88
    .language:       OpenCL C
    .language_version:
      - 2
      - 0
    .max_flat_workgroup_size: 512
    .name:           _ZN7rocprim17ROCPRIM_400000_NS6detail17trampoline_kernelINS0_14default_configENS1_35radix_sort_onesweep_config_selectorIiiEEZZNS1_29radix_sort_onesweep_iterationIS3_Lb0EN6thrust23THRUST_200600_302600_NS6detail15normal_iteratorINS8_10device_ptrIiEEEESD_SD_SD_jNS0_19identity_decomposerENS1_16block_id_wrapperIjLb1EEEEE10hipError_tT1_PNSt15iterator_traitsISI_E10value_typeET2_T3_PNSJ_ISO_E10value_typeET4_T5_PST_SU_PNS1_23onesweep_lookback_stateEbbT6_jjT7_P12ihipStream_tbENKUlT_T0_SI_SN_E_clISD_PiSD_S15_EEDaS11_S12_SI_SN_EUlS11_E_NS1_11comp_targetILNS1_3genE4ELNS1_11target_archE910ELNS1_3gpuE8ELNS1_3repE0EEENS1_47radix_sort_onesweep_sort_config_static_selectorELNS0_4arch9wavefront6targetE1EEEvSI_
    .private_segment_fixed_size: 0
    .sgpr_count:     6
    .sgpr_spill_count: 0
    .symbol:         _ZN7rocprim17ROCPRIM_400000_NS6detail17trampoline_kernelINS0_14default_configENS1_35radix_sort_onesweep_config_selectorIiiEEZZNS1_29radix_sort_onesweep_iterationIS3_Lb0EN6thrust23THRUST_200600_302600_NS6detail15normal_iteratorINS8_10device_ptrIiEEEESD_SD_SD_jNS0_19identity_decomposerENS1_16block_id_wrapperIjLb1EEEEE10hipError_tT1_PNSt15iterator_traitsISI_E10value_typeET2_T3_PNSJ_ISO_E10value_typeET4_T5_PST_SU_PNS1_23onesweep_lookback_stateEbbT6_jjT7_P12ihipStream_tbENKUlT_T0_SI_SN_E_clISD_PiSD_S15_EEDaS11_S12_SI_SN_EUlS11_E_NS1_11comp_targetILNS1_3genE4ELNS1_11target_archE910ELNS1_3gpuE8ELNS1_3repE0EEENS1_47radix_sort_onesweep_sort_config_static_selectorELNS0_4arch9wavefront6targetE1EEEvSI_.kd
    .uniform_work_group_size: 1
    .uses_dynamic_stack: false
    .vgpr_count:     0
    .vgpr_spill_count: 0
    .wavefront_size: 64
  - .agpr_count:     0
    .args:
      - .offset:         0
        .size:           88
        .value_kind:     by_value
    .group_segment_fixed_size: 0
    .kernarg_segment_align: 8
    .kernarg_segment_size: 88
    .language:       OpenCL C
    .language_version:
      - 2
      - 0
    .max_flat_workgroup_size: 256
    .name:           _ZN7rocprim17ROCPRIM_400000_NS6detail17trampoline_kernelINS0_14default_configENS1_35radix_sort_onesweep_config_selectorIiiEEZZNS1_29radix_sort_onesweep_iterationIS3_Lb0EN6thrust23THRUST_200600_302600_NS6detail15normal_iteratorINS8_10device_ptrIiEEEESD_SD_SD_jNS0_19identity_decomposerENS1_16block_id_wrapperIjLb1EEEEE10hipError_tT1_PNSt15iterator_traitsISI_E10value_typeET2_T3_PNSJ_ISO_E10value_typeET4_T5_PST_SU_PNS1_23onesweep_lookback_stateEbbT6_jjT7_P12ihipStream_tbENKUlT_T0_SI_SN_E_clISD_PiSD_S15_EEDaS11_S12_SI_SN_EUlS11_E_NS1_11comp_targetILNS1_3genE3ELNS1_11target_archE908ELNS1_3gpuE7ELNS1_3repE0EEENS1_47radix_sort_onesweep_sort_config_static_selectorELNS0_4arch9wavefront6targetE1EEEvSI_
    .private_segment_fixed_size: 0
    .sgpr_count:     6
    .sgpr_spill_count: 0
    .symbol:         _ZN7rocprim17ROCPRIM_400000_NS6detail17trampoline_kernelINS0_14default_configENS1_35radix_sort_onesweep_config_selectorIiiEEZZNS1_29radix_sort_onesweep_iterationIS3_Lb0EN6thrust23THRUST_200600_302600_NS6detail15normal_iteratorINS8_10device_ptrIiEEEESD_SD_SD_jNS0_19identity_decomposerENS1_16block_id_wrapperIjLb1EEEEE10hipError_tT1_PNSt15iterator_traitsISI_E10value_typeET2_T3_PNSJ_ISO_E10value_typeET4_T5_PST_SU_PNS1_23onesweep_lookback_stateEbbT6_jjT7_P12ihipStream_tbENKUlT_T0_SI_SN_E_clISD_PiSD_S15_EEDaS11_S12_SI_SN_EUlS11_E_NS1_11comp_targetILNS1_3genE3ELNS1_11target_archE908ELNS1_3gpuE7ELNS1_3repE0EEENS1_47radix_sort_onesweep_sort_config_static_selectorELNS0_4arch9wavefront6targetE1EEEvSI_.kd
    .uniform_work_group_size: 1
    .uses_dynamic_stack: false
    .vgpr_count:     0
    .vgpr_spill_count: 0
    .wavefront_size: 64
  - .agpr_count:     0
    .args:
      - .offset:         0
        .size:           88
        .value_kind:     by_value
    .group_segment_fixed_size: 0
    .kernarg_segment_align: 8
    .kernarg_segment_size: 88
    .language:       OpenCL C
    .language_version:
      - 2
      - 0
    .max_flat_workgroup_size: 1024
    .name:           _ZN7rocprim17ROCPRIM_400000_NS6detail17trampoline_kernelINS0_14default_configENS1_35radix_sort_onesweep_config_selectorIiiEEZZNS1_29radix_sort_onesweep_iterationIS3_Lb0EN6thrust23THRUST_200600_302600_NS6detail15normal_iteratorINS8_10device_ptrIiEEEESD_SD_SD_jNS0_19identity_decomposerENS1_16block_id_wrapperIjLb1EEEEE10hipError_tT1_PNSt15iterator_traitsISI_E10value_typeET2_T3_PNSJ_ISO_E10value_typeET4_T5_PST_SU_PNS1_23onesweep_lookback_stateEbbT6_jjT7_P12ihipStream_tbENKUlT_T0_SI_SN_E_clISD_PiSD_S15_EEDaS11_S12_SI_SN_EUlS11_E_NS1_11comp_targetILNS1_3genE10ELNS1_11target_archE1201ELNS1_3gpuE5ELNS1_3repE0EEENS1_47radix_sort_onesweep_sort_config_static_selectorELNS0_4arch9wavefront6targetE1EEEvSI_
    .private_segment_fixed_size: 0
    .sgpr_count:     6
    .sgpr_spill_count: 0
    .symbol:         _ZN7rocprim17ROCPRIM_400000_NS6detail17trampoline_kernelINS0_14default_configENS1_35radix_sort_onesweep_config_selectorIiiEEZZNS1_29radix_sort_onesweep_iterationIS3_Lb0EN6thrust23THRUST_200600_302600_NS6detail15normal_iteratorINS8_10device_ptrIiEEEESD_SD_SD_jNS0_19identity_decomposerENS1_16block_id_wrapperIjLb1EEEEE10hipError_tT1_PNSt15iterator_traitsISI_E10value_typeET2_T3_PNSJ_ISO_E10value_typeET4_T5_PST_SU_PNS1_23onesweep_lookback_stateEbbT6_jjT7_P12ihipStream_tbENKUlT_T0_SI_SN_E_clISD_PiSD_S15_EEDaS11_S12_SI_SN_EUlS11_E_NS1_11comp_targetILNS1_3genE10ELNS1_11target_archE1201ELNS1_3gpuE5ELNS1_3repE0EEENS1_47radix_sort_onesweep_sort_config_static_selectorELNS0_4arch9wavefront6targetE1EEEvSI_.kd
    .uniform_work_group_size: 1
    .uses_dynamic_stack: false
    .vgpr_count:     0
    .vgpr_spill_count: 0
    .wavefront_size: 64
  - .agpr_count:     0
    .args:
      - .offset:         0
        .size:           88
        .value_kind:     by_value
    .group_segment_fixed_size: 0
    .kernarg_segment_align: 8
    .kernarg_segment_size: 88
    .language:       OpenCL C
    .language_version:
      - 2
      - 0
    .max_flat_workgroup_size: 1024
    .name:           _ZN7rocprim17ROCPRIM_400000_NS6detail17trampoline_kernelINS0_14default_configENS1_35radix_sort_onesweep_config_selectorIiiEEZZNS1_29radix_sort_onesweep_iterationIS3_Lb0EN6thrust23THRUST_200600_302600_NS6detail15normal_iteratorINS8_10device_ptrIiEEEESD_SD_SD_jNS0_19identity_decomposerENS1_16block_id_wrapperIjLb1EEEEE10hipError_tT1_PNSt15iterator_traitsISI_E10value_typeET2_T3_PNSJ_ISO_E10value_typeET4_T5_PST_SU_PNS1_23onesweep_lookback_stateEbbT6_jjT7_P12ihipStream_tbENKUlT_T0_SI_SN_E_clISD_PiSD_S15_EEDaS11_S12_SI_SN_EUlS11_E_NS1_11comp_targetILNS1_3genE9ELNS1_11target_archE1100ELNS1_3gpuE3ELNS1_3repE0EEENS1_47radix_sort_onesweep_sort_config_static_selectorELNS0_4arch9wavefront6targetE1EEEvSI_
    .private_segment_fixed_size: 0
    .sgpr_count:     6
    .sgpr_spill_count: 0
    .symbol:         _ZN7rocprim17ROCPRIM_400000_NS6detail17trampoline_kernelINS0_14default_configENS1_35radix_sort_onesweep_config_selectorIiiEEZZNS1_29radix_sort_onesweep_iterationIS3_Lb0EN6thrust23THRUST_200600_302600_NS6detail15normal_iteratorINS8_10device_ptrIiEEEESD_SD_SD_jNS0_19identity_decomposerENS1_16block_id_wrapperIjLb1EEEEE10hipError_tT1_PNSt15iterator_traitsISI_E10value_typeET2_T3_PNSJ_ISO_E10value_typeET4_T5_PST_SU_PNS1_23onesweep_lookback_stateEbbT6_jjT7_P12ihipStream_tbENKUlT_T0_SI_SN_E_clISD_PiSD_S15_EEDaS11_S12_SI_SN_EUlS11_E_NS1_11comp_targetILNS1_3genE9ELNS1_11target_archE1100ELNS1_3gpuE3ELNS1_3repE0EEENS1_47radix_sort_onesweep_sort_config_static_selectorELNS0_4arch9wavefront6targetE1EEEvSI_.kd
    .uniform_work_group_size: 1
    .uses_dynamic_stack: false
    .vgpr_count:     0
    .vgpr_spill_count: 0
    .wavefront_size: 64
  - .agpr_count:     0
    .args:
      - .offset:         0
        .size:           88
        .value_kind:     by_value
    .group_segment_fixed_size: 0
    .kernarg_segment_align: 8
    .kernarg_segment_size: 88
    .language:       OpenCL C
    .language_version:
      - 2
      - 0
    .max_flat_workgroup_size: 1024
    .name:           _ZN7rocprim17ROCPRIM_400000_NS6detail17trampoline_kernelINS0_14default_configENS1_35radix_sort_onesweep_config_selectorIiiEEZZNS1_29radix_sort_onesweep_iterationIS3_Lb0EN6thrust23THRUST_200600_302600_NS6detail15normal_iteratorINS8_10device_ptrIiEEEESD_SD_SD_jNS0_19identity_decomposerENS1_16block_id_wrapperIjLb1EEEEE10hipError_tT1_PNSt15iterator_traitsISI_E10value_typeET2_T3_PNSJ_ISO_E10value_typeET4_T5_PST_SU_PNS1_23onesweep_lookback_stateEbbT6_jjT7_P12ihipStream_tbENKUlT_T0_SI_SN_E_clISD_PiSD_S15_EEDaS11_S12_SI_SN_EUlS11_E_NS1_11comp_targetILNS1_3genE8ELNS1_11target_archE1030ELNS1_3gpuE2ELNS1_3repE0EEENS1_47radix_sort_onesweep_sort_config_static_selectorELNS0_4arch9wavefront6targetE1EEEvSI_
    .private_segment_fixed_size: 0
    .sgpr_count:     6
    .sgpr_spill_count: 0
    .symbol:         _ZN7rocprim17ROCPRIM_400000_NS6detail17trampoline_kernelINS0_14default_configENS1_35radix_sort_onesweep_config_selectorIiiEEZZNS1_29radix_sort_onesweep_iterationIS3_Lb0EN6thrust23THRUST_200600_302600_NS6detail15normal_iteratorINS8_10device_ptrIiEEEESD_SD_SD_jNS0_19identity_decomposerENS1_16block_id_wrapperIjLb1EEEEE10hipError_tT1_PNSt15iterator_traitsISI_E10value_typeET2_T3_PNSJ_ISO_E10value_typeET4_T5_PST_SU_PNS1_23onesweep_lookback_stateEbbT6_jjT7_P12ihipStream_tbENKUlT_T0_SI_SN_E_clISD_PiSD_S15_EEDaS11_S12_SI_SN_EUlS11_E_NS1_11comp_targetILNS1_3genE8ELNS1_11target_archE1030ELNS1_3gpuE2ELNS1_3repE0EEENS1_47radix_sort_onesweep_sort_config_static_selectorELNS0_4arch9wavefront6targetE1EEEvSI_.kd
    .uniform_work_group_size: 1
    .uses_dynamic_stack: false
    .vgpr_count:     0
    .vgpr_spill_count: 0
    .wavefront_size: 64
  - .agpr_count:     0
    .args:
      - .offset:         0
        .size:           88
        .value_kind:     by_value
    .group_segment_fixed_size: 0
    .kernarg_segment_align: 8
    .kernarg_segment_size: 88
    .language:       OpenCL C
    .language_version:
      - 2
      - 0
    .max_flat_workgroup_size: 256
    .name:           _ZN7rocprim17ROCPRIM_400000_NS6detail17trampoline_kernelINS0_14default_configENS1_35radix_sort_onesweep_config_selectorIiiEEZZNS1_29radix_sort_onesweep_iterationIS3_Lb0EN6thrust23THRUST_200600_302600_NS6detail15normal_iteratorINS8_10device_ptrIiEEEESD_SD_SD_jNS0_19identity_decomposerENS1_16block_id_wrapperIjLb1EEEEE10hipError_tT1_PNSt15iterator_traitsISI_E10value_typeET2_T3_PNSJ_ISO_E10value_typeET4_T5_PST_SU_PNS1_23onesweep_lookback_stateEbbT6_jjT7_P12ihipStream_tbENKUlT_T0_SI_SN_E_clIPiSD_S15_SD_EEDaS11_S12_SI_SN_EUlS11_E_NS1_11comp_targetILNS1_3genE0ELNS1_11target_archE4294967295ELNS1_3gpuE0ELNS1_3repE0EEENS1_47radix_sort_onesweep_sort_config_static_selectorELNS0_4arch9wavefront6targetE1EEEvSI_
    .private_segment_fixed_size: 0
    .sgpr_count:     6
    .sgpr_spill_count: 0
    .symbol:         _ZN7rocprim17ROCPRIM_400000_NS6detail17trampoline_kernelINS0_14default_configENS1_35radix_sort_onesweep_config_selectorIiiEEZZNS1_29radix_sort_onesweep_iterationIS3_Lb0EN6thrust23THRUST_200600_302600_NS6detail15normal_iteratorINS8_10device_ptrIiEEEESD_SD_SD_jNS0_19identity_decomposerENS1_16block_id_wrapperIjLb1EEEEE10hipError_tT1_PNSt15iterator_traitsISI_E10value_typeET2_T3_PNSJ_ISO_E10value_typeET4_T5_PST_SU_PNS1_23onesweep_lookback_stateEbbT6_jjT7_P12ihipStream_tbENKUlT_T0_SI_SN_E_clIPiSD_S15_SD_EEDaS11_S12_SI_SN_EUlS11_E_NS1_11comp_targetILNS1_3genE0ELNS1_11target_archE4294967295ELNS1_3gpuE0ELNS1_3repE0EEENS1_47radix_sort_onesweep_sort_config_static_selectorELNS0_4arch9wavefront6targetE1EEEvSI_.kd
    .uniform_work_group_size: 1
    .uses_dynamic_stack: false
    .vgpr_count:     0
    .vgpr_spill_count: 0
    .wavefront_size: 64
  - .agpr_count:     0
    .args:
      - .offset:         0
        .size:           88
        .value_kind:     by_value
      - .offset:         88
        .size:           4
        .value_kind:     hidden_block_count_x
      - .offset:         92
        .size:           4
        .value_kind:     hidden_block_count_y
      - .offset:         96
        .size:           4
        .value_kind:     hidden_block_count_z
      - .offset:         100
        .size:           2
        .value_kind:     hidden_group_size_x
      - .offset:         102
        .size:           2
        .value_kind:     hidden_group_size_y
      - .offset:         104
        .size:           2
        .value_kind:     hidden_group_size_z
      - .offset:         106
        .size:           2
        .value_kind:     hidden_remainder_x
      - .offset:         108
        .size:           2
        .value_kind:     hidden_remainder_y
      - .offset:         110
        .size:           2
        .value_kind:     hidden_remainder_z
      - .offset:         128
        .size:           8
        .value_kind:     hidden_global_offset_x
      - .offset:         136
        .size:           8
        .value_kind:     hidden_global_offset_y
      - .offset:         144
        .size:           8
        .value_kind:     hidden_global_offset_z
      - .offset:         152
        .size:           2
        .value_kind:     hidden_grid_dims
    .group_segment_fixed_size: 20552
    .kernarg_segment_align: 8
    .kernarg_segment_size: 344
    .language:       OpenCL C
    .language_version:
      - 2
      - 0
    .max_flat_workgroup_size: 1024
    .name:           _ZN7rocprim17ROCPRIM_400000_NS6detail17trampoline_kernelINS0_14default_configENS1_35radix_sort_onesweep_config_selectorIiiEEZZNS1_29radix_sort_onesweep_iterationIS3_Lb0EN6thrust23THRUST_200600_302600_NS6detail15normal_iteratorINS8_10device_ptrIiEEEESD_SD_SD_jNS0_19identity_decomposerENS1_16block_id_wrapperIjLb1EEEEE10hipError_tT1_PNSt15iterator_traitsISI_E10value_typeET2_T3_PNSJ_ISO_E10value_typeET4_T5_PST_SU_PNS1_23onesweep_lookback_stateEbbT6_jjT7_P12ihipStream_tbENKUlT_T0_SI_SN_E_clIPiSD_S15_SD_EEDaS11_S12_SI_SN_EUlS11_E_NS1_11comp_targetILNS1_3genE6ELNS1_11target_archE950ELNS1_3gpuE13ELNS1_3repE0EEENS1_47radix_sort_onesweep_sort_config_static_selectorELNS0_4arch9wavefront6targetE1EEEvSI_
    .private_segment_fixed_size: 80
    .sgpr_count:     79
    .sgpr_spill_count: 0
    .symbol:         _ZN7rocprim17ROCPRIM_400000_NS6detail17trampoline_kernelINS0_14default_configENS1_35radix_sort_onesweep_config_selectorIiiEEZZNS1_29radix_sort_onesweep_iterationIS3_Lb0EN6thrust23THRUST_200600_302600_NS6detail15normal_iteratorINS8_10device_ptrIiEEEESD_SD_SD_jNS0_19identity_decomposerENS1_16block_id_wrapperIjLb1EEEEE10hipError_tT1_PNSt15iterator_traitsISI_E10value_typeET2_T3_PNSJ_ISO_E10value_typeET4_T5_PST_SU_PNS1_23onesweep_lookback_stateEbbT6_jjT7_P12ihipStream_tbENKUlT_T0_SI_SN_E_clIPiSD_S15_SD_EEDaS11_S12_SI_SN_EUlS11_E_NS1_11comp_targetILNS1_3genE6ELNS1_11target_archE950ELNS1_3gpuE13ELNS1_3repE0EEENS1_47radix_sort_onesweep_sort_config_static_selectorELNS0_4arch9wavefront6targetE1EEEvSI_.kd
    .uniform_work_group_size: 1
    .uses_dynamic_stack: false
    .vgpr_count:     89
    .vgpr_spill_count: 0
    .wavefront_size: 64
  - .agpr_count:     0
    .args:
      - .offset:         0
        .size:           88
        .value_kind:     by_value
    .group_segment_fixed_size: 0
    .kernarg_segment_align: 8
    .kernarg_segment_size: 88
    .language:       OpenCL C
    .language_version:
      - 2
      - 0
    .max_flat_workgroup_size: 1024
    .name:           _ZN7rocprim17ROCPRIM_400000_NS6detail17trampoline_kernelINS0_14default_configENS1_35radix_sort_onesweep_config_selectorIiiEEZZNS1_29radix_sort_onesweep_iterationIS3_Lb0EN6thrust23THRUST_200600_302600_NS6detail15normal_iteratorINS8_10device_ptrIiEEEESD_SD_SD_jNS0_19identity_decomposerENS1_16block_id_wrapperIjLb1EEEEE10hipError_tT1_PNSt15iterator_traitsISI_E10value_typeET2_T3_PNSJ_ISO_E10value_typeET4_T5_PST_SU_PNS1_23onesweep_lookback_stateEbbT6_jjT7_P12ihipStream_tbENKUlT_T0_SI_SN_E_clIPiSD_S15_SD_EEDaS11_S12_SI_SN_EUlS11_E_NS1_11comp_targetILNS1_3genE5ELNS1_11target_archE942ELNS1_3gpuE9ELNS1_3repE0EEENS1_47radix_sort_onesweep_sort_config_static_selectorELNS0_4arch9wavefront6targetE1EEEvSI_
    .private_segment_fixed_size: 0
    .sgpr_count:     6
    .sgpr_spill_count: 0
    .symbol:         _ZN7rocprim17ROCPRIM_400000_NS6detail17trampoline_kernelINS0_14default_configENS1_35radix_sort_onesweep_config_selectorIiiEEZZNS1_29radix_sort_onesweep_iterationIS3_Lb0EN6thrust23THRUST_200600_302600_NS6detail15normal_iteratorINS8_10device_ptrIiEEEESD_SD_SD_jNS0_19identity_decomposerENS1_16block_id_wrapperIjLb1EEEEE10hipError_tT1_PNSt15iterator_traitsISI_E10value_typeET2_T3_PNSJ_ISO_E10value_typeET4_T5_PST_SU_PNS1_23onesweep_lookback_stateEbbT6_jjT7_P12ihipStream_tbENKUlT_T0_SI_SN_E_clIPiSD_S15_SD_EEDaS11_S12_SI_SN_EUlS11_E_NS1_11comp_targetILNS1_3genE5ELNS1_11target_archE942ELNS1_3gpuE9ELNS1_3repE0EEENS1_47radix_sort_onesweep_sort_config_static_selectorELNS0_4arch9wavefront6targetE1EEEvSI_.kd
    .uniform_work_group_size: 1
    .uses_dynamic_stack: false
    .vgpr_count:     0
    .vgpr_spill_count: 0
    .wavefront_size: 64
  - .agpr_count:     0
    .args:
      - .offset:         0
        .size:           88
        .value_kind:     by_value
    .group_segment_fixed_size: 0
    .kernarg_segment_align: 8
    .kernarg_segment_size: 88
    .language:       OpenCL C
    .language_version:
      - 2
      - 0
    .max_flat_workgroup_size: 512
    .name:           _ZN7rocprim17ROCPRIM_400000_NS6detail17trampoline_kernelINS0_14default_configENS1_35radix_sort_onesweep_config_selectorIiiEEZZNS1_29radix_sort_onesweep_iterationIS3_Lb0EN6thrust23THRUST_200600_302600_NS6detail15normal_iteratorINS8_10device_ptrIiEEEESD_SD_SD_jNS0_19identity_decomposerENS1_16block_id_wrapperIjLb1EEEEE10hipError_tT1_PNSt15iterator_traitsISI_E10value_typeET2_T3_PNSJ_ISO_E10value_typeET4_T5_PST_SU_PNS1_23onesweep_lookback_stateEbbT6_jjT7_P12ihipStream_tbENKUlT_T0_SI_SN_E_clIPiSD_S15_SD_EEDaS11_S12_SI_SN_EUlS11_E_NS1_11comp_targetILNS1_3genE2ELNS1_11target_archE906ELNS1_3gpuE6ELNS1_3repE0EEENS1_47radix_sort_onesweep_sort_config_static_selectorELNS0_4arch9wavefront6targetE1EEEvSI_
    .private_segment_fixed_size: 0
    .sgpr_count:     6
    .sgpr_spill_count: 0
    .symbol:         _ZN7rocprim17ROCPRIM_400000_NS6detail17trampoline_kernelINS0_14default_configENS1_35radix_sort_onesweep_config_selectorIiiEEZZNS1_29radix_sort_onesweep_iterationIS3_Lb0EN6thrust23THRUST_200600_302600_NS6detail15normal_iteratorINS8_10device_ptrIiEEEESD_SD_SD_jNS0_19identity_decomposerENS1_16block_id_wrapperIjLb1EEEEE10hipError_tT1_PNSt15iterator_traitsISI_E10value_typeET2_T3_PNSJ_ISO_E10value_typeET4_T5_PST_SU_PNS1_23onesweep_lookback_stateEbbT6_jjT7_P12ihipStream_tbENKUlT_T0_SI_SN_E_clIPiSD_S15_SD_EEDaS11_S12_SI_SN_EUlS11_E_NS1_11comp_targetILNS1_3genE2ELNS1_11target_archE906ELNS1_3gpuE6ELNS1_3repE0EEENS1_47radix_sort_onesweep_sort_config_static_selectorELNS0_4arch9wavefront6targetE1EEEvSI_.kd
    .uniform_work_group_size: 1
    .uses_dynamic_stack: false
    .vgpr_count:     0
    .vgpr_spill_count: 0
    .wavefront_size: 64
  - .agpr_count:     0
    .args:
      - .offset:         0
        .size:           88
        .value_kind:     by_value
    .group_segment_fixed_size: 0
    .kernarg_segment_align: 8
    .kernarg_segment_size: 88
    .language:       OpenCL C
    .language_version:
      - 2
      - 0
    .max_flat_workgroup_size: 512
    .name:           _ZN7rocprim17ROCPRIM_400000_NS6detail17trampoline_kernelINS0_14default_configENS1_35radix_sort_onesweep_config_selectorIiiEEZZNS1_29radix_sort_onesweep_iterationIS3_Lb0EN6thrust23THRUST_200600_302600_NS6detail15normal_iteratorINS8_10device_ptrIiEEEESD_SD_SD_jNS0_19identity_decomposerENS1_16block_id_wrapperIjLb1EEEEE10hipError_tT1_PNSt15iterator_traitsISI_E10value_typeET2_T3_PNSJ_ISO_E10value_typeET4_T5_PST_SU_PNS1_23onesweep_lookback_stateEbbT6_jjT7_P12ihipStream_tbENKUlT_T0_SI_SN_E_clIPiSD_S15_SD_EEDaS11_S12_SI_SN_EUlS11_E_NS1_11comp_targetILNS1_3genE4ELNS1_11target_archE910ELNS1_3gpuE8ELNS1_3repE0EEENS1_47radix_sort_onesweep_sort_config_static_selectorELNS0_4arch9wavefront6targetE1EEEvSI_
    .private_segment_fixed_size: 0
    .sgpr_count:     6
    .sgpr_spill_count: 0
    .symbol:         _ZN7rocprim17ROCPRIM_400000_NS6detail17trampoline_kernelINS0_14default_configENS1_35radix_sort_onesweep_config_selectorIiiEEZZNS1_29radix_sort_onesweep_iterationIS3_Lb0EN6thrust23THRUST_200600_302600_NS6detail15normal_iteratorINS8_10device_ptrIiEEEESD_SD_SD_jNS0_19identity_decomposerENS1_16block_id_wrapperIjLb1EEEEE10hipError_tT1_PNSt15iterator_traitsISI_E10value_typeET2_T3_PNSJ_ISO_E10value_typeET4_T5_PST_SU_PNS1_23onesweep_lookback_stateEbbT6_jjT7_P12ihipStream_tbENKUlT_T0_SI_SN_E_clIPiSD_S15_SD_EEDaS11_S12_SI_SN_EUlS11_E_NS1_11comp_targetILNS1_3genE4ELNS1_11target_archE910ELNS1_3gpuE8ELNS1_3repE0EEENS1_47radix_sort_onesweep_sort_config_static_selectorELNS0_4arch9wavefront6targetE1EEEvSI_.kd
    .uniform_work_group_size: 1
    .uses_dynamic_stack: false
    .vgpr_count:     0
    .vgpr_spill_count: 0
    .wavefront_size: 64
  - .agpr_count:     0
    .args:
      - .offset:         0
        .size:           88
        .value_kind:     by_value
    .group_segment_fixed_size: 0
    .kernarg_segment_align: 8
    .kernarg_segment_size: 88
    .language:       OpenCL C
    .language_version:
      - 2
      - 0
    .max_flat_workgroup_size: 256
    .name:           _ZN7rocprim17ROCPRIM_400000_NS6detail17trampoline_kernelINS0_14default_configENS1_35radix_sort_onesweep_config_selectorIiiEEZZNS1_29radix_sort_onesweep_iterationIS3_Lb0EN6thrust23THRUST_200600_302600_NS6detail15normal_iteratorINS8_10device_ptrIiEEEESD_SD_SD_jNS0_19identity_decomposerENS1_16block_id_wrapperIjLb1EEEEE10hipError_tT1_PNSt15iterator_traitsISI_E10value_typeET2_T3_PNSJ_ISO_E10value_typeET4_T5_PST_SU_PNS1_23onesweep_lookback_stateEbbT6_jjT7_P12ihipStream_tbENKUlT_T0_SI_SN_E_clIPiSD_S15_SD_EEDaS11_S12_SI_SN_EUlS11_E_NS1_11comp_targetILNS1_3genE3ELNS1_11target_archE908ELNS1_3gpuE7ELNS1_3repE0EEENS1_47radix_sort_onesweep_sort_config_static_selectorELNS0_4arch9wavefront6targetE1EEEvSI_
    .private_segment_fixed_size: 0
    .sgpr_count:     6
    .sgpr_spill_count: 0
    .symbol:         _ZN7rocprim17ROCPRIM_400000_NS6detail17trampoline_kernelINS0_14default_configENS1_35radix_sort_onesweep_config_selectorIiiEEZZNS1_29radix_sort_onesweep_iterationIS3_Lb0EN6thrust23THRUST_200600_302600_NS6detail15normal_iteratorINS8_10device_ptrIiEEEESD_SD_SD_jNS0_19identity_decomposerENS1_16block_id_wrapperIjLb1EEEEE10hipError_tT1_PNSt15iterator_traitsISI_E10value_typeET2_T3_PNSJ_ISO_E10value_typeET4_T5_PST_SU_PNS1_23onesweep_lookback_stateEbbT6_jjT7_P12ihipStream_tbENKUlT_T0_SI_SN_E_clIPiSD_S15_SD_EEDaS11_S12_SI_SN_EUlS11_E_NS1_11comp_targetILNS1_3genE3ELNS1_11target_archE908ELNS1_3gpuE7ELNS1_3repE0EEENS1_47radix_sort_onesweep_sort_config_static_selectorELNS0_4arch9wavefront6targetE1EEEvSI_.kd
    .uniform_work_group_size: 1
    .uses_dynamic_stack: false
    .vgpr_count:     0
    .vgpr_spill_count: 0
    .wavefront_size: 64
  - .agpr_count:     0
    .args:
      - .offset:         0
        .size:           88
        .value_kind:     by_value
    .group_segment_fixed_size: 0
    .kernarg_segment_align: 8
    .kernarg_segment_size: 88
    .language:       OpenCL C
    .language_version:
      - 2
      - 0
    .max_flat_workgroup_size: 1024
    .name:           _ZN7rocprim17ROCPRIM_400000_NS6detail17trampoline_kernelINS0_14default_configENS1_35radix_sort_onesweep_config_selectorIiiEEZZNS1_29radix_sort_onesweep_iterationIS3_Lb0EN6thrust23THRUST_200600_302600_NS6detail15normal_iteratorINS8_10device_ptrIiEEEESD_SD_SD_jNS0_19identity_decomposerENS1_16block_id_wrapperIjLb1EEEEE10hipError_tT1_PNSt15iterator_traitsISI_E10value_typeET2_T3_PNSJ_ISO_E10value_typeET4_T5_PST_SU_PNS1_23onesweep_lookback_stateEbbT6_jjT7_P12ihipStream_tbENKUlT_T0_SI_SN_E_clIPiSD_S15_SD_EEDaS11_S12_SI_SN_EUlS11_E_NS1_11comp_targetILNS1_3genE10ELNS1_11target_archE1201ELNS1_3gpuE5ELNS1_3repE0EEENS1_47radix_sort_onesweep_sort_config_static_selectorELNS0_4arch9wavefront6targetE1EEEvSI_
    .private_segment_fixed_size: 0
    .sgpr_count:     6
    .sgpr_spill_count: 0
    .symbol:         _ZN7rocprim17ROCPRIM_400000_NS6detail17trampoline_kernelINS0_14default_configENS1_35radix_sort_onesweep_config_selectorIiiEEZZNS1_29radix_sort_onesweep_iterationIS3_Lb0EN6thrust23THRUST_200600_302600_NS6detail15normal_iteratorINS8_10device_ptrIiEEEESD_SD_SD_jNS0_19identity_decomposerENS1_16block_id_wrapperIjLb1EEEEE10hipError_tT1_PNSt15iterator_traitsISI_E10value_typeET2_T3_PNSJ_ISO_E10value_typeET4_T5_PST_SU_PNS1_23onesweep_lookback_stateEbbT6_jjT7_P12ihipStream_tbENKUlT_T0_SI_SN_E_clIPiSD_S15_SD_EEDaS11_S12_SI_SN_EUlS11_E_NS1_11comp_targetILNS1_3genE10ELNS1_11target_archE1201ELNS1_3gpuE5ELNS1_3repE0EEENS1_47radix_sort_onesweep_sort_config_static_selectorELNS0_4arch9wavefront6targetE1EEEvSI_.kd
    .uniform_work_group_size: 1
    .uses_dynamic_stack: false
    .vgpr_count:     0
    .vgpr_spill_count: 0
    .wavefront_size: 64
  - .agpr_count:     0
    .args:
      - .offset:         0
        .size:           88
        .value_kind:     by_value
    .group_segment_fixed_size: 0
    .kernarg_segment_align: 8
    .kernarg_segment_size: 88
    .language:       OpenCL C
    .language_version:
      - 2
      - 0
    .max_flat_workgroup_size: 1024
    .name:           _ZN7rocprim17ROCPRIM_400000_NS6detail17trampoline_kernelINS0_14default_configENS1_35radix_sort_onesweep_config_selectorIiiEEZZNS1_29radix_sort_onesweep_iterationIS3_Lb0EN6thrust23THRUST_200600_302600_NS6detail15normal_iteratorINS8_10device_ptrIiEEEESD_SD_SD_jNS0_19identity_decomposerENS1_16block_id_wrapperIjLb1EEEEE10hipError_tT1_PNSt15iterator_traitsISI_E10value_typeET2_T3_PNSJ_ISO_E10value_typeET4_T5_PST_SU_PNS1_23onesweep_lookback_stateEbbT6_jjT7_P12ihipStream_tbENKUlT_T0_SI_SN_E_clIPiSD_S15_SD_EEDaS11_S12_SI_SN_EUlS11_E_NS1_11comp_targetILNS1_3genE9ELNS1_11target_archE1100ELNS1_3gpuE3ELNS1_3repE0EEENS1_47radix_sort_onesweep_sort_config_static_selectorELNS0_4arch9wavefront6targetE1EEEvSI_
    .private_segment_fixed_size: 0
    .sgpr_count:     6
    .sgpr_spill_count: 0
    .symbol:         _ZN7rocprim17ROCPRIM_400000_NS6detail17trampoline_kernelINS0_14default_configENS1_35radix_sort_onesweep_config_selectorIiiEEZZNS1_29radix_sort_onesweep_iterationIS3_Lb0EN6thrust23THRUST_200600_302600_NS6detail15normal_iteratorINS8_10device_ptrIiEEEESD_SD_SD_jNS0_19identity_decomposerENS1_16block_id_wrapperIjLb1EEEEE10hipError_tT1_PNSt15iterator_traitsISI_E10value_typeET2_T3_PNSJ_ISO_E10value_typeET4_T5_PST_SU_PNS1_23onesweep_lookback_stateEbbT6_jjT7_P12ihipStream_tbENKUlT_T0_SI_SN_E_clIPiSD_S15_SD_EEDaS11_S12_SI_SN_EUlS11_E_NS1_11comp_targetILNS1_3genE9ELNS1_11target_archE1100ELNS1_3gpuE3ELNS1_3repE0EEENS1_47radix_sort_onesweep_sort_config_static_selectorELNS0_4arch9wavefront6targetE1EEEvSI_.kd
    .uniform_work_group_size: 1
    .uses_dynamic_stack: false
    .vgpr_count:     0
    .vgpr_spill_count: 0
    .wavefront_size: 64
  - .agpr_count:     0
    .args:
      - .offset:         0
        .size:           88
        .value_kind:     by_value
    .group_segment_fixed_size: 0
    .kernarg_segment_align: 8
    .kernarg_segment_size: 88
    .language:       OpenCL C
    .language_version:
      - 2
      - 0
    .max_flat_workgroup_size: 1024
    .name:           _ZN7rocprim17ROCPRIM_400000_NS6detail17trampoline_kernelINS0_14default_configENS1_35radix_sort_onesweep_config_selectorIiiEEZZNS1_29radix_sort_onesweep_iterationIS3_Lb0EN6thrust23THRUST_200600_302600_NS6detail15normal_iteratorINS8_10device_ptrIiEEEESD_SD_SD_jNS0_19identity_decomposerENS1_16block_id_wrapperIjLb1EEEEE10hipError_tT1_PNSt15iterator_traitsISI_E10value_typeET2_T3_PNSJ_ISO_E10value_typeET4_T5_PST_SU_PNS1_23onesweep_lookback_stateEbbT6_jjT7_P12ihipStream_tbENKUlT_T0_SI_SN_E_clIPiSD_S15_SD_EEDaS11_S12_SI_SN_EUlS11_E_NS1_11comp_targetILNS1_3genE8ELNS1_11target_archE1030ELNS1_3gpuE2ELNS1_3repE0EEENS1_47radix_sort_onesweep_sort_config_static_selectorELNS0_4arch9wavefront6targetE1EEEvSI_
    .private_segment_fixed_size: 0
    .sgpr_count:     6
    .sgpr_spill_count: 0
    .symbol:         _ZN7rocprim17ROCPRIM_400000_NS6detail17trampoline_kernelINS0_14default_configENS1_35radix_sort_onesweep_config_selectorIiiEEZZNS1_29radix_sort_onesweep_iterationIS3_Lb0EN6thrust23THRUST_200600_302600_NS6detail15normal_iteratorINS8_10device_ptrIiEEEESD_SD_SD_jNS0_19identity_decomposerENS1_16block_id_wrapperIjLb1EEEEE10hipError_tT1_PNSt15iterator_traitsISI_E10value_typeET2_T3_PNSJ_ISO_E10value_typeET4_T5_PST_SU_PNS1_23onesweep_lookback_stateEbbT6_jjT7_P12ihipStream_tbENKUlT_T0_SI_SN_E_clIPiSD_S15_SD_EEDaS11_S12_SI_SN_EUlS11_E_NS1_11comp_targetILNS1_3genE8ELNS1_11target_archE1030ELNS1_3gpuE2ELNS1_3repE0EEENS1_47radix_sort_onesweep_sort_config_static_selectorELNS0_4arch9wavefront6targetE1EEEvSI_.kd
    .uniform_work_group_size: 1
    .uses_dynamic_stack: false
    .vgpr_count:     0
    .vgpr_spill_count: 0
    .wavefront_size: 64
  - .agpr_count:     0
    .args:
      - .offset:         0
        .size:           88
        .value_kind:     by_value
    .group_segment_fixed_size: 0
    .kernarg_segment_align: 8
    .kernarg_segment_size: 88
    .language:       OpenCL C
    .language_version:
      - 2
      - 0
    .max_flat_workgroup_size: 256
    .name:           _ZN7rocprim17ROCPRIM_400000_NS6detail17trampoline_kernelINS0_14default_configENS1_35radix_sort_onesweep_config_selectorIiiEEZZNS1_29radix_sort_onesweep_iterationIS3_Lb0EN6thrust23THRUST_200600_302600_NS6detail15normal_iteratorINS8_10device_ptrIiEEEESD_SD_SD_jNS0_19identity_decomposerENS1_16block_id_wrapperIjLb0EEEEE10hipError_tT1_PNSt15iterator_traitsISI_E10value_typeET2_T3_PNSJ_ISO_E10value_typeET4_T5_PST_SU_PNS1_23onesweep_lookback_stateEbbT6_jjT7_P12ihipStream_tbENKUlT_T0_SI_SN_E_clISD_SD_SD_SD_EEDaS11_S12_SI_SN_EUlS11_E_NS1_11comp_targetILNS1_3genE0ELNS1_11target_archE4294967295ELNS1_3gpuE0ELNS1_3repE0EEENS1_47radix_sort_onesweep_sort_config_static_selectorELNS0_4arch9wavefront6targetE1EEEvSI_
    .private_segment_fixed_size: 0
    .sgpr_count:     6
    .sgpr_spill_count: 0
    .symbol:         _ZN7rocprim17ROCPRIM_400000_NS6detail17trampoline_kernelINS0_14default_configENS1_35radix_sort_onesweep_config_selectorIiiEEZZNS1_29radix_sort_onesweep_iterationIS3_Lb0EN6thrust23THRUST_200600_302600_NS6detail15normal_iteratorINS8_10device_ptrIiEEEESD_SD_SD_jNS0_19identity_decomposerENS1_16block_id_wrapperIjLb0EEEEE10hipError_tT1_PNSt15iterator_traitsISI_E10value_typeET2_T3_PNSJ_ISO_E10value_typeET4_T5_PST_SU_PNS1_23onesweep_lookback_stateEbbT6_jjT7_P12ihipStream_tbENKUlT_T0_SI_SN_E_clISD_SD_SD_SD_EEDaS11_S12_SI_SN_EUlS11_E_NS1_11comp_targetILNS1_3genE0ELNS1_11target_archE4294967295ELNS1_3gpuE0ELNS1_3repE0EEENS1_47radix_sort_onesweep_sort_config_static_selectorELNS0_4arch9wavefront6targetE1EEEvSI_.kd
    .uniform_work_group_size: 1
    .uses_dynamic_stack: false
    .vgpr_count:     0
    .vgpr_spill_count: 0
    .wavefront_size: 64
  - .agpr_count:     0
    .args:
      - .offset:         0
        .size:           88
        .value_kind:     by_value
      - .offset:         88
        .size:           4
        .value_kind:     hidden_block_count_x
      - .offset:         92
        .size:           4
        .value_kind:     hidden_block_count_y
      - .offset:         96
        .size:           4
        .value_kind:     hidden_block_count_z
      - .offset:         100
        .size:           2
        .value_kind:     hidden_group_size_x
      - .offset:         102
        .size:           2
        .value_kind:     hidden_group_size_y
      - .offset:         104
        .size:           2
        .value_kind:     hidden_group_size_z
      - .offset:         106
        .size:           2
        .value_kind:     hidden_remainder_x
      - .offset:         108
        .size:           2
        .value_kind:     hidden_remainder_y
      - .offset:         110
        .size:           2
        .value_kind:     hidden_remainder_z
      - .offset:         128
        .size:           8
        .value_kind:     hidden_global_offset_x
      - .offset:         136
        .size:           8
        .value_kind:     hidden_global_offset_y
      - .offset:         144
        .size:           8
        .value_kind:     hidden_global_offset_z
      - .offset:         152
        .size:           2
        .value_kind:     hidden_grid_dims
    .group_segment_fixed_size: 20552
    .kernarg_segment_align: 8
    .kernarg_segment_size: 344
    .language:       OpenCL C
    .language_version:
      - 2
      - 0
    .max_flat_workgroup_size: 1024
    .name:           _ZN7rocprim17ROCPRIM_400000_NS6detail17trampoline_kernelINS0_14default_configENS1_35radix_sort_onesweep_config_selectorIiiEEZZNS1_29radix_sort_onesweep_iterationIS3_Lb0EN6thrust23THRUST_200600_302600_NS6detail15normal_iteratorINS8_10device_ptrIiEEEESD_SD_SD_jNS0_19identity_decomposerENS1_16block_id_wrapperIjLb0EEEEE10hipError_tT1_PNSt15iterator_traitsISI_E10value_typeET2_T3_PNSJ_ISO_E10value_typeET4_T5_PST_SU_PNS1_23onesweep_lookback_stateEbbT6_jjT7_P12ihipStream_tbENKUlT_T0_SI_SN_E_clISD_SD_SD_SD_EEDaS11_S12_SI_SN_EUlS11_E_NS1_11comp_targetILNS1_3genE6ELNS1_11target_archE950ELNS1_3gpuE13ELNS1_3repE0EEENS1_47radix_sort_onesweep_sort_config_static_selectorELNS0_4arch9wavefront6targetE1EEEvSI_
    .private_segment_fixed_size: 80
    .sgpr_count:     76
    .sgpr_spill_count: 0
    .symbol:         _ZN7rocprim17ROCPRIM_400000_NS6detail17trampoline_kernelINS0_14default_configENS1_35radix_sort_onesweep_config_selectorIiiEEZZNS1_29radix_sort_onesweep_iterationIS3_Lb0EN6thrust23THRUST_200600_302600_NS6detail15normal_iteratorINS8_10device_ptrIiEEEESD_SD_SD_jNS0_19identity_decomposerENS1_16block_id_wrapperIjLb0EEEEE10hipError_tT1_PNSt15iterator_traitsISI_E10value_typeET2_T3_PNSJ_ISO_E10value_typeET4_T5_PST_SU_PNS1_23onesweep_lookback_stateEbbT6_jjT7_P12ihipStream_tbENKUlT_T0_SI_SN_E_clISD_SD_SD_SD_EEDaS11_S12_SI_SN_EUlS11_E_NS1_11comp_targetILNS1_3genE6ELNS1_11target_archE950ELNS1_3gpuE13ELNS1_3repE0EEENS1_47radix_sort_onesweep_sort_config_static_selectorELNS0_4arch9wavefront6targetE1EEEvSI_.kd
    .uniform_work_group_size: 1
    .uses_dynamic_stack: false
    .vgpr_count:     88
    .vgpr_spill_count: 0
    .wavefront_size: 64
  - .agpr_count:     0
    .args:
      - .offset:         0
        .size:           88
        .value_kind:     by_value
    .group_segment_fixed_size: 0
    .kernarg_segment_align: 8
    .kernarg_segment_size: 88
    .language:       OpenCL C
    .language_version:
      - 2
      - 0
    .max_flat_workgroup_size: 1024
    .name:           _ZN7rocprim17ROCPRIM_400000_NS6detail17trampoline_kernelINS0_14default_configENS1_35radix_sort_onesweep_config_selectorIiiEEZZNS1_29radix_sort_onesweep_iterationIS3_Lb0EN6thrust23THRUST_200600_302600_NS6detail15normal_iteratorINS8_10device_ptrIiEEEESD_SD_SD_jNS0_19identity_decomposerENS1_16block_id_wrapperIjLb0EEEEE10hipError_tT1_PNSt15iterator_traitsISI_E10value_typeET2_T3_PNSJ_ISO_E10value_typeET4_T5_PST_SU_PNS1_23onesweep_lookback_stateEbbT6_jjT7_P12ihipStream_tbENKUlT_T0_SI_SN_E_clISD_SD_SD_SD_EEDaS11_S12_SI_SN_EUlS11_E_NS1_11comp_targetILNS1_3genE5ELNS1_11target_archE942ELNS1_3gpuE9ELNS1_3repE0EEENS1_47radix_sort_onesweep_sort_config_static_selectorELNS0_4arch9wavefront6targetE1EEEvSI_
    .private_segment_fixed_size: 0
    .sgpr_count:     6
    .sgpr_spill_count: 0
    .symbol:         _ZN7rocprim17ROCPRIM_400000_NS6detail17trampoline_kernelINS0_14default_configENS1_35radix_sort_onesweep_config_selectorIiiEEZZNS1_29radix_sort_onesweep_iterationIS3_Lb0EN6thrust23THRUST_200600_302600_NS6detail15normal_iteratorINS8_10device_ptrIiEEEESD_SD_SD_jNS0_19identity_decomposerENS1_16block_id_wrapperIjLb0EEEEE10hipError_tT1_PNSt15iterator_traitsISI_E10value_typeET2_T3_PNSJ_ISO_E10value_typeET4_T5_PST_SU_PNS1_23onesweep_lookback_stateEbbT6_jjT7_P12ihipStream_tbENKUlT_T0_SI_SN_E_clISD_SD_SD_SD_EEDaS11_S12_SI_SN_EUlS11_E_NS1_11comp_targetILNS1_3genE5ELNS1_11target_archE942ELNS1_3gpuE9ELNS1_3repE0EEENS1_47radix_sort_onesweep_sort_config_static_selectorELNS0_4arch9wavefront6targetE1EEEvSI_.kd
    .uniform_work_group_size: 1
    .uses_dynamic_stack: false
    .vgpr_count:     0
    .vgpr_spill_count: 0
    .wavefront_size: 64
  - .agpr_count:     0
    .args:
      - .offset:         0
        .size:           88
        .value_kind:     by_value
    .group_segment_fixed_size: 0
    .kernarg_segment_align: 8
    .kernarg_segment_size: 88
    .language:       OpenCL C
    .language_version:
      - 2
      - 0
    .max_flat_workgroup_size: 512
    .name:           _ZN7rocprim17ROCPRIM_400000_NS6detail17trampoline_kernelINS0_14default_configENS1_35radix_sort_onesweep_config_selectorIiiEEZZNS1_29radix_sort_onesweep_iterationIS3_Lb0EN6thrust23THRUST_200600_302600_NS6detail15normal_iteratorINS8_10device_ptrIiEEEESD_SD_SD_jNS0_19identity_decomposerENS1_16block_id_wrapperIjLb0EEEEE10hipError_tT1_PNSt15iterator_traitsISI_E10value_typeET2_T3_PNSJ_ISO_E10value_typeET4_T5_PST_SU_PNS1_23onesweep_lookback_stateEbbT6_jjT7_P12ihipStream_tbENKUlT_T0_SI_SN_E_clISD_SD_SD_SD_EEDaS11_S12_SI_SN_EUlS11_E_NS1_11comp_targetILNS1_3genE2ELNS1_11target_archE906ELNS1_3gpuE6ELNS1_3repE0EEENS1_47radix_sort_onesweep_sort_config_static_selectorELNS0_4arch9wavefront6targetE1EEEvSI_
    .private_segment_fixed_size: 0
    .sgpr_count:     6
    .sgpr_spill_count: 0
    .symbol:         _ZN7rocprim17ROCPRIM_400000_NS6detail17trampoline_kernelINS0_14default_configENS1_35radix_sort_onesweep_config_selectorIiiEEZZNS1_29radix_sort_onesweep_iterationIS3_Lb0EN6thrust23THRUST_200600_302600_NS6detail15normal_iteratorINS8_10device_ptrIiEEEESD_SD_SD_jNS0_19identity_decomposerENS1_16block_id_wrapperIjLb0EEEEE10hipError_tT1_PNSt15iterator_traitsISI_E10value_typeET2_T3_PNSJ_ISO_E10value_typeET4_T5_PST_SU_PNS1_23onesweep_lookback_stateEbbT6_jjT7_P12ihipStream_tbENKUlT_T0_SI_SN_E_clISD_SD_SD_SD_EEDaS11_S12_SI_SN_EUlS11_E_NS1_11comp_targetILNS1_3genE2ELNS1_11target_archE906ELNS1_3gpuE6ELNS1_3repE0EEENS1_47radix_sort_onesweep_sort_config_static_selectorELNS0_4arch9wavefront6targetE1EEEvSI_.kd
    .uniform_work_group_size: 1
    .uses_dynamic_stack: false
    .vgpr_count:     0
    .vgpr_spill_count: 0
    .wavefront_size: 64
  - .agpr_count:     0
    .args:
      - .offset:         0
        .size:           88
        .value_kind:     by_value
    .group_segment_fixed_size: 0
    .kernarg_segment_align: 8
    .kernarg_segment_size: 88
    .language:       OpenCL C
    .language_version:
      - 2
      - 0
    .max_flat_workgroup_size: 512
    .name:           _ZN7rocprim17ROCPRIM_400000_NS6detail17trampoline_kernelINS0_14default_configENS1_35radix_sort_onesweep_config_selectorIiiEEZZNS1_29radix_sort_onesweep_iterationIS3_Lb0EN6thrust23THRUST_200600_302600_NS6detail15normal_iteratorINS8_10device_ptrIiEEEESD_SD_SD_jNS0_19identity_decomposerENS1_16block_id_wrapperIjLb0EEEEE10hipError_tT1_PNSt15iterator_traitsISI_E10value_typeET2_T3_PNSJ_ISO_E10value_typeET4_T5_PST_SU_PNS1_23onesweep_lookback_stateEbbT6_jjT7_P12ihipStream_tbENKUlT_T0_SI_SN_E_clISD_SD_SD_SD_EEDaS11_S12_SI_SN_EUlS11_E_NS1_11comp_targetILNS1_3genE4ELNS1_11target_archE910ELNS1_3gpuE8ELNS1_3repE0EEENS1_47radix_sort_onesweep_sort_config_static_selectorELNS0_4arch9wavefront6targetE1EEEvSI_
    .private_segment_fixed_size: 0
    .sgpr_count:     6
    .sgpr_spill_count: 0
    .symbol:         _ZN7rocprim17ROCPRIM_400000_NS6detail17trampoline_kernelINS0_14default_configENS1_35radix_sort_onesweep_config_selectorIiiEEZZNS1_29radix_sort_onesweep_iterationIS3_Lb0EN6thrust23THRUST_200600_302600_NS6detail15normal_iteratorINS8_10device_ptrIiEEEESD_SD_SD_jNS0_19identity_decomposerENS1_16block_id_wrapperIjLb0EEEEE10hipError_tT1_PNSt15iterator_traitsISI_E10value_typeET2_T3_PNSJ_ISO_E10value_typeET4_T5_PST_SU_PNS1_23onesweep_lookback_stateEbbT6_jjT7_P12ihipStream_tbENKUlT_T0_SI_SN_E_clISD_SD_SD_SD_EEDaS11_S12_SI_SN_EUlS11_E_NS1_11comp_targetILNS1_3genE4ELNS1_11target_archE910ELNS1_3gpuE8ELNS1_3repE0EEENS1_47radix_sort_onesweep_sort_config_static_selectorELNS0_4arch9wavefront6targetE1EEEvSI_.kd
    .uniform_work_group_size: 1
    .uses_dynamic_stack: false
    .vgpr_count:     0
    .vgpr_spill_count: 0
    .wavefront_size: 64
  - .agpr_count:     0
    .args:
      - .offset:         0
        .size:           88
        .value_kind:     by_value
    .group_segment_fixed_size: 0
    .kernarg_segment_align: 8
    .kernarg_segment_size: 88
    .language:       OpenCL C
    .language_version:
      - 2
      - 0
    .max_flat_workgroup_size: 256
    .name:           _ZN7rocprim17ROCPRIM_400000_NS6detail17trampoline_kernelINS0_14default_configENS1_35radix_sort_onesweep_config_selectorIiiEEZZNS1_29radix_sort_onesweep_iterationIS3_Lb0EN6thrust23THRUST_200600_302600_NS6detail15normal_iteratorINS8_10device_ptrIiEEEESD_SD_SD_jNS0_19identity_decomposerENS1_16block_id_wrapperIjLb0EEEEE10hipError_tT1_PNSt15iterator_traitsISI_E10value_typeET2_T3_PNSJ_ISO_E10value_typeET4_T5_PST_SU_PNS1_23onesweep_lookback_stateEbbT6_jjT7_P12ihipStream_tbENKUlT_T0_SI_SN_E_clISD_SD_SD_SD_EEDaS11_S12_SI_SN_EUlS11_E_NS1_11comp_targetILNS1_3genE3ELNS1_11target_archE908ELNS1_3gpuE7ELNS1_3repE0EEENS1_47radix_sort_onesweep_sort_config_static_selectorELNS0_4arch9wavefront6targetE1EEEvSI_
    .private_segment_fixed_size: 0
    .sgpr_count:     6
    .sgpr_spill_count: 0
    .symbol:         _ZN7rocprim17ROCPRIM_400000_NS6detail17trampoline_kernelINS0_14default_configENS1_35radix_sort_onesweep_config_selectorIiiEEZZNS1_29radix_sort_onesweep_iterationIS3_Lb0EN6thrust23THRUST_200600_302600_NS6detail15normal_iteratorINS8_10device_ptrIiEEEESD_SD_SD_jNS0_19identity_decomposerENS1_16block_id_wrapperIjLb0EEEEE10hipError_tT1_PNSt15iterator_traitsISI_E10value_typeET2_T3_PNSJ_ISO_E10value_typeET4_T5_PST_SU_PNS1_23onesweep_lookback_stateEbbT6_jjT7_P12ihipStream_tbENKUlT_T0_SI_SN_E_clISD_SD_SD_SD_EEDaS11_S12_SI_SN_EUlS11_E_NS1_11comp_targetILNS1_3genE3ELNS1_11target_archE908ELNS1_3gpuE7ELNS1_3repE0EEENS1_47radix_sort_onesweep_sort_config_static_selectorELNS0_4arch9wavefront6targetE1EEEvSI_.kd
    .uniform_work_group_size: 1
    .uses_dynamic_stack: false
    .vgpr_count:     0
    .vgpr_spill_count: 0
    .wavefront_size: 64
  - .agpr_count:     0
    .args:
      - .offset:         0
        .size:           88
        .value_kind:     by_value
    .group_segment_fixed_size: 0
    .kernarg_segment_align: 8
    .kernarg_segment_size: 88
    .language:       OpenCL C
    .language_version:
      - 2
      - 0
    .max_flat_workgroup_size: 1024
    .name:           _ZN7rocprim17ROCPRIM_400000_NS6detail17trampoline_kernelINS0_14default_configENS1_35radix_sort_onesweep_config_selectorIiiEEZZNS1_29radix_sort_onesweep_iterationIS3_Lb0EN6thrust23THRUST_200600_302600_NS6detail15normal_iteratorINS8_10device_ptrIiEEEESD_SD_SD_jNS0_19identity_decomposerENS1_16block_id_wrapperIjLb0EEEEE10hipError_tT1_PNSt15iterator_traitsISI_E10value_typeET2_T3_PNSJ_ISO_E10value_typeET4_T5_PST_SU_PNS1_23onesweep_lookback_stateEbbT6_jjT7_P12ihipStream_tbENKUlT_T0_SI_SN_E_clISD_SD_SD_SD_EEDaS11_S12_SI_SN_EUlS11_E_NS1_11comp_targetILNS1_3genE10ELNS1_11target_archE1201ELNS1_3gpuE5ELNS1_3repE0EEENS1_47radix_sort_onesweep_sort_config_static_selectorELNS0_4arch9wavefront6targetE1EEEvSI_
    .private_segment_fixed_size: 0
    .sgpr_count:     6
    .sgpr_spill_count: 0
    .symbol:         _ZN7rocprim17ROCPRIM_400000_NS6detail17trampoline_kernelINS0_14default_configENS1_35radix_sort_onesweep_config_selectorIiiEEZZNS1_29radix_sort_onesweep_iterationIS3_Lb0EN6thrust23THRUST_200600_302600_NS6detail15normal_iteratorINS8_10device_ptrIiEEEESD_SD_SD_jNS0_19identity_decomposerENS1_16block_id_wrapperIjLb0EEEEE10hipError_tT1_PNSt15iterator_traitsISI_E10value_typeET2_T3_PNSJ_ISO_E10value_typeET4_T5_PST_SU_PNS1_23onesweep_lookback_stateEbbT6_jjT7_P12ihipStream_tbENKUlT_T0_SI_SN_E_clISD_SD_SD_SD_EEDaS11_S12_SI_SN_EUlS11_E_NS1_11comp_targetILNS1_3genE10ELNS1_11target_archE1201ELNS1_3gpuE5ELNS1_3repE0EEENS1_47radix_sort_onesweep_sort_config_static_selectorELNS0_4arch9wavefront6targetE1EEEvSI_.kd
    .uniform_work_group_size: 1
    .uses_dynamic_stack: false
    .vgpr_count:     0
    .vgpr_spill_count: 0
    .wavefront_size: 64
  - .agpr_count:     0
    .args:
      - .offset:         0
        .size:           88
        .value_kind:     by_value
    .group_segment_fixed_size: 0
    .kernarg_segment_align: 8
    .kernarg_segment_size: 88
    .language:       OpenCL C
    .language_version:
      - 2
      - 0
    .max_flat_workgroup_size: 1024
    .name:           _ZN7rocprim17ROCPRIM_400000_NS6detail17trampoline_kernelINS0_14default_configENS1_35radix_sort_onesweep_config_selectorIiiEEZZNS1_29radix_sort_onesweep_iterationIS3_Lb0EN6thrust23THRUST_200600_302600_NS6detail15normal_iteratorINS8_10device_ptrIiEEEESD_SD_SD_jNS0_19identity_decomposerENS1_16block_id_wrapperIjLb0EEEEE10hipError_tT1_PNSt15iterator_traitsISI_E10value_typeET2_T3_PNSJ_ISO_E10value_typeET4_T5_PST_SU_PNS1_23onesweep_lookback_stateEbbT6_jjT7_P12ihipStream_tbENKUlT_T0_SI_SN_E_clISD_SD_SD_SD_EEDaS11_S12_SI_SN_EUlS11_E_NS1_11comp_targetILNS1_3genE9ELNS1_11target_archE1100ELNS1_3gpuE3ELNS1_3repE0EEENS1_47radix_sort_onesweep_sort_config_static_selectorELNS0_4arch9wavefront6targetE1EEEvSI_
    .private_segment_fixed_size: 0
    .sgpr_count:     6
    .sgpr_spill_count: 0
    .symbol:         _ZN7rocprim17ROCPRIM_400000_NS6detail17trampoline_kernelINS0_14default_configENS1_35radix_sort_onesweep_config_selectorIiiEEZZNS1_29radix_sort_onesweep_iterationIS3_Lb0EN6thrust23THRUST_200600_302600_NS6detail15normal_iteratorINS8_10device_ptrIiEEEESD_SD_SD_jNS0_19identity_decomposerENS1_16block_id_wrapperIjLb0EEEEE10hipError_tT1_PNSt15iterator_traitsISI_E10value_typeET2_T3_PNSJ_ISO_E10value_typeET4_T5_PST_SU_PNS1_23onesweep_lookback_stateEbbT6_jjT7_P12ihipStream_tbENKUlT_T0_SI_SN_E_clISD_SD_SD_SD_EEDaS11_S12_SI_SN_EUlS11_E_NS1_11comp_targetILNS1_3genE9ELNS1_11target_archE1100ELNS1_3gpuE3ELNS1_3repE0EEENS1_47radix_sort_onesweep_sort_config_static_selectorELNS0_4arch9wavefront6targetE1EEEvSI_.kd
    .uniform_work_group_size: 1
    .uses_dynamic_stack: false
    .vgpr_count:     0
    .vgpr_spill_count: 0
    .wavefront_size: 64
  - .agpr_count:     0
    .args:
      - .offset:         0
        .size:           88
        .value_kind:     by_value
    .group_segment_fixed_size: 0
    .kernarg_segment_align: 8
    .kernarg_segment_size: 88
    .language:       OpenCL C
    .language_version:
      - 2
      - 0
    .max_flat_workgroup_size: 1024
    .name:           _ZN7rocprim17ROCPRIM_400000_NS6detail17trampoline_kernelINS0_14default_configENS1_35radix_sort_onesweep_config_selectorIiiEEZZNS1_29radix_sort_onesweep_iterationIS3_Lb0EN6thrust23THRUST_200600_302600_NS6detail15normal_iteratorINS8_10device_ptrIiEEEESD_SD_SD_jNS0_19identity_decomposerENS1_16block_id_wrapperIjLb0EEEEE10hipError_tT1_PNSt15iterator_traitsISI_E10value_typeET2_T3_PNSJ_ISO_E10value_typeET4_T5_PST_SU_PNS1_23onesweep_lookback_stateEbbT6_jjT7_P12ihipStream_tbENKUlT_T0_SI_SN_E_clISD_SD_SD_SD_EEDaS11_S12_SI_SN_EUlS11_E_NS1_11comp_targetILNS1_3genE8ELNS1_11target_archE1030ELNS1_3gpuE2ELNS1_3repE0EEENS1_47radix_sort_onesweep_sort_config_static_selectorELNS0_4arch9wavefront6targetE1EEEvSI_
    .private_segment_fixed_size: 0
    .sgpr_count:     6
    .sgpr_spill_count: 0
    .symbol:         _ZN7rocprim17ROCPRIM_400000_NS6detail17trampoline_kernelINS0_14default_configENS1_35radix_sort_onesweep_config_selectorIiiEEZZNS1_29radix_sort_onesweep_iterationIS3_Lb0EN6thrust23THRUST_200600_302600_NS6detail15normal_iteratorINS8_10device_ptrIiEEEESD_SD_SD_jNS0_19identity_decomposerENS1_16block_id_wrapperIjLb0EEEEE10hipError_tT1_PNSt15iterator_traitsISI_E10value_typeET2_T3_PNSJ_ISO_E10value_typeET4_T5_PST_SU_PNS1_23onesweep_lookback_stateEbbT6_jjT7_P12ihipStream_tbENKUlT_T0_SI_SN_E_clISD_SD_SD_SD_EEDaS11_S12_SI_SN_EUlS11_E_NS1_11comp_targetILNS1_3genE8ELNS1_11target_archE1030ELNS1_3gpuE2ELNS1_3repE0EEENS1_47radix_sort_onesweep_sort_config_static_selectorELNS0_4arch9wavefront6targetE1EEEvSI_.kd
    .uniform_work_group_size: 1
    .uses_dynamic_stack: false
    .vgpr_count:     0
    .vgpr_spill_count: 0
    .wavefront_size: 64
  - .agpr_count:     0
    .args:
      - .offset:         0
        .size:           88
        .value_kind:     by_value
    .group_segment_fixed_size: 0
    .kernarg_segment_align: 8
    .kernarg_segment_size: 88
    .language:       OpenCL C
    .language_version:
      - 2
      - 0
    .max_flat_workgroup_size: 256
    .name:           _ZN7rocprim17ROCPRIM_400000_NS6detail17trampoline_kernelINS0_14default_configENS1_35radix_sort_onesweep_config_selectorIiiEEZZNS1_29radix_sort_onesweep_iterationIS3_Lb0EN6thrust23THRUST_200600_302600_NS6detail15normal_iteratorINS8_10device_ptrIiEEEESD_SD_SD_jNS0_19identity_decomposerENS1_16block_id_wrapperIjLb0EEEEE10hipError_tT1_PNSt15iterator_traitsISI_E10value_typeET2_T3_PNSJ_ISO_E10value_typeET4_T5_PST_SU_PNS1_23onesweep_lookback_stateEbbT6_jjT7_P12ihipStream_tbENKUlT_T0_SI_SN_E_clISD_PiSD_S15_EEDaS11_S12_SI_SN_EUlS11_E_NS1_11comp_targetILNS1_3genE0ELNS1_11target_archE4294967295ELNS1_3gpuE0ELNS1_3repE0EEENS1_47radix_sort_onesweep_sort_config_static_selectorELNS0_4arch9wavefront6targetE1EEEvSI_
    .private_segment_fixed_size: 0
    .sgpr_count:     6
    .sgpr_spill_count: 0
    .symbol:         _ZN7rocprim17ROCPRIM_400000_NS6detail17trampoline_kernelINS0_14default_configENS1_35radix_sort_onesweep_config_selectorIiiEEZZNS1_29radix_sort_onesweep_iterationIS3_Lb0EN6thrust23THRUST_200600_302600_NS6detail15normal_iteratorINS8_10device_ptrIiEEEESD_SD_SD_jNS0_19identity_decomposerENS1_16block_id_wrapperIjLb0EEEEE10hipError_tT1_PNSt15iterator_traitsISI_E10value_typeET2_T3_PNSJ_ISO_E10value_typeET4_T5_PST_SU_PNS1_23onesweep_lookback_stateEbbT6_jjT7_P12ihipStream_tbENKUlT_T0_SI_SN_E_clISD_PiSD_S15_EEDaS11_S12_SI_SN_EUlS11_E_NS1_11comp_targetILNS1_3genE0ELNS1_11target_archE4294967295ELNS1_3gpuE0ELNS1_3repE0EEENS1_47radix_sort_onesweep_sort_config_static_selectorELNS0_4arch9wavefront6targetE1EEEvSI_.kd
    .uniform_work_group_size: 1
    .uses_dynamic_stack: false
    .vgpr_count:     0
    .vgpr_spill_count: 0
    .wavefront_size: 64
  - .agpr_count:     0
    .args:
      - .offset:         0
        .size:           88
        .value_kind:     by_value
      - .offset:         88
        .size:           4
        .value_kind:     hidden_block_count_x
      - .offset:         92
        .size:           4
        .value_kind:     hidden_block_count_y
      - .offset:         96
        .size:           4
        .value_kind:     hidden_block_count_z
      - .offset:         100
        .size:           2
        .value_kind:     hidden_group_size_x
      - .offset:         102
        .size:           2
        .value_kind:     hidden_group_size_y
      - .offset:         104
        .size:           2
        .value_kind:     hidden_group_size_z
      - .offset:         106
        .size:           2
        .value_kind:     hidden_remainder_x
      - .offset:         108
        .size:           2
        .value_kind:     hidden_remainder_y
      - .offset:         110
        .size:           2
        .value_kind:     hidden_remainder_z
      - .offset:         128
        .size:           8
        .value_kind:     hidden_global_offset_x
      - .offset:         136
        .size:           8
        .value_kind:     hidden_global_offset_y
      - .offset:         144
        .size:           8
        .value_kind:     hidden_global_offset_z
      - .offset:         152
        .size:           2
        .value_kind:     hidden_grid_dims
    .group_segment_fixed_size: 20552
    .kernarg_segment_align: 8
    .kernarg_segment_size: 344
    .language:       OpenCL C
    .language_version:
      - 2
      - 0
    .max_flat_workgroup_size: 1024
    .name:           _ZN7rocprim17ROCPRIM_400000_NS6detail17trampoline_kernelINS0_14default_configENS1_35radix_sort_onesweep_config_selectorIiiEEZZNS1_29radix_sort_onesweep_iterationIS3_Lb0EN6thrust23THRUST_200600_302600_NS6detail15normal_iteratorINS8_10device_ptrIiEEEESD_SD_SD_jNS0_19identity_decomposerENS1_16block_id_wrapperIjLb0EEEEE10hipError_tT1_PNSt15iterator_traitsISI_E10value_typeET2_T3_PNSJ_ISO_E10value_typeET4_T5_PST_SU_PNS1_23onesweep_lookback_stateEbbT6_jjT7_P12ihipStream_tbENKUlT_T0_SI_SN_E_clISD_PiSD_S15_EEDaS11_S12_SI_SN_EUlS11_E_NS1_11comp_targetILNS1_3genE6ELNS1_11target_archE950ELNS1_3gpuE13ELNS1_3repE0EEENS1_47radix_sort_onesweep_sort_config_static_selectorELNS0_4arch9wavefront6targetE1EEEvSI_
    .private_segment_fixed_size: 80
    .sgpr_count:     76
    .sgpr_spill_count: 0
    .symbol:         _ZN7rocprim17ROCPRIM_400000_NS6detail17trampoline_kernelINS0_14default_configENS1_35radix_sort_onesweep_config_selectorIiiEEZZNS1_29radix_sort_onesweep_iterationIS3_Lb0EN6thrust23THRUST_200600_302600_NS6detail15normal_iteratorINS8_10device_ptrIiEEEESD_SD_SD_jNS0_19identity_decomposerENS1_16block_id_wrapperIjLb0EEEEE10hipError_tT1_PNSt15iterator_traitsISI_E10value_typeET2_T3_PNSJ_ISO_E10value_typeET4_T5_PST_SU_PNS1_23onesweep_lookback_stateEbbT6_jjT7_P12ihipStream_tbENKUlT_T0_SI_SN_E_clISD_PiSD_S15_EEDaS11_S12_SI_SN_EUlS11_E_NS1_11comp_targetILNS1_3genE6ELNS1_11target_archE950ELNS1_3gpuE13ELNS1_3repE0EEENS1_47radix_sort_onesweep_sort_config_static_selectorELNS0_4arch9wavefront6targetE1EEEvSI_.kd
    .uniform_work_group_size: 1
    .uses_dynamic_stack: false
    .vgpr_count:     88
    .vgpr_spill_count: 0
    .wavefront_size: 64
  - .agpr_count:     0
    .args:
      - .offset:         0
        .size:           88
        .value_kind:     by_value
    .group_segment_fixed_size: 0
    .kernarg_segment_align: 8
    .kernarg_segment_size: 88
    .language:       OpenCL C
    .language_version:
      - 2
      - 0
    .max_flat_workgroup_size: 1024
    .name:           _ZN7rocprim17ROCPRIM_400000_NS6detail17trampoline_kernelINS0_14default_configENS1_35radix_sort_onesweep_config_selectorIiiEEZZNS1_29radix_sort_onesweep_iterationIS3_Lb0EN6thrust23THRUST_200600_302600_NS6detail15normal_iteratorINS8_10device_ptrIiEEEESD_SD_SD_jNS0_19identity_decomposerENS1_16block_id_wrapperIjLb0EEEEE10hipError_tT1_PNSt15iterator_traitsISI_E10value_typeET2_T3_PNSJ_ISO_E10value_typeET4_T5_PST_SU_PNS1_23onesweep_lookback_stateEbbT6_jjT7_P12ihipStream_tbENKUlT_T0_SI_SN_E_clISD_PiSD_S15_EEDaS11_S12_SI_SN_EUlS11_E_NS1_11comp_targetILNS1_3genE5ELNS1_11target_archE942ELNS1_3gpuE9ELNS1_3repE0EEENS1_47radix_sort_onesweep_sort_config_static_selectorELNS0_4arch9wavefront6targetE1EEEvSI_
    .private_segment_fixed_size: 0
    .sgpr_count:     6
    .sgpr_spill_count: 0
    .symbol:         _ZN7rocprim17ROCPRIM_400000_NS6detail17trampoline_kernelINS0_14default_configENS1_35radix_sort_onesweep_config_selectorIiiEEZZNS1_29radix_sort_onesweep_iterationIS3_Lb0EN6thrust23THRUST_200600_302600_NS6detail15normal_iteratorINS8_10device_ptrIiEEEESD_SD_SD_jNS0_19identity_decomposerENS1_16block_id_wrapperIjLb0EEEEE10hipError_tT1_PNSt15iterator_traitsISI_E10value_typeET2_T3_PNSJ_ISO_E10value_typeET4_T5_PST_SU_PNS1_23onesweep_lookback_stateEbbT6_jjT7_P12ihipStream_tbENKUlT_T0_SI_SN_E_clISD_PiSD_S15_EEDaS11_S12_SI_SN_EUlS11_E_NS1_11comp_targetILNS1_3genE5ELNS1_11target_archE942ELNS1_3gpuE9ELNS1_3repE0EEENS1_47radix_sort_onesweep_sort_config_static_selectorELNS0_4arch9wavefront6targetE1EEEvSI_.kd
    .uniform_work_group_size: 1
    .uses_dynamic_stack: false
    .vgpr_count:     0
    .vgpr_spill_count: 0
    .wavefront_size: 64
  - .agpr_count:     0
    .args:
      - .offset:         0
        .size:           88
        .value_kind:     by_value
    .group_segment_fixed_size: 0
    .kernarg_segment_align: 8
    .kernarg_segment_size: 88
    .language:       OpenCL C
    .language_version:
      - 2
      - 0
    .max_flat_workgroup_size: 512
    .name:           _ZN7rocprim17ROCPRIM_400000_NS6detail17trampoline_kernelINS0_14default_configENS1_35radix_sort_onesweep_config_selectorIiiEEZZNS1_29radix_sort_onesweep_iterationIS3_Lb0EN6thrust23THRUST_200600_302600_NS6detail15normal_iteratorINS8_10device_ptrIiEEEESD_SD_SD_jNS0_19identity_decomposerENS1_16block_id_wrapperIjLb0EEEEE10hipError_tT1_PNSt15iterator_traitsISI_E10value_typeET2_T3_PNSJ_ISO_E10value_typeET4_T5_PST_SU_PNS1_23onesweep_lookback_stateEbbT6_jjT7_P12ihipStream_tbENKUlT_T0_SI_SN_E_clISD_PiSD_S15_EEDaS11_S12_SI_SN_EUlS11_E_NS1_11comp_targetILNS1_3genE2ELNS1_11target_archE906ELNS1_3gpuE6ELNS1_3repE0EEENS1_47radix_sort_onesweep_sort_config_static_selectorELNS0_4arch9wavefront6targetE1EEEvSI_
    .private_segment_fixed_size: 0
    .sgpr_count:     6
    .sgpr_spill_count: 0
    .symbol:         _ZN7rocprim17ROCPRIM_400000_NS6detail17trampoline_kernelINS0_14default_configENS1_35radix_sort_onesweep_config_selectorIiiEEZZNS1_29radix_sort_onesweep_iterationIS3_Lb0EN6thrust23THRUST_200600_302600_NS6detail15normal_iteratorINS8_10device_ptrIiEEEESD_SD_SD_jNS0_19identity_decomposerENS1_16block_id_wrapperIjLb0EEEEE10hipError_tT1_PNSt15iterator_traitsISI_E10value_typeET2_T3_PNSJ_ISO_E10value_typeET4_T5_PST_SU_PNS1_23onesweep_lookback_stateEbbT6_jjT7_P12ihipStream_tbENKUlT_T0_SI_SN_E_clISD_PiSD_S15_EEDaS11_S12_SI_SN_EUlS11_E_NS1_11comp_targetILNS1_3genE2ELNS1_11target_archE906ELNS1_3gpuE6ELNS1_3repE0EEENS1_47radix_sort_onesweep_sort_config_static_selectorELNS0_4arch9wavefront6targetE1EEEvSI_.kd
    .uniform_work_group_size: 1
    .uses_dynamic_stack: false
    .vgpr_count:     0
    .vgpr_spill_count: 0
    .wavefront_size: 64
  - .agpr_count:     0
    .args:
      - .offset:         0
        .size:           88
        .value_kind:     by_value
    .group_segment_fixed_size: 0
    .kernarg_segment_align: 8
    .kernarg_segment_size: 88
    .language:       OpenCL C
    .language_version:
      - 2
      - 0
    .max_flat_workgroup_size: 512
    .name:           _ZN7rocprim17ROCPRIM_400000_NS6detail17trampoline_kernelINS0_14default_configENS1_35radix_sort_onesweep_config_selectorIiiEEZZNS1_29radix_sort_onesweep_iterationIS3_Lb0EN6thrust23THRUST_200600_302600_NS6detail15normal_iteratorINS8_10device_ptrIiEEEESD_SD_SD_jNS0_19identity_decomposerENS1_16block_id_wrapperIjLb0EEEEE10hipError_tT1_PNSt15iterator_traitsISI_E10value_typeET2_T3_PNSJ_ISO_E10value_typeET4_T5_PST_SU_PNS1_23onesweep_lookback_stateEbbT6_jjT7_P12ihipStream_tbENKUlT_T0_SI_SN_E_clISD_PiSD_S15_EEDaS11_S12_SI_SN_EUlS11_E_NS1_11comp_targetILNS1_3genE4ELNS1_11target_archE910ELNS1_3gpuE8ELNS1_3repE0EEENS1_47radix_sort_onesweep_sort_config_static_selectorELNS0_4arch9wavefront6targetE1EEEvSI_
    .private_segment_fixed_size: 0
    .sgpr_count:     6
    .sgpr_spill_count: 0
    .symbol:         _ZN7rocprim17ROCPRIM_400000_NS6detail17trampoline_kernelINS0_14default_configENS1_35radix_sort_onesweep_config_selectorIiiEEZZNS1_29radix_sort_onesweep_iterationIS3_Lb0EN6thrust23THRUST_200600_302600_NS6detail15normal_iteratorINS8_10device_ptrIiEEEESD_SD_SD_jNS0_19identity_decomposerENS1_16block_id_wrapperIjLb0EEEEE10hipError_tT1_PNSt15iterator_traitsISI_E10value_typeET2_T3_PNSJ_ISO_E10value_typeET4_T5_PST_SU_PNS1_23onesweep_lookback_stateEbbT6_jjT7_P12ihipStream_tbENKUlT_T0_SI_SN_E_clISD_PiSD_S15_EEDaS11_S12_SI_SN_EUlS11_E_NS1_11comp_targetILNS1_3genE4ELNS1_11target_archE910ELNS1_3gpuE8ELNS1_3repE0EEENS1_47radix_sort_onesweep_sort_config_static_selectorELNS0_4arch9wavefront6targetE1EEEvSI_.kd
    .uniform_work_group_size: 1
    .uses_dynamic_stack: false
    .vgpr_count:     0
    .vgpr_spill_count: 0
    .wavefront_size: 64
  - .agpr_count:     0
    .args:
      - .offset:         0
        .size:           88
        .value_kind:     by_value
    .group_segment_fixed_size: 0
    .kernarg_segment_align: 8
    .kernarg_segment_size: 88
    .language:       OpenCL C
    .language_version:
      - 2
      - 0
    .max_flat_workgroup_size: 256
    .name:           _ZN7rocprim17ROCPRIM_400000_NS6detail17trampoline_kernelINS0_14default_configENS1_35radix_sort_onesweep_config_selectorIiiEEZZNS1_29radix_sort_onesweep_iterationIS3_Lb0EN6thrust23THRUST_200600_302600_NS6detail15normal_iteratorINS8_10device_ptrIiEEEESD_SD_SD_jNS0_19identity_decomposerENS1_16block_id_wrapperIjLb0EEEEE10hipError_tT1_PNSt15iterator_traitsISI_E10value_typeET2_T3_PNSJ_ISO_E10value_typeET4_T5_PST_SU_PNS1_23onesweep_lookback_stateEbbT6_jjT7_P12ihipStream_tbENKUlT_T0_SI_SN_E_clISD_PiSD_S15_EEDaS11_S12_SI_SN_EUlS11_E_NS1_11comp_targetILNS1_3genE3ELNS1_11target_archE908ELNS1_3gpuE7ELNS1_3repE0EEENS1_47radix_sort_onesweep_sort_config_static_selectorELNS0_4arch9wavefront6targetE1EEEvSI_
    .private_segment_fixed_size: 0
    .sgpr_count:     6
    .sgpr_spill_count: 0
    .symbol:         _ZN7rocprim17ROCPRIM_400000_NS6detail17trampoline_kernelINS0_14default_configENS1_35radix_sort_onesweep_config_selectorIiiEEZZNS1_29radix_sort_onesweep_iterationIS3_Lb0EN6thrust23THRUST_200600_302600_NS6detail15normal_iteratorINS8_10device_ptrIiEEEESD_SD_SD_jNS0_19identity_decomposerENS1_16block_id_wrapperIjLb0EEEEE10hipError_tT1_PNSt15iterator_traitsISI_E10value_typeET2_T3_PNSJ_ISO_E10value_typeET4_T5_PST_SU_PNS1_23onesweep_lookback_stateEbbT6_jjT7_P12ihipStream_tbENKUlT_T0_SI_SN_E_clISD_PiSD_S15_EEDaS11_S12_SI_SN_EUlS11_E_NS1_11comp_targetILNS1_3genE3ELNS1_11target_archE908ELNS1_3gpuE7ELNS1_3repE0EEENS1_47radix_sort_onesweep_sort_config_static_selectorELNS0_4arch9wavefront6targetE1EEEvSI_.kd
    .uniform_work_group_size: 1
    .uses_dynamic_stack: false
    .vgpr_count:     0
    .vgpr_spill_count: 0
    .wavefront_size: 64
  - .agpr_count:     0
    .args:
      - .offset:         0
        .size:           88
        .value_kind:     by_value
    .group_segment_fixed_size: 0
    .kernarg_segment_align: 8
    .kernarg_segment_size: 88
    .language:       OpenCL C
    .language_version:
      - 2
      - 0
    .max_flat_workgroup_size: 1024
    .name:           _ZN7rocprim17ROCPRIM_400000_NS6detail17trampoline_kernelINS0_14default_configENS1_35radix_sort_onesweep_config_selectorIiiEEZZNS1_29radix_sort_onesweep_iterationIS3_Lb0EN6thrust23THRUST_200600_302600_NS6detail15normal_iteratorINS8_10device_ptrIiEEEESD_SD_SD_jNS0_19identity_decomposerENS1_16block_id_wrapperIjLb0EEEEE10hipError_tT1_PNSt15iterator_traitsISI_E10value_typeET2_T3_PNSJ_ISO_E10value_typeET4_T5_PST_SU_PNS1_23onesweep_lookback_stateEbbT6_jjT7_P12ihipStream_tbENKUlT_T0_SI_SN_E_clISD_PiSD_S15_EEDaS11_S12_SI_SN_EUlS11_E_NS1_11comp_targetILNS1_3genE10ELNS1_11target_archE1201ELNS1_3gpuE5ELNS1_3repE0EEENS1_47radix_sort_onesweep_sort_config_static_selectorELNS0_4arch9wavefront6targetE1EEEvSI_
    .private_segment_fixed_size: 0
    .sgpr_count:     6
    .sgpr_spill_count: 0
    .symbol:         _ZN7rocprim17ROCPRIM_400000_NS6detail17trampoline_kernelINS0_14default_configENS1_35radix_sort_onesweep_config_selectorIiiEEZZNS1_29radix_sort_onesweep_iterationIS3_Lb0EN6thrust23THRUST_200600_302600_NS6detail15normal_iteratorINS8_10device_ptrIiEEEESD_SD_SD_jNS0_19identity_decomposerENS1_16block_id_wrapperIjLb0EEEEE10hipError_tT1_PNSt15iterator_traitsISI_E10value_typeET2_T3_PNSJ_ISO_E10value_typeET4_T5_PST_SU_PNS1_23onesweep_lookback_stateEbbT6_jjT7_P12ihipStream_tbENKUlT_T0_SI_SN_E_clISD_PiSD_S15_EEDaS11_S12_SI_SN_EUlS11_E_NS1_11comp_targetILNS1_3genE10ELNS1_11target_archE1201ELNS1_3gpuE5ELNS1_3repE0EEENS1_47radix_sort_onesweep_sort_config_static_selectorELNS0_4arch9wavefront6targetE1EEEvSI_.kd
    .uniform_work_group_size: 1
    .uses_dynamic_stack: false
    .vgpr_count:     0
    .vgpr_spill_count: 0
    .wavefront_size: 64
  - .agpr_count:     0
    .args:
      - .offset:         0
        .size:           88
        .value_kind:     by_value
    .group_segment_fixed_size: 0
    .kernarg_segment_align: 8
    .kernarg_segment_size: 88
    .language:       OpenCL C
    .language_version:
      - 2
      - 0
    .max_flat_workgroup_size: 1024
    .name:           _ZN7rocprim17ROCPRIM_400000_NS6detail17trampoline_kernelINS0_14default_configENS1_35radix_sort_onesweep_config_selectorIiiEEZZNS1_29radix_sort_onesweep_iterationIS3_Lb0EN6thrust23THRUST_200600_302600_NS6detail15normal_iteratorINS8_10device_ptrIiEEEESD_SD_SD_jNS0_19identity_decomposerENS1_16block_id_wrapperIjLb0EEEEE10hipError_tT1_PNSt15iterator_traitsISI_E10value_typeET2_T3_PNSJ_ISO_E10value_typeET4_T5_PST_SU_PNS1_23onesweep_lookback_stateEbbT6_jjT7_P12ihipStream_tbENKUlT_T0_SI_SN_E_clISD_PiSD_S15_EEDaS11_S12_SI_SN_EUlS11_E_NS1_11comp_targetILNS1_3genE9ELNS1_11target_archE1100ELNS1_3gpuE3ELNS1_3repE0EEENS1_47radix_sort_onesweep_sort_config_static_selectorELNS0_4arch9wavefront6targetE1EEEvSI_
    .private_segment_fixed_size: 0
    .sgpr_count:     6
    .sgpr_spill_count: 0
    .symbol:         _ZN7rocprim17ROCPRIM_400000_NS6detail17trampoline_kernelINS0_14default_configENS1_35radix_sort_onesweep_config_selectorIiiEEZZNS1_29radix_sort_onesweep_iterationIS3_Lb0EN6thrust23THRUST_200600_302600_NS6detail15normal_iteratorINS8_10device_ptrIiEEEESD_SD_SD_jNS0_19identity_decomposerENS1_16block_id_wrapperIjLb0EEEEE10hipError_tT1_PNSt15iterator_traitsISI_E10value_typeET2_T3_PNSJ_ISO_E10value_typeET4_T5_PST_SU_PNS1_23onesweep_lookback_stateEbbT6_jjT7_P12ihipStream_tbENKUlT_T0_SI_SN_E_clISD_PiSD_S15_EEDaS11_S12_SI_SN_EUlS11_E_NS1_11comp_targetILNS1_3genE9ELNS1_11target_archE1100ELNS1_3gpuE3ELNS1_3repE0EEENS1_47radix_sort_onesweep_sort_config_static_selectorELNS0_4arch9wavefront6targetE1EEEvSI_.kd
    .uniform_work_group_size: 1
    .uses_dynamic_stack: false
    .vgpr_count:     0
    .vgpr_spill_count: 0
    .wavefront_size: 64
  - .agpr_count:     0
    .args:
      - .offset:         0
        .size:           88
        .value_kind:     by_value
    .group_segment_fixed_size: 0
    .kernarg_segment_align: 8
    .kernarg_segment_size: 88
    .language:       OpenCL C
    .language_version:
      - 2
      - 0
    .max_flat_workgroup_size: 1024
    .name:           _ZN7rocprim17ROCPRIM_400000_NS6detail17trampoline_kernelINS0_14default_configENS1_35radix_sort_onesweep_config_selectorIiiEEZZNS1_29radix_sort_onesweep_iterationIS3_Lb0EN6thrust23THRUST_200600_302600_NS6detail15normal_iteratorINS8_10device_ptrIiEEEESD_SD_SD_jNS0_19identity_decomposerENS1_16block_id_wrapperIjLb0EEEEE10hipError_tT1_PNSt15iterator_traitsISI_E10value_typeET2_T3_PNSJ_ISO_E10value_typeET4_T5_PST_SU_PNS1_23onesweep_lookback_stateEbbT6_jjT7_P12ihipStream_tbENKUlT_T0_SI_SN_E_clISD_PiSD_S15_EEDaS11_S12_SI_SN_EUlS11_E_NS1_11comp_targetILNS1_3genE8ELNS1_11target_archE1030ELNS1_3gpuE2ELNS1_3repE0EEENS1_47radix_sort_onesweep_sort_config_static_selectorELNS0_4arch9wavefront6targetE1EEEvSI_
    .private_segment_fixed_size: 0
    .sgpr_count:     6
    .sgpr_spill_count: 0
    .symbol:         _ZN7rocprim17ROCPRIM_400000_NS6detail17trampoline_kernelINS0_14default_configENS1_35radix_sort_onesweep_config_selectorIiiEEZZNS1_29radix_sort_onesweep_iterationIS3_Lb0EN6thrust23THRUST_200600_302600_NS6detail15normal_iteratorINS8_10device_ptrIiEEEESD_SD_SD_jNS0_19identity_decomposerENS1_16block_id_wrapperIjLb0EEEEE10hipError_tT1_PNSt15iterator_traitsISI_E10value_typeET2_T3_PNSJ_ISO_E10value_typeET4_T5_PST_SU_PNS1_23onesweep_lookback_stateEbbT6_jjT7_P12ihipStream_tbENKUlT_T0_SI_SN_E_clISD_PiSD_S15_EEDaS11_S12_SI_SN_EUlS11_E_NS1_11comp_targetILNS1_3genE8ELNS1_11target_archE1030ELNS1_3gpuE2ELNS1_3repE0EEENS1_47radix_sort_onesweep_sort_config_static_selectorELNS0_4arch9wavefront6targetE1EEEvSI_.kd
    .uniform_work_group_size: 1
    .uses_dynamic_stack: false
    .vgpr_count:     0
    .vgpr_spill_count: 0
    .wavefront_size: 64
  - .agpr_count:     0
    .args:
      - .offset:         0
        .size:           88
        .value_kind:     by_value
    .group_segment_fixed_size: 0
    .kernarg_segment_align: 8
    .kernarg_segment_size: 88
    .language:       OpenCL C
    .language_version:
      - 2
      - 0
    .max_flat_workgroup_size: 256
    .name:           _ZN7rocprim17ROCPRIM_400000_NS6detail17trampoline_kernelINS0_14default_configENS1_35radix_sort_onesweep_config_selectorIiiEEZZNS1_29radix_sort_onesweep_iterationIS3_Lb0EN6thrust23THRUST_200600_302600_NS6detail15normal_iteratorINS8_10device_ptrIiEEEESD_SD_SD_jNS0_19identity_decomposerENS1_16block_id_wrapperIjLb0EEEEE10hipError_tT1_PNSt15iterator_traitsISI_E10value_typeET2_T3_PNSJ_ISO_E10value_typeET4_T5_PST_SU_PNS1_23onesweep_lookback_stateEbbT6_jjT7_P12ihipStream_tbENKUlT_T0_SI_SN_E_clIPiSD_S15_SD_EEDaS11_S12_SI_SN_EUlS11_E_NS1_11comp_targetILNS1_3genE0ELNS1_11target_archE4294967295ELNS1_3gpuE0ELNS1_3repE0EEENS1_47radix_sort_onesweep_sort_config_static_selectorELNS0_4arch9wavefront6targetE1EEEvSI_
    .private_segment_fixed_size: 0
    .sgpr_count:     6
    .sgpr_spill_count: 0
    .symbol:         _ZN7rocprim17ROCPRIM_400000_NS6detail17trampoline_kernelINS0_14default_configENS1_35radix_sort_onesweep_config_selectorIiiEEZZNS1_29radix_sort_onesweep_iterationIS3_Lb0EN6thrust23THRUST_200600_302600_NS6detail15normal_iteratorINS8_10device_ptrIiEEEESD_SD_SD_jNS0_19identity_decomposerENS1_16block_id_wrapperIjLb0EEEEE10hipError_tT1_PNSt15iterator_traitsISI_E10value_typeET2_T3_PNSJ_ISO_E10value_typeET4_T5_PST_SU_PNS1_23onesweep_lookback_stateEbbT6_jjT7_P12ihipStream_tbENKUlT_T0_SI_SN_E_clIPiSD_S15_SD_EEDaS11_S12_SI_SN_EUlS11_E_NS1_11comp_targetILNS1_3genE0ELNS1_11target_archE4294967295ELNS1_3gpuE0ELNS1_3repE0EEENS1_47radix_sort_onesweep_sort_config_static_selectorELNS0_4arch9wavefront6targetE1EEEvSI_.kd
    .uniform_work_group_size: 1
    .uses_dynamic_stack: false
    .vgpr_count:     0
    .vgpr_spill_count: 0
    .wavefront_size: 64
  - .agpr_count:     0
    .args:
      - .offset:         0
        .size:           88
        .value_kind:     by_value
      - .offset:         88
        .size:           4
        .value_kind:     hidden_block_count_x
      - .offset:         92
        .size:           4
        .value_kind:     hidden_block_count_y
      - .offset:         96
        .size:           4
        .value_kind:     hidden_block_count_z
      - .offset:         100
        .size:           2
        .value_kind:     hidden_group_size_x
      - .offset:         102
        .size:           2
        .value_kind:     hidden_group_size_y
      - .offset:         104
        .size:           2
        .value_kind:     hidden_group_size_z
      - .offset:         106
        .size:           2
        .value_kind:     hidden_remainder_x
      - .offset:         108
        .size:           2
        .value_kind:     hidden_remainder_y
      - .offset:         110
        .size:           2
        .value_kind:     hidden_remainder_z
      - .offset:         128
        .size:           8
        .value_kind:     hidden_global_offset_x
      - .offset:         136
        .size:           8
        .value_kind:     hidden_global_offset_y
      - .offset:         144
        .size:           8
        .value_kind:     hidden_global_offset_z
      - .offset:         152
        .size:           2
        .value_kind:     hidden_grid_dims
    .group_segment_fixed_size: 20552
    .kernarg_segment_align: 8
    .kernarg_segment_size: 344
    .language:       OpenCL C
    .language_version:
      - 2
      - 0
    .max_flat_workgroup_size: 1024
    .name:           _ZN7rocprim17ROCPRIM_400000_NS6detail17trampoline_kernelINS0_14default_configENS1_35radix_sort_onesweep_config_selectorIiiEEZZNS1_29radix_sort_onesweep_iterationIS3_Lb0EN6thrust23THRUST_200600_302600_NS6detail15normal_iteratorINS8_10device_ptrIiEEEESD_SD_SD_jNS0_19identity_decomposerENS1_16block_id_wrapperIjLb0EEEEE10hipError_tT1_PNSt15iterator_traitsISI_E10value_typeET2_T3_PNSJ_ISO_E10value_typeET4_T5_PST_SU_PNS1_23onesweep_lookback_stateEbbT6_jjT7_P12ihipStream_tbENKUlT_T0_SI_SN_E_clIPiSD_S15_SD_EEDaS11_S12_SI_SN_EUlS11_E_NS1_11comp_targetILNS1_3genE6ELNS1_11target_archE950ELNS1_3gpuE13ELNS1_3repE0EEENS1_47radix_sort_onesweep_sort_config_static_selectorELNS0_4arch9wavefront6targetE1EEEvSI_
    .private_segment_fixed_size: 80
    .sgpr_count:     76
    .sgpr_spill_count: 0
    .symbol:         _ZN7rocprim17ROCPRIM_400000_NS6detail17trampoline_kernelINS0_14default_configENS1_35radix_sort_onesweep_config_selectorIiiEEZZNS1_29radix_sort_onesweep_iterationIS3_Lb0EN6thrust23THRUST_200600_302600_NS6detail15normal_iteratorINS8_10device_ptrIiEEEESD_SD_SD_jNS0_19identity_decomposerENS1_16block_id_wrapperIjLb0EEEEE10hipError_tT1_PNSt15iterator_traitsISI_E10value_typeET2_T3_PNSJ_ISO_E10value_typeET4_T5_PST_SU_PNS1_23onesweep_lookback_stateEbbT6_jjT7_P12ihipStream_tbENKUlT_T0_SI_SN_E_clIPiSD_S15_SD_EEDaS11_S12_SI_SN_EUlS11_E_NS1_11comp_targetILNS1_3genE6ELNS1_11target_archE950ELNS1_3gpuE13ELNS1_3repE0EEENS1_47radix_sort_onesweep_sort_config_static_selectorELNS0_4arch9wavefront6targetE1EEEvSI_.kd
    .uniform_work_group_size: 1
    .uses_dynamic_stack: false
    .vgpr_count:     88
    .vgpr_spill_count: 0
    .wavefront_size: 64
  - .agpr_count:     0
    .args:
      - .offset:         0
        .size:           88
        .value_kind:     by_value
    .group_segment_fixed_size: 0
    .kernarg_segment_align: 8
    .kernarg_segment_size: 88
    .language:       OpenCL C
    .language_version:
      - 2
      - 0
    .max_flat_workgroup_size: 1024
    .name:           _ZN7rocprim17ROCPRIM_400000_NS6detail17trampoline_kernelINS0_14default_configENS1_35radix_sort_onesweep_config_selectorIiiEEZZNS1_29radix_sort_onesweep_iterationIS3_Lb0EN6thrust23THRUST_200600_302600_NS6detail15normal_iteratorINS8_10device_ptrIiEEEESD_SD_SD_jNS0_19identity_decomposerENS1_16block_id_wrapperIjLb0EEEEE10hipError_tT1_PNSt15iterator_traitsISI_E10value_typeET2_T3_PNSJ_ISO_E10value_typeET4_T5_PST_SU_PNS1_23onesweep_lookback_stateEbbT6_jjT7_P12ihipStream_tbENKUlT_T0_SI_SN_E_clIPiSD_S15_SD_EEDaS11_S12_SI_SN_EUlS11_E_NS1_11comp_targetILNS1_3genE5ELNS1_11target_archE942ELNS1_3gpuE9ELNS1_3repE0EEENS1_47radix_sort_onesweep_sort_config_static_selectorELNS0_4arch9wavefront6targetE1EEEvSI_
    .private_segment_fixed_size: 0
    .sgpr_count:     6
    .sgpr_spill_count: 0
    .symbol:         _ZN7rocprim17ROCPRIM_400000_NS6detail17trampoline_kernelINS0_14default_configENS1_35radix_sort_onesweep_config_selectorIiiEEZZNS1_29radix_sort_onesweep_iterationIS3_Lb0EN6thrust23THRUST_200600_302600_NS6detail15normal_iteratorINS8_10device_ptrIiEEEESD_SD_SD_jNS0_19identity_decomposerENS1_16block_id_wrapperIjLb0EEEEE10hipError_tT1_PNSt15iterator_traitsISI_E10value_typeET2_T3_PNSJ_ISO_E10value_typeET4_T5_PST_SU_PNS1_23onesweep_lookback_stateEbbT6_jjT7_P12ihipStream_tbENKUlT_T0_SI_SN_E_clIPiSD_S15_SD_EEDaS11_S12_SI_SN_EUlS11_E_NS1_11comp_targetILNS1_3genE5ELNS1_11target_archE942ELNS1_3gpuE9ELNS1_3repE0EEENS1_47radix_sort_onesweep_sort_config_static_selectorELNS0_4arch9wavefront6targetE1EEEvSI_.kd
    .uniform_work_group_size: 1
    .uses_dynamic_stack: false
    .vgpr_count:     0
    .vgpr_spill_count: 0
    .wavefront_size: 64
  - .agpr_count:     0
    .args:
      - .offset:         0
        .size:           88
        .value_kind:     by_value
    .group_segment_fixed_size: 0
    .kernarg_segment_align: 8
    .kernarg_segment_size: 88
    .language:       OpenCL C
    .language_version:
      - 2
      - 0
    .max_flat_workgroup_size: 512
    .name:           _ZN7rocprim17ROCPRIM_400000_NS6detail17trampoline_kernelINS0_14default_configENS1_35radix_sort_onesweep_config_selectorIiiEEZZNS1_29radix_sort_onesweep_iterationIS3_Lb0EN6thrust23THRUST_200600_302600_NS6detail15normal_iteratorINS8_10device_ptrIiEEEESD_SD_SD_jNS0_19identity_decomposerENS1_16block_id_wrapperIjLb0EEEEE10hipError_tT1_PNSt15iterator_traitsISI_E10value_typeET2_T3_PNSJ_ISO_E10value_typeET4_T5_PST_SU_PNS1_23onesweep_lookback_stateEbbT6_jjT7_P12ihipStream_tbENKUlT_T0_SI_SN_E_clIPiSD_S15_SD_EEDaS11_S12_SI_SN_EUlS11_E_NS1_11comp_targetILNS1_3genE2ELNS1_11target_archE906ELNS1_3gpuE6ELNS1_3repE0EEENS1_47radix_sort_onesweep_sort_config_static_selectorELNS0_4arch9wavefront6targetE1EEEvSI_
    .private_segment_fixed_size: 0
    .sgpr_count:     6
    .sgpr_spill_count: 0
    .symbol:         _ZN7rocprim17ROCPRIM_400000_NS6detail17trampoline_kernelINS0_14default_configENS1_35radix_sort_onesweep_config_selectorIiiEEZZNS1_29radix_sort_onesweep_iterationIS3_Lb0EN6thrust23THRUST_200600_302600_NS6detail15normal_iteratorINS8_10device_ptrIiEEEESD_SD_SD_jNS0_19identity_decomposerENS1_16block_id_wrapperIjLb0EEEEE10hipError_tT1_PNSt15iterator_traitsISI_E10value_typeET2_T3_PNSJ_ISO_E10value_typeET4_T5_PST_SU_PNS1_23onesweep_lookback_stateEbbT6_jjT7_P12ihipStream_tbENKUlT_T0_SI_SN_E_clIPiSD_S15_SD_EEDaS11_S12_SI_SN_EUlS11_E_NS1_11comp_targetILNS1_3genE2ELNS1_11target_archE906ELNS1_3gpuE6ELNS1_3repE0EEENS1_47radix_sort_onesweep_sort_config_static_selectorELNS0_4arch9wavefront6targetE1EEEvSI_.kd
    .uniform_work_group_size: 1
    .uses_dynamic_stack: false
    .vgpr_count:     0
    .vgpr_spill_count: 0
    .wavefront_size: 64
  - .agpr_count:     0
    .args:
      - .offset:         0
        .size:           88
        .value_kind:     by_value
    .group_segment_fixed_size: 0
    .kernarg_segment_align: 8
    .kernarg_segment_size: 88
    .language:       OpenCL C
    .language_version:
      - 2
      - 0
    .max_flat_workgroup_size: 512
    .name:           _ZN7rocprim17ROCPRIM_400000_NS6detail17trampoline_kernelINS0_14default_configENS1_35radix_sort_onesweep_config_selectorIiiEEZZNS1_29radix_sort_onesweep_iterationIS3_Lb0EN6thrust23THRUST_200600_302600_NS6detail15normal_iteratorINS8_10device_ptrIiEEEESD_SD_SD_jNS0_19identity_decomposerENS1_16block_id_wrapperIjLb0EEEEE10hipError_tT1_PNSt15iterator_traitsISI_E10value_typeET2_T3_PNSJ_ISO_E10value_typeET4_T5_PST_SU_PNS1_23onesweep_lookback_stateEbbT6_jjT7_P12ihipStream_tbENKUlT_T0_SI_SN_E_clIPiSD_S15_SD_EEDaS11_S12_SI_SN_EUlS11_E_NS1_11comp_targetILNS1_3genE4ELNS1_11target_archE910ELNS1_3gpuE8ELNS1_3repE0EEENS1_47radix_sort_onesweep_sort_config_static_selectorELNS0_4arch9wavefront6targetE1EEEvSI_
    .private_segment_fixed_size: 0
    .sgpr_count:     6
    .sgpr_spill_count: 0
    .symbol:         _ZN7rocprim17ROCPRIM_400000_NS6detail17trampoline_kernelINS0_14default_configENS1_35radix_sort_onesweep_config_selectorIiiEEZZNS1_29radix_sort_onesweep_iterationIS3_Lb0EN6thrust23THRUST_200600_302600_NS6detail15normal_iteratorINS8_10device_ptrIiEEEESD_SD_SD_jNS0_19identity_decomposerENS1_16block_id_wrapperIjLb0EEEEE10hipError_tT1_PNSt15iterator_traitsISI_E10value_typeET2_T3_PNSJ_ISO_E10value_typeET4_T5_PST_SU_PNS1_23onesweep_lookback_stateEbbT6_jjT7_P12ihipStream_tbENKUlT_T0_SI_SN_E_clIPiSD_S15_SD_EEDaS11_S12_SI_SN_EUlS11_E_NS1_11comp_targetILNS1_3genE4ELNS1_11target_archE910ELNS1_3gpuE8ELNS1_3repE0EEENS1_47radix_sort_onesweep_sort_config_static_selectorELNS0_4arch9wavefront6targetE1EEEvSI_.kd
    .uniform_work_group_size: 1
    .uses_dynamic_stack: false
    .vgpr_count:     0
    .vgpr_spill_count: 0
    .wavefront_size: 64
  - .agpr_count:     0
    .args:
      - .offset:         0
        .size:           88
        .value_kind:     by_value
    .group_segment_fixed_size: 0
    .kernarg_segment_align: 8
    .kernarg_segment_size: 88
    .language:       OpenCL C
    .language_version:
      - 2
      - 0
    .max_flat_workgroup_size: 256
    .name:           _ZN7rocprim17ROCPRIM_400000_NS6detail17trampoline_kernelINS0_14default_configENS1_35radix_sort_onesweep_config_selectorIiiEEZZNS1_29radix_sort_onesweep_iterationIS3_Lb0EN6thrust23THRUST_200600_302600_NS6detail15normal_iteratorINS8_10device_ptrIiEEEESD_SD_SD_jNS0_19identity_decomposerENS1_16block_id_wrapperIjLb0EEEEE10hipError_tT1_PNSt15iterator_traitsISI_E10value_typeET2_T3_PNSJ_ISO_E10value_typeET4_T5_PST_SU_PNS1_23onesweep_lookback_stateEbbT6_jjT7_P12ihipStream_tbENKUlT_T0_SI_SN_E_clIPiSD_S15_SD_EEDaS11_S12_SI_SN_EUlS11_E_NS1_11comp_targetILNS1_3genE3ELNS1_11target_archE908ELNS1_3gpuE7ELNS1_3repE0EEENS1_47radix_sort_onesweep_sort_config_static_selectorELNS0_4arch9wavefront6targetE1EEEvSI_
    .private_segment_fixed_size: 0
    .sgpr_count:     6
    .sgpr_spill_count: 0
    .symbol:         _ZN7rocprim17ROCPRIM_400000_NS6detail17trampoline_kernelINS0_14default_configENS1_35radix_sort_onesweep_config_selectorIiiEEZZNS1_29radix_sort_onesweep_iterationIS3_Lb0EN6thrust23THRUST_200600_302600_NS6detail15normal_iteratorINS8_10device_ptrIiEEEESD_SD_SD_jNS0_19identity_decomposerENS1_16block_id_wrapperIjLb0EEEEE10hipError_tT1_PNSt15iterator_traitsISI_E10value_typeET2_T3_PNSJ_ISO_E10value_typeET4_T5_PST_SU_PNS1_23onesweep_lookback_stateEbbT6_jjT7_P12ihipStream_tbENKUlT_T0_SI_SN_E_clIPiSD_S15_SD_EEDaS11_S12_SI_SN_EUlS11_E_NS1_11comp_targetILNS1_3genE3ELNS1_11target_archE908ELNS1_3gpuE7ELNS1_3repE0EEENS1_47radix_sort_onesweep_sort_config_static_selectorELNS0_4arch9wavefront6targetE1EEEvSI_.kd
    .uniform_work_group_size: 1
    .uses_dynamic_stack: false
    .vgpr_count:     0
    .vgpr_spill_count: 0
    .wavefront_size: 64
  - .agpr_count:     0
    .args:
      - .offset:         0
        .size:           88
        .value_kind:     by_value
    .group_segment_fixed_size: 0
    .kernarg_segment_align: 8
    .kernarg_segment_size: 88
    .language:       OpenCL C
    .language_version:
      - 2
      - 0
    .max_flat_workgroup_size: 1024
    .name:           _ZN7rocprim17ROCPRIM_400000_NS6detail17trampoline_kernelINS0_14default_configENS1_35radix_sort_onesweep_config_selectorIiiEEZZNS1_29radix_sort_onesweep_iterationIS3_Lb0EN6thrust23THRUST_200600_302600_NS6detail15normal_iteratorINS8_10device_ptrIiEEEESD_SD_SD_jNS0_19identity_decomposerENS1_16block_id_wrapperIjLb0EEEEE10hipError_tT1_PNSt15iterator_traitsISI_E10value_typeET2_T3_PNSJ_ISO_E10value_typeET4_T5_PST_SU_PNS1_23onesweep_lookback_stateEbbT6_jjT7_P12ihipStream_tbENKUlT_T0_SI_SN_E_clIPiSD_S15_SD_EEDaS11_S12_SI_SN_EUlS11_E_NS1_11comp_targetILNS1_3genE10ELNS1_11target_archE1201ELNS1_3gpuE5ELNS1_3repE0EEENS1_47radix_sort_onesweep_sort_config_static_selectorELNS0_4arch9wavefront6targetE1EEEvSI_
    .private_segment_fixed_size: 0
    .sgpr_count:     6
    .sgpr_spill_count: 0
    .symbol:         _ZN7rocprim17ROCPRIM_400000_NS6detail17trampoline_kernelINS0_14default_configENS1_35radix_sort_onesweep_config_selectorIiiEEZZNS1_29radix_sort_onesweep_iterationIS3_Lb0EN6thrust23THRUST_200600_302600_NS6detail15normal_iteratorINS8_10device_ptrIiEEEESD_SD_SD_jNS0_19identity_decomposerENS1_16block_id_wrapperIjLb0EEEEE10hipError_tT1_PNSt15iterator_traitsISI_E10value_typeET2_T3_PNSJ_ISO_E10value_typeET4_T5_PST_SU_PNS1_23onesweep_lookback_stateEbbT6_jjT7_P12ihipStream_tbENKUlT_T0_SI_SN_E_clIPiSD_S15_SD_EEDaS11_S12_SI_SN_EUlS11_E_NS1_11comp_targetILNS1_3genE10ELNS1_11target_archE1201ELNS1_3gpuE5ELNS1_3repE0EEENS1_47radix_sort_onesweep_sort_config_static_selectorELNS0_4arch9wavefront6targetE1EEEvSI_.kd
    .uniform_work_group_size: 1
    .uses_dynamic_stack: false
    .vgpr_count:     0
    .vgpr_spill_count: 0
    .wavefront_size: 64
  - .agpr_count:     0
    .args:
      - .offset:         0
        .size:           88
        .value_kind:     by_value
    .group_segment_fixed_size: 0
    .kernarg_segment_align: 8
    .kernarg_segment_size: 88
    .language:       OpenCL C
    .language_version:
      - 2
      - 0
    .max_flat_workgroup_size: 1024
    .name:           _ZN7rocprim17ROCPRIM_400000_NS6detail17trampoline_kernelINS0_14default_configENS1_35radix_sort_onesweep_config_selectorIiiEEZZNS1_29radix_sort_onesweep_iterationIS3_Lb0EN6thrust23THRUST_200600_302600_NS6detail15normal_iteratorINS8_10device_ptrIiEEEESD_SD_SD_jNS0_19identity_decomposerENS1_16block_id_wrapperIjLb0EEEEE10hipError_tT1_PNSt15iterator_traitsISI_E10value_typeET2_T3_PNSJ_ISO_E10value_typeET4_T5_PST_SU_PNS1_23onesweep_lookback_stateEbbT6_jjT7_P12ihipStream_tbENKUlT_T0_SI_SN_E_clIPiSD_S15_SD_EEDaS11_S12_SI_SN_EUlS11_E_NS1_11comp_targetILNS1_3genE9ELNS1_11target_archE1100ELNS1_3gpuE3ELNS1_3repE0EEENS1_47radix_sort_onesweep_sort_config_static_selectorELNS0_4arch9wavefront6targetE1EEEvSI_
    .private_segment_fixed_size: 0
    .sgpr_count:     6
    .sgpr_spill_count: 0
    .symbol:         _ZN7rocprim17ROCPRIM_400000_NS6detail17trampoline_kernelINS0_14default_configENS1_35radix_sort_onesweep_config_selectorIiiEEZZNS1_29radix_sort_onesweep_iterationIS3_Lb0EN6thrust23THRUST_200600_302600_NS6detail15normal_iteratorINS8_10device_ptrIiEEEESD_SD_SD_jNS0_19identity_decomposerENS1_16block_id_wrapperIjLb0EEEEE10hipError_tT1_PNSt15iterator_traitsISI_E10value_typeET2_T3_PNSJ_ISO_E10value_typeET4_T5_PST_SU_PNS1_23onesweep_lookback_stateEbbT6_jjT7_P12ihipStream_tbENKUlT_T0_SI_SN_E_clIPiSD_S15_SD_EEDaS11_S12_SI_SN_EUlS11_E_NS1_11comp_targetILNS1_3genE9ELNS1_11target_archE1100ELNS1_3gpuE3ELNS1_3repE0EEENS1_47radix_sort_onesweep_sort_config_static_selectorELNS0_4arch9wavefront6targetE1EEEvSI_.kd
    .uniform_work_group_size: 1
    .uses_dynamic_stack: false
    .vgpr_count:     0
    .vgpr_spill_count: 0
    .wavefront_size: 64
  - .agpr_count:     0
    .args:
      - .offset:         0
        .size:           88
        .value_kind:     by_value
    .group_segment_fixed_size: 0
    .kernarg_segment_align: 8
    .kernarg_segment_size: 88
    .language:       OpenCL C
    .language_version:
      - 2
      - 0
    .max_flat_workgroup_size: 1024
    .name:           _ZN7rocprim17ROCPRIM_400000_NS6detail17trampoline_kernelINS0_14default_configENS1_35radix_sort_onesweep_config_selectorIiiEEZZNS1_29radix_sort_onesweep_iterationIS3_Lb0EN6thrust23THRUST_200600_302600_NS6detail15normal_iteratorINS8_10device_ptrIiEEEESD_SD_SD_jNS0_19identity_decomposerENS1_16block_id_wrapperIjLb0EEEEE10hipError_tT1_PNSt15iterator_traitsISI_E10value_typeET2_T3_PNSJ_ISO_E10value_typeET4_T5_PST_SU_PNS1_23onesweep_lookback_stateEbbT6_jjT7_P12ihipStream_tbENKUlT_T0_SI_SN_E_clIPiSD_S15_SD_EEDaS11_S12_SI_SN_EUlS11_E_NS1_11comp_targetILNS1_3genE8ELNS1_11target_archE1030ELNS1_3gpuE2ELNS1_3repE0EEENS1_47radix_sort_onesweep_sort_config_static_selectorELNS0_4arch9wavefront6targetE1EEEvSI_
    .private_segment_fixed_size: 0
    .sgpr_count:     6
    .sgpr_spill_count: 0
    .symbol:         _ZN7rocprim17ROCPRIM_400000_NS6detail17trampoline_kernelINS0_14default_configENS1_35radix_sort_onesweep_config_selectorIiiEEZZNS1_29radix_sort_onesweep_iterationIS3_Lb0EN6thrust23THRUST_200600_302600_NS6detail15normal_iteratorINS8_10device_ptrIiEEEESD_SD_SD_jNS0_19identity_decomposerENS1_16block_id_wrapperIjLb0EEEEE10hipError_tT1_PNSt15iterator_traitsISI_E10value_typeET2_T3_PNSJ_ISO_E10value_typeET4_T5_PST_SU_PNS1_23onesweep_lookback_stateEbbT6_jjT7_P12ihipStream_tbENKUlT_T0_SI_SN_E_clIPiSD_S15_SD_EEDaS11_S12_SI_SN_EUlS11_E_NS1_11comp_targetILNS1_3genE8ELNS1_11target_archE1030ELNS1_3gpuE2ELNS1_3repE0EEENS1_47radix_sort_onesweep_sort_config_static_selectorELNS0_4arch9wavefront6targetE1EEEvSI_.kd
    .uniform_work_group_size: 1
    .uses_dynamic_stack: false
    .vgpr_count:     0
    .vgpr_spill_count: 0
    .wavefront_size: 64
  - .agpr_count:     0
    .args:
      - .offset:         0
        .size:           48
        .value_kind:     by_value
      - .offset:         48
        .size:           4
        .value_kind:     hidden_block_count_x
      - .offset:         52
        .size:           4
        .value_kind:     hidden_block_count_y
      - .offset:         56
        .size:           4
        .value_kind:     hidden_block_count_z
      - .offset:         60
        .size:           2
        .value_kind:     hidden_group_size_x
      - .offset:         62
        .size:           2
        .value_kind:     hidden_group_size_y
      - .offset:         64
        .size:           2
        .value_kind:     hidden_group_size_z
      - .offset:         66
        .size:           2
        .value_kind:     hidden_remainder_x
      - .offset:         68
        .size:           2
        .value_kind:     hidden_remainder_y
      - .offset:         70
        .size:           2
        .value_kind:     hidden_remainder_z
      - .offset:         88
        .size:           8
        .value_kind:     hidden_global_offset_x
      - .offset:         96
        .size:           8
        .value_kind:     hidden_global_offset_y
      - .offset:         104
        .size:           8
        .value_kind:     hidden_global_offset_z
      - .offset:         112
        .size:           2
        .value_kind:     hidden_grid_dims
    .group_segment_fixed_size: 4112
    .kernarg_segment_align: 8
    .kernarg_segment_size: 304
    .language:       OpenCL C
    .language_version:
      - 2
      - 0
    .max_flat_workgroup_size: 256
    .name:           _ZN7rocprim17ROCPRIM_400000_NS6detail17trampoline_kernelINS0_13kernel_configILj256ELj4ELj4294967295EEENS1_37radix_sort_block_sort_config_selectorIiiEEZNS1_21radix_sort_block_sortIS4_Lb1EN6thrust23THRUST_200600_302600_NS6detail15normal_iteratorINS9_10device_ptrIiEEEESE_SE_SE_NS0_19identity_decomposerEEE10hipError_tT1_T2_T3_T4_jRjT5_jjP12ihipStream_tbEUlT_E_NS1_11comp_targetILNS1_3genE0ELNS1_11target_archE4294967295ELNS1_3gpuE0ELNS1_3repE0EEENS1_44radix_sort_block_sort_config_static_selectorELNS0_4arch9wavefront6targetE1EEEvSH_
    .private_segment_fixed_size: 0
    .sgpr_count:     52
    .sgpr_spill_count: 0
    .symbol:         _ZN7rocprim17ROCPRIM_400000_NS6detail17trampoline_kernelINS0_13kernel_configILj256ELj4ELj4294967295EEENS1_37radix_sort_block_sort_config_selectorIiiEEZNS1_21radix_sort_block_sortIS4_Lb1EN6thrust23THRUST_200600_302600_NS6detail15normal_iteratorINS9_10device_ptrIiEEEESE_SE_SE_NS0_19identity_decomposerEEE10hipError_tT1_T2_T3_T4_jRjT5_jjP12ihipStream_tbEUlT_E_NS1_11comp_targetILNS1_3genE0ELNS1_11target_archE4294967295ELNS1_3gpuE0ELNS1_3repE0EEENS1_44radix_sort_block_sort_config_static_selectorELNS0_4arch9wavefront6targetE1EEEvSH_.kd
    .uniform_work_group_size: 1
    .uses_dynamic_stack: false
    .vgpr_count:     40
    .vgpr_spill_count: 0
    .wavefront_size: 64
  - .agpr_count:     0
    .args:
      - .offset:         0
        .size:           48
        .value_kind:     by_value
    .group_segment_fixed_size: 0
    .kernarg_segment_align: 8
    .kernarg_segment_size: 48
    .language:       OpenCL C
    .language_version:
      - 2
      - 0
    .max_flat_workgroup_size: 256
    .name:           _ZN7rocprim17ROCPRIM_400000_NS6detail17trampoline_kernelINS0_13kernel_configILj256ELj4ELj4294967295EEENS1_37radix_sort_block_sort_config_selectorIiiEEZNS1_21radix_sort_block_sortIS4_Lb1EN6thrust23THRUST_200600_302600_NS6detail15normal_iteratorINS9_10device_ptrIiEEEESE_SE_SE_NS0_19identity_decomposerEEE10hipError_tT1_T2_T3_T4_jRjT5_jjP12ihipStream_tbEUlT_E_NS1_11comp_targetILNS1_3genE5ELNS1_11target_archE942ELNS1_3gpuE9ELNS1_3repE0EEENS1_44radix_sort_block_sort_config_static_selectorELNS0_4arch9wavefront6targetE1EEEvSH_
    .private_segment_fixed_size: 0
    .sgpr_count:     6
    .sgpr_spill_count: 0
    .symbol:         _ZN7rocprim17ROCPRIM_400000_NS6detail17trampoline_kernelINS0_13kernel_configILj256ELj4ELj4294967295EEENS1_37radix_sort_block_sort_config_selectorIiiEEZNS1_21radix_sort_block_sortIS4_Lb1EN6thrust23THRUST_200600_302600_NS6detail15normal_iteratorINS9_10device_ptrIiEEEESE_SE_SE_NS0_19identity_decomposerEEE10hipError_tT1_T2_T3_T4_jRjT5_jjP12ihipStream_tbEUlT_E_NS1_11comp_targetILNS1_3genE5ELNS1_11target_archE942ELNS1_3gpuE9ELNS1_3repE0EEENS1_44radix_sort_block_sort_config_static_selectorELNS0_4arch9wavefront6targetE1EEEvSH_.kd
    .uniform_work_group_size: 1
    .uses_dynamic_stack: false
    .vgpr_count:     0
    .vgpr_spill_count: 0
    .wavefront_size: 64
  - .agpr_count:     0
    .args:
      - .offset:         0
        .size:           48
        .value_kind:     by_value
    .group_segment_fixed_size: 0
    .kernarg_segment_align: 8
    .kernarg_segment_size: 48
    .language:       OpenCL C
    .language_version:
      - 2
      - 0
    .max_flat_workgroup_size: 256
    .name:           _ZN7rocprim17ROCPRIM_400000_NS6detail17trampoline_kernelINS0_13kernel_configILj256ELj4ELj4294967295EEENS1_37radix_sort_block_sort_config_selectorIiiEEZNS1_21radix_sort_block_sortIS4_Lb1EN6thrust23THRUST_200600_302600_NS6detail15normal_iteratorINS9_10device_ptrIiEEEESE_SE_SE_NS0_19identity_decomposerEEE10hipError_tT1_T2_T3_T4_jRjT5_jjP12ihipStream_tbEUlT_E_NS1_11comp_targetILNS1_3genE4ELNS1_11target_archE910ELNS1_3gpuE8ELNS1_3repE0EEENS1_44radix_sort_block_sort_config_static_selectorELNS0_4arch9wavefront6targetE1EEEvSH_
    .private_segment_fixed_size: 0
    .sgpr_count:     6
    .sgpr_spill_count: 0
    .symbol:         _ZN7rocprim17ROCPRIM_400000_NS6detail17trampoline_kernelINS0_13kernel_configILj256ELj4ELj4294967295EEENS1_37radix_sort_block_sort_config_selectorIiiEEZNS1_21radix_sort_block_sortIS4_Lb1EN6thrust23THRUST_200600_302600_NS6detail15normal_iteratorINS9_10device_ptrIiEEEESE_SE_SE_NS0_19identity_decomposerEEE10hipError_tT1_T2_T3_T4_jRjT5_jjP12ihipStream_tbEUlT_E_NS1_11comp_targetILNS1_3genE4ELNS1_11target_archE910ELNS1_3gpuE8ELNS1_3repE0EEENS1_44radix_sort_block_sort_config_static_selectorELNS0_4arch9wavefront6targetE1EEEvSH_.kd
    .uniform_work_group_size: 1
    .uses_dynamic_stack: false
    .vgpr_count:     0
    .vgpr_spill_count: 0
    .wavefront_size: 64
  - .agpr_count:     0
    .args:
      - .offset:         0
        .size:           48
        .value_kind:     by_value
    .group_segment_fixed_size: 0
    .kernarg_segment_align: 8
    .kernarg_segment_size: 48
    .language:       OpenCL C
    .language_version:
      - 2
      - 0
    .max_flat_workgroup_size: 256
    .name:           _ZN7rocprim17ROCPRIM_400000_NS6detail17trampoline_kernelINS0_13kernel_configILj256ELj4ELj4294967295EEENS1_37radix_sort_block_sort_config_selectorIiiEEZNS1_21radix_sort_block_sortIS4_Lb1EN6thrust23THRUST_200600_302600_NS6detail15normal_iteratorINS9_10device_ptrIiEEEESE_SE_SE_NS0_19identity_decomposerEEE10hipError_tT1_T2_T3_T4_jRjT5_jjP12ihipStream_tbEUlT_E_NS1_11comp_targetILNS1_3genE3ELNS1_11target_archE908ELNS1_3gpuE7ELNS1_3repE0EEENS1_44radix_sort_block_sort_config_static_selectorELNS0_4arch9wavefront6targetE1EEEvSH_
    .private_segment_fixed_size: 0
    .sgpr_count:     6
    .sgpr_spill_count: 0
    .symbol:         _ZN7rocprim17ROCPRIM_400000_NS6detail17trampoline_kernelINS0_13kernel_configILj256ELj4ELj4294967295EEENS1_37radix_sort_block_sort_config_selectorIiiEEZNS1_21radix_sort_block_sortIS4_Lb1EN6thrust23THRUST_200600_302600_NS6detail15normal_iteratorINS9_10device_ptrIiEEEESE_SE_SE_NS0_19identity_decomposerEEE10hipError_tT1_T2_T3_T4_jRjT5_jjP12ihipStream_tbEUlT_E_NS1_11comp_targetILNS1_3genE3ELNS1_11target_archE908ELNS1_3gpuE7ELNS1_3repE0EEENS1_44radix_sort_block_sort_config_static_selectorELNS0_4arch9wavefront6targetE1EEEvSH_.kd
    .uniform_work_group_size: 1
    .uses_dynamic_stack: false
    .vgpr_count:     0
    .vgpr_spill_count: 0
    .wavefront_size: 64
  - .agpr_count:     0
    .args:
      - .offset:         0
        .size:           48
        .value_kind:     by_value
    .group_segment_fixed_size: 0
    .kernarg_segment_align: 8
    .kernarg_segment_size: 48
    .language:       OpenCL C
    .language_version:
      - 2
      - 0
    .max_flat_workgroup_size: 256
    .name:           _ZN7rocprim17ROCPRIM_400000_NS6detail17trampoline_kernelINS0_13kernel_configILj256ELj4ELj4294967295EEENS1_37radix_sort_block_sort_config_selectorIiiEEZNS1_21radix_sort_block_sortIS4_Lb1EN6thrust23THRUST_200600_302600_NS6detail15normal_iteratorINS9_10device_ptrIiEEEESE_SE_SE_NS0_19identity_decomposerEEE10hipError_tT1_T2_T3_T4_jRjT5_jjP12ihipStream_tbEUlT_E_NS1_11comp_targetILNS1_3genE2ELNS1_11target_archE906ELNS1_3gpuE6ELNS1_3repE0EEENS1_44radix_sort_block_sort_config_static_selectorELNS0_4arch9wavefront6targetE1EEEvSH_
    .private_segment_fixed_size: 0
    .sgpr_count:     6
    .sgpr_spill_count: 0
    .symbol:         _ZN7rocprim17ROCPRIM_400000_NS6detail17trampoline_kernelINS0_13kernel_configILj256ELj4ELj4294967295EEENS1_37radix_sort_block_sort_config_selectorIiiEEZNS1_21radix_sort_block_sortIS4_Lb1EN6thrust23THRUST_200600_302600_NS6detail15normal_iteratorINS9_10device_ptrIiEEEESE_SE_SE_NS0_19identity_decomposerEEE10hipError_tT1_T2_T3_T4_jRjT5_jjP12ihipStream_tbEUlT_E_NS1_11comp_targetILNS1_3genE2ELNS1_11target_archE906ELNS1_3gpuE6ELNS1_3repE0EEENS1_44radix_sort_block_sort_config_static_selectorELNS0_4arch9wavefront6targetE1EEEvSH_.kd
    .uniform_work_group_size: 1
    .uses_dynamic_stack: false
    .vgpr_count:     0
    .vgpr_spill_count: 0
    .wavefront_size: 64
  - .agpr_count:     0
    .args:
      - .offset:         0
        .size:           48
        .value_kind:     by_value
    .group_segment_fixed_size: 0
    .kernarg_segment_align: 8
    .kernarg_segment_size: 48
    .language:       OpenCL C
    .language_version:
      - 2
      - 0
    .max_flat_workgroup_size: 256
    .name:           _ZN7rocprim17ROCPRIM_400000_NS6detail17trampoline_kernelINS0_13kernel_configILj256ELj4ELj4294967295EEENS1_37radix_sort_block_sort_config_selectorIiiEEZNS1_21radix_sort_block_sortIS4_Lb1EN6thrust23THRUST_200600_302600_NS6detail15normal_iteratorINS9_10device_ptrIiEEEESE_SE_SE_NS0_19identity_decomposerEEE10hipError_tT1_T2_T3_T4_jRjT5_jjP12ihipStream_tbEUlT_E_NS1_11comp_targetILNS1_3genE10ELNS1_11target_archE1201ELNS1_3gpuE5ELNS1_3repE0EEENS1_44radix_sort_block_sort_config_static_selectorELNS0_4arch9wavefront6targetE1EEEvSH_
    .private_segment_fixed_size: 0
    .sgpr_count:     6
    .sgpr_spill_count: 0
    .symbol:         _ZN7rocprim17ROCPRIM_400000_NS6detail17trampoline_kernelINS0_13kernel_configILj256ELj4ELj4294967295EEENS1_37radix_sort_block_sort_config_selectorIiiEEZNS1_21radix_sort_block_sortIS4_Lb1EN6thrust23THRUST_200600_302600_NS6detail15normal_iteratorINS9_10device_ptrIiEEEESE_SE_SE_NS0_19identity_decomposerEEE10hipError_tT1_T2_T3_T4_jRjT5_jjP12ihipStream_tbEUlT_E_NS1_11comp_targetILNS1_3genE10ELNS1_11target_archE1201ELNS1_3gpuE5ELNS1_3repE0EEENS1_44radix_sort_block_sort_config_static_selectorELNS0_4arch9wavefront6targetE1EEEvSH_.kd
    .uniform_work_group_size: 1
    .uses_dynamic_stack: false
    .vgpr_count:     0
    .vgpr_spill_count: 0
    .wavefront_size: 64
  - .agpr_count:     0
    .args:
      - .offset:         0
        .size:           48
        .value_kind:     by_value
    .group_segment_fixed_size: 0
    .kernarg_segment_align: 8
    .kernarg_segment_size: 48
    .language:       OpenCL C
    .language_version:
      - 2
      - 0
    .max_flat_workgroup_size: 256
    .name:           _ZN7rocprim17ROCPRIM_400000_NS6detail17trampoline_kernelINS0_13kernel_configILj256ELj4ELj4294967295EEENS1_37radix_sort_block_sort_config_selectorIiiEEZNS1_21radix_sort_block_sortIS4_Lb1EN6thrust23THRUST_200600_302600_NS6detail15normal_iteratorINS9_10device_ptrIiEEEESE_SE_SE_NS0_19identity_decomposerEEE10hipError_tT1_T2_T3_T4_jRjT5_jjP12ihipStream_tbEUlT_E_NS1_11comp_targetILNS1_3genE10ELNS1_11target_archE1200ELNS1_3gpuE4ELNS1_3repE0EEENS1_44radix_sort_block_sort_config_static_selectorELNS0_4arch9wavefront6targetE1EEEvSH_
    .private_segment_fixed_size: 0
    .sgpr_count:     6
    .sgpr_spill_count: 0
    .symbol:         _ZN7rocprim17ROCPRIM_400000_NS6detail17trampoline_kernelINS0_13kernel_configILj256ELj4ELj4294967295EEENS1_37radix_sort_block_sort_config_selectorIiiEEZNS1_21radix_sort_block_sortIS4_Lb1EN6thrust23THRUST_200600_302600_NS6detail15normal_iteratorINS9_10device_ptrIiEEEESE_SE_SE_NS0_19identity_decomposerEEE10hipError_tT1_T2_T3_T4_jRjT5_jjP12ihipStream_tbEUlT_E_NS1_11comp_targetILNS1_3genE10ELNS1_11target_archE1200ELNS1_3gpuE4ELNS1_3repE0EEENS1_44radix_sort_block_sort_config_static_selectorELNS0_4arch9wavefront6targetE1EEEvSH_.kd
    .uniform_work_group_size: 1
    .uses_dynamic_stack: false
    .vgpr_count:     0
    .vgpr_spill_count: 0
    .wavefront_size: 64
  - .agpr_count:     0
    .args:
      - .offset:         0
        .size:           48
        .value_kind:     by_value
    .group_segment_fixed_size: 0
    .kernarg_segment_align: 8
    .kernarg_segment_size: 48
    .language:       OpenCL C
    .language_version:
      - 2
      - 0
    .max_flat_workgroup_size: 256
    .name:           _ZN7rocprim17ROCPRIM_400000_NS6detail17trampoline_kernelINS0_13kernel_configILj256ELj4ELj4294967295EEENS1_37radix_sort_block_sort_config_selectorIiiEEZNS1_21radix_sort_block_sortIS4_Lb1EN6thrust23THRUST_200600_302600_NS6detail15normal_iteratorINS9_10device_ptrIiEEEESE_SE_SE_NS0_19identity_decomposerEEE10hipError_tT1_T2_T3_T4_jRjT5_jjP12ihipStream_tbEUlT_E_NS1_11comp_targetILNS1_3genE9ELNS1_11target_archE1100ELNS1_3gpuE3ELNS1_3repE0EEENS1_44radix_sort_block_sort_config_static_selectorELNS0_4arch9wavefront6targetE1EEEvSH_
    .private_segment_fixed_size: 0
    .sgpr_count:     6
    .sgpr_spill_count: 0
    .symbol:         _ZN7rocprim17ROCPRIM_400000_NS6detail17trampoline_kernelINS0_13kernel_configILj256ELj4ELj4294967295EEENS1_37radix_sort_block_sort_config_selectorIiiEEZNS1_21radix_sort_block_sortIS4_Lb1EN6thrust23THRUST_200600_302600_NS6detail15normal_iteratorINS9_10device_ptrIiEEEESE_SE_SE_NS0_19identity_decomposerEEE10hipError_tT1_T2_T3_T4_jRjT5_jjP12ihipStream_tbEUlT_E_NS1_11comp_targetILNS1_3genE9ELNS1_11target_archE1100ELNS1_3gpuE3ELNS1_3repE0EEENS1_44radix_sort_block_sort_config_static_selectorELNS0_4arch9wavefront6targetE1EEEvSH_.kd
    .uniform_work_group_size: 1
    .uses_dynamic_stack: false
    .vgpr_count:     0
    .vgpr_spill_count: 0
    .wavefront_size: 64
  - .agpr_count:     0
    .args:
      - .offset:         0
        .size:           48
        .value_kind:     by_value
    .group_segment_fixed_size: 0
    .kernarg_segment_align: 8
    .kernarg_segment_size: 48
    .language:       OpenCL C
    .language_version:
      - 2
      - 0
    .max_flat_workgroup_size: 256
    .name:           _ZN7rocprim17ROCPRIM_400000_NS6detail17trampoline_kernelINS0_13kernel_configILj256ELj4ELj4294967295EEENS1_37radix_sort_block_sort_config_selectorIiiEEZNS1_21radix_sort_block_sortIS4_Lb1EN6thrust23THRUST_200600_302600_NS6detail15normal_iteratorINS9_10device_ptrIiEEEESE_SE_SE_NS0_19identity_decomposerEEE10hipError_tT1_T2_T3_T4_jRjT5_jjP12ihipStream_tbEUlT_E_NS1_11comp_targetILNS1_3genE8ELNS1_11target_archE1030ELNS1_3gpuE2ELNS1_3repE0EEENS1_44radix_sort_block_sort_config_static_selectorELNS0_4arch9wavefront6targetE1EEEvSH_
    .private_segment_fixed_size: 0
    .sgpr_count:     6
    .sgpr_spill_count: 0
    .symbol:         _ZN7rocprim17ROCPRIM_400000_NS6detail17trampoline_kernelINS0_13kernel_configILj256ELj4ELj4294967295EEENS1_37radix_sort_block_sort_config_selectorIiiEEZNS1_21radix_sort_block_sortIS4_Lb1EN6thrust23THRUST_200600_302600_NS6detail15normal_iteratorINS9_10device_ptrIiEEEESE_SE_SE_NS0_19identity_decomposerEEE10hipError_tT1_T2_T3_T4_jRjT5_jjP12ihipStream_tbEUlT_E_NS1_11comp_targetILNS1_3genE8ELNS1_11target_archE1030ELNS1_3gpuE2ELNS1_3repE0EEENS1_44radix_sort_block_sort_config_static_selectorELNS0_4arch9wavefront6targetE1EEEvSH_.kd
    .uniform_work_group_size: 1
    .uses_dynamic_stack: false
    .vgpr_count:     0
    .vgpr_spill_count: 0
    .wavefront_size: 64
  - .agpr_count:     0
    .args:
      - .offset:         0
        .size:           40
        .value_kind:     by_value
    .group_segment_fixed_size: 0
    .kernarg_segment_align: 8
    .kernarg_segment_size: 40
    .language:       OpenCL C
    .language_version:
      - 2
      - 0
    .max_flat_workgroup_size: 128
    .name:           _ZN7rocprim17ROCPRIM_400000_NS6detail17trampoline_kernelINS0_14default_configENS1_38merge_sort_block_merge_config_selectorIiiEEZZNS1_27merge_sort_block_merge_implIS3_N6thrust23THRUST_200600_302600_NS6detail15normal_iteratorINS8_10device_ptrIiEEEESD_jNS1_19radix_merge_compareILb1ELb0EiNS0_19identity_decomposerEEEEE10hipError_tT0_T1_T2_jT3_P12ihipStream_tbPNSt15iterator_traitsISI_E10value_typeEPNSO_ISJ_E10value_typeEPSK_NS1_7vsmem_tEENKUlT_SI_SJ_SK_E_clIPiSD_S10_SD_EESH_SX_SI_SJ_SK_EUlSX_E_NS1_11comp_targetILNS1_3genE0ELNS1_11target_archE4294967295ELNS1_3gpuE0ELNS1_3repE0EEENS1_48merge_mergepath_partition_config_static_selectorELNS0_4arch9wavefront6targetE1EEEvSJ_
    .private_segment_fixed_size: 0
    .sgpr_count:     14
    .sgpr_spill_count: 0
    .symbol:         _ZN7rocprim17ROCPRIM_400000_NS6detail17trampoline_kernelINS0_14default_configENS1_38merge_sort_block_merge_config_selectorIiiEEZZNS1_27merge_sort_block_merge_implIS3_N6thrust23THRUST_200600_302600_NS6detail15normal_iteratorINS8_10device_ptrIiEEEESD_jNS1_19radix_merge_compareILb1ELb0EiNS0_19identity_decomposerEEEEE10hipError_tT0_T1_T2_jT3_P12ihipStream_tbPNSt15iterator_traitsISI_E10value_typeEPNSO_ISJ_E10value_typeEPSK_NS1_7vsmem_tEENKUlT_SI_SJ_SK_E_clIPiSD_S10_SD_EESH_SX_SI_SJ_SK_EUlSX_E_NS1_11comp_targetILNS1_3genE0ELNS1_11target_archE4294967295ELNS1_3gpuE0ELNS1_3repE0EEENS1_48merge_mergepath_partition_config_static_selectorELNS0_4arch9wavefront6targetE1EEEvSJ_.kd
    .uniform_work_group_size: 1
    .uses_dynamic_stack: false
    .vgpr_count:     17
    .vgpr_spill_count: 0
    .wavefront_size: 64
  - .agpr_count:     0
    .args:
      - .offset:         0
        .size:           40
        .value_kind:     by_value
    .group_segment_fixed_size: 0
    .kernarg_segment_align: 8
    .kernarg_segment_size: 40
    .language:       OpenCL C
    .language_version:
      - 2
      - 0
    .max_flat_workgroup_size: 128
    .name:           _ZN7rocprim17ROCPRIM_400000_NS6detail17trampoline_kernelINS0_14default_configENS1_38merge_sort_block_merge_config_selectorIiiEEZZNS1_27merge_sort_block_merge_implIS3_N6thrust23THRUST_200600_302600_NS6detail15normal_iteratorINS8_10device_ptrIiEEEESD_jNS1_19radix_merge_compareILb1ELb0EiNS0_19identity_decomposerEEEEE10hipError_tT0_T1_T2_jT3_P12ihipStream_tbPNSt15iterator_traitsISI_E10value_typeEPNSO_ISJ_E10value_typeEPSK_NS1_7vsmem_tEENKUlT_SI_SJ_SK_E_clIPiSD_S10_SD_EESH_SX_SI_SJ_SK_EUlSX_E_NS1_11comp_targetILNS1_3genE10ELNS1_11target_archE1201ELNS1_3gpuE5ELNS1_3repE0EEENS1_48merge_mergepath_partition_config_static_selectorELNS0_4arch9wavefront6targetE1EEEvSJ_
    .private_segment_fixed_size: 0
    .sgpr_count:     6
    .sgpr_spill_count: 0
    .symbol:         _ZN7rocprim17ROCPRIM_400000_NS6detail17trampoline_kernelINS0_14default_configENS1_38merge_sort_block_merge_config_selectorIiiEEZZNS1_27merge_sort_block_merge_implIS3_N6thrust23THRUST_200600_302600_NS6detail15normal_iteratorINS8_10device_ptrIiEEEESD_jNS1_19radix_merge_compareILb1ELb0EiNS0_19identity_decomposerEEEEE10hipError_tT0_T1_T2_jT3_P12ihipStream_tbPNSt15iterator_traitsISI_E10value_typeEPNSO_ISJ_E10value_typeEPSK_NS1_7vsmem_tEENKUlT_SI_SJ_SK_E_clIPiSD_S10_SD_EESH_SX_SI_SJ_SK_EUlSX_E_NS1_11comp_targetILNS1_3genE10ELNS1_11target_archE1201ELNS1_3gpuE5ELNS1_3repE0EEENS1_48merge_mergepath_partition_config_static_selectorELNS0_4arch9wavefront6targetE1EEEvSJ_.kd
    .uniform_work_group_size: 1
    .uses_dynamic_stack: false
    .vgpr_count:     0
    .vgpr_spill_count: 0
    .wavefront_size: 64
  - .agpr_count:     0
    .args:
      - .offset:         0
        .size:           40
        .value_kind:     by_value
    .group_segment_fixed_size: 0
    .kernarg_segment_align: 8
    .kernarg_segment_size: 40
    .language:       OpenCL C
    .language_version:
      - 2
      - 0
    .max_flat_workgroup_size: 128
    .name:           _ZN7rocprim17ROCPRIM_400000_NS6detail17trampoline_kernelINS0_14default_configENS1_38merge_sort_block_merge_config_selectorIiiEEZZNS1_27merge_sort_block_merge_implIS3_N6thrust23THRUST_200600_302600_NS6detail15normal_iteratorINS8_10device_ptrIiEEEESD_jNS1_19radix_merge_compareILb1ELb0EiNS0_19identity_decomposerEEEEE10hipError_tT0_T1_T2_jT3_P12ihipStream_tbPNSt15iterator_traitsISI_E10value_typeEPNSO_ISJ_E10value_typeEPSK_NS1_7vsmem_tEENKUlT_SI_SJ_SK_E_clIPiSD_S10_SD_EESH_SX_SI_SJ_SK_EUlSX_E_NS1_11comp_targetILNS1_3genE5ELNS1_11target_archE942ELNS1_3gpuE9ELNS1_3repE0EEENS1_48merge_mergepath_partition_config_static_selectorELNS0_4arch9wavefront6targetE1EEEvSJ_
    .private_segment_fixed_size: 0
    .sgpr_count:     6
    .sgpr_spill_count: 0
    .symbol:         _ZN7rocprim17ROCPRIM_400000_NS6detail17trampoline_kernelINS0_14default_configENS1_38merge_sort_block_merge_config_selectorIiiEEZZNS1_27merge_sort_block_merge_implIS3_N6thrust23THRUST_200600_302600_NS6detail15normal_iteratorINS8_10device_ptrIiEEEESD_jNS1_19radix_merge_compareILb1ELb0EiNS0_19identity_decomposerEEEEE10hipError_tT0_T1_T2_jT3_P12ihipStream_tbPNSt15iterator_traitsISI_E10value_typeEPNSO_ISJ_E10value_typeEPSK_NS1_7vsmem_tEENKUlT_SI_SJ_SK_E_clIPiSD_S10_SD_EESH_SX_SI_SJ_SK_EUlSX_E_NS1_11comp_targetILNS1_3genE5ELNS1_11target_archE942ELNS1_3gpuE9ELNS1_3repE0EEENS1_48merge_mergepath_partition_config_static_selectorELNS0_4arch9wavefront6targetE1EEEvSJ_.kd
    .uniform_work_group_size: 1
    .uses_dynamic_stack: false
    .vgpr_count:     0
    .vgpr_spill_count: 0
    .wavefront_size: 64
  - .agpr_count:     0
    .args:
      - .offset:         0
        .size:           40
        .value_kind:     by_value
    .group_segment_fixed_size: 0
    .kernarg_segment_align: 8
    .kernarg_segment_size: 40
    .language:       OpenCL C
    .language_version:
      - 2
      - 0
    .max_flat_workgroup_size: 128
    .name:           _ZN7rocprim17ROCPRIM_400000_NS6detail17trampoline_kernelINS0_14default_configENS1_38merge_sort_block_merge_config_selectorIiiEEZZNS1_27merge_sort_block_merge_implIS3_N6thrust23THRUST_200600_302600_NS6detail15normal_iteratorINS8_10device_ptrIiEEEESD_jNS1_19radix_merge_compareILb1ELb0EiNS0_19identity_decomposerEEEEE10hipError_tT0_T1_T2_jT3_P12ihipStream_tbPNSt15iterator_traitsISI_E10value_typeEPNSO_ISJ_E10value_typeEPSK_NS1_7vsmem_tEENKUlT_SI_SJ_SK_E_clIPiSD_S10_SD_EESH_SX_SI_SJ_SK_EUlSX_E_NS1_11comp_targetILNS1_3genE4ELNS1_11target_archE910ELNS1_3gpuE8ELNS1_3repE0EEENS1_48merge_mergepath_partition_config_static_selectorELNS0_4arch9wavefront6targetE1EEEvSJ_
    .private_segment_fixed_size: 0
    .sgpr_count:     6
    .sgpr_spill_count: 0
    .symbol:         _ZN7rocprim17ROCPRIM_400000_NS6detail17trampoline_kernelINS0_14default_configENS1_38merge_sort_block_merge_config_selectorIiiEEZZNS1_27merge_sort_block_merge_implIS3_N6thrust23THRUST_200600_302600_NS6detail15normal_iteratorINS8_10device_ptrIiEEEESD_jNS1_19radix_merge_compareILb1ELb0EiNS0_19identity_decomposerEEEEE10hipError_tT0_T1_T2_jT3_P12ihipStream_tbPNSt15iterator_traitsISI_E10value_typeEPNSO_ISJ_E10value_typeEPSK_NS1_7vsmem_tEENKUlT_SI_SJ_SK_E_clIPiSD_S10_SD_EESH_SX_SI_SJ_SK_EUlSX_E_NS1_11comp_targetILNS1_3genE4ELNS1_11target_archE910ELNS1_3gpuE8ELNS1_3repE0EEENS1_48merge_mergepath_partition_config_static_selectorELNS0_4arch9wavefront6targetE1EEEvSJ_.kd
    .uniform_work_group_size: 1
    .uses_dynamic_stack: false
    .vgpr_count:     0
    .vgpr_spill_count: 0
    .wavefront_size: 64
  - .agpr_count:     0
    .args:
      - .offset:         0
        .size:           40
        .value_kind:     by_value
    .group_segment_fixed_size: 0
    .kernarg_segment_align: 8
    .kernarg_segment_size: 40
    .language:       OpenCL C
    .language_version:
      - 2
      - 0
    .max_flat_workgroup_size: 128
    .name:           _ZN7rocprim17ROCPRIM_400000_NS6detail17trampoline_kernelINS0_14default_configENS1_38merge_sort_block_merge_config_selectorIiiEEZZNS1_27merge_sort_block_merge_implIS3_N6thrust23THRUST_200600_302600_NS6detail15normal_iteratorINS8_10device_ptrIiEEEESD_jNS1_19radix_merge_compareILb1ELb0EiNS0_19identity_decomposerEEEEE10hipError_tT0_T1_T2_jT3_P12ihipStream_tbPNSt15iterator_traitsISI_E10value_typeEPNSO_ISJ_E10value_typeEPSK_NS1_7vsmem_tEENKUlT_SI_SJ_SK_E_clIPiSD_S10_SD_EESH_SX_SI_SJ_SK_EUlSX_E_NS1_11comp_targetILNS1_3genE3ELNS1_11target_archE908ELNS1_3gpuE7ELNS1_3repE0EEENS1_48merge_mergepath_partition_config_static_selectorELNS0_4arch9wavefront6targetE1EEEvSJ_
    .private_segment_fixed_size: 0
    .sgpr_count:     6
    .sgpr_spill_count: 0
    .symbol:         _ZN7rocprim17ROCPRIM_400000_NS6detail17trampoline_kernelINS0_14default_configENS1_38merge_sort_block_merge_config_selectorIiiEEZZNS1_27merge_sort_block_merge_implIS3_N6thrust23THRUST_200600_302600_NS6detail15normal_iteratorINS8_10device_ptrIiEEEESD_jNS1_19radix_merge_compareILb1ELb0EiNS0_19identity_decomposerEEEEE10hipError_tT0_T1_T2_jT3_P12ihipStream_tbPNSt15iterator_traitsISI_E10value_typeEPNSO_ISJ_E10value_typeEPSK_NS1_7vsmem_tEENKUlT_SI_SJ_SK_E_clIPiSD_S10_SD_EESH_SX_SI_SJ_SK_EUlSX_E_NS1_11comp_targetILNS1_3genE3ELNS1_11target_archE908ELNS1_3gpuE7ELNS1_3repE0EEENS1_48merge_mergepath_partition_config_static_selectorELNS0_4arch9wavefront6targetE1EEEvSJ_.kd
    .uniform_work_group_size: 1
    .uses_dynamic_stack: false
    .vgpr_count:     0
    .vgpr_spill_count: 0
    .wavefront_size: 64
  - .agpr_count:     0
    .args:
      - .offset:         0
        .size:           40
        .value_kind:     by_value
    .group_segment_fixed_size: 0
    .kernarg_segment_align: 8
    .kernarg_segment_size: 40
    .language:       OpenCL C
    .language_version:
      - 2
      - 0
    .max_flat_workgroup_size: 128
    .name:           _ZN7rocprim17ROCPRIM_400000_NS6detail17trampoline_kernelINS0_14default_configENS1_38merge_sort_block_merge_config_selectorIiiEEZZNS1_27merge_sort_block_merge_implIS3_N6thrust23THRUST_200600_302600_NS6detail15normal_iteratorINS8_10device_ptrIiEEEESD_jNS1_19radix_merge_compareILb1ELb0EiNS0_19identity_decomposerEEEEE10hipError_tT0_T1_T2_jT3_P12ihipStream_tbPNSt15iterator_traitsISI_E10value_typeEPNSO_ISJ_E10value_typeEPSK_NS1_7vsmem_tEENKUlT_SI_SJ_SK_E_clIPiSD_S10_SD_EESH_SX_SI_SJ_SK_EUlSX_E_NS1_11comp_targetILNS1_3genE2ELNS1_11target_archE906ELNS1_3gpuE6ELNS1_3repE0EEENS1_48merge_mergepath_partition_config_static_selectorELNS0_4arch9wavefront6targetE1EEEvSJ_
    .private_segment_fixed_size: 0
    .sgpr_count:     6
    .sgpr_spill_count: 0
    .symbol:         _ZN7rocprim17ROCPRIM_400000_NS6detail17trampoline_kernelINS0_14default_configENS1_38merge_sort_block_merge_config_selectorIiiEEZZNS1_27merge_sort_block_merge_implIS3_N6thrust23THRUST_200600_302600_NS6detail15normal_iteratorINS8_10device_ptrIiEEEESD_jNS1_19radix_merge_compareILb1ELb0EiNS0_19identity_decomposerEEEEE10hipError_tT0_T1_T2_jT3_P12ihipStream_tbPNSt15iterator_traitsISI_E10value_typeEPNSO_ISJ_E10value_typeEPSK_NS1_7vsmem_tEENKUlT_SI_SJ_SK_E_clIPiSD_S10_SD_EESH_SX_SI_SJ_SK_EUlSX_E_NS1_11comp_targetILNS1_3genE2ELNS1_11target_archE906ELNS1_3gpuE6ELNS1_3repE0EEENS1_48merge_mergepath_partition_config_static_selectorELNS0_4arch9wavefront6targetE1EEEvSJ_.kd
    .uniform_work_group_size: 1
    .uses_dynamic_stack: false
    .vgpr_count:     0
    .vgpr_spill_count: 0
    .wavefront_size: 64
  - .agpr_count:     0
    .args:
      - .offset:         0
        .size:           40
        .value_kind:     by_value
    .group_segment_fixed_size: 0
    .kernarg_segment_align: 8
    .kernarg_segment_size: 40
    .language:       OpenCL C
    .language_version:
      - 2
      - 0
    .max_flat_workgroup_size: 128
    .name:           _ZN7rocprim17ROCPRIM_400000_NS6detail17trampoline_kernelINS0_14default_configENS1_38merge_sort_block_merge_config_selectorIiiEEZZNS1_27merge_sort_block_merge_implIS3_N6thrust23THRUST_200600_302600_NS6detail15normal_iteratorINS8_10device_ptrIiEEEESD_jNS1_19radix_merge_compareILb1ELb0EiNS0_19identity_decomposerEEEEE10hipError_tT0_T1_T2_jT3_P12ihipStream_tbPNSt15iterator_traitsISI_E10value_typeEPNSO_ISJ_E10value_typeEPSK_NS1_7vsmem_tEENKUlT_SI_SJ_SK_E_clIPiSD_S10_SD_EESH_SX_SI_SJ_SK_EUlSX_E_NS1_11comp_targetILNS1_3genE9ELNS1_11target_archE1100ELNS1_3gpuE3ELNS1_3repE0EEENS1_48merge_mergepath_partition_config_static_selectorELNS0_4arch9wavefront6targetE1EEEvSJ_
    .private_segment_fixed_size: 0
    .sgpr_count:     6
    .sgpr_spill_count: 0
    .symbol:         _ZN7rocprim17ROCPRIM_400000_NS6detail17trampoline_kernelINS0_14default_configENS1_38merge_sort_block_merge_config_selectorIiiEEZZNS1_27merge_sort_block_merge_implIS3_N6thrust23THRUST_200600_302600_NS6detail15normal_iteratorINS8_10device_ptrIiEEEESD_jNS1_19radix_merge_compareILb1ELb0EiNS0_19identity_decomposerEEEEE10hipError_tT0_T1_T2_jT3_P12ihipStream_tbPNSt15iterator_traitsISI_E10value_typeEPNSO_ISJ_E10value_typeEPSK_NS1_7vsmem_tEENKUlT_SI_SJ_SK_E_clIPiSD_S10_SD_EESH_SX_SI_SJ_SK_EUlSX_E_NS1_11comp_targetILNS1_3genE9ELNS1_11target_archE1100ELNS1_3gpuE3ELNS1_3repE0EEENS1_48merge_mergepath_partition_config_static_selectorELNS0_4arch9wavefront6targetE1EEEvSJ_.kd
    .uniform_work_group_size: 1
    .uses_dynamic_stack: false
    .vgpr_count:     0
    .vgpr_spill_count: 0
    .wavefront_size: 64
  - .agpr_count:     0
    .args:
      - .offset:         0
        .size:           40
        .value_kind:     by_value
    .group_segment_fixed_size: 0
    .kernarg_segment_align: 8
    .kernarg_segment_size: 40
    .language:       OpenCL C
    .language_version:
      - 2
      - 0
    .max_flat_workgroup_size: 128
    .name:           _ZN7rocprim17ROCPRIM_400000_NS6detail17trampoline_kernelINS0_14default_configENS1_38merge_sort_block_merge_config_selectorIiiEEZZNS1_27merge_sort_block_merge_implIS3_N6thrust23THRUST_200600_302600_NS6detail15normal_iteratorINS8_10device_ptrIiEEEESD_jNS1_19radix_merge_compareILb1ELb0EiNS0_19identity_decomposerEEEEE10hipError_tT0_T1_T2_jT3_P12ihipStream_tbPNSt15iterator_traitsISI_E10value_typeEPNSO_ISJ_E10value_typeEPSK_NS1_7vsmem_tEENKUlT_SI_SJ_SK_E_clIPiSD_S10_SD_EESH_SX_SI_SJ_SK_EUlSX_E_NS1_11comp_targetILNS1_3genE8ELNS1_11target_archE1030ELNS1_3gpuE2ELNS1_3repE0EEENS1_48merge_mergepath_partition_config_static_selectorELNS0_4arch9wavefront6targetE1EEEvSJ_
    .private_segment_fixed_size: 0
    .sgpr_count:     6
    .sgpr_spill_count: 0
    .symbol:         _ZN7rocprim17ROCPRIM_400000_NS6detail17trampoline_kernelINS0_14default_configENS1_38merge_sort_block_merge_config_selectorIiiEEZZNS1_27merge_sort_block_merge_implIS3_N6thrust23THRUST_200600_302600_NS6detail15normal_iteratorINS8_10device_ptrIiEEEESD_jNS1_19radix_merge_compareILb1ELb0EiNS0_19identity_decomposerEEEEE10hipError_tT0_T1_T2_jT3_P12ihipStream_tbPNSt15iterator_traitsISI_E10value_typeEPNSO_ISJ_E10value_typeEPSK_NS1_7vsmem_tEENKUlT_SI_SJ_SK_E_clIPiSD_S10_SD_EESH_SX_SI_SJ_SK_EUlSX_E_NS1_11comp_targetILNS1_3genE8ELNS1_11target_archE1030ELNS1_3gpuE2ELNS1_3repE0EEENS1_48merge_mergepath_partition_config_static_selectorELNS0_4arch9wavefront6targetE1EEEvSJ_.kd
    .uniform_work_group_size: 1
    .uses_dynamic_stack: false
    .vgpr_count:     0
    .vgpr_spill_count: 0
    .wavefront_size: 64
  - .agpr_count:     0
    .args:
      - .offset:         0
        .size:           64
        .value_kind:     by_value
      - .offset:         64
        .size:           4
        .value_kind:     hidden_block_count_x
      - .offset:         68
        .size:           4
        .value_kind:     hidden_block_count_y
      - .offset:         72
        .size:           4
        .value_kind:     hidden_block_count_z
      - .offset:         76
        .size:           2
        .value_kind:     hidden_group_size_x
      - .offset:         78
        .size:           2
        .value_kind:     hidden_group_size_y
      - .offset:         80
        .size:           2
        .value_kind:     hidden_group_size_z
      - .offset:         82
        .size:           2
        .value_kind:     hidden_remainder_x
      - .offset:         84
        .size:           2
        .value_kind:     hidden_remainder_y
      - .offset:         86
        .size:           2
        .value_kind:     hidden_remainder_z
      - .offset:         104
        .size:           8
        .value_kind:     hidden_global_offset_x
      - .offset:         112
        .size:           8
        .value_kind:     hidden_global_offset_y
      - .offset:         120
        .size:           8
        .value_kind:     hidden_global_offset_z
      - .offset:         128
        .size:           2
        .value_kind:     hidden_grid_dims
    .group_segment_fixed_size: 4224
    .kernarg_segment_align: 8
    .kernarg_segment_size: 320
    .language:       OpenCL C
    .language_version:
      - 2
      - 0
    .max_flat_workgroup_size: 256
    .name:           _ZN7rocprim17ROCPRIM_400000_NS6detail17trampoline_kernelINS0_14default_configENS1_38merge_sort_block_merge_config_selectorIiiEEZZNS1_27merge_sort_block_merge_implIS3_N6thrust23THRUST_200600_302600_NS6detail15normal_iteratorINS8_10device_ptrIiEEEESD_jNS1_19radix_merge_compareILb1ELb0EiNS0_19identity_decomposerEEEEE10hipError_tT0_T1_T2_jT3_P12ihipStream_tbPNSt15iterator_traitsISI_E10value_typeEPNSO_ISJ_E10value_typeEPSK_NS1_7vsmem_tEENKUlT_SI_SJ_SK_E_clIPiSD_S10_SD_EESH_SX_SI_SJ_SK_EUlSX_E0_NS1_11comp_targetILNS1_3genE0ELNS1_11target_archE4294967295ELNS1_3gpuE0ELNS1_3repE0EEENS1_38merge_mergepath_config_static_selectorELNS0_4arch9wavefront6targetE1EEEvSJ_
    .private_segment_fixed_size: 0
    .sgpr_count:     36
    .sgpr_spill_count: 0
    .symbol:         _ZN7rocprim17ROCPRIM_400000_NS6detail17trampoline_kernelINS0_14default_configENS1_38merge_sort_block_merge_config_selectorIiiEEZZNS1_27merge_sort_block_merge_implIS3_N6thrust23THRUST_200600_302600_NS6detail15normal_iteratorINS8_10device_ptrIiEEEESD_jNS1_19radix_merge_compareILb1ELb0EiNS0_19identity_decomposerEEEEE10hipError_tT0_T1_T2_jT3_P12ihipStream_tbPNSt15iterator_traitsISI_E10value_typeEPNSO_ISJ_E10value_typeEPSK_NS1_7vsmem_tEENKUlT_SI_SJ_SK_E_clIPiSD_S10_SD_EESH_SX_SI_SJ_SK_EUlSX_E0_NS1_11comp_targetILNS1_3genE0ELNS1_11target_archE4294967295ELNS1_3gpuE0ELNS1_3repE0EEENS1_38merge_mergepath_config_static_selectorELNS0_4arch9wavefront6targetE1EEEvSJ_.kd
    .uniform_work_group_size: 1
    .uses_dynamic_stack: false
    .vgpr_count:     20
    .vgpr_spill_count: 0
    .wavefront_size: 64
  - .agpr_count:     0
    .args:
      - .offset:         0
        .size:           64
        .value_kind:     by_value
    .group_segment_fixed_size: 0
    .kernarg_segment_align: 8
    .kernarg_segment_size: 64
    .language:       OpenCL C
    .language_version:
      - 2
      - 0
    .max_flat_workgroup_size: 256
    .name:           _ZN7rocprim17ROCPRIM_400000_NS6detail17trampoline_kernelINS0_14default_configENS1_38merge_sort_block_merge_config_selectorIiiEEZZNS1_27merge_sort_block_merge_implIS3_N6thrust23THRUST_200600_302600_NS6detail15normal_iteratorINS8_10device_ptrIiEEEESD_jNS1_19radix_merge_compareILb1ELb0EiNS0_19identity_decomposerEEEEE10hipError_tT0_T1_T2_jT3_P12ihipStream_tbPNSt15iterator_traitsISI_E10value_typeEPNSO_ISJ_E10value_typeEPSK_NS1_7vsmem_tEENKUlT_SI_SJ_SK_E_clIPiSD_S10_SD_EESH_SX_SI_SJ_SK_EUlSX_E0_NS1_11comp_targetILNS1_3genE10ELNS1_11target_archE1201ELNS1_3gpuE5ELNS1_3repE0EEENS1_38merge_mergepath_config_static_selectorELNS0_4arch9wavefront6targetE1EEEvSJ_
    .private_segment_fixed_size: 0
    .sgpr_count:     6
    .sgpr_spill_count: 0
    .symbol:         _ZN7rocprim17ROCPRIM_400000_NS6detail17trampoline_kernelINS0_14default_configENS1_38merge_sort_block_merge_config_selectorIiiEEZZNS1_27merge_sort_block_merge_implIS3_N6thrust23THRUST_200600_302600_NS6detail15normal_iteratorINS8_10device_ptrIiEEEESD_jNS1_19radix_merge_compareILb1ELb0EiNS0_19identity_decomposerEEEEE10hipError_tT0_T1_T2_jT3_P12ihipStream_tbPNSt15iterator_traitsISI_E10value_typeEPNSO_ISJ_E10value_typeEPSK_NS1_7vsmem_tEENKUlT_SI_SJ_SK_E_clIPiSD_S10_SD_EESH_SX_SI_SJ_SK_EUlSX_E0_NS1_11comp_targetILNS1_3genE10ELNS1_11target_archE1201ELNS1_3gpuE5ELNS1_3repE0EEENS1_38merge_mergepath_config_static_selectorELNS0_4arch9wavefront6targetE1EEEvSJ_.kd
    .uniform_work_group_size: 1
    .uses_dynamic_stack: false
    .vgpr_count:     0
    .vgpr_spill_count: 0
    .wavefront_size: 64
  - .agpr_count:     0
    .args:
      - .offset:         0
        .size:           64
        .value_kind:     by_value
    .group_segment_fixed_size: 0
    .kernarg_segment_align: 8
    .kernarg_segment_size: 64
    .language:       OpenCL C
    .language_version:
      - 2
      - 0
    .max_flat_workgroup_size: 128
    .name:           _ZN7rocprim17ROCPRIM_400000_NS6detail17trampoline_kernelINS0_14default_configENS1_38merge_sort_block_merge_config_selectorIiiEEZZNS1_27merge_sort_block_merge_implIS3_N6thrust23THRUST_200600_302600_NS6detail15normal_iteratorINS8_10device_ptrIiEEEESD_jNS1_19radix_merge_compareILb1ELb0EiNS0_19identity_decomposerEEEEE10hipError_tT0_T1_T2_jT3_P12ihipStream_tbPNSt15iterator_traitsISI_E10value_typeEPNSO_ISJ_E10value_typeEPSK_NS1_7vsmem_tEENKUlT_SI_SJ_SK_E_clIPiSD_S10_SD_EESH_SX_SI_SJ_SK_EUlSX_E0_NS1_11comp_targetILNS1_3genE5ELNS1_11target_archE942ELNS1_3gpuE9ELNS1_3repE0EEENS1_38merge_mergepath_config_static_selectorELNS0_4arch9wavefront6targetE1EEEvSJ_
    .private_segment_fixed_size: 0
    .sgpr_count:     6
    .sgpr_spill_count: 0
    .symbol:         _ZN7rocprim17ROCPRIM_400000_NS6detail17trampoline_kernelINS0_14default_configENS1_38merge_sort_block_merge_config_selectorIiiEEZZNS1_27merge_sort_block_merge_implIS3_N6thrust23THRUST_200600_302600_NS6detail15normal_iteratorINS8_10device_ptrIiEEEESD_jNS1_19radix_merge_compareILb1ELb0EiNS0_19identity_decomposerEEEEE10hipError_tT0_T1_T2_jT3_P12ihipStream_tbPNSt15iterator_traitsISI_E10value_typeEPNSO_ISJ_E10value_typeEPSK_NS1_7vsmem_tEENKUlT_SI_SJ_SK_E_clIPiSD_S10_SD_EESH_SX_SI_SJ_SK_EUlSX_E0_NS1_11comp_targetILNS1_3genE5ELNS1_11target_archE942ELNS1_3gpuE9ELNS1_3repE0EEENS1_38merge_mergepath_config_static_selectorELNS0_4arch9wavefront6targetE1EEEvSJ_.kd
    .uniform_work_group_size: 1
    .uses_dynamic_stack: false
    .vgpr_count:     0
    .vgpr_spill_count: 0
    .wavefront_size: 64
  - .agpr_count:     0
    .args:
      - .offset:         0
        .size:           64
        .value_kind:     by_value
    .group_segment_fixed_size: 0
    .kernarg_segment_align: 8
    .kernarg_segment_size: 64
    .language:       OpenCL C
    .language_version:
      - 2
      - 0
    .max_flat_workgroup_size: 256
    .name:           _ZN7rocprim17ROCPRIM_400000_NS6detail17trampoline_kernelINS0_14default_configENS1_38merge_sort_block_merge_config_selectorIiiEEZZNS1_27merge_sort_block_merge_implIS3_N6thrust23THRUST_200600_302600_NS6detail15normal_iteratorINS8_10device_ptrIiEEEESD_jNS1_19radix_merge_compareILb1ELb0EiNS0_19identity_decomposerEEEEE10hipError_tT0_T1_T2_jT3_P12ihipStream_tbPNSt15iterator_traitsISI_E10value_typeEPNSO_ISJ_E10value_typeEPSK_NS1_7vsmem_tEENKUlT_SI_SJ_SK_E_clIPiSD_S10_SD_EESH_SX_SI_SJ_SK_EUlSX_E0_NS1_11comp_targetILNS1_3genE4ELNS1_11target_archE910ELNS1_3gpuE8ELNS1_3repE0EEENS1_38merge_mergepath_config_static_selectorELNS0_4arch9wavefront6targetE1EEEvSJ_
    .private_segment_fixed_size: 0
    .sgpr_count:     6
    .sgpr_spill_count: 0
    .symbol:         _ZN7rocprim17ROCPRIM_400000_NS6detail17trampoline_kernelINS0_14default_configENS1_38merge_sort_block_merge_config_selectorIiiEEZZNS1_27merge_sort_block_merge_implIS3_N6thrust23THRUST_200600_302600_NS6detail15normal_iteratorINS8_10device_ptrIiEEEESD_jNS1_19radix_merge_compareILb1ELb0EiNS0_19identity_decomposerEEEEE10hipError_tT0_T1_T2_jT3_P12ihipStream_tbPNSt15iterator_traitsISI_E10value_typeEPNSO_ISJ_E10value_typeEPSK_NS1_7vsmem_tEENKUlT_SI_SJ_SK_E_clIPiSD_S10_SD_EESH_SX_SI_SJ_SK_EUlSX_E0_NS1_11comp_targetILNS1_3genE4ELNS1_11target_archE910ELNS1_3gpuE8ELNS1_3repE0EEENS1_38merge_mergepath_config_static_selectorELNS0_4arch9wavefront6targetE1EEEvSJ_.kd
    .uniform_work_group_size: 1
    .uses_dynamic_stack: false
    .vgpr_count:     0
    .vgpr_spill_count: 0
    .wavefront_size: 64
  - .agpr_count:     0
    .args:
      - .offset:         0
        .size:           64
        .value_kind:     by_value
    .group_segment_fixed_size: 0
    .kernarg_segment_align: 8
    .kernarg_segment_size: 64
    .language:       OpenCL C
    .language_version:
      - 2
      - 0
    .max_flat_workgroup_size: 256
    .name:           _ZN7rocprim17ROCPRIM_400000_NS6detail17trampoline_kernelINS0_14default_configENS1_38merge_sort_block_merge_config_selectorIiiEEZZNS1_27merge_sort_block_merge_implIS3_N6thrust23THRUST_200600_302600_NS6detail15normal_iteratorINS8_10device_ptrIiEEEESD_jNS1_19radix_merge_compareILb1ELb0EiNS0_19identity_decomposerEEEEE10hipError_tT0_T1_T2_jT3_P12ihipStream_tbPNSt15iterator_traitsISI_E10value_typeEPNSO_ISJ_E10value_typeEPSK_NS1_7vsmem_tEENKUlT_SI_SJ_SK_E_clIPiSD_S10_SD_EESH_SX_SI_SJ_SK_EUlSX_E0_NS1_11comp_targetILNS1_3genE3ELNS1_11target_archE908ELNS1_3gpuE7ELNS1_3repE0EEENS1_38merge_mergepath_config_static_selectorELNS0_4arch9wavefront6targetE1EEEvSJ_
    .private_segment_fixed_size: 0
    .sgpr_count:     6
    .sgpr_spill_count: 0
    .symbol:         _ZN7rocprim17ROCPRIM_400000_NS6detail17trampoline_kernelINS0_14default_configENS1_38merge_sort_block_merge_config_selectorIiiEEZZNS1_27merge_sort_block_merge_implIS3_N6thrust23THRUST_200600_302600_NS6detail15normal_iteratorINS8_10device_ptrIiEEEESD_jNS1_19radix_merge_compareILb1ELb0EiNS0_19identity_decomposerEEEEE10hipError_tT0_T1_T2_jT3_P12ihipStream_tbPNSt15iterator_traitsISI_E10value_typeEPNSO_ISJ_E10value_typeEPSK_NS1_7vsmem_tEENKUlT_SI_SJ_SK_E_clIPiSD_S10_SD_EESH_SX_SI_SJ_SK_EUlSX_E0_NS1_11comp_targetILNS1_3genE3ELNS1_11target_archE908ELNS1_3gpuE7ELNS1_3repE0EEENS1_38merge_mergepath_config_static_selectorELNS0_4arch9wavefront6targetE1EEEvSJ_.kd
    .uniform_work_group_size: 1
    .uses_dynamic_stack: false
    .vgpr_count:     0
    .vgpr_spill_count: 0
    .wavefront_size: 64
  - .agpr_count:     0
    .args:
      - .offset:         0
        .size:           64
        .value_kind:     by_value
    .group_segment_fixed_size: 0
    .kernarg_segment_align: 8
    .kernarg_segment_size: 64
    .language:       OpenCL C
    .language_version:
      - 2
      - 0
    .max_flat_workgroup_size: 256
    .name:           _ZN7rocprim17ROCPRIM_400000_NS6detail17trampoline_kernelINS0_14default_configENS1_38merge_sort_block_merge_config_selectorIiiEEZZNS1_27merge_sort_block_merge_implIS3_N6thrust23THRUST_200600_302600_NS6detail15normal_iteratorINS8_10device_ptrIiEEEESD_jNS1_19radix_merge_compareILb1ELb0EiNS0_19identity_decomposerEEEEE10hipError_tT0_T1_T2_jT3_P12ihipStream_tbPNSt15iterator_traitsISI_E10value_typeEPNSO_ISJ_E10value_typeEPSK_NS1_7vsmem_tEENKUlT_SI_SJ_SK_E_clIPiSD_S10_SD_EESH_SX_SI_SJ_SK_EUlSX_E0_NS1_11comp_targetILNS1_3genE2ELNS1_11target_archE906ELNS1_3gpuE6ELNS1_3repE0EEENS1_38merge_mergepath_config_static_selectorELNS0_4arch9wavefront6targetE1EEEvSJ_
    .private_segment_fixed_size: 0
    .sgpr_count:     6
    .sgpr_spill_count: 0
    .symbol:         _ZN7rocprim17ROCPRIM_400000_NS6detail17trampoline_kernelINS0_14default_configENS1_38merge_sort_block_merge_config_selectorIiiEEZZNS1_27merge_sort_block_merge_implIS3_N6thrust23THRUST_200600_302600_NS6detail15normal_iteratorINS8_10device_ptrIiEEEESD_jNS1_19radix_merge_compareILb1ELb0EiNS0_19identity_decomposerEEEEE10hipError_tT0_T1_T2_jT3_P12ihipStream_tbPNSt15iterator_traitsISI_E10value_typeEPNSO_ISJ_E10value_typeEPSK_NS1_7vsmem_tEENKUlT_SI_SJ_SK_E_clIPiSD_S10_SD_EESH_SX_SI_SJ_SK_EUlSX_E0_NS1_11comp_targetILNS1_3genE2ELNS1_11target_archE906ELNS1_3gpuE6ELNS1_3repE0EEENS1_38merge_mergepath_config_static_selectorELNS0_4arch9wavefront6targetE1EEEvSJ_.kd
    .uniform_work_group_size: 1
    .uses_dynamic_stack: false
    .vgpr_count:     0
    .vgpr_spill_count: 0
    .wavefront_size: 64
  - .agpr_count:     0
    .args:
      - .offset:         0
        .size:           64
        .value_kind:     by_value
    .group_segment_fixed_size: 0
    .kernarg_segment_align: 8
    .kernarg_segment_size: 64
    .language:       OpenCL C
    .language_version:
      - 2
      - 0
    .max_flat_workgroup_size: 512
    .name:           _ZN7rocprim17ROCPRIM_400000_NS6detail17trampoline_kernelINS0_14default_configENS1_38merge_sort_block_merge_config_selectorIiiEEZZNS1_27merge_sort_block_merge_implIS3_N6thrust23THRUST_200600_302600_NS6detail15normal_iteratorINS8_10device_ptrIiEEEESD_jNS1_19radix_merge_compareILb1ELb0EiNS0_19identity_decomposerEEEEE10hipError_tT0_T1_T2_jT3_P12ihipStream_tbPNSt15iterator_traitsISI_E10value_typeEPNSO_ISJ_E10value_typeEPSK_NS1_7vsmem_tEENKUlT_SI_SJ_SK_E_clIPiSD_S10_SD_EESH_SX_SI_SJ_SK_EUlSX_E0_NS1_11comp_targetILNS1_3genE9ELNS1_11target_archE1100ELNS1_3gpuE3ELNS1_3repE0EEENS1_38merge_mergepath_config_static_selectorELNS0_4arch9wavefront6targetE1EEEvSJ_
    .private_segment_fixed_size: 0
    .sgpr_count:     6
    .sgpr_spill_count: 0
    .symbol:         _ZN7rocprim17ROCPRIM_400000_NS6detail17trampoline_kernelINS0_14default_configENS1_38merge_sort_block_merge_config_selectorIiiEEZZNS1_27merge_sort_block_merge_implIS3_N6thrust23THRUST_200600_302600_NS6detail15normal_iteratorINS8_10device_ptrIiEEEESD_jNS1_19radix_merge_compareILb1ELb0EiNS0_19identity_decomposerEEEEE10hipError_tT0_T1_T2_jT3_P12ihipStream_tbPNSt15iterator_traitsISI_E10value_typeEPNSO_ISJ_E10value_typeEPSK_NS1_7vsmem_tEENKUlT_SI_SJ_SK_E_clIPiSD_S10_SD_EESH_SX_SI_SJ_SK_EUlSX_E0_NS1_11comp_targetILNS1_3genE9ELNS1_11target_archE1100ELNS1_3gpuE3ELNS1_3repE0EEENS1_38merge_mergepath_config_static_selectorELNS0_4arch9wavefront6targetE1EEEvSJ_.kd
    .uniform_work_group_size: 1
    .uses_dynamic_stack: false
    .vgpr_count:     0
    .vgpr_spill_count: 0
    .wavefront_size: 64
  - .agpr_count:     0
    .args:
      - .offset:         0
        .size:           64
        .value_kind:     by_value
    .group_segment_fixed_size: 0
    .kernarg_segment_align: 8
    .kernarg_segment_size: 64
    .language:       OpenCL C
    .language_version:
      - 2
      - 0
    .max_flat_workgroup_size: 1024
    .name:           _ZN7rocprim17ROCPRIM_400000_NS6detail17trampoline_kernelINS0_14default_configENS1_38merge_sort_block_merge_config_selectorIiiEEZZNS1_27merge_sort_block_merge_implIS3_N6thrust23THRUST_200600_302600_NS6detail15normal_iteratorINS8_10device_ptrIiEEEESD_jNS1_19radix_merge_compareILb1ELb0EiNS0_19identity_decomposerEEEEE10hipError_tT0_T1_T2_jT3_P12ihipStream_tbPNSt15iterator_traitsISI_E10value_typeEPNSO_ISJ_E10value_typeEPSK_NS1_7vsmem_tEENKUlT_SI_SJ_SK_E_clIPiSD_S10_SD_EESH_SX_SI_SJ_SK_EUlSX_E0_NS1_11comp_targetILNS1_3genE8ELNS1_11target_archE1030ELNS1_3gpuE2ELNS1_3repE0EEENS1_38merge_mergepath_config_static_selectorELNS0_4arch9wavefront6targetE1EEEvSJ_
    .private_segment_fixed_size: 0
    .sgpr_count:     6
    .sgpr_spill_count: 0
    .symbol:         _ZN7rocprim17ROCPRIM_400000_NS6detail17trampoline_kernelINS0_14default_configENS1_38merge_sort_block_merge_config_selectorIiiEEZZNS1_27merge_sort_block_merge_implIS3_N6thrust23THRUST_200600_302600_NS6detail15normal_iteratorINS8_10device_ptrIiEEEESD_jNS1_19radix_merge_compareILb1ELb0EiNS0_19identity_decomposerEEEEE10hipError_tT0_T1_T2_jT3_P12ihipStream_tbPNSt15iterator_traitsISI_E10value_typeEPNSO_ISJ_E10value_typeEPSK_NS1_7vsmem_tEENKUlT_SI_SJ_SK_E_clIPiSD_S10_SD_EESH_SX_SI_SJ_SK_EUlSX_E0_NS1_11comp_targetILNS1_3genE8ELNS1_11target_archE1030ELNS1_3gpuE2ELNS1_3repE0EEENS1_38merge_mergepath_config_static_selectorELNS0_4arch9wavefront6targetE1EEEvSJ_.kd
    .uniform_work_group_size: 1
    .uses_dynamic_stack: false
    .vgpr_count:     0
    .vgpr_spill_count: 0
    .wavefront_size: 64
  - .agpr_count:     0
    .args:
      - .offset:         0
        .size:           48
        .value_kind:     by_value
    .group_segment_fixed_size: 0
    .kernarg_segment_align: 8
    .kernarg_segment_size: 48
    .language:       OpenCL C
    .language_version:
      - 2
      - 0
    .max_flat_workgroup_size: 256
    .name:           _ZN7rocprim17ROCPRIM_400000_NS6detail17trampoline_kernelINS0_14default_configENS1_38merge_sort_block_merge_config_selectorIiiEEZZNS1_27merge_sort_block_merge_implIS3_N6thrust23THRUST_200600_302600_NS6detail15normal_iteratorINS8_10device_ptrIiEEEESD_jNS1_19radix_merge_compareILb1ELb0EiNS0_19identity_decomposerEEEEE10hipError_tT0_T1_T2_jT3_P12ihipStream_tbPNSt15iterator_traitsISI_E10value_typeEPNSO_ISJ_E10value_typeEPSK_NS1_7vsmem_tEENKUlT_SI_SJ_SK_E_clIPiSD_S10_SD_EESH_SX_SI_SJ_SK_EUlSX_E1_NS1_11comp_targetILNS1_3genE0ELNS1_11target_archE4294967295ELNS1_3gpuE0ELNS1_3repE0EEENS1_36merge_oddeven_config_static_selectorELNS0_4arch9wavefront6targetE1EEEvSJ_
    .private_segment_fixed_size: 0
    .sgpr_count:     30
    .sgpr_spill_count: 0
    .symbol:         _ZN7rocprim17ROCPRIM_400000_NS6detail17trampoline_kernelINS0_14default_configENS1_38merge_sort_block_merge_config_selectorIiiEEZZNS1_27merge_sort_block_merge_implIS3_N6thrust23THRUST_200600_302600_NS6detail15normal_iteratorINS8_10device_ptrIiEEEESD_jNS1_19radix_merge_compareILb1ELb0EiNS0_19identity_decomposerEEEEE10hipError_tT0_T1_T2_jT3_P12ihipStream_tbPNSt15iterator_traitsISI_E10value_typeEPNSO_ISJ_E10value_typeEPSK_NS1_7vsmem_tEENKUlT_SI_SJ_SK_E_clIPiSD_S10_SD_EESH_SX_SI_SJ_SK_EUlSX_E1_NS1_11comp_targetILNS1_3genE0ELNS1_11target_archE4294967295ELNS1_3gpuE0ELNS1_3repE0EEENS1_36merge_oddeven_config_static_selectorELNS0_4arch9wavefront6targetE1EEEvSJ_.kd
    .uniform_work_group_size: 1
    .uses_dynamic_stack: false
    .vgpr_count:     10
    .vgpr_spill_count: 0
    .wavefront_size: 64
  - .agpr_count:     0
    .args:
      - .offset:         0
        .size:           48
        .value_kind:     by_value
    .group_segment_fixed_size: 0
    .kernarg_segment_align: 8
    .kernarg_segment_size: 48
    .language:       OpenCL C
    .language_version:
      - 2
      - 0
    .max_flat_workgroup_size: 256
    .name:           _ZN7rocprim17ROCPRIM_400000_NS6detail17trampoline_kernelINS0_14default_configENS1_38merge_sort_block_merge_config_selectorIiiEEZZNS1_27merge_sort_block_merge_implIS3_N6thrust23THRUST_200600_302600_NS6detail15normal_iteratorINS8_10device_ptrIiEEEESD_jNS1_19radix_merge_compareILb1ELb0EiNS0_19identity_decomposerEEEEE10hipError_tT0_T1_T2_jT3_P12ihipStream_tbPNSt15iterator_traitsISI_E10value_typeEPNSO_ISJ_E10value_typeEPSK_NS1_7vsmem_tEENKUlT_SI_SJ_SK_E_clIPiSD_S10_SD_EESH_SX_SI_SJ_SK_EUlSX_E1_NS1_11comp_targetILNS1_3genE10ELNS1_11target_archE1201ELNS1_3gpuE5ELNS1_3repE0EEENS1_36merge_oddeven_config_static_selectorELNS0_4arch9wavefront6targetE1EEEvSJ_
    .private_segment_fixed_size: 0
    .sgpr_count:     6
    .sgpr_spill_count: 0
    .symbol:         _ZN7rocprim17ROCPRIM_400000_NS6detail17trampoline_kernelINS0_14default_configENS1_38merge_sort_block_merge_config_selectorIiiEEZZNS1_27merge_sort_block_merge_implIS3_N6thrust23THRUST_200600_302600_NS6detail15normal_iteratorINS8_10device_ptrIiEEEESD_jNS1_19radix_merge_compareILb1ELb0EiNS0_19identity_decomposerEEEEE10hipError_tT0_T1_T2_jT3_P12ihipStream_tbPNSt15iterator_traitsISI_E10value_typeEPNSO_ISJ_E10value_typeEPSK_NS1_7vsmem_tEENKUlT_SI_SJ_SK_E_clIPiSD_S10_SD_EESH_SX_SI_SJ_SK_EUlSX_E1_NS1_11comp_targetILNS1_3genE10ELNS1_11target_archE1201ELNS1_3gpuE5ELNS1_3repE0EEENS1_36merge_oddeven_config_static_selectorELNS0_4arch9wavefront6targetE1EEEvSJ_.kd
    .uniform_work_group_size: 1
    .uses_dynamic_stack: false
    .vgpr_count:     0
    .vgpr_spill_count: 0
    .wavefront_size: 64
  - .agpr_count:     0
    .args:
      - .offset:         0
        .size:           48
        .value_kind:     by_value
    .group_segment_fixed_size: 0
    .kernarg_segment_align: 8
    .kernarg_segment_size: 48
    .language:       OpenCL C
    .language_version:
      - 2
      - 0
    .max_flat_workgroup_size: 256
    .name:           _ZN7rocprim17ROCPRIM_400000_NS6detail17trampoline_kernelINS0_14default_configENS1_38merge_sort_block_merge_config_selectorIiiEEZZNS1_27merge_sort_block_merge_implIS3_N6thrust23THRUST_200600_302600_NS6detail15normal_iteratorINS8_10device_ptrIiEEEESD_jNS1_19radix_merge_compareILb1ELb0EiNS0_19identity_decomposerEEEEE10hipError_tT0_T1_T2_jT3_P12ihipStream_tbPNSt15iterator_traitsISI_E10value_typeEPNSO_ISJ_E10value_typeEPSK_NS1_7vsmem_tEENKUlT_SI_SJ_SK_E_clIPiSD_S10_SD_EESH_SX_SI_SJ_SK_EUlSX_E1_NS1_11comp_targetILNS1_3genE5ELNS1_11target_archE942ELNS1_3gpuE9ELNS1_3repE0EEENS1_36merge_oddeven_config_static_selectorELNS0_4arch9wavefront6targetE1EEEvSJ_
    .private_segment_fixed_size: 0
    .sgpr_count:     6
    .sgpr_spill_count: 0
    .symbol:         _ZN7rocprim17ROCPRIM_400000_NS6detail17trampoline_kernelINS0_14default_configENS1_38merge_sort_block_merge_config_selectorIiiEEZZNS1_27merge_sort_block_merge_implIS3_N6thrust23THRUST_200600_302600_NS6detail15normal_iteratorINS8_10device_ptrIiEEEESD_jNS1_19radix_merge_compareILb1ELb0EiNS0_19identity_decomposerEEEEE10hipError_tT0_T1_T2_jT3_P12ihipStream_tbPNSt15iterator_traitsISI_E10value_typeEPNSO_ISJ_E10value_typeEPSK_NS1_7vsmem_tEENKUlT_SI_SJ_SK_E_clIPiSD_S10_SD_EESH_SX_SI_SJ_SK_EUlSX_E1_NS1_11comp_targetILNS1_3genE5ELNS1_11target_archE942ELNS1_3gpuE9ELNS1_3repE0EEENS1_36merge_oddeven_config_static_selectorELNS0_4arch9wavefront6targetE1EEEvSJ_.kd
    .uniform_work_group_size: 1
    .uses_dynamic_stack: false
    .vgpr_count:     0
    .vgpr_spill_count: 0
    .wavefront_size: 64
  - .agpr_count:     0
    .args:
      - .offset:         0
        .size:           48
        .value_kind:     by_value
    .group_segment_fixed_size: 0
    .kernarg_segment_align: 8
    .kernarg_segment_size: 48
    .language:       OpenCL C
    .language_version:
      - 2
      - 0
    .max_flat_workgroup_size: 256
    .name:           _ZN7rocprim17ROCPRIM_400000_NS6detail17trampoline_kernelINS0_14default_configENS1_38merge_sort_block_merge_config_selectorIiiEEZZNS1_27merge_sort_block_merge_implIS3_N6thrust23THRUST_200600_302600_NS6detail15normal_iteratorINS8_10device_ptrIiEEEESD_jNS1_19radix_merge_compareILb1ELb0EiNS0_19identity_decomposerEEEEE10hipError_tT0_T1_T2_jT3_P12ihipStream_tbPNSt15iterator_traitsISI_E10value_typeEPNSO_ISJ_E10value_typeEPSK_NS1_7vsmem_tEENKUlT_SI_SJ_SK_E_clIPiSD_S10_SD_EESH_SX_SI_SJ_SK_EUlSX_E1_NS1_11comp_targetILNS1_3genE4ELNS1_11target_archE910ELNS1_3gpuE8ELNS1_3repE0EEENS1_36merge_oddeven_config_static_selectorELNS0_4arch9wavefront6targetE1EEEvSJ_
    .private_segment_fixed_size: 0
    .sgpr_count:     6
    .sgpr_spill_count: 0
    .symbol:         _ZN7rocprim17ROCPRIM_400000_NS6detail17trampoline_kernelINS0_14default_configENS1_38merge_sort_block_merge_config_selectorIiiEEZZNS1_27merge_sort_block_merge_implIS3_N6thrust23THRUST_200600_302600_NS6detail15normal_iteratorINS8_10device_ptrIiEEEESD_jNS1_19radix_merge_compareILb1ELb0EiNS0_19identity_decomposerEEEEE10hipError_tT0_T1_T2_jT3_P12ihipStream_tbPNSt15iterator_traitsISI_E10value_typeEPNSO_ISJ_E10value_typeEPSK_NS1_7vsmem_tEENKUlT_SI_SJ_SK_E_clIPiSD_S10_SD_EESH_SX_SI_SJ_SK_EUlSX_E1_NS1_11comp_targetILNS1_3genE4ELNS1_11target_archE910ELNS1_3gpuE8ELNS1_3repE0EEENS1_36merge_oddeven_config_static_selectorELNS0_4arch9wavefront6targetE1EEEvSJ_.kd
    .uniform_work_group_size: 1
    .uses_dynamic_stack: false
    .vgpr_count:     0
    .vgpr_spill_count: 0
    .wavefront_size: 64
  - .agpr_count:     0
    .args:
      - .offset:         0
        .size:           48
        .value_kind:     by_value
    .group_segment_fixed_size: 0
    .kernarg_segment_align: 8
    .kernarg_segment_size: 48
    .language:       OpenCL C
    .language_version:
      - 2
      - 0
    .max_flat_workgroup_size: 256
    .name:           _ZN7rocprim17ROCPRIM_400000_NS6detail17trampoline_kernelINS0_14default_configENS1_38merge_sort_block_merge_config_selectorIiiEEZZNS1_27merge_sort_block_merge_implIS3_N6thrust23THRUST_200600_302600_NS6detail15normal_iteratorINS8_10device_ptrIiEEEESD_jNS1_19radix_merge_compareILb1ELb0EiNS0_19identity_decomposerEEEEE10hipError_tT0_T1_T2_jT3_P12ihipStream_tbPNSt15iterator_traitsISI_E10value_typeEPNSO_ISJ_E10value_typeEPSK_NS1_7vsmem_tEENKUlT_SI_SJ_SK_E_clIPiSD_S10_SD_EESH_SX_SI_SJ_SK_EUlSX_E1_NS1_11comp_targetILNS1_3genE3ELNS1_11target_archE908ELNS1_3gpuE7ELNS1_3repE0EEENS1_36merge_oddeven_config_static_selectorELNS0_4arch9wavefront6targetE1EEEvSJ_
    .private_segment_fixed_size: 0
    .sgpr_count:     6
    .sgpr_spill_count: 0
    .symbol:         _ZN7rocprim17ROCPRIM_400000_NS6detail17trampoline_kernelINS0_14default_configENS1_38merge_sort_block_merge_config_selectorIiiEEZZNS1_27merge_sort_block_merge_implIS3_N6thrust23THRUST_200600_302600_NS6detail15normal_iteratorINS8_10device_ptrIiEEEESD_jNS1_19radix_merge_compareILb1ELb0EiNS0_19identity_decomposerEEEEE10hipError_tT0_T1_T2_jT3_P12ihipStream_tbPNSt15iterator_traitsISI_E10value_typeEPNSO_ISJ_E10value_typeEPSK_NS1_7vsmem_tEENKUlT_SI_SJ_SK_E_clIPiSD_S10_SD_EESH_SX_SI_SJ_SK_EUlSX_E1_NS1_11comp_targetILNS1_3genE3ELNS1_11target_archE908ELNS1_3gpuE7ELNS1_3repE0EEENS1_36merge_oddeven_config_static_selectorELNS0_4arch9wavefront6targetE1EEEvSJ_.kd
    .uniform_work_group_size: 1
    .uses_dynamic_stack: false
    .vgpr_count:     0
    .vgpr_spill_count: 0
    .wavefront_size: 64
  - .agpr_count:     0
    .args:
      - .offset:         0
        .size:           48
        .value_kind:     by_value
    .group_segment_fixed_size: 0
    .kernarg_segment_align: 8
    .kernarg_segment_size: 48
    .language:       OpenCL C
    .language_version:
      - 2
      - 0
    .max_flat_workgroup_size: 256
    .name:           _ZN7rocprim17ROCPRIM_400000_NS6detail17trampoline_kernelINS0_14default_configENS1_38merge_sort_block_merge_config_selectorIiiEEZZNS1_27merge_sort_block_merge_implIS3_N6thrust23THRUST_200600_302600_NS6detail15normal_iteratorINS8_10device_ptrIiEEEESD_jNS1_19radix_merge_compareILb1ELb0EiNS0_19identity_decomposerEEEEE10hipError_tT0_T1_T2_jT3_P12ihipStream_tbPNSt15iterator_traitsISI_E10value_typeEPNSO_ISJ_E10value_typeEPSK_NS1_7vsmem_tEENKUlT_SI_SJ_SK_E_clIPiSD_S10_SD_EESH_SX_SI_SJ_SK_EUlSX_E1_NS1_11comp_targetILNS1_3genE2ELNS1_11target_archE906ELNS1_3gpuE6ELNS1_3repE0EEENS1_36merge_oddeven_config_static_selectorELNS0_4arch9wavefront6targetE1EEEvSJ_
    .private_segment_fixed_size: 0
    .sgpr_count:     6
    .sgpr_spill_count: 0
    .symbol:         _ZN7rocprim17ROCPRIM_400000_NS6detail17trampoline_kernelINS0_14default_configENS1_38merge_sort_block_merge_config_selectorIiiEEZZNS1_27merge_sort_block_merge_implIS3_N6thrust23THRUST_200600_302600_NS6detail15normal_iteratorINS8_10device_ptrIiEEEESD_jNS1_19radix_merge_compareILb1ELb0EiNS0_19identity_decomposerEEEEE10hipError_tT0_T1_T2_jT3_P12ihipStream_tbPNSt15iterator_traitsISI_E10value_typeEPNSO_ISJ_E10value_typeEPSK_NS1_7vsmem_tEENKUlT_SI_SJ_SK_E_clIPiSD_S10_SD_EESH_SX_SI_SJ_SK_EUlSX_E1_NS1_11comp_targetILNS1_3genE2ELNS1_11target_archE906ELNS1_3gpuE6ELNS1_3repE0EEENS1_36merge_oddeven_config_static_selectorELNS0_4arch9wavefront6targetE1EEEvSJ_.kd
    .uniform_work_group_size: 1
    .uses_dynamic_stack: false
    .vgpr_count:     0
    .vgpr_spill_count: 0
    .wavefront_size: 64
  - .agpr_count:     0
    .args:
      - .offset:         0
        .size:           48
        .value_kind:     by_value
    .group_segment_fixed_size: 0
    .kernarg_segment_align: 8
    .kernarg_segment_size: 48
    .language:       OpenCL C
    .language_version:
      - 2
      - 0
    .max_flat_workgroup_size: 256
    .name:           _ZN7rocprim17ROCPRIM_400000_NS6detail17trampoline_kernelINS0_14default_configENS1_38merge_sort_block_merge_config_selectorIiiEEZZNS1_27merge_sort_block_merge_implIS3_N6thrust23THRUST_200600_302600_NS6detail15normal_iteratorINS8_10device_ptrIiEEEESD_jNS1_19radix_merge_compareILb1ELb0EiNS0_19identity_decomposerEEEEE10hipError_tT0_T1_T2_jT3_P12ihipStream_tbPNSt15iterator_traitsISI_E10value_typeEPNSO_ISJ_E10value_typeEPSK_NS1_7vsmem_tEENKUlT_SI_SJ_SK_E_clIPiSD_S10_SD_EESH_SX_SI_SJ_SK_EUlSX_E1_NS1_11comp_targetILNS1_3genE9ELNS1_11target_archE1100ELNS1_3gpuE3ELNS1_3repE0EEENS1_36merge_oddeven_config_static_selectorELNS0_4arch9wavefront6targetE1EEEvSJ_
    .private_segment_fixed_size: 0
    .sgpr_count:     6
    .sgpr_spill_count: 0
    .symbol:         _ZN7rocprim17ROCPRIM_400000_NS6detail17trampoline_kernelINS0_14default_configENS1_38merge_sort_block_merge_config_selectorIiiEEZZNS1_27merge_sort_block_merge_implIS3_N6thrust23THRUST_200600_302600_NS6detail15normal_iteratorINS8_10device_ptrIiEEEESD_jNS1_19radix_merge_compareILb1ELb0EiNS0_19identity_decomposerEEEEE10hipError_tT0_T1_T2_jT3_P12ihipStream_tbPNSt15iterator_traitsISI_E10value_typeEPNSO_ISJ_E10value_typeEPSK_NS1_7vsmem_tEENKUlT_SI_SJ_SK_E_clIPiSD_S10_SD_EESH_SX_SI_SJ_SK_EUlSX_E1_NS1_11comp_targetILNS1_3genE9ELNS1_11target_archE1100ELNS1_3gpuE3ELNS1_3repE0EEENS1_36merge_oddeven_config_static_selectorELNS0_4arch9wavefront6targetE1EEEvSJ_.kd
    .uniform_work_group_size: 1
    .uses_dynamic_stack: false
    .vgpr_count:     0
    .vgpr_spill_count: 0
    .wavefront_size: 64
  - .agpr_count:     0
    .args:
      - .offset:         0
        .size:           48
        .value_kind:     by_value
    .group_segment_fixed_size: 0
    .kernarg_segment_align: 8
    .kernarg_segment_size: 48
    .language:       OpenCL C
    .language_version:
      - 2
      - 0
    .max_flat_workgroup_size: 256
    .name:           _ZN7rocprim17ROCPRIM_400000_NS6detail17trampoline_kernelINS0_14default_configENS1_38merge_sort_block_merge_config_selectorIiiEEZZNS1_27merge_sort_block_merge_implIS3_N6thrust23THRUST_200600_302600_NS6detail15normal_iteratorINS8_10device_ptrIiEEEESD_jNS1_19radix_merge_compareILb1ELb0EiNS0_19identity_decomposerEEEEE10hipError_tT0_T1_T2_jT3_P12ihipStream_tbPNSt15iterator_traitsISI_E10value_typeEPNSO_ISJ_E10value_typeEPSK_NS1_7vsmem_tEENKUlT_SI_SJ_SK_E_clIPiSD_S10_SD_EESH_SX_SI_SJ_SK_EUlSX_E1_NS1_11comp_targetILNS1_3genE8ELNS1_11target_archE1030ELNS1_3gpuE2ELNS1_3repE0EEENS1_36merge_oddeven_config_static_selectorELNS0_4arch9wavefront6targetE1EEEvSJ_
    .private_segment_fixed_size: 0
    .sgpr_count:     6
    .sgpr_spill_count: 0
    .symbol:         _ZN7rocprim17ROCPRIM_400000_NS6detail17trampoline_kernelINS0_14default_configENS1_38merge_sort_block_merge_config_selectorIiiEEZZNS1_27merge_sort_block_merge_implIS3_N6thrust23THRUST_200600_302600_NS6detail15normal_iteratorINS8_10device_ptrIiEEEESD_jNS1_19radix_merge_compareILb1ELb0EiNS0_19identity_decomposerEEEEE10hipError_tT0_T1_T2_jT3_P12ihipStream_tbPNSt15iterator_traitsISI_E10value_typeEPNSO_ISJ_E10value_typeEPSK_NS1_7vsmem_tEENKUlT_SI_SJ_SK_E_clIPiSD_S10_SD_EESH_SX_SI_SJ_SK_EUlSX_E1_NS1_11comp_targetILNS1_3genE8ELNS1_11target_archE1030ELNS1_3gpuE2ELNS1_3repE0EEENS1_36merge_oddeven_config_static_selectorELNS0_4arch9wavefront6targetE1EEEvSJ_.kd
    .uniform_work_group_size: 1
    .uses_dynamic_stack: false
    .vgpr_count:     0
    .vgpr_spill_count: 0
    .wavefront_size: 64
  - .agpr_count:     0
    .args:
      - .offset:         0
        .size:           40
        .value_kind:     by_value
    .group_segment_fixed_size: 0
    .kernarg_segment_align: 8
    .kernarg_segment_size: 40
    .language:       OpenCL C
    .language_version:
      - 2
      - 0
    .max_flat_workgroup_size: 128
    .name:           _ZN7rocprim17ROCPRIM_400000_NS6detail17trampoline_kernelINS0_14default_configENS1_38merge_sort_block_merge_config_selectorIiiEEZZNS1_27merge_sort_block_merge_implIS3_N6thrust23THRUST_200600_302600_NS6detail15normal_iteratorINS8_10device_ptrIiEEEESD_jNS1_19radix_merge_compareILb1ELb0EiNS0_19identity_decomposerEEEEE10hipError_tT0_T1_T2_jT3_P12ihipStream_tbPNSt15iterator_traitsISI_E10value_typeEPNSO_ISJ_E10value_typeEPSK_NS1_7vsmem_tEENKUlT_SI_SJ_SK_E_clISD_PiSD_S10_EESH_SX_SI_SJ_SK_EUlSX_E_NS1_11comp_targetILNS1_3genE0ELNS1_11target_archE4294967295ELNS1_3gpuE0ELNS1_3repE0EEENS1_48merge_mergepath_partition_config_static_selectorELNS0_4arch9wavefront6targetE1EEEvSJ_
    .private_segment_fixed_size: 0
    .sgpr_count:     14
    .sgpr_spill_count: 0
    .symbol:         _ZN7rocprim17ROCPRIM_400000_NS6detail17trampoline_kernelINS0_14default_configENS1_38merge_sort_block_merge_config_selectorIiiEEZZNS1_27merge_sort_block_merge_implIS3_N6thrust23THRUST_200600_302600_NS6detail15normal_iteratorINS8_10device_ptrIiEEEESD_jNS1_19radix_merge_compareILb1ELb0EiNS0_19identity_decomposerEEEEE10hipError_tT0_T1_T2_jT3_P12ihipStream_tbPNSt15iterator_traitsISI_E10value_typeEPNSO_ISJ_E10value_typeEPSK_NS1_7vsmem_tEENKUlT_SI_SJ_SK_E_clISD_PiSD_S10_EESH_SX_SI_SJ_SK_EUlSX_E_NS1_11comp_targetILNS1_3genE0ELNS1_11target_archE4294967295ELNS1_3gpuE0ELNS1_3repE0EEENS1_48merge_mergepath_partition_config_static_selectorELNS0_4arch9wavefront6targetE1EEEvSJ_.kd
    .uniform_work_group_size: 1
    .uses_dynamic_stack: false
    .vgpr_count:     17
    .vgpr_spill_count: 0
    .wavefront_size: 64
  - .agpr_count:     0
    .args:
      - .offset:         0
        .size:           40
        .value_kind:     by_value
    .group_segment_fixed_size: 0
    .kernarg_segment_align: 8
    .kernarg_segment_size: 40
    .language:       OpenCL C
    .language_version:
      - 2
      - 0
    .max_flat_workgroup_size: 128
    .name:           _ZN7rocprim17ROCPRIM_400000_NS6detail17trampoline_kernelINS0_14default_configENS1_38merge_sort_block_merge_config_selectorIiiEEZZNS1_27merge_sort_block_merge_implIS3_N6thrust23THRUST_200600_302600_NS6detail15normal_iteratorINS8_10device_ptrIiEEEESD_jNS1_19radix_merge_compareILb1ELb0EiNS0_19identity_decomposerEEEEE10hipError_tT0_T1_T2_jT3_P12ihipStream_tbPNSt15iterator_traitsISI_E10value_typeEPNSO_ISJ_E10value_typeEPSK_NS1_7vsmem_tEENKUlT_SI_SJ_SK_E_clISD_PiSD_S10_EESH_SX_SI_SJ_SK_EUlSX_E_NS1_11comp_targetILNS1_3genE10ELNS1_11target_archE1201ELNS1_3gpuE5ELNS1_3repE0EEENS1_48merge_mergepath_partition_config_static_selectorELNS0_4arch9wavefront6targetE1EEEvSJ_
    .private_segment_fixed_size: 0
    .sgpr_count:     6
    .sgpr_spill_count: 0
    .symbol:         _ZN7rocprim17ROCPRIM_400000_NS6detail17trampoline_kernelINS0_14default_configENS1_38merge_sort_block_merge_config_selectorIiiEEZZNS1_27merge_sort_block_merge_implIS3_N6thrust23THRUST_200600_302600_NS6detail15normal_iteratorINS8_10device_ptrIiEEEESD_jNS1_19radix_merge_compareILb1ELb0EiNS0_19identity_decomposerEEEEE10hipError_tT0_T1_T2_jT3_P12ihipStream_tbPNSt15iterator_traitsISI_E10value_typeEPNSO_ISJ_E10value_typeEPSK_NS1_7vsmem_tEENKUlT_SI_SJ_SK_E_clISD_PiSD_S10_EESH_SX_SI_SJ_SK_EUlSX_E_NS1_11comp_targetILNS1_3genE10ELNS1_11target_archE1201ELNS1_3gpuE5ELNS1_3repE0EEENS1_48merge_mergepath_partition_config_static_selectorELNS0_4arch9wavefront6targetE1EEEvSJ_.kd
    .uniform_work_group_size: 1
    .uses_dynamic_stack: false
    .vgpr_count:     0
    .vgpr_spill_count: 0
    .wavefront_size: 64
  - .agpr_count:     0
    .args:
      - .offset:         0
        .size:           40
        .value_kind:     by_value
    .group_segment_fixed_size: 0
    .kernarg_segment_align: 8
    .kernarg_segment_size: 40
    .language:       OpenCL C
    .language_version:
      - 2
      - 0
    .max_flat_workgroup_size: 128
    .name:           _ZN7rocprim17ROCPRIM_400000_NS6detail17trampoline_kernelINS0_14default_configENS1_38merge_sort_block_merge_config_selectorIiiEEZZNS1_27merge_sort_block_merge_implIS3_N6thrust23THRUST_200600_302600_NS6detail15normal_iteratorINS8_10device_ptrIiEEEESD_jNS1_19radix_merge_compareILb1ELb0EiNS0_19identity_decomposerEEEEE10hipError_tT0_T1_T2_jT3_P12ihipStream_tbPNSt15iterator_traitsISI_E10value_typeEPNSO_ISJ_E10value_typeEPSK_NS1_7vsmem_tEENKUlT_SI_SJ_SK_E_clISD_PiSD_S10_EESH_SX_SI_SJ_SK_EUlSX_E_NS1_11comp_targetILNS1_3genE5ELNS1_11target_archE942ELNS1_3gpuE9ELNS1_3repE0EEENS1_48merge_mergepath_partition_config_static_selectorELNS0_4arch9wavefront6targetE1EEEvSJ_
    .private_segment_fixed_size: 0
    .sgpr_count:     6
    .sgpr_spill_count: 0
    .symbol:         _ZN7rocprim17ROCPRIM_400000_NS6detail17trampoline_kernelINS0_14default_configENS1_38merge_sort_block_merge_config_selectorIiiEEZZNS1_27merge_sort_block_merge_implIS3_N6thrust23THRUST_200600_302600_NS6detail15normal_iteratorINS8_10device_ptrIiEEEESD_jNS1_19radix_merge_compareILb1ELb0EiNS0_19identity_decomposerEEEEE10hipError_tT0_T1_T2_jT3_P12ihipStream_tbPNSt15iterator_traitsISI_E10value_typeEPNSO_ISJ_E10value_typeEPSK_NS1_7vsmem_tEENKUlT_SI_SJ_SK_E_clISD_PiSD_S10_EESH_SX_SI_SJ_SK_EUlSX_E_NS1_11comp_targetILNS1_3genE5ELNS1_11target_archE942ELNS1_3gpuE9ELNS1_3repE0EEENS1_48merge_mergepath_partition_config_static_selectorELNS0_4arch9wavefront6targetE1EEEvSJ_.kd
    .uniform_work_group_size: 1
    .uses_dynamic_stack: false
    .vgpr_count:     0
    .vgpr_spill_count: 0
    .wavefront_size: 64
  - .agpr_count:     0
    .args:
      - .offset:         0
        .size:           40
        .value_kind:     by_value
    .group_segment_fixed_size: 0
    .kernarg_segment_align: 8
    .kernarg_segment_size: 40
    .language:       OpenCL C
    .language_version:
      - 2
      - 0
    .max_flat_workgroup_size: 128
    .name:           _ZN7rocprim17ROCPRIM_400000_NS6detail17trampoline_kernelINS0_14default_configENS1_38merge_sort_block_merge_config_selectorIiiEEZZNS1_27merge_sort_block_merge_implIS3_N6thrust23THRUST_200600_302600_NS6detail15normal_iteratorINS8_10device_ptrIiEEEESD_jNS1_19radix_merge_compareILb1ELb0EiNS0_19identity_decomposerEEEEE10hipError_tT0_T1_T2_jT3_P12ihipStream_tbPNSt15iterator_traitsISI_E10value_typeEPNSO_ISJ_E10value_typeEPSK_NS1_7vsmem_tEENKUlT_SI_SJ_SK_E_clISD_PiSD_S10_EESH_SX_SI_SJ_SK_EUlSX_E_NS1_11comp_targetILNS1_3genE4ELNS1_11target_archE910ELNS1_3gpuE8ELNS1_3repE0EEENS1_48merge_mergepath_partition_config_static_selectorELNS0_4arch9wavefront6targetE1EEEvSJ_
    .private_segment_fixed_size: 0
    .sgpr_count:     6
    .sgpr_spill_count: 0
    .symbol:         _ZN7rocprim17ROCPRIM_400000_NS6detail17trampoline_kernelINS0_14default_configENS1_38merge_sort_block_merge_config_selectorIiiEEZZNS1_27merge_sort_block_merge_implIS3_N6thrust23THRUST_200600_302600_NS6detail15normal_iteratorINS8_10device_ptrIiEEEESD_jNS1_19radix_merge_compareILb1ELb0EiNS0_19identity_decomposerEEEEE10hipError_tT0_T1_T2_jT3_P12ihipStream_tbPNSt15iterator_traitsISI_E10value_typeEPNSO_ISJ_E10value_typeEPSK_NS1_7vsmem_tEENKUlT_SI_SJ_SK_E_clISD_PiSD_S10_EESH_SX_SI_SJ_SK_EUlSX_E_NS1_11comp_targetILNS1_3genE4ELNS1_11target_archE910ELNS1_3gpuE8ELNS1_3repE0EEENS1_48merge_mergepath_partition_config_static_selectorELNS0_4arch9wavefront6targetE1EEEvSJ_.kd
    .uniform_work_group_size: 1
    .uses_dynamic_stack: false
    .vgpr_count:     0
    .vgpr_spill_count: 0
    .wavefront_size: 64
  - .agpr_count:     0
    .args:
      - .offset:         0
        .size:           40
        .value_kind:     by_value
    .group_segment_fixed_size: 0
    .kernarg_segment_align: 8
    .kernarg_segment_size: 40
    .language:       OpenCL C
    .language_version:
      - 2
      - 0
    .max_flat_workgroup_size: 128
    .name:           _ZN7rocprim17ROCPRIM_400000_NS6detail17trampoline_kernelINS0_14default_configENS1_38merge_sort_block_merge_config_selectorIiiEEZZNS1_27merge_sort_block_merge_implIS3_N6thrust23THRUST_200600_302600_NS6detail15normal_iteratorINS8_10device_ptrIiEEEESD_jNS1_19radix_merge_compareILb1ELb0EiNS0_19identity_decomposerEEEEE10hipError_tT0_T1_T2_jT3_P12ihipStream_tbPNSt15iterator_traitsISI_E10value_typeEPNSO_ISJ_E10value_typeEPSK_NS1_7vsmem_tEENKUlT_SI_SJ_SK_E_clISD_PiSD_S10_EESH_SX_SI_SJ_SK_EUlSX_E_NS1_11comp_targetILNS1_3genE3ELNS1_11target_archE908ELNS1_3gpuE7ELNS1_3repE0EEENS1_48merge_mergepath_partition_config_static_selectorELNS0_4arch9wavefront6targetE1EEEvSJ_
    .private_segment_fixed_size: 0
    .sgpr_count:     6
    .sgpr_spill_count: 0
    .symbol:         _ZN7rocprim17ROCPRIM_400000_NS6detail17trampoline_kernelINS0_14default_configENS1_38merge_sort_block_merge_config_selectorIiiEEZZNS1_27merge_sort_block_merge_implIS3_N6thrust23THRUST_200600_302600_NS6detail15normal_iteratorINS8_10device_ptrIiEEEESD_jNS1_19radix_merge_compareILb1ELb0EiNS0_19identity_decomposerEEEEE10hipError_tT0_T1_T2_jT3_P12ihipStream_tbPNSt15iterator_traitsISI_E10value_typeEPNSO_ISJ_E10value_typeEPSK_NS1_7vsmem_tEENKUlT_SI_SJ_SK_E_clISD_PiSD_S10_EESH_SX_SI_SJ_SK_EUlSX_E_NS1_11comp_targetILNS1_3genE3ELNS1_11target_archE908ELNS1_3gpuE7ELNS1_3repE0EEENS1_48merge_mergepath_partition_config_static_selectorELNS0_4arch9wavefront6targetE1EEEvSJ_.kd
    .uniform_work_group_size: 1
    .uses_dynamic_stack: false
    .vgpr_count:     0
    .vgpr_spill_count: 0
    .wavefront_size: 64
  - .agpr_count:     0
    .args:
      - .offset:         0
        .size:           40
        .value_kind:     by_value
    .group_segment_fixed_size: 0
    .kernarg_segment_align: 8
    .kernarg_segment_size: 40
    .language:       OpenCL C
    .language_version:
      - 2
      - 0
    .max_flat_workgroup_size: 128
    .name:           _ZN7rocprim17ROCPRIM_400000_NS6detail17trampoline_kernelINS0_14default_configENS1_38merge_sort_block_merge_config_selectorIiiEEZZNS1_27merge_sort_block_merge_implIS3_N6thrust23THRUST_200600_302600_NS6detail15normal_iteratorINS8_10device_ptrIiEEEESD_jNS1_19radix_merge_compareILb1ELb0EiNS0_19identity_decomposerEEEEE10hipError_tT0_T1_T2_jT3_P12ihipStream_tbPNSt15iterator_traitsISI_E10value_typeEPNSO_ISJ_E10value_typeEPSK_NS1_7vsmem_tEENKUlT_SI_SJ_SK_E_clISD_PiSD_S10_EESH_SX_SI_SJ_SK_EUlSX_E_NS1_11comp_targetILNS1_3genE2ELNS1_11target_archE906ELNS1_3gpuE6ELNS1_3repE0EEENS1_48merge_mergepath_partition_config_static_selectorELNS0_4arch9wavefront6targetE1EEEvSJ_
    .private_segment_fixed_size: 0
    .sgpr_count:     6
    .sgpr_spill_count: 0
    .symbol:         _ZN7rocprim17ROCPRIM_400000_NS6detail17trampoline_kernelINS0_14default_configENS1_38merge_sort_block_merge_config_selectorIiiEEZZNS1_27merge_sort_block_merge_implIS3_N6thrust23THRUST_200600_302600_NS6detail15normal_iteratorINS8_10device_ptrIiEEEESD_jNS1_19radix_merge_compareILb1ELb0EiNS0_19identity_decomposerEEEEE10hipError_tT0_T1_T2_jT3_P12ihipStream_tbPNSt15iterator_traitsISI_E10value_typeEPNSO_ISJ_E10value_typeEPSK_NS1_7vsmem_tEENKUlT_SI_SJ_SK_E_clISD_PiSD_S10_EESH_SX_SI_SJ_SK_EUlSX_E_NS1_11comp_targetILNS1_3genE2ELNS1_11target_archE906ELNS1_3gpuE6ELNS1_3repE0EEENS1_48merge_mergepath_partition_config_static_selectorELNS0_4arch9wavefront6targetE1EEEvSJ_.kd
    .uniform_work_group_size: 1
    .uses_dynamic_stack: false
    .vgpr_count:     0
    .vgpr_spill_count: 0
    .wavefront_size: 64
  - .agpr_count:     0
    .args:
      - .offset:         0
        .size:           40
        .value_kind:     by_value
    .group_segment_fixed_size: 0
    .kernarg_segment_align: 8
    .kernarg_segment_size: 40
    .language:       OpenCL C
    .language_version:
      - 2
      - 0
    .max_flat_workgroup_size: 128
    .name:           _ZN7rocprim17ROCPRIM_400000_NS6detail17trampoline_kernelINS0_14default_configENS1_38merge_sort_block_merge_config_selectorIiiEEZZNS1_27merge_sort_block_merge_implIS3_N6thrust23THRUST_200600_302600_NS6detail15normal_iteratorINS8_10device_ptrIiEEEESD_jNS1_19radix_merge_compareILb1ELb0EiNS0_19identity_decomposerEEEEE10hipError_tT0_T1_T2_jT3_P12ihipStream_tbPNSt15iterator_traitsISI_E10value_typeEPNSO_ISJ_E10value_typeEPSK_NS1_7vsmem_tEENKUlT_SI_SJ_SK_E_clISD_PiSD_S10_EESH_SX_SI_SJ_SK_EUlSX_E_NS1_11comp_targetILNS1_3genE9ELNS1_11target_archE1100ELNS1_3gpuE3ELNS1_3repE0EEENS1_48merge_mergepath_partition_config_static_selectorELNS0_4arch9wavefront6targetE1EEEvSJ_
    .private_segment_fixed_size: 0
    .sgpr_count:     6
    .sgpr_spill_count: 0
    .symbol:         _ZN7rocprim17ROCPRIM_400000_NS6detail17trampoline_kernelINS0_14default_configENS1_38merge_sort_block_merge_config_selectorIiiEEZZNS1_27merge_sort_block_merge_implIS3_N6thrust23THRUST_200600_302600_NS6detail15normal_iteratorINS8_10device_ptrIiEEEESD_jNS1_19radix_merge_compareILb1ELb0EiNS0_19identity_decomposerEEEEE10hipError_tT0_T1_T2_jT3_P12ihipStream_tbPNSt15iterator_traitsISI_E10value_typeEPNSO_ISJ_E10value_typeEPSK_NS1_7vsmem_tEENKUlT_SI_SJ_SK_E_clISD_PiSD_S10_EESH_SX_SI_SJ_SK_EUlSX_E_NS1_11comp_targetILNS1_3genE9ELNS1_11target_archE1100ELNS1_3gpuE3ELNS1_3repE0EEENS1_48merge_mergepath_partition_config_static_selectorELNS0_4arch9wavefront6targetE1EEEvSJ_.kd
    .uniform_work_group_size: 1
    .uses_dynamic_stack: false
    .vgpr_count:     0
    .vgpr_spill_count: 0
    .wavefront_size: 64
  - .agpr_count:     0
    .args:
      - .offset:         0
        .size:           40
        .value_kind:     by_value
    .group_segment_fixed_size: 0
    .kernarg_segment_align: 8
    .kernarg_segment_size: 40
    .language:       OpenCL C
    .language_version:
      - 2
      - 0
    .max_flat_workgroup_size: 128
    .name:           _ZN7rocprim17ROCPRIM_400000_NS6detail17trampoline_kernelINS0_14default_configENS1_38merge_sort_block_merge_config_selectorIiiEEZZNS1_27merge_sort_block_merge_implIS3_N6thrust23THRUST_200600_302600_NS6detail15normal_iteratorINS8_10device_ptrIiEEEESD_jNS1_19radix_merge_compareILb1ELb0EiNS0_19identity_decomposerEEEEE10hipError_tT0_T1_T2_jT3_P12ihipStream_tbPNSt15iterator_traitsISI_E10value_typeEPNSO_ISJ_E10value_typeEPSK_NS1_7vsmem_tEENKUlT_SI_SJ_SK_E_clISD_PiSD_S10_EESH_SX_SI_SJ_SK_EUlSX_E_NS1_11comp_targetILNS1_3genE8ELNS1_11target_archE1030ELNS1_3gpuE2ELNS1_3repE0EEENS1_48merge_mergepath_partition_config_static_selectorELNS0_4arch9wavefront6targetE1EEEvSJ_
    .private_segment_fixed_size: 0
    .sgpr_count:     6
    .sgpr_spill_count: 0
    .symbol:         _ZN7rocprim17ROCPRIM_400000_NS6detail17trampoline_kernelINS0_14default_configENS1_38merge_sort_block_merge_config_selectorIiiEEZZNS1_27merge_sort_block_merge_implIS3_N6thrust23THRUST_200600_302600_NS6detail15normal_iteratorINS8_10device_ptrIiEEEESD_jNS1_19radix_merge_compareILb1ELb0EiNS0_19identity_decomposerEEEEE10hipError_tT0_T1_T2_jT3_P12ihipStream_tbPNSt15iterator_traitsISI_E10value_typeEPNSO_ISJ_E10value_typeEPSK_NS1_7vsmem_tEENKUlT_SI_SJ_SK_E_clISD_PiSD_S10_EESH_SX_SI_SJ_SK_EUlSX_E_NS1_11comp_targetILNS1_3genE8ELNS1_11target_archE1030ELNS1_3gpuE2ELNS1_3repE0EEENS1_48merge_mergepath_partition_config_static_selectorELNS0_4arch9wavefront6targetE1EEEvSJ_.kd
    .uniform_work_group_size: 1
    .uses_dynamic_stack: false
    .vgpr_count:     0
    .vgpr_spill_count: 0
    .wavefront_size: 64
  - .agpr_count:     0
    .args:
      - .offset:         0
        .size:           64
        .value_kind:     by_value
      - .offset:         64
        .size:           4
        .value_kind:     hidden_block_count_x
      - .offset:         68
        .size:           4
        .value_kind:     hidden_block_count_y
      - .offset:         72
        .size:           4
        .value_kind:     hidden_block_count_z
      - .offset:         76
        .size:           2
        .value_kind:     hidden_group_size_x
      - .offset:         78
        .size:           2
        .value_kind:     hidden_group_size_y
      - .offset:         80
        .size:           2
        .value_kind:     hidden_group_size_z
      - .offset:         82
        .size:           2
        .value_kind:     hidden_remainder_x
      - .offset:         84
        .size:           2
        .value_kind:     hidden_remainder_y
      - .offset:         86
        .size:           2
        .value_kind:     hidden_remainder_z
      - .offset:         104
        .size:           8
        .value_kind:     hidden_global_offset_x
      - .offset:         112
        .size:           8
        .value_kind:     hidden_global_offset_y
      - .offset:         120
        .size:           8
        .value_kind:     hidden_global_offset_z
      - .offset:         128
        .size:           2
        .value_kind:     hidden_grid_dims
    .group_segment_fixed_size: 4224
    .kernarg_segment_align: 8
    .kernarg_segment_size: 320
    .language:       OpenCL C
    .language_version:
      - 2
      - 0
    .max_flat_workgroup_size: 256
    .name:           _ZN7rocprim17ROCPRIM_400000_NS6detail17trampoline_kernelINS0_14default_configENS1_38merge_sort_block_merge_config_selectorIiiEEZZNS1_27merge_sort_block_merge_implIS3_N6thrust23THRUST_200600_302600_NS6detail15normal_iteratorINS8_10device_ptrIiEEEESD_jNS1_19radix_merge_compareILb1ELb0EiNS0_19identity_decomposerEEEEE10hipError_tT0_T1_T2_jT3_P12ihipStream_tbPNSt15iterator_traitsISI_E10value_typeEPNSO_ISJ_E10value_typeEPSK_NS1_7vsmem_tEENKUlT_SI_SJ_SK_E_clISD_PiSD_S10_EESH_SX_SI_SJ_SK_EUlSX_E0_NS1_11comp_targetILNS1_3genE0ELNS1_11target_archE4294967295ELNS1_3gpuE0ELNS1_3repE0EEENS1_38merge_mergepath_config_static_selectorELNS0_4arch9wavefront6targetE1EEEvSJ_
    .private_segment_fixed_size: 0
    .sgpr_count:     36
    .sgpr_spill_count: 0
    .symbol:         _ZN7rocprim17ROCPRIM_400000_NS6detail17trampoline_kernelINS0_14default_configENS1_38merge_sort_block_merge_config_selectorIiiEEZZNS1_27merge_sort_block_merge_implIS3_N6thrust23THRUST_200600_302600_NS6detail15normal_iteratorINS8_10device_ptrIiEEEESD_jNS1_19radix_merge_compareILb1ELb0EiNS0_19identity_decomposerEEEEE10hipError_tT0_T1_T2_jT3_P12ihipStream_tbPNSt15iterator_traitsISI_E10value_typeEPNSO_ISJ_E10value_typeEPSK_NS1_7vsmem_tEENKUlT_SI_SJ_SK_E_clISD_PiSD_S10_EESH_SX_SI_SJ_SK_EUlSX_E0_NS1_11comp_targetILNS1_3genE0ELNS1_11target_archE4294967295ELNS1_3gpuE0ELNS1_3repE0EEENS1_38merge_mergepath_config_static_selectorELNS0_4arch9wavefront6targetE1EEEvSJ_.kd
    .uniform_work_group_size: 1
    .uses_dynamic_stack: false
    .vgpr_count:     21
    .vgpr_spill_count: 0
    .wavefront_size: 64
  - .agpr_count:     0
    .args:
      - .offset:         0
        .size:           64
        .value_kind:     by_value
    .group_segment_fixed_size: 0
    .kernarg_segment_align: 8
    .kernarg_segment_size: 64
    .language:       OpenCL C
    .language_version:
      - 2
      - 0
    .max_flat_workgroup_size: 256
    .name:           _ZN7rocprim17ROCPRIM_400000_NS6detail17trampoline_kernelINS0_14default_configENS1_38merge_sort_block_merge_config_selectorIiiEEZZNS1_27merge_sort_block_merge_implIS3_N6thrust23THRUST_200600_302600_NS6detail15normal_iteratorINS8_10device_ptrIiEEEESD_jNS1_19radix_merge_compareILb1ELb0EiNS0_19identity_decomposerEEEEE10hipError_tT0_T1_T2_jT3_P12ihipStream_tbPNSt15iterator_traitsISI_E10value_typeEPNSO_ISJ_E10value_typeEPSK_NS1_7vsmem_tEENKUlT_SI_SJ_SK_E_clISD_PiSD_S10_EESH_SX_SI_SJ_SK_EUlSX_E0_NS1_11comp_targetILNS1_3genE10ELNS1_11target_archE1201ELNS1_3gpuE5ELNS1_3repE0EEENS1_38merge_mergepath_config_static_selectorELNS0_4arch9wavefront6targetE1EEEvSJ_
    .private_segment_fixed_size: 0
    .sgpr_count:     6
    .sgpr_spill_count: 0
    .symbol:         _ZN7rocprim17ROCPRIM_400000_NS6detail17trampoline_kernelINS0_14default_configENS1_38merge_sort_block_merge_config_selectorIiiEEZZNS1_27merge_sort_block_merge_implIS3_N6thrust23THRUST_200600_302600_NS6detail15normal_iteratorINS8_10device_ptrIiEEEESD_jNS1_19radix_merge_compareILb1ELb0EiNS0_19identity_decomposerEEEEE10hipError_tT0_T1_T2_jT3_P12ihipStream_tbPNSt15iterator_traitsISI_E10value_typeEPNSO_ISJ_E10value_typeEPSK_NS1_7vsmem_tEENKUlT_SI_SJ_SK_E_clISD_PiSD_S10_EESH_SX_SI_SJ_SK_EUlSX_E0_NS1_11comp_targetILNS1_3genE10ELNS1_11target_archE1201ELNS1_3gpuE5ELNS1_3repE0EEENS1_38merge_mergepath_config_static_selectorELNS0_4arch9wavefront6targetE1EEEvSJ_.kd
    .uniform_work_group_size: 1
    .uses_dynamic_stack: false
    .vgpr_count:     0
    .vgpr_spill_count: 0
    .wavefront_size: 64
  - .agpr_count:     0
    .args:
      - .offset:         0
        .size:           64
        .value_kind:     by_value
    .group_segment_fixed_size: 0
    .kernarg_segment_align: 8
    .kernarg_segment_size: 64
    .language:       OpenCL C
    .language_version:
      - 2
      - 0
    .max_flat_workgroup_size: 128
    .name:           _ZN7rocprim17ROCPRIM_400000_NS6detail17trampoline_kernelINS0_14default_configENS1_38merge_sort_block_merge_config_selectorIiiEEZZNS1_27merge_sort_block_merge_implIS3_N6thrust23THRUST_200600_302600_NS6detail15normal_iteratorINS8_10device_ptrIiEEEESD_jNS1_19radix_merge_compareILb1ELb0EiNS0_19identity_decomposerEEEEE10hipError_tT0_T1_T2_jT3_P12ihipStream_tbPNSt15iterator_traitsISI_E10value_typeEPNSO_ISJ_E10value_typeEPSK_NS1_7vsmem_tEENKUlT_SI_SJ_SK_E_clISD_PiSD_S10_EESH_SX_SI_SJ_SK_EUlSX_E0_NS1_11comp_targetILNS1_3genE5ELNS1_11target_archE942ELNS1_3gpuE9ELNS1_3repE0EEENS1_38merge_mergepath_config_static_selectorELNS0_4arch9wavefront6targetE1EEEvSJ_
    .private_segment_fixed_size: 0
    .sgpr_count:     6
    .sgpr_spill_count: 0
    .symbol:         _ZN7rocprim17ROCPRIM_400000_NS6detail17trampoline_kernelINS0_14default_configENS1_38merge_sort_block_merge_config_selectorIiiEEZZNS1_27merge_sort_block_merge_implIS3_N6thrust23THRUST_200600_302600_NS6detail15normal_iteratorINS8_10device_ptrIiEEEESD_jNS1_19radix_merge_compareILb1ELb0EiNS0_19identity_decomposerEEEEE10hipError_tT0_T1_T2_jT3_P12ihipStream_tbPNSt15iterator_traitsISI_E10value_typeEPNSO_ISJ_E10value_typeEPSK_NS1_7vsmem_tEENKUlT_SI_SJ_SK_E_clISD_PiSD_S10_EESH_SX_SI_SJ_SK_EUlSX_E0_NS1_11comp_targetILNS1_3genE5ELNS1_11target_archE942ELNS1_3gpuE9ELNS1_3repE0EEENS1_38merge_mergepath_config_static_selectorELNS0_4arch9wavefront6targetE1EEEvSJ_.kd
    .uniform_work_group_size: 1
    .uses_dynamic_stack: false
    .vgpr_count:     0
    .vgpr_spill_count: 0
    .wavefront_size: 64
  - .agpr_count:     0
    .args:
      - .offset:         0
        .size:           64
        .value_kind:     by_value
    .group_segment_fixed_size: 0
    .kernarg_segment_align: 8
    .kernarg_segment_size: 64
    .language:       OpenCL C
    .language_version:
      - 2
      - 0
    .max_flat_workgroup_size: 256
    .name:           _ZN7rocprim17ROCPRIM_400000_NS6detail17trampoline_kernelINS0_14default_configENS1_38merge_sort_block_merge_config_selectorIiiEEZZNS1_27merge_sort_block_merge_implIS3_N6thrust23THRUST_200600_302600_NS6detail15normal_iteratorINS8_10device_ptrIiEEEESD_jNS1_19radix_merge_compareILb1ELb0EiNS0_19identity_decomposerEEEEE10hipError_tT0_T1_T2_jT3_P12ihipStream_tbPNSt15iterator_traitsISI_E10value_typeEPNSO_ISJ_E10value_typeEPSK_NS1_7vsmem_tEENKUlT_SI_SJ_SK_E_clISD_PiSD_S10_EESH_SX_SI_SJ_SK_EUlSX_E0_NS1_11comp_targetILNS1_3genE4ELNS1_11target_archE910ELNS1_3gpuE8ELNS1_3repE0EEENS1_38merge_mergepath_config_static_selectorELNS0_4arch9wavefront6targetE1EEEvSJ_
    .private_segment_fixed_size: 0
    .sgpr_count:     6
    .sgpr_spill_count: 0
    .symbol:         _ZN7rocprim17ROCPRIM_400000_NS6detail17trampoline_kernelINS0_14default_configENS1_38merge_sort_block_merge_config_selectorIiiEEZZNS1_27merge_sort_block_merge_implIS3_N6thrust23THRUST_200600_302600_NS6detail15normal_iteratorINS8_10device_ptrIiEEEESD_jNS1_19radix_merge_compareILb1ELb0EiNS0_19identity_decomposerEEEEE10hipError_tT0_T1_T2_jT3_P12ihipStream_tbPNSt15iterator_traitsISI_E10value_typeEPNSO_ISJ_E10value_typeEPSK_NS1_7vsmem_tEENKUlT_SI_SJ_SK_E_clISD_PiSD_S10_EESH_SX_SI_SJ_SK_EUlSX_E0_NS1_11comp_targetILNS1_3genE4ELNS1_11target_archE910ELNS1_3gpuE8ELNS1_3repE0EEENS1_38merge_mergepath_config_static_selectorELNS0_4arch9wavefront6targetE1EEEvSJ_.kd
    .uniform_work_group_size: 1
    .uses_dynamic_stack: false
    .vgpr_count:     0
    .vgpr_spill_count: 0
    .wavefront_size: 64
  - .agpr_count:     0
    .args:
      - .offset:         0
        .size:           64
        .value_kind:     by_value
    .group_segment_fixed_size: 0
    .kernarg_segment_align: 8
    .kernarg_segment_size: 64
    .language:       OpenCL C
    .language_version:
      - 2
      - 0
    .max_flat_workgroup_size: 256
    .name:           _ZN7rocprim17ROCPRIM_400000_NS6detail17trampoline_kernelINS0_14default_configENS1_38merge_sort_block_merge_config_selectorIiiEEZZNS1_27merge_sort_block_merge_implIS3_N6thrust23THRUST_200600_302600_NS6detail15normal_iteratorINS8_10device_ptrIiEEEESD_jNS1_19radix_merge_compareILb1ELb0EiNS0_19identity_decomposerEEEEE10hipError_tT0_T1_T2_jT3_P12ihipStream_tbPNSt15iterator_traitsISI_E10value_typeEPNSO_ISJ_E10value_typeEPSK_NS1_7vsmem_tEENKUlT_SI_SJ_SK_E_clISD_PiSD_S10_EESH_SX_SI_SJ_SK_EUlSX_E0_NS1_11comp_targetILNS1_3genE3ELNS1_11target_archE908ELNS1_3gpuE7ELNS1_3repE0EEENS1_38merge_mergepath_config_static_selectorELNS0_4arch9wavefront6targetE1EEEvSJ_
    .private_segment_fixed_size: 0
    .sgpr_count:     6
    .sgpr_spill_count: 0
    .symbol:         _ZN7rocprim17ROCPRIM_400000_NS6detail17trampoline_kernelINS0_14default_configENS1_38merge_sort_block_merge_config_selectorIiiEEZZNS1_27merge_sort_block_merge_implIS3_N6thrust23THRUST_200600_302600_NS6detail15normal_iteratorINS8_10device_ptrIiEEEESD_jNS1_19radix_merge_compareILb1ELb0EiNS0_19identity_decomposerEEEEE10hipError_tT0_T1_T2_jT3_P12ihipStream_tbPNSt15iterator_traitsISI_E10value_typeEPNSO_ISJ_E10value_typeEPSK_NS1_7vsmem_tEENKUlT_SI_SJ_SK_E_clISD_PiSD_S10_EESH_SX_SI_SJ_SK_EUlSX_E0_NS1_11comp_targetILNS1_3genE3ELNS1_11target_archE908ELNS1_3gpuE7ELNS1_3repE0EEENS1_38merge_mergepath_config_static_selectorELNS0_4arch9wavefront6targetE1EEEvSJ_.kd
    .uniform_work_group_size: 1
    .uses_dynamic_stack: false
    .vgpr_count:     0
    .vgpr_spill_count: 0
    .wavefront_size: 64
  - .agpr_count:     0
    .args:
      - .offset:         0
        .size:           64
        .value_kind:     by_value
    .group_segment_fixed_size: 0
    .kernarg_segment_align: 8
    .kernarg_segment_size: 64
    .language:       OpenCL C
    .language_version:
      - 2
      - 0
    .max_flat_workgroup_size: 256
    .name:           _ZN7rocprim17ROCPRIM_400000_NS6detail17trampoline_kernelINS0_14default_configENS1_38merge_sort_block_merge_config_selectorIiiEEZZNS1_27merge_sort_block_merge_implIS3_N6thrust23THRUST_200600_302600_NS6detail15normal_iteratorINS8_10device_ptrIiEEEESD_jNS1_19radix_merge_compareILb1ELb0EiNS0_19identity_decomposerEEEEE10hipError_tT0_T1_T2_jT3_P12ihipStream_tbPNSt15iterator_traitsISI_E10value_typeEPNSO_ISJ_E10value_typeEPSK_NS1_7vsmem_tEENKUlT_SI_SJ_SK_E_clISD_PiSD_S10_EESH_SX_SI_SJ_SK_EUlSX_E0_NS1_11comp_targetILNS1_3genE2ELNS1_11target_archE906ELNS1_3gpuE6ELNS1_3repE0EEENS1_38merge_mergepath_config_static_selectorELNS0_4arch9wavefront6targetE1EEEvSJ_
    .private_segment_fixed_size: 0
    .sgpr_count:     6
    .sgpr_spill_count: 0
    .symbol:         _ZN7rocprim17ROCPRIM_400000_NS6detail17trampoline_kernelINS0_14default_configENS1_38merge_sort_block_merge_config_selectorIiiEEZZNS1_27merge_sort_block_merge_implIS3_N6thrust23THRUST_200600_302600_NS6detail15normal_iteratorINS8_10device_ptrIiEEEESD_jNS1_19radix_merge_compareILb1ELb0EiNS0_19identity_decomposerEEEEE10hipError_tT0_T1_T2_jT3_P12ihipStream_tbPNSt15iterator_traitsISI_E10value_typeEPNSO_ISJ_E10value_typeEPSK_NS1_7vsmem_tEENKUlT_SI_SJ_SK_E_clISD_PiSD_S10_EESH_SX_SI_SJ_SK_EUlSX_E0_NS1_11comp_targetILNS1_3genE2ELNS1_11target_archE906ELNS1_3gpuE6ELNS1_3repE0EEENS1_38merge_mergepath_config_static_selectorELNS0_4arch9wavefront6targetE1EEEvSJ_.kd
    .uniform_work_group_size: 1
    .uses_dynamic_stack: false
    .vgpr_count:     0
    .vgpr_spill_count: 0
    .wavefront_size: 64
  - .agpr_count:     0
    .args:
      - .offset:         0
        .size:           64
        .value_kind:     by_value
    .group_segment_fixed_size: 0
    .kernarg_segment_align: 8
    .kernarg_segment_size: 64
    .language:       OpenCL C
    .language_version:
      - 2
      - 0
    .max_flat_workgroup_size: 512
    .name:           _ZN7rocprim17ROCPRIM_400000_NS6detail17trampoline_kernelINS0_14default_configENS1_38merge_sort_block_merge_config_selectorIiiEEZZNS1_27merge_sort_block_merge_implIS3_N6thrust23THRUST_200600_302600_NS6detail15normal_iteratorINS8_10device_ptrIiEEEESD_jNS1_19radix_merge_compareILb1ELb0EiNS0_19identity_decomposerEEEEE10hipError_tT0_T1_T2_jT3_P12ihipStream_tbPNSt15iterator_traitsISI_E10value_typeEPNSO_ISJ_E10value_typeEPSK_NS1_7vsmem_tEENKUlT_SI_SJ_SK_E_clISD_PiSD_S10_EESH_SX_SI_SJ_SK_EUlSX_E0_NS1_11comp_targetILNS1_3genE9ELNS1_11target_archE1100ELNS1_3gpuE3ELNS1_3repE0EEENS1_38merge_mergepath_config_static_selectorELNS0_4arch9wavefront6targetE1EEEvSJ_
    .private_segment_fixed_size: 0
    .sgpr_count:     6
    .sgpr_spill_count: 0
    .symbol:         _ZN7rocprim17ROCPRIM_400000_NS6detail17trampoline_kernelINS0_14default_configENS1_38merge_sort_block_merge_config_selectorIiiEEZZNS1_27merge_sort_block_merge_implIS3_N6thrust23THRUST_200600_302600_NS6detail15normal_iteratorINS8_10device_ptrIiEEEESD_jNS1_19radix_merge_compareILb1ELb0EiNS0_19identity_decomposerEEEEE10hipError_tT0_T1_T2_jT3_P12ihipStream_tbPNSt15iterator_traitsISI_E10value_typeEPNSO_ISJ_E10value_typeEPSK_NS1_7vsmem_tEENKUlT_SI_SJ_SK_E_clISD_PiSD_S10_EESH_SX_SI_SJ_SK_EUlSX_E0_NS1_11comp_targetILNS1_3genE9ELNS1_11target_archE1100ELNS1_3gpuE3ELNS1_3repE0EEENS1_38merge_mergepath_config_static_selectorELNS0_4arch9wavefront6targetE1EEEvSJ_.kd
    .uniform_work_group_size: 1
    .uses_dynamic_stack: false
    .vgpr_count:     0
    .vgpr_spill_count: 0
    .wavefront_size: 64
  - .agpr_count:     0
    .args:
      - .offset:         0
        .size:           64
        .value_kind:     by_value
    .group_segment_fixed_size: 0
    .kernarg_segment_align: 8
    .kernarg_segment_size: 64
    .language:       OpenCL C
    .language_version:
      - 2
      - 0
    .max_flat_workgroup_size: 1024
    .name:           _ZN7rocprim17ROCPRIM_400000_NS6detail17trampoline_kernelINS0_14default_configENS1_38merge_sort_block_merge_config_selectorIiiEEZZNS1_27merge_sort_block_merge_implIS3_N6thrust23THRUST_200600_302600_NS6detail15normal_iteratorINS8_10device_ptrIiEEEESD_jNS1_19radix_merge_compareILb1ELb0EiNS0_19identity_decomposerEEEEE10hipError_tT0_T1_T2_jT3_P12ihipStream_tbPNSt15iterator_traitsISI_E10value_typeEPNSO_ISJ_E10value_typeEPSK_NS1_7vsmem_tEENKUlT_SI_SJ_SK_E_clISD_PiSD_S10_EESH_SX_SI_SJ_SK_EUlSX_E0_NS1_11comp_targetILNS1_3genE8ELNS1_11target_archE1030ELNS1_3gpuE2ELNS1_3repE0EEENS1_38merge_mergepath_config_static_selectorELNS0_4arch9wavefront6targetE1EEEvSJ_
    .private_segment_fixed_size: 0
    .sgpr_count:     6
    .sgpr_spill_count: 0
    .symbol:         _ZN7rocprim17ROCPRIM_400000_NS6detail17trampoline_kernelINS0_14default_configENS1_38merge_sort_block_merge_config_selectorIiiEEZZNS1_27merge_sort_block_merge_implIS3_N6thrust23THRUST_200600_302600_NS6detail15normal_iteratorINS8_10device_ptrIiEEEESD_jNS1_19radix_merge_compareILb1ELb0EiNS0_19identity_decomposerEEEEE10hipError_tT0_T1_T2_jT3_P12ihipStream_tbPNSt15iterator_traitsISI_E10value_typeEPNSO_ISJ_E10value_typeEPSK_NS1_7vsmem_tEENKUlT_SI_SJ_SK_E_clISD_PiSD_S10_EESH_SX_SI_SJ_SK_EUlSX_E0_NS1_11comp_targetILNS1_3genE8ELNS1_11target_archE1030ELNS1_3gpuE2ELNS1_3repE0EEENS1_38merge_mergepath_config_static_selectorELNS0_4arch9wavefront6targetE1EEEvSJ_.kd
    .uniform_work_group_size: 1
    .uses_dynamic_stack: false
    .vgpr_count:     0
    .vgpr_spill_count: 0
    .wavefront_size: 64
  - .agpr_count:     0
    .args:
      - .offset:         0
        .size:           48
        .value_kind:     by_value
    .group_segment_fixed_size: 0
    .kernarg_segment_align: 8
    .kernarg_segment_size: 48
    .language:       OpenCL C
    .language_version:
      - 2
      - 0
    .max_flat_workgroup_size: 256
    .name:           _ZN7rocprim17ROCPRIM_400000_NS6detail17trampoline_kernelINS0_14default_configENS1_38merge_sort_block_merge_config_selectorIiiEEZZNS1_27merge_sort_block_merge_implIS3_N6thrust23THRUST_200600_302600_NS6detail15normal_iteratorINS8_10device_ptrIiEEEESD_jNS1_19radix_merge_compareILb1ELb0EiNS0_19identity_decomposerEEEEE10hipError_tT0_T1_T2_jT3_P12ihipStream_tbPNSt15iterator_traitsISI_E10value_typeEPNSO_ISJ_E10value_typeEPSK_NS1_7vsmem_tEENKUlT_SI_SJ_SK_E_clISD_PiSD_S10_EESH_SX_SI_SJ_SK_EUlSX_E1_NS1_11comp_targetILNS1_3genE0ELNS1_11target_archE4294967295ELNS1_3gpuE0ELNS1_3repE0EEENS1_36merge_oddeven_config_static_selectorELNS0_4arch9wavefront6targetE1EEEvSJ_
    .private_segment_fixed_size: 0
    .sgpr_count:     30
    .sgpr_spill_count: 0
    .symbol:         _ZN7rocprim17ROCPRIM_400000_NS6detail17trampoline_kernelINS0_14default_configENS1_38merge_sort_block_merge_config_selectorIiiEEZZNS1_27merge_sort_block_merge_implIS3_N6thrust23THRUST_200600_302600_NS6detail15normal_iteratorINS8_10device_ptrIiEEEESD_jNS1_19radix_merge_compareILb1ELb0EiNS0_19identity_decomposerEEEEE10hipError_tT0_T1_T2_jT3_P12ihipStream_tbPNSt15iterator_traitsISI_E10value_typeEPNSO_ISJ_E10value_typeEPSK_NS1_7vsmem_tEENKUlT_SI_SJ_SK_E_clISD_PiSD_S10_EESH_SX_SI_SJ_SK_EUlSX_E1_NS1_11comp_targetILNS1_3genE0ELNS1_11target_archE4294967295ELNS1_3gpuE0ELNS1_3repE0EEENS1_36merge_oddeven_config_static_selectorELNS0_4arch9wavefront6targetE1EEEvSJ_.kd
    .uniform_work_group_size: 1
    .uses_dynamic_stack: false
    .vgpr_count:     10
    .vgpr_spill_count: 0
    .wavefront_size: 64
  - .agpr_count:     0
    .args:
      - .offset:         0
        .size:           48
        .value_kind:     by_value
    .group_segment_fixed_size: 0
    .kernarg_segment_align: 8
    .kernarg_segment_size: 48
    .language:       OpenCL C
    .language_version:
      - 2
      - 0
    .max_flat_workgroup_size: 256
    .name:           _ZN7rocprim17ROCPRIM_400000_NS6detail17trampoline_kernelINS0_14default_configENS1_38merge_sort_block_merge_config_selectorIiiEEZZNS1_27merge_sort_block_merge_implIS3_N6thrust23THRUST_200600_302600_NS6detail15normal_iteratorINS8_10device_ptrIiEEEESD_jNS1_19radix_merge_compareILb1ELb0EiNS0_19identity_decomposerEEEEE10hipError_tT0_T1_T2_jT3_P12ihipStream_tbPNSt15iterator_traitsISI_E10value_typeEPNSO_ISJ_E10value_typeEPSK_NS1_7vsmem_tEENKUlT_SI_SJ_SK_E_clISD_PiSD_S10_EESH_SX_SI_SJ_SK_EUlSX_E1_NS1_11comp_targetILNS1_3genE10ELNS1_11target_archE1201ELNS1_3gpuE5ELNS1_3repE0EEENS1_36merge_oddeven_config_static_selectorELNS0_4arch9wavefront6targetE1EEEvSJ_
    .private_segment_fixed_size: 0
    .sgpr_count:     6
    .sgpr_spill_count: 0
    .symbol:         _ZN7rocprim17ROCPRIM_400000_NS6detail17trampoline_kernelINS0_14default_configENS1_38merge_sort_block_merge_config_selectorIiiEEZZNS1_27merge_sort_block_merge_implIS3_N6thrust23THRUST_200600_302600_NS6detail15normal_iteratorINS8_10device_ptrIiEEEESD_jNS1_19radix_merge_compareILb1ELb0EiNS0_19identity_decomposerEEEEE10hipError_tT0_T1_T2_jT3_P12ihipStream_tbPNSt15iterator_traitsISI_E10value_typeEPNSO_ISJ_E10value_typeEPSK_NS1_7vsmem_tEENKUlT_SI_SJ_SK_E_clISD_PiSD_S10_EESH_SX_SI_SJ_SK_EUlSX_E1_NS1_11comp_targetILNS1_3genE10ELNS1_11target_archE1201ELNS1_3gpuE5ELNS1_3repE0EEENS1_36merge_oddeven_config_static_selectorELNS0_4arch9wavefront6targetE1EEEvSJ_.kd
    .uniform_work_group_size: 1
    .uses_dynamic_stack: false
    .vgpr_count:     0
    .vgpr_spill_count: 0
    .wavefront_size: 64
  - .agpr_count:     0
    .args:
      - .offset:         0
        .size:           48
        .value_kind:     by_value
    .group_segment_fixed_size: 0
    .kernarg_segment_align: 8
    .kernarg_segment_size: 48
    .language:       OpenCL C
    .language_version:
      - 2
      - 0
    .max_flat_workgroup_size: 256
    .name:           _ZN7rocprim17ROCPRIM_400000_NS6detail17trampoline_kernelINS0_14default_configENS1_38merge_sort_block_merge_config_selectorIiiEEZZNS1_27merge_sort_block_merge_implIS3_N6thrust23THRUST_200600_302600_NS6detail15normal_iteratorINS8_10device_ptrIiEEEESD_jNS1_19radix_merge_compareILb1ELb0EiNS0_19identity_decomposerEEEEE10hipError_tT0_T1_T2_jT3_P12ihipStream_tbPNSt15iterator_traitsISI_E10value_typeEPNSO_ISJ_E10value_typeEPSK_NS1_7vsmem_tEENKUlT_SI_SJ_SK_E_clISD_PiSD_S10_EESH_SX_SI_SJ_SK_EUlSX_E1_NS1_11comp_targetILNS1_3genE5ELNS1_11target_archE942ELNS1_3gpuE9ELNS1_3repE0EEENS1_36merge_oddeven_config_static_selectorELNS0_4arch9wavefront6targetE1EEEvSJ_
    .private_segment_fixed_size: 0
    .sgpr_count:     6
    .sgpr_spill_count: 0
    .symbol:         _ZN7rocprim17ROCPRIM_400000_NS6detail17trampoline_kernelINS0_14default_configENS1_38merge_sort_block_merge_config_selectorIiiEEZZNS1_27merge_sort_block_merge_implIS3_N6thrust23THRUST_200600_302600_NS6detail15normal_iteratorINS8_10device_ptrIiEEEESD_jNS1_19radix_merge_compareILb1ELb0EiNS0_19identity_decomposerEEEEE10hipError_tT0_T1_T2_jT3_P12ihipStream_tbPNSt15iterator_traitsISI_E10value_typeEPNSO_ISJ_E10value_typeEPSK_NS1_7vsmem_tEENKUlT_SI_SJ_SK_E_clISD_PiSD_S10_EESH_SX_SI_SJ_SK_EUlSX_E1_NS1_11comp_targetILNS1_3genE5ELNS1_11target_archE942ELNS1_3gpuE9ELNS1_3repE0EEENS1_36merge_oddeven_config_static_selectorELNS0_4arch9wavefront6targetE1EEEvSJ_.kd
    .uniform_work_group_size: 1
    .uses_dynamic_stack: false
    .vgpr_count:     0
    .vgpr_spill_count: 0
    .wavefront_size: 64
  - .agpr_count:     0
    .args:
      - .offset:         0
        .size:           48
        .value_kind:     by_value
    .group_segment_fixed_size: 0
    .kernarg_segment_align: 8
    .kernarg_segment_size: 48
    .language:       OpenCL C
    .language_version:
      - 2
      - 0
    .max_flat_workgroup_size: 256
    .name:           _ZN7rocprim17ROCPRIM_400000_NS6detail17trampoline_kernelINS0_14default_configENS1_38merge_sort_block_merge_config_selectorIiiEEZZNS1_27merge_sort_block_merge_implIS3_N6thrust23THRUST_200600_302600_NS6detail15normal_iteratorINS8_10device_ptrIiEEEESD_jNS1_19radix_merge_compareILb1ELb0EiNS0_19identity_decomposerEEEEE10hipError_tT0_T1_T2_jT3_P12ihipStream_tbPNSt15iterator_traitsISI_E10value_typeEPNSO_ISJ_E10value_typeEPSK_NS1_7vsmem_tEENKUlT_SI_SJ_SK_E_clISD_PiSD_S10_EESH_SX_SI_SJ_SK_EUlSX_E1_NS1_11comp_targetILNS1_3genE4ELNS1_11target_archE910ELNS1_3gpuE8ELNS1_3repE0EEENS1_36merge_oddeven_config_static_selectorELNS0_4arch9wavefront6targetE1EEEvSJ_
    .private_segment_fixed_size: 0
    .sgpr_count:     6
    .sgpr_spill_count: 0
    .symbol:         _ZN7rocprim17ROCPRIM_400000_NS6detail17trampoline_kernelINS0_14default_configENS1_38merge_sort_block_merge_config_selectorIiiEEZZNS1_27merge_sort_block_merge_implIS3_N6thrust23THRUST_200600_302600_NS6detail15normal_iteratorINS8_10device_ptrIiEEEESD_jNS1_19radix_merge_compareILb1ELb0EiNS0_19identity_decomposerEEEEE10hipError_tT0_T1_T2_jT3_P12ihipStream_tbPNSt15iterator_traitsISI_E10value_typeEPNSO_ISJ_E10value_typeEPSK_NS1_7vsmem_tEENKUlT_SI_SJ_SK_E_clISD_PiSD_S10_EESH_SX_SI_SJ_SK_EUlSX_E1_NS1_11comp_targetILNS1_3genE4ELNS1_11target_archE910ELNS1_3gpuE8ELNS1_3repE0EEENS1_36merge_oddeven_config_static_selectorELNS0_4arch9wavefront6targetE1EEEvSJ_.kd
    .uniform_work_group_size: 1
    .uses_dynamic_stack: false
    .vgpr_count:     0
    .vgpr_spill_count: 0
    .wavefront_size: 64
  - .agpr_count:     0
    .args:
      - .offset:         0
        .size:           48
        .value_kind:     by_value
    .group_segment_fixed_size: 0
    .kernarg_segment_align: 8
    .kernarg_segment_size: 48
    .language:       OpenCL C
    .language_version:
      - 2
      - 0
    .max_flat_workgroup_size: 256
    .name:           _ZN7rocprim17ROCPRIM_400000_NS6detail17trampoline_kernelINS0_14default_configENS1_38merge_sort_block_merge_config_selectorIiiEEZZNS1_27merge_sort_block_merge_implIS3_N6thrust23THRUST_200600_302600_NS6detail15normal_iteratorINS8_10device_ptrIiEEEESD_jNS1_19radix_merge_compareILb1ELb0EiNS0_19identity_decomposerEEEEE10hipError_tT0_T1_T2_jT3_P12ihipStream_tbPNSt15iterator_traitsISI_E10value_typeEPNSO_ISJ_E10value_typeEPSK_NS1_7vsmem_tEENKUlT_SI_SJ_SK_E_clISD_PiSD_S10_EESH_SX_SI_SJ_SK_EUlSX_E1_NS1_11comp_targetILNS1_3genE3ELNS1_11target_archE908ELNS1_3gpuE7ELNS1_3repE0EEENS1_36merge_oddeven_config_static_selectorELNS0_4arch9wavefront6targetE1EEEvSJ_
    .private_segment_fixed_size: 0
    .sgpr_count:     6
    .sgpr_spill_count: 0
    .symbol:         _ZN7rocprim17ROCPRIM_400000_NS6detail17trampoline_kernelINS0_14default_configENS1_38merge_sort_block_merge_config_selectorIiiEEZZNS1_27merge_sort_block_merge_implIS3_N6thrust23THRUST_200600_302600_NS6detail15normal_iteratorINS8_10device_ptrIiEEEESD_jNS1_19radix_merge_compareILb1ELb0EiNS0_19identity_decomposerEEEEE10hipError_tT0_T1_T2_jT3_P12ihipStream_tbPNSt15iterator_traitsISI_E10value_typeEPNSO_ISJ_E10value_typeEPSK_NS1_7vsmem_tEENKUlT_SI_SJ_SK_E_clISD_PiSD_S10_EESH_SX_SI_SJ_SK_EUlSX_E1_NS1_11comp_targetILNS1_3genE3ELNS1_11target_archE908ELNS1_3gpuE7ELNS1_3repE0EEENS1_36merge_oddeven_config_static_selectorELNS0_4arch9wavefront6targetE1EEEvSJ_.kd
    .uniform_work_group_size: 1
    .uses_dynamic_stack: false
    .vgpr_count:     0
    .vgpr_spill_count: 0
    .wavefront_size: 64
  - .agpr_count:     0
    .args:
      - .offset:         0
        .size:           48
        .value_kind:     by_value
    .group_segment_fixed_size: 0
    .kernarg_segment_align: 8
    .kernarg_segment_size: 48
    .language:       OpenCL C
    .language_version:
      - 2
      - 0
    .max_flat_workgroup_size: 256
    .name:           _ZN7rocprim17ROCPRIM_400000_NS6detail17trampoline_kernelINS0_14default_configENS1_38merge_sort_block_merge_config_selectorIiiEEZZNS1_27merge_sort_block_merge_implIS3_N6thrust23THRUST_200600_302600_NS6detail15normal_iteratorINS8_10device_ptrIiEEEESD_jNS1_19radix_merge_compareILb1ELb0EiNS0_19identity_decomposerEEEEE10hipError_tT0_T1_T2_jT3_P12ihipStream_tbPNSt15iterator_traitsISI_E10value_typeEPNSO_ISJ_E10value_typeEPSK_NS1_7vsmem_tEENKUlT_SI_SJ_SK_E_clISD_PiSD_S10_EESH_SX_SI_SJ_SK_EUlSX_E1_NS1_11comp_targetILNS1_3genE2ELNS1_11target_archE906ELNS1_3gpuE6ELNS1_3repE0EEENS1_36merge_oddeven_config_static_selectorELNS0_4arch9wavefront6targetE1EEEvSJ_
    .private_segment_fixed_size: 0
    .sgpr_count:     6
    .sgpr_spill_count: 0
    .symbol:         _ZN7rocprim17ROCPRIM_400000_NS6detail17trampoline_kernelINS0_14default_configENS1_38merge_sort_block_merge_config_selectorIiiEEZZNS1_27merge_sort_block_merge_implIS3_N6thrust23THRUST_200600_302600_NS6detail15normal_iteratorINS8_10device_ptrIiEEEESD_jNS1_19radix_merge_compareILb1ELb0EiNS0_19identity_decomposerEEEEE10hipError_tT0_T1_T2_jT3_P12ihipStream_tbPNSt15iterator_traitsISI_E10value_typeEPNSO_ISJ_E10value_typeEPSK_NS1_7vsmem_tEENKUlT_SI_SJ_SK_E_clISD_PiSD_S10_EESH_SX_SI_SJ_SK_EUlSX_E1_NS1_11comp_targetILNS1_3genE2ELNS1_11target_archE906ELNS1_3gpuE6ELNS1_3repE0EEENS1_36merge_oddeven_config_static_selectorELNS0_4arch9wavefront6targetE1EEEvSJ_.kd
    .uniform_work_group_size: 1
    .uses_dynamic_stack: false
    .vgpr_count:     0
    .vgpr_spill_count: 0
    .wavefront_size: 64
  - .agpr_count:     0
    .args:
      - .offset:         0
        .size:           48
        .value_kind:     by_value
    .group_segment_fixed_size: 0
    .kernarg_segment_align: 8
    .kernarg_segment_size: 48
    .language:       OpenCL C
    .language_version:
      - 2
      - 0
    .max_flat_workgroup_size: 256
    .name:           _ZN7rocprim17ROCPRIM_400000_NS6detail17trampoline_kernelINS0_14default_configENS1_38merge_sort_block_merge_config_selectorIiiEEZZNS1_27merge_sort_block_merge_implIS3_N6thrust23THRUST_200600_302600_NS6detail15normal_iteratorINS8_10device_ptrIiEEEESD_jNS1_19radix_merge_compareILb1ELb0EiNS0_19identity_decomposerEEEEE10hipError_tT0_T1_T2_jT3_P12ihipStream_tbPNSt15iterator_traitsISI_E10value_typeEPNSO_ISJ_E10value_typeEPSK_NS1_7vsmem_tEENKUlT_SI_SJ_SK_E_clISD_PiSD_S10_EESH_SX_SI_SJ_SK_EUlSX_E1_NS1_11comp_targetILNS1_3genE9ELNS1_11target_archE1100ELNS1_3gpuE3ELNS1_3repE0EEENS1_36merge_oddeven_config_static_selectorELNS0_4arch9wavefront6targetE1EEEvSJ_
    .private_segment_fixed_size: 0
    .sgpr_count:     6
    .sgpr_spill_count: 0
    .symbol:         _ZN7rocprim17ROCPRIM_400000_NS6detail17trampoline_kernelINS0_14default_configENS1_38merge_sort_block_merge_config_selectorIiiEEZZNS1_27merge_sort_block_merge_implIS3_N6thrust23THRUST_200600_302600_NS6detail15normal_iteratorINS8_10device_ptrIiEEEESD_jNS1_19radix_merge_compareILb1ELb0EiNS0_19identity_decomposerEEEEE10hipError_tT0_T1_T2_jT3_P12ihipStream_tbPNSt15iterator_traitsISI_E10value_typeEPNSO_ISJ_E10value_typeEPSK_NS1_7vsmem_tEENKUlT_SI_SJ_SK_E_clISD_PiSD_S10_EESH_SX_SI_SJ_SK_EUlSX_E1_NS1_11comp_targetILNS1_3genE9ELNS1_11target_archE1100ELNS1_3gpuE3ELNS1_3repE0EEENS1_36merge_oddeven_config_static_selectorELNS0_4arch9wavefront6targetE1EEEvSJ_.kd
    .uniform_work_group_size: 1
    .uses_dynamic_stack: false
    .vgpr_count:     0
    .vgpr_spill_count: 0
    .wavefront_size: 64
  - .agpr_count:     0
    .args:
      - .offset:         0
        .size:           48
        .value_kind:     by_value
    .group_segment_fixed_size: 0
    .kernarg_segment_align: 8
    .kernarg_segment_size: 48
    .language:       OpenCL C
    .language_version:
      - 2
      - 0
    .max_flat_workgroup_size: 256
    .name:           _ZN7rocprim17ROCPRIM_400000_NS6detail17trampoline_kernelINS0_14default_configENS1_38merge_sort_block_merge_config_selectorIiiEEZZNS1_27merge_sort_block_merge_implIS3_N6thrust23THRUST_200600_302600_NS6detail15normal_iteratorINS8_10device_ptrIiEEEESD_jNS1_19radix_merge_compareILb1ELb0EiNS0_19identity_decomposerEEEEE10hipError_tT0_T1_T2_jT3_P12ihipStream_tbPNSt15iterator_traitsISI_E10value_typeEPNSO_ISJ_E10value_typeEPSK_NS1_7vsmem_tEENKUlT_SI_SJ_SK_E_clISD_PiSD_S10_EESH_SX_SI_SJ_SK_EUlSX_E1_NS1_11comp_targetILNS1_3genE8ELNS1_11target_archE1030ELNS1_3gpuE2ELNS1_3repE0EEENS1_36merge_oddeven_config_static_selectorELNS0_4arch9wavefront6targetE1EEEvSJ_
    .private_segment_fixed_size: 0
    .sgpr_count:     6
    .sgpr_spill_count: 0
    .symbol:         _ZN7rocprim17ROCPRIM_400000_NS6detail17trampoline_kernelINS0_14default_configENS1_38merge_sort_block_merge_config_selectorIiiEEZZNS1_27merge_sort_block_merge_implIS3_N6thrust23THRUST_200600_302600_NS6detail15normal_iteratorINS8_10device_ptrIiEEEESD_jNS1_19radix_merge_compareILb1ELb0EiNS0_19identity_decomposerEEEEE10hipError_tT0_T1_T2_jT3_P12ihipStream_tbPNSt15iterator_traitsISI_E10value_typeEPNSO_ISJ_E10value_typeEPSK_NS1_7vsmem_tEENKUlT_SI_SJ_SK_E_clISD_PiSD_S10_EESH_SX_SI_SJ_SK_EUlSX_E1_NS1_11comp_targetILNS1_3genE8ELNS1_11target_archE1030ELNS1_3gpuE2ELNS1_3repE0EEENS1_36merge_oddeven_config_static_selectorELNS0_4arch9wavefront6targetE1EEEvSJ_.kd
    .uniform_work_group_size: 1
    .uses_dynamic_stack: false
    .vgpr_count:     0
    .vgpr_spill_count: 0
    .wavefront_size: 64
  - .agpr_count:     0
    .args:
      - .offset:         0
        .size:           40
        .value_kind:     by_value
    .group_segment_fixed_size: 0
    .kernarg_segment_align: 8
    .kernarg_segment_size: 40
    .language:       OpenCL C
    .language_version:
      - 2
      - 0
    .max_flat_workgroup_size: 128
    .name:           _ZN7rocprim17ROCPRIM_400000_NS6detail17trampoline_kernelINS0_14default_configENS1_38merge_sort_block_merge_config_selectorIiiEEZZNS1_27merge_sort_block_merge_implIS3_N6thrust23THRUST_200600_302600_NS6detail15normal_iteratorINS8_10device_ptrIiEEEESD_jNS1_19radix_merge_compareILb1ELb1EiNS0_19identity_decomposerEEEEE10hipError_tT0_T1_T2_jT3_P12ihipStream_tbPNSt15iterator_traitsISI_E10value_typeEPNSO_ISJ_E10value_typeEPSK_NS1_7vsmem_tEENKUlT_SI_SJ_SK_E_clIPiSD_S10_SD_EESH_SX_SI_SJ_SK_EUlSX_E_NS1_11comp_targetILNS1_3genE0ELNS1_11target_archE4294967295ELNS1_3gpuE0ELNS1_3repE0EEENS1_48merge_mergepath_partition_config_static_selectorELNS0_4arch9wavefront6targetE1EEEvSJ_
    .private_segment_fixed_size: 0
    .sgpr_count:     16
    .sgpr_spill_count: 0
    .symbol:         _ZN7rocprim17ROCPRIM_400000_NS6detail17trampoline_kernelINS0_14default_configENS1_38merge_sort_block_merge_config_selectorIiiEEZZNS1_27merge_sort_block_merge_implIS3_N6thrust23THRUST_200600_302600_NS6detail15normal_iteratorINS8_10device_ptrIiEEEESD_jNS1_19radix_merge_compareILb1ELb1EiNS0_19identity_decomposerEEEEE10hipError_tT0_T1_T2_jT3_P12ihipStream_tbPNSt15iterator_traitsISI_E10value_typeEPNSO_ISJ_E10value_typeEPSK_NS1_7vsmem_tEENKUlT_SI_SJ_SK_E_clIPiSD_S10_SD_EESH_SX_SI_SJ_SK_EUlSX_E_NS1_11comp_targetILNS1_3genE0ELNS1_11target_archE4294967295ELNS1_3gpuE0ELNS1_3repE0EEENS1_48merge_mergepath_partition_config_static_selectorELNS0_4arch9wavefront6targetE1EEEvSJ_.kd
    .uniform_work_group_size: 1
    .uses_dynamic_stack: false
    .vgpr_count:     17
    .vgpr_spill_count: 0
    .wavefront_size: 64
  - .agpr_count:     0
    .args:
      - .offset:         0
        .size:           40
        .value_kind:     by_value
    .group_segment_fixed_size: 0
    .kernarg_segment_align: 8
    .kernarg_segment_size: 40
    .language:       OpenCL C
    .language_version:
      - 2
      - 0
    .max_flat_workgroup_size: 128
    .name:           _ZN7rocprim17ROCPRIM_400000_NS6detail17trampoline_kernelINS0_14default_configENS1_38merge_sort_block_merge_config_selectorIiiEEZZNS1_27merge_sort_block_merge_implIS3_N6thrust23THRUST_200600_302600_NS6detail15normal_iteratorINS8_10device_ptrIiEEEESD_jNS1_19radix_merge_compareILb1ELb1EiNS0_19identity_decomposerEEEEE10hipError_tT0_T1_T2_jT3_P12ihipStream_tbPNSt15iterator_traitsISI_E10value_typeEPNSO_ISJ_E10value_typeEPSK_NS1_7vsmem_tEENKUlT_SI_SJ_SK_E_clIPiSD_S10_SD_EESH_SX_SI_SJ_SK_EUlSX_E_NS1_11comp_targetILNS1_3genE10ELNS1_11target_archE1201ELNS1_3gpuE5ELNS1_3repE0EEENS1_48merge_mergepath_partition_config_static_selectorELNS0_4arch9wavefront6targetE1EEEvSJ_
    .private_segment_fixed_size: 0
    .sgpr_count:     6
    .sgpr_spill_count: 0
    .symbol:         _ZN7rocprim17ROCPRIM_400000_NS6detail17trampoline_kernelINS0_14default_configENS1_38merge_sort_block_merge_config_selectorIiiEEZZNS1_27merge_sort_block_merge_implIS3_N6thrust23THRUST_200600_302600_NS6detail15normal_iteratorINS8_10device_ptrIiEEEESD_jNS1_19radix_merge_compareILb1ELb1EiNS0_19identity_decomposerEEEEE10hipError_tT0_T1_T2_jT3_P12ihipStream_tbPNSt15iterator_traitsISI_E10value_typeEPNSO_ISJ_E10value_typeEPSK_NS1_7vsmem_tEENKUlT_SI_SJ_SK_E_clIPiSD_S10_SD_EESH_SX_SI_SJ_SK_EUlSX_E_NS1_11comp_targetILNS1_3genE10ELNS1_11target_archE1201ELNS1_3gpuE5ELNS1_3repE0EEENS1_48merge_mergepath_partition_config_static_selectorELNS0_4arch9wavefront6targetE1EEEvSJ_.kd
    .uniform_work_group_size: 1
    .uses_dynamic_stack: false
    .vgpr_count:     0
    .vgpr_spill_count: 0
    .wavefront_size: 64
  - .agpr_count:     0
    .args:
      - .offset:         0
        .size:           40
        .value_kind:     by_value
    .group_segment_fixed_size: 0
    .kernarg_segment_align: 8
    .kernarg_segment_size: 40
    .language:       OpenCL C
    .language_version:
      - 2
      - 0
    .max_flat_workgroup_size: 128
    .name:           _ZN7rocprim17ROCPRIM_400000_NS6detail17trampoline_kernelINS0_14default_configENS1_38merge_sort_block_merge_config_selectorIiiEEZZNS1_27merge_sort_block_merge_implIS3_N6thrust23THRUST_200600_302600_NS6detail15normal_iteratorINS8_10device_ptrIiEEEESD_jNS1_19radix_merge_compareILb1ELb1EiNS0_19identity_decomposerEEEEE10hipError_tT0_T1_T2_jT3_P12ihipStream_tbPNSt15iterator_traitsISI_E10value_typeEPNSO_ISJ_E10value_typeEPSK_NS1_7vsmem_tEENKUlT_SI_SJ_SK_E_clIPiSD_S10_SD_EESH_SX_SI_SJ_SK_EUlSX_E_NS1_11comp_targetILNS1_3genE5ELNS1_11target_archE942ELNS1_3gpuE9ELNS1_3repE0EEENS1_48merge_mergepath_partition_config_static_selectorELNS0_4arch9wavefront6targetE1EEEvSJ_
    .private_segment_fixed_size: 0
    .sgpr_count:     6
    .sgpr_spill_count: 0
    .symbol:         _ZN7rocprim17ROCPRIM_400000_NS6detail17trampoline_kernelINS0_14default_configENS1_38merge_sort_block_merge_config_selectorIiiEEZZNS1_27merge_sort_block_merge_implIS3_N6thrust23THRUST_200600_302600_NS6detail15normal_iteratorINS8_10device_ptrIiEEEESD_jNS1_19radix_merge_compareILb1ELb1EiNS0_19identity_decomposerEEEEE10hipError_tT0_T1_T2_jT3_P12ihipStream_tbPNSt15iterator_traitsISI_E10value_typeEPNSO_ISJ_E10value_typeEPSK_NS1_7vsmem_tEENKUlT_SI_SJ_SK_E_clIPiSD_S10_SD_EESH_SX_SI_SJ_SK_EUlSX_E_NS1_11comp_targetILNS1_3genE5ELNS1_11target_archE942ELNS1_3gpuE9ELNS1_3repE0EEENS1_48merge_mergepath_partition_config_static_selectorELNS0_4arch9wavefront6targetE1EEEvSJ_.kd
    .uniform_work_group_size: 1
    .uses_dynamic_stack: false
    .vgpr_count:     0
    .vgpr_spill_count: 0
    .wavefront_size: 64
  - .agpr_count:     0
    .args:
      - .offset:         0
        .size:           40
        .value_kind:     by_value
    .group_segment_fixed_size: 0
    .kernarg_segment_align: 8
    .kernarg_segment_size: 40
    .language:       OpenCL C
    .language_version:
      - 2
      - 0
    .max_flat_workgroup_size: 128
    .name:           _ZN7rocprim17ROCPRIM_400000_NS6detail17trampoline_kernelINS0_14default_configENS1_38merge_sort_block_merge_config_selectorIiiEEZZNS1_27merge_sort_block_merge_implIS3_N6thrust23THRUST_200600_302600_NS6detail15normal_iteratorINS8_10device_ptrIiEEEESD_jNS1_19radix_merge_compareILb1ELb1EiNS0_19identity_decomposerEEEEE10hipError_tT0_T1_T2_jT3_P12ihipStream_tbPNSt15iterator_traitsISI_E10value_typeEPNSO_ISJ_E10value_typeEPSK_NS1_7vsmem_tEENKUlT_SI_SJ_SK_E_clIPiSD_S10_SD_EESH_SX_SI_SJ_SK_EUlSX_E_NS1_11comp_targetILNS1_3genE4ELNS1_11target_archE910ELNS1_3gpuE8ELNS1_3repE0EEENS1_48merge_mergepath_partition_config_static_selectorELNS0_4arch9wavefront6targetE1EEEvSJ_
    .private_segment_fixed_size: 0
    .sgpr_count:     6
    .sgpr_spill_count: 0
    .symbol:         _ZN7rocprim17ROCPRIM_400000_NS6detail17trampoline_kernelINS0_14default_configENS1_38merge_sort_block_merge_config_selectorIiiEEZZNS1_27merge_sort_block_merge_implIS3_N6thrust23THRUST_200600_302600_NS6detail15normal_iteratorINS8_10device_ptrIiEEEESD_jNS1_19radix_merge_compareILb1ELb1EiNS0_19identity_decomposerEEEEE10hipError_tT0_T1_T2_jT3_P12ihipStream_tbPNSt15iterator_traitsISI_E10value_typeEPNSO_ISJ_E10value_typeEPSK_NS1_7vsmem_tEENKUlT_SI_SJ_SK_E_clIPiSD_S10_SD_EESH_SX_SI_SJ_SK_EUlSX_E_NS1_11comp_targetILNS1_3genE4ELNS1_11target_archE910ELNS1_3gpuE8ELNS1_3repE0EEENS1_48merge_mergepath_partition_config_static_selectorELNS0_4arch9wavefront6targetE1EEEvSJ_.kd
    .uniform_work_group_size: 1
    .uses_dynamic_stack: false
    .vgpr_count:     0
    .vgpr_spill_count: 0
    .wavefront_size: 64
  - .agpr_count:     0
    .args:
      - .offset:         0
        .size:           40
        .value_kind:     by_value
    .group_segment_fixed_size: 0
    .kernarg_segment_align: 8
    .kernarg_segment_size: 40
    .language:       OpenCL C
    .language_version:
      - 2
      - 0
    .max_flat_workgroup_size: 128
    .name:           _ZN7rocprim17ROCPRIM_400000_NS6detail17trampoline_kernelINS0_14default_configENS1_38merge_sort_block_merge_config_selectorIiiEEZZNS1_27merge_sort_block_merge_implIS3_N6thrust23THRUST_200600_302600_NS6detail15normal_iteratorINS8_10device_ptrIiEEEESD_jNS1_19radix_merge_compareILb1ELb1EiNS0_19identity_decomposerEEEEE10hipError_tT0_T1_T2_jT3_P12ihipStream_tbPNSt15iterator_traitsISI_E10value_typeEPNSO_ISJ_E10value_typeEPSK_NS1_7vsmem_tEENKUlT_SI_SJ_SK_E_clIPiSD_S10_SD_EESH_SX_SI_SJ_SK_EUlSX_E_NS1_11comp_targetILNS1_3genE3ELNS1_11target_archE908ELNS1_3gpuE7ELNS1_3repE0EEENS1_48merge_mergepath_partition_config_static_selectorELNS0_4arch9wavefront6targetE1EEEvSJ_
    .private_segment_fixed_size: 0
    .sgpr_count:     6
    .sgpr_spill_count: 0
    .symbol:         _ZN7rocprim17ROCPRIM_400000_NS6detail17trampoline_kernelINS0_14default_configENS1_38merge_sort_block_merge_config_selectorIiiEEZZNS1_27merge_sort_block_merge_implIS3_N6thrust23THRUST_200600_302600_NS6detail15normal_iteratorINS8_10device_ptrIiEEEESD_jNS1_19radix_merge_compareILb1ELb1EiNS0_19identity_decomposerEEEEE10hipError_tT0_T1_T2_jT3_P12ihipStream_tbPNSt15iterator_traitsISI_E10value_typeEPNSO_ISJ_E10value_typeEPSK_NS1_7vsmem_tEENKUlT_SI_SJ_SK_E_clIPiSD_S10_SD_EESH_SX_SI_SJ_SK_EUlSX_E_NS1_11comp_targetILNS1_3genE3ELNS1_11target_archE908ELNS1_3gpuE7ELNS1_3repE0EEENS1_48merge_mergepath_partition_config_static_selectorELNS0_4arch9wavefront6targetE1EEEvSJ_.kd
    .uniform_work_group_size: 1
    .uses_dynamic_stack: false
    .vgpr_count:     0
    .vgpr_spill_count: 0
    .wavefront_size: 64
  - .agpr_count:     0
    .args:
      - .offset:         0
        .size:           40
        .value_kind:     by_value
    .group_segment_fixed_size: 0
    .kernarg_segment_align: 8
    .kernarg_segment_size: 40
    .language:       OpenCL C
    .language_version:
      - 2
      - 0
    .max_flat_workgroup_size: 128
    .name:           _ZN7rocprim17ROCPRIM_400000_NS6detail17trampoline_kernelINS0_14default_configENS1_38merge_sort_block_merge_config_selectorIiiEEZZNS1_27merge_sort_block_merge_implIS3_N6thrust23THRUST_200600_302600_NS6detail15normal_iteratorINS8_10device_ptrIiEEEESD_jNS1_19radix_merge_compareILb1ELb1EiNS0_19identity_decomposerEEEEE10hipError_tT0_T1_T2_jT3_P12ihipStream_tbPNSt15iterator_traitsISI_E10value_typeEPNSO_ISJ_E10value_typeEPSK_NS1_7vsmem_tEENKUlT_SI_SJ_SK_E_clIPiSD_S10_SD_EESH_SX_SI_SJ_SK_EUlSX_E_NS1_11comp_targetILNS1_3genE2ELNS1_11target_archE906ELNS1_3gpuE6ELNS1_3repE0EEENS1_48merge_mergepath_partition_config_static_selectorELNS0_4arch9wavefront6targetE1EEEvSJ_
    .private_segment_fixed_size: 0
    .sgpr_count:     6
    .sgpr_spill_count: 0
    .symbol:         _ZN7rocprim17ROCPRIM_400000_NS6detail17trampoline_kernelINS0_14default_configENS1_38merge_sort_block_merge_config_selectorIiiEEZZNS1_27merge_sort_block_merge_implIS3_N6thrust23THRUST_200600_302600_NS6detail15normal_iteratorINS8_10device_ptrIiEEEESD_jNS1_19radix_merge_compareILb1ELb1EiNS0_19identity_decomposerEEEEE10hipError_tT0_T1_T2_jT3_P12ihipStream_tbPNSt15iterator_traitsISI_E10value_typeEPNSO_ISJ_E10value_typeEPSK_NS1_7vsmem_tEENKUlT_SI_SJ_SK_E_clIPiSD_S10_SD_EESH_SX_SI_SJ_SK_EUlSX_E_NS1_11comp_targetILNS1_3genE2ELNS1_11target_archE906ELNS1_3gpuE6ELNS1_3repE0EEENS1_48merge_mergepath_partition_config_static_selectorELNS0_4arch9wavefront6targetE1EEEvSJ_.kd
    .uniform_work_group_size: 1
    .uses_dynamic_stack: false
    .vgpr_count:     0
    .vgpr_spill_count: 0
    .wavefront_size: 64
  - .agpr_count:     0
    .args:
      - .offset:         0
        .size:           40
        .value_kind:     by_value
    .group_segment_fixed_size: 0
    .kernarg_segment_align: 8
    .kernarg_segment_size: 40
    .language:       OpenCL C
    .language_version:
      - 2
      - 0
    .max_flat_workgroup_size: 128
    .name:           _ZN7rocprim17ROCPRIM_400000_NS6detail17trampoline_kernelINS0_14default_configENS1_38merge_sort_block_merge_config_selectorIiiEEZZNS1_27merge_sort_block_merge_implIS3_N6thrust23THRUST_200600_302600_NS6detail15normal_iteratorINS8_10device_ptrIiEEEESD_jNS1_19radix_merge_compareILb1ELb1EiNS0_19identity_decomposerEEEEE10hipError_tT0_T1_T2_jT3_P12ihipStream_tbPNSt15iterator_traitsISI_E10value_typeEPNSO_ISJ_E10value_typeEPSK_NS1_7vsmem_tEENKUlT_SI_SJ_SK_E_clIPiSD_S10_SD_EESH_SX_SI_SJ_SK_EUlSX_E_NS1_11comp_targetILNS1_3genE9ELNS1_11target_archE1100ELNS1_3gpuE3ELNS1_3repE0EEENS1_48merge_mergepath_partition_config_static_selectorELNS0_4arch9wavefront6targetE1EEEvSJ_
    .private_segment_fixed_size: 0
    .sgpr_count:     6
    .sgpr_spill_count: 0
    .symbol:         _ZN7rocprim17ROCPRIM_400000_NS6detail17trampoline_kernelINS0_14default_configENS1_38merge_sort_block_merge_config_selectorIiiEEZZNS1_27merge_sort_block_merge_implIS3_N6thrust23THRUST_200600_302600_NS6detail15normal_iteratorINS8_10device_ptrIiEEEESD_jNS1_19radix_merge_compareILb1ELb1EiNS0_19identity_decomposerEEEEE10hipError_tT0_T1_T2_jT3_P12ihipStream_tbPNSt15iterator_traitsISI_E10value_typeEPNSO_ISJ_E10value_typeEPSK_NS1_7vsmem_tEENKUlT_SI_SJ_SK_E_clIPiSD_S10_SD_EESH_SX_SI_SJ_SK_EUlSX_E_NS1_11comp_targetILNS1_3genE9ELNS1_11target_archE1100ELNS1_3gpuE3ELNS1_3repE0EEENS1_48merge_mergepath_partition_config_static_selectorELNS0_4arch9wavefront6targetE1EEEvSJ_.kd
    .uniform_work_group_size: 1
    .uses_dynamic_stack: false
    .vgpr_count:     0
    .vgpr_spill_count: 0
    .wavefront_size: 64
  - .agpr_count:     0
    .args:
      - .offset:         0
        .size:           40
        .value_kind:     by_value
    .group_segment_fixed_size: 0
    .kernarg_segment_align: 8
    .kernarg_segment_size: 40
    .language:       OpenCL C
    .language_version:
      - 2
      - 0
    .max_flat_workgroup_size: 128
    .name:           _ZN7rocprim17ROCPRIM_400000_NS6detail17trampoline_kernelINS0_14default_configENS1_38merge_sort_block_merge_config_selectorIiiEEZZNS1_27merge_sort_block_merge_implIS3_N6thrust23THRUST_200600_302600_NS6detail15normal_iteratorINS8_10device_ptrIiEEEESD_jNS1_19radix_merge_compareILb1ELb1EiNS0_19identity_decomposerEEEEE10hipError_tT0_T1_T2_jT3_P12ihipStream_tbPNSt15iterator_traitsISI_E10value_typeEPNSO_ISJ_E10value_typeEPSK_NS1_7vsmem_tEENKUlT_SI_SJ_SK_E_clIPiSD_S10_SD_EESH_SX_SI_SJ_SK_EUlSX_E_NS1_11comp_targetILNS1_3genE8ELNS1_11target_archE1030ELNS1_3gpuE2ELNS1_3repE0EEENS1_48merge_mergepath_partition_config_static_selectorELNS0_4arch9wavefront6targetE1EEEvSJ_
    .private_segment_fixed_size: 0
    .sgpr_count:     6
    .sgpr_spill_count: 0
    .symbol:         _ZN7rocprim17ROCPRIM_400000_NS6detail17trampoline_kernelINS0_14default_configENS1_38merge_sort_block_merge_config_selectorIiiEEZZNS1_27merge_sort_block_merge_implIS3_N6thrust23THRUST_200600_302600_NS6detail15normal_iteratorINS8_10device_ptrIiEEEESD_jNS1_19radix_merge_compareILb1ELb1EiNS0_19identity_decomposerEEEEE10hipError_tT0_T1_T2_jT3_P12ihipStream_tbPNSt15iterator_traitsISI_E10value_typeEPNSO_ISJ_E10value_typeEPSK_NS1_7vsmem_tEENKUlT_SI_SJ_SK_E_clIPiSD_S10_SD_EESH_SX_SI_SJ_SK_EUlSX_E_NS1_11comp_targetILNS1_3genE8ELNS1_11target_archE1030ELNS1_3gpuE2ELNS1_3repE0EEENS1_48merge_mergepath_partition_config_static_selectorELNS0_4arch9wavefront6targetE1EEEvSJ_.kd
    .uniform_work_group_size: 1
    .uses_dynamic_stack: false
    .vgpr_count:     0
    .vgpr_spill_count: 0
    .wavefront_size: 64
  - .agpr_count:     0
    .args:
      - .offset:         0
        .size:           64
        .value_kind:     by_value
      - .offset:         64
        .size:           4
        .value_kind:     hidden_block_count_x
      - .offset:         68
        .size:           4
        .value_kind:     hidden_block_count_y
      - .offset:         72
        .size:           4
        .value_kind:     hidden_block_count_z
      - .offset:         76
        .size:           2
        .value_kind:     hidden_group_size_x
      - .offset:         78
        .size:           2
        .value_kind:     hidden_group_size_y
      - .offset:         80
        .size:           2
        .value_kind:     hidden_group_size_z
      - .offset:         82
        .size:           2
        .value_kind:     hidden_remainder_x
      - .offset:         84
        .size:           2
        .value_kind:     hidden_remainder_y
      - .offset:         86
        .size:           2
        .value_kind:     hidden_remainder_z
      - .offset:         104
        .size:           8
        .value_kind:     hidden_global_offset_x
      - .offset:         112
        .size:           8
        .value_kind:     hidden_global_offset_y
      - .offset:         120
        .size:           8
        .value_kind:     hidden_global_offset_z
      - .offset:         128
        .size:           2
        .value_kind:     hidden_grid_dims
    .group_segment_fixed_size: 4224
    .kernarg_segment_align: 8
    .kernarg_segment_size: 320
    .language:       OpenCL C
    .language_version:
      - 2
      - 0
    .max_flat_workgroup_size: 256
    .name:           _ZN7rocprim17ROCPRIM_400000_NS6detail17trampoline_kernelINS0_14default_configENS1_38merge_sort_block_merge_config_selectorIiiEEZZNS1_27merge_sort_block_merge_implIS3_N6thrust23THRUST_200600_302600_NS6detail15normal_iteratorINS8_10device_ptrIiEEEESD_jNS1_19radix_merge_compareILb1ELb1EiNS0_19identity_decomposerEEEEE10hipError_tT0_T1_T2_jT3_P12ihipStream_tbPNSt15iterator_traitsISI_E10value_typeEPNSO_ISJ_E10value_typeEPSK_NS1_7vsmem_tEENKUlT_SI_SJ_SK_E_clIPiSD_S10_SD_EESH_SX_SI_SJ_SK_EUlSX_E0_NS1_11comp_targetILNS1_3genE0ELNS1_11target_archE4294967295ELNS1_3gpuE0ELNS1_3repE0EEENS1_38merge_mergepath_config_static_selectorELNS0_4arch9wavefront6targetE1EEEvSJ_
    .private_segment_fixed_size: 0
    .sgpr_count:     37
    .sgpr_spill_count: 0
    .symbol:         _ZN7rocprim17ROCPRIM_400000_NS6detail17trampoline_kernelINS0_14default_configENS1_38merge_sort_block_merge_config_selectorIiiEEZZNS1_27merge_sort_block_merge_implIS3_N6thrust23THRUST_200600_302600_NS6detail15normal_iteratorINS8_10device_ptrIiEEEESD_jNS1_19radix_merge_compareILb1ELb1EiNS0_19identity_decomposerEEEEE10hipError_tT0_T1_T2_jT3_P12ihipStream_tbPNSt15iterator_traitsISI_E10value_typeEPNSO_ISJ_E10value_typeEPSK_NS1_7vsmem_tEENKUlT_SI_SJ_SK_E_clIPiSD_S10_SD_EESH_SX_SI_SJ_SK_EUlSX_E0_NS1_11comp_targetILNS1_3genE0ELNS1_11target_archE4294967295ELNS1_3gpuE0ELNS1_3repE0EEENS1_38merge_mergepath_config_static_selectorELNS0_4arch9wavefront6targetE1EEEvSJ_.kd
    .uniform_work_group_size: 1
    .uses_dynamic_stack: false
    .vgpr_count:     20
    .vgpr_spill_count: 0
    .wavefront_size: 64
  - .agpr_count:     0
    .args:
      - .offset:         0
        .size:           64
        .value_kind:     by_value
    .group_segment_fixed_size: 0
    .kernarg_segment_align: 8
    .kernarg_segment_size: 64
    .language:       OpenCL C
    .language_version:
      - 2
      - 0
    .max_flat_workgroup_size: 256
    .name:           _ZN7rocprim17ROCPRIM_400000_NS6detail17trampoline_kernelINS0_14default_configENS1_38merge_sort_block_merge_config_selectorIiiEEZZNS1_27merge_sort_block_merge_implIS3_N6thrust23THRUST_200600_302600_NS6detail15normal_iteratorINS8_10device_ptrIiEEEESD_jNS1_19radix_merge_compareILb1ELb1EiNS0_19identity_decomposerEEEEE10hipError_tT0_T1_T2_jT3_P12ihipStream_tbPNSt15iterator_traitsISI_E10value_typeEPNSO_ISJ_E10value_typeEPSK_NS1_7vsmem_tEENKUlT_SI_SJ_SK_E_clIPiSD_S10_SD_EESH_SX_SI_SJ_SK_EUlSX_E0_NS1_11comp_targetILNS1_3genE10ELNS1_11target_archE1201ELNS1_3gpuE5ELNS1_3repE0EEENS1_38merge_mergepath_config_static_selectorELNS0_4arch9wavefront6targetE1EEEvSJ_
    .private_segment_fixed_size: 0
    .sgpr_count:     6
    .sgpr_spill_count: 0
    .symbol:         _ZN7rocprim17ROCPRIM_400000_NS6detail17trampoline_kernelINS0_14default_configENS1_38merge_sort_block_merge_config_selectorIiiEEZZNS1_27merge_sort_block_merge_implIS3_N6thrust23THRUST_200600_302600_NS6detail15normal_iteratorINS8_10device_ptrIiEEEESD_jNS1_19radix_merge_compareILb1ELb1EiNS0_19identity_decomposerEEEEE10hipError_tT0_T1_T2_jT3_P12ihipStream_tbPNSt15iterator_traitsISI_E10value_typeEPNSO_ISJ_E10value_typeEPSK_NS1_7vsmem_tEENKUlT_SI_SJ_SK_E_clIPiSD_S10_SD_EESH_SX_SI_SJ_SK_EUlSX_E0_NS1_11comp_targetILNS1_3genE10ELNS1_11target_archE1201ELNS1_3gpuE5ELNS1_3repE0EEENS1_38merge_mergepath_config_static_selectorELNS0_4arch9wavefront6targetE1EEEvSJ_.kd
    .uniform_work_group_size: 1
    .uses_dynamic_stack: false
    .vgpr_count:     0
    .vgpr_spill_count: 0
    .wavefront_size: 64
  - .agpr_count:     0
    .args:
      - .offset:         0
        .size:           64
        .value_kind:     by_value
    .group_segment_fixed_size: 0
    .kernarg_segment_align: 8
    .kernarg_segment_size: 64
    .language:       OpenCL C
    .language_version:
      - 2
      - 0
    .max_flat_workgroup_size: 128
    .name:           _ZN7rocprim17ROCPRIM_400000_NS6detail17trampoline_kernelINS0_14default_configENS1_38merge_sort_block_merge_config_selectorIiiEEZZNS1_27merge_sort_block_merge_implIS3_N6thrust23THRUST_200600_302600_NS6detail15normal_iteratorINS8_10device_ptrIiEEEESD_jNS1_19radix_merge_compareILb1ELb1EiNS0_19identity_decomposerEEEEE10hipError_tT0_T1_T2_jT3_P12ihipStream_tbPNSt15iterator_traitsISI_E10value_typeEPNSO_ISJ_E10value_typeEPSK_NS1_7vsmem_tEENKUlT_SI_SJ_SK_E_clIPiSD_S10_SD_EESH_SX_SI_SJ_SK_EUlSX_E0_NS1_11comp_targetILNS1_3genE5ELNS1_11target_archE942ELNS1_3gpuE9ELNS1_3repE0EEENS1_38merge_mergepath_config_static_selectorELNS0_4arch9wavefront6targetE1EEEvSJ_
    .private_segment_fixed_size: 0
    .sgpr_count:     6
    .sgpr_spill_count: 0
    .symbol:         _ZN7rocprim17ROCPRIM_400000_NS6detail17trampoline_kernelINS0_14default_configENS1_38merge_sort_block_merge_config_selectorIiiEEZZNS1_27merge_sort_block_merge_implIS3_N6thrust23THRUST_200600_302600_NS6detail15normal_iteratorINS8_10device_ptrIiEEEESD_jNS1_19radix_merge_compareILb1ELb1EiNS0_19identity_decomposerEEEEE10hipError_tT0_T1_T2_jT3_P12ihipStream_tbPNSt15iterator_traitsISI_E10value_typeEPNSO_ISJ_E10value_typeEPSK_NS1_7vsmem_tEENKUlT_SI_SJ_SK_E_clIPiSD_S10_SD_EESH_SX_SI_SJ_SK_EUlSX_E0_NS1_11comp_targetILNS1_3genE5ELNS1_11target_archE942ELNS1_3gpuE9ELNS1_3repE0EEENS1_38merge_mergepath_config_static_selectorELNS0_4arch9wavefront6targetE1EEEvSJ_.kd
    .uniform_work_group_size: 1
    .uses_dynamic_stack: false
    .vgpr_count:     0
    .vgpr_spill_count: 0
    .wavefront_size: 64
  - .agpr_count:     0
    .args:
      - .offset:         0
        .size:           64
        .value_kind:     by_value
    .group_segment_fixed_size: 0
    .kernarg_segment_align: 8
    .kernarg_segment_size: 64
    .language:       OpenCL C
    .language_version:
      - 2
      - 0
    .max_flat_workgroup_size: 256
    .name:           _ZN7rocprim17ROCPRIM_400000_NS6detail17trampoline_kernelINS0_14default_configENS1_38merge_sort_block_merge_config_selectorIiiEEZZNS1_27merge_sort_block_merge_implIS3_N6thrust23THRUST_200600_302600_NS6detail15normal_iteratorINS8_10device_ptrIiEEEESD_jNS1_19radix_merge_compareILb1ELb1EiNS0_19identity_decomposerEEEEE10hipError_tT0_T1_T2_jT3_P12ihipStream_tbPNSt15iterator_traitsISI_E10value_typeEPNSO_ISJ_E10value_typeEPSK_NS1_7vsmem_tEENKUlT_SI_SJ_SK_E_clIPiSD_S10_SD_EESH_SX_SI_SJ_SK_EUlSX_E0_NS1_11comp_targetILNS1_3genE4ELNS1_11target_archE910ELNS1_3gpuE8ELNS1_3repE0EEENS1_38merge_mergepath_config_static_selectorELNS0_4arch9wavefront6targetE1EEEvSJ_
    .private_segment_fixed_size: 0
    .sgpr_count:     6
    .sgpr_spill_count: 0
    .symbol:         _ZN7rocprim17ROCPRIM_400000_NS6detail17trampoline_kernelINS0_14default_configENS1_38merge_sort_block_merge_config_selectorIiiEEZZNS1_27merge_sort_block_merge_implIS3_N6thrust23THRUST_200600_302600_NS6detail15normal_iteratorINS8_10device_ptrIiEEEESD_jNS1_19radix_merge_compareILb1ELb1EiNS0_19identity_decomposerEEEEE10hipError_tT0_T1_T2_jT3_P12ihipStream_tbPNSt15iterator_traitsISI_E10value_typeEPNSO_ISJ_E10value_typeEPSK_NS1_7vsmem_tEENKUlT_SI_SJ_SK_E_clIPiSD_S10_SD_EESH_SX_SI_SJ_SK_EUlSX_E0_NS1_11comp_targetILNS1_3genE4ELNS1_11target_archE910ELNS1_3gpuE8ELNS1_3repE0EEENS1_38merge_mergepath_config_static_selectorELNS0_4arch9wavefront6targetE1EEEvSJ_.kd
    .uniform_work_group_size: 1
    .uses_dynamic_stack: false
    .vgpr_count:     0
    .vgpr_spill_count: 0
    .wavefront_size: 64
  - .agpr_count:     0
    .args:
      - .offset:         0
        .size:           64
        .value_kind:     by_value
    .group_segment_fixed_size: 0
    .kernarg_segment_align: 8
    .kernarg_segment_size: 64
    .language:       OpenCL C
    .language_version:
      - 2
      - 0
    .max_flat_workgroup_size: 256
    .name:           _ZN7rocprim17ROCPRIM_400000_NS6detail17trampoline_kernelINS0_14default_configENS1_38merge_sort_block_merge_config_selectorIiiEEZZNS1_27merge_sort_block_merge_implIS3_N6thrust23THRUST_200600_302600_NS6detail15normal_iteratorINS8_10device_ptrIiEEEESD_jNS1_19radix_merge_compareILb1ELb1EiNS0_19identity_decomposerEEEEE10hipError_tT0_T1_T2_jT3_P12ihipStream_tbPNSt15iterator_traitsISI_E10value_typeEPNSO_ISJ_E10value_typeEPSK_NS1_7vsmem_tEENKUlT_SI_SJ_SK_E_clIPiSD_S10_SD_EESH_SX_SI_SJ_SK_EUlSX_E0_NS1_11comp_targetILNS1_3genE3ELNS1_11target_archE908ELNS1_3gpuE7ELNS1_3repE0EEENS1_38merge_mergepath_config_static_selectorELNS0_4arch9wavefront6targetE1EEEvSJ_
    .private_segment_fixed_size: 0
    .sgpr_count:     6
    .sgpr_spill_count: 0
    .symbol:         _ZN7rocprim17ROCPRIM_400000_NS6detail17trampoline_kernelINS0_14default_configENS1_38merge_sort_block_merge_config_selectorIiiEEZZNS1_27merge_sort_block_merge_implIS3_N6thrust23THRUST_200600_302600_NS6detail15normal_iteratorINS8_10device_ptrIiEEEESD_jNS1_19radix_merge_compareILb1ELb1EiNS0_19identity_decomposerEEEEE10hipError_tT0_T1_T2_jT3_P12ihipStream_tbPNSt15iterator_traitsISI_E10value_typeEPNSO_ISJ_E10value_typeEPSK_NS1_7vsmem_tEENKUlT_SI_SJ_SK_E_clIPiSD_S10_SD_EESH_SX_SI_SJ_SK_EUlSX_E0_NS1_11comp_targetILNS1_3genE3ELNS1_11target_archE908ELNS1_3gpuE7ELNS1_3repE0EEENS1_38merge_mergepath_config_static_selectorELNS0_4arch9wavefront6targetE1EEEvSJ_.kd
    .uniform_work_group_size: 1
    .uses_dynamic_stack: false
    .vgpr_count:     0
    .vgpr_spill_count: 0
    .wavefront_size: 64
  - .agpr_count:     0
    .args:
      - .offset:         0
        .size:           64
        .value_kind:     by_value
    .group_segment_fixed_size: 0
    .kernarg_segment_align: 8
    .kernarg_segment_size: 64
    .language:       OpenCL C
    .language_version:
      - 2
      - 0
    .max_flat_workgroup_size: 256
    .name:           _ZN7rocprim17ROCPRIM_400000_NS6detail17trampoline_kernelINS0_14default_configENS1_38merge_sort_block_merge_config_selectorIiiEEZZNS1_27merge_sort_block_merge_implIS3_N6thrust23THRUST_200600_302600_NS6detail15normal_iteratorINS8_10device_ptrIiEEEESD_jNS1_19radix_merge_compareILb1ELb1EiNS0_19identity_decomposerEEEEE10hipError_tT0_T1_T2_jT3_P12ihipStream_tbPNSt15iterator_traitsISI_E10value_typeEPNSO_ISJ_E10value_typeEPSK_NS1_7vsmem_tEENKUlT_SI_SJ_SK_E_clIPiSD_S10_SD_EESH_SX_SI_SJ_SK_EUlSX_E0_NS1_11comp_targetILNS1_3genE2ELNS1_11target_archE906ELNS1_3gpuE6ELNS1_3repE0EEENS1_38merge_mergepath_config_static_selectorELNS0_4arch9wavefront6targetE1EEEvSJ_
    .private_segment_fixed_size: 0
    .sgpr_count:     6
    .sgpr_spill_count: 0
    .symbol:         _ZN7rocprim17ROCPRIM_400000_NS6detail17trampoline_kernelINS0_14default_configENS1_38merge_sort_block_merge_config_selectorIiiEEZZNS1_27merge_sort_block_merge_implIS3_N6thrust23THRUST_200600_302600_NS6detail15normal_iteratorINS8_10device_ptrIiEEEESD_jNS1_19radix_merge_compareILb1ELb1EiNS0_19identity_decomposerEEEEE10hipError_tT0_T1_T2_jT3_P12ihipStream_tbPNSt15iterator_traitsISI_E10value_typeEPNSO_ISJ_E10value_typeEPSK_NS1_7vsmem_tEENKUlT_SI_SJ_SK_E_clIPiSD_S10_SD_EESH_SX_SI_SJ_SK_EUlSX_E0_NS1_11comp_targetILNS1_3genE2ELNS1_11target_archE906ELNS1_3gpuE6ELNS1_3repE0EEENS1_38merge_mergepath_config_static_selectorELNS0_4arch9wavefront6targetE1EEEvSJ_.kd
    .uniform_work_group_size: 1
    .uses_dynamic_stack: false
    .vgpr_count:     0
    .vgpr_spill_count: 0
    .wavefront_size: 64
  - .agpr_count:     0
    .args:
      - .offset:         0
        .size:           64
        .value_kind:     by_value
    .group_segment_fixed_size: 0
    .kernarg_segment_align: 8
    .kernarg_segment_size: 64
    .language:       OpenCL C
    .language_version:
      - 2
      - 0
    .max_flat_workgroup_size: 512
    .name:           _ZN7rocprim17ROCPRIM_400000_NS6detail17trampoline_kernelINS0_14default_configENS1_38merge_sort_block_merge_config_selectorIiiEEZZNS1_27merge_sort_block_merge_implIS3_N6thrust23THRUST_200600_302600_NS6detail15normal_iteratorINS8_10device_ptrIiEEEESD_jNS1_19radix_merge_compareILb1ELb1EiNS0_19identity_decomposerEEEEE10hipError_tT0_T1_T2_jT3_P12ihipStream_tbPNSt15iterator_traitsISI_E10value_typeEPNSO_ISJ_E10value_typeEPSK_NS1_7vsmem_tEENKUlT_SI_SJ_SK_E_clIPiSD_S10_SD_EESH_SX_SI_SJ_SK_EUlSX_E0_NS1_11comp_targetILNS1_3genE9ELNS1_11target_archE1100ELNS1_3gpuE3ELNS1_3repE0EEENS1_38merge_mergepath_config_static_selectorELNS0_4arch9wavefront6targetE1EEEvSJ_
    .private_segment_fixed_size: 0
    .sgpr_count:     6
    .sgpr_spill_count: 0
    .symbol:         _ZN7rocprim17ROCPRIM_400000_NS6detail17trampoline_kernelINS0_14default_configENS1_38merge_sort_block_merge_config_selectorIiiEEZZNS1_27merge_sort_block_merge_implIS3_N6thrust23THRUST_200600_302600_NS6detail15normal_iteratorINS8_10device_ptrIiEEEESD_jNS1_19radix_merge_compareILb1ELb1EiNS0_19identity_decomposerEEEEE10hipError_tT0_T1_T2_jT3_P12ihipStream_tbPNSt15iterator_traitsISI_E10value_typeEPNSO_ISJ_E10value_typeEPSK_NS1_7vsmem_tEENKUlT_SI_SJ_SK_E_clIPiSD_S10_SD_EESH_SX_SI_SJ_SK_EUlSX_E0_NS1_11comp_targetILNS1_3genE9ELNS1_11target_archE1100ELNS1_3gpuE3ELNS1_3repE0EEENS1_38merge_mergepath_config_static_selectorELNS0_4arch9wavefront6targetE1EEEvSJ_.kd
    .uniform_work_group_size: 1
    .uses_dynamic_stack: false
    .vgpr_count:     0
    .vgpr_spill_count: 0
    .wavefront_size: 64
  - .agpr_count:     0
    .args:
      - .offset:         0
        .size:           64
        .value_kind:     by_value
    .group_segment_fixed_size: 0
    .kernarg_segment_align: 8
    .kernarg_segment_size: 64
    .language:       OpenCL C
    .language_version:
      - 2
      - 0
    .max_flat_workgroup_size: 1024
    .name:           _ZN7rocprim17ROCPRIM_400000_NS6detail17trampoline_kernelINS0_14default_configENS1_38merge_sort_block_merge_config_selectorIiiEEZZNS1_27merge_sort_block_merge_implIS3_N6thrust23THRUST_200600_302600_NS6detail15normal_iteratorINS8_10device_ptrIiEEEESD_jNS1_19radix_merge_compareILb1ELb1EiNS0_19identity_decomposerEEEEE10hipError_tT0_T1_T2_jT3_P12ihipStream_tbPNSt15iterator_traitsISI_E10value_typeEPNSO_ISJ_E10value_typeEPSK_NS1_7vsmem_tEENKUlT_SI_SJ_SK_E_clIPiSD_S10_SD_EESH_SX_SI_SJ_SK_EUlSX_E0_NS1_11comp_targetILNS1_3genE8ELNS1_11target_archE1030ELNS1_3gpuE2ELNS1_3repE0EEENS1_38merge_mergepath_config_static_selectorELNS0_4arch9wavefront6targetE1EEEvSJ_
    .private_segment_fixed_size: 0
    .sgpr_count:     6
    .sgpr_spill_count: 0
    .symbol:         _ZN7rocprim17ROCPRIM_400000_NS6detail17trampoline_kernelINS0_14default_configENS1_38merge_sort_block_merge_config_selectorIiiEEZZNS1_27merge_sort_block_merge_implIS3_N6thrust23THRUST_200600_302600_NS6detail15normal_iteratorINS8_10device_ptrIiEEEESD_jNS1_19radix_merge_compareILb1ELb1EiNS0_19identity_decomposerEEEEE10hipError_tT0_T1_T2_jT3_P12ihipStream_tbPNSt15iterator_traitsISI_E10value_typeEPNSO_ISJ_E10value_typeEPSK_NS1_7vsmem_tEENKUlT_SI_SJ_SK_E_clIPiSD_S10_SD_EESH_SX_SI_SJ_SK_EUlSX_E0_NS1_11comp_targetILNS1_3genE8ELNS1_11target_archE1030ELNS1_3gpuE2ELNS1_3repE0EEENS1_38merge_mergepath_config_static_selectorELNS0_4arch9wavefront6targetE1EEEvSJ_.kd
    .uniform_work_group_size: 1
    .uses_dynamic_stack: false
    .vgpr_count:     0
    .vgpr_spill_count: 0
    .wavefront_size: 64
  - .agpr_count:     0
    .args:
      - .offset:         0
        .size:           48
        .value_kind:     by_value
    .group_segment_fixed_size: 0
    .kernarg_segment_align: 8
    .kernarg_segment_size: 48
    .language:       OpenCL C
    .language_version:
      - 2
      - 0
    .max_flat_workgroup_size: 256
    .name:           _ZN7rocprim17ROCPRIM_400000_NS6detail17trampoline_kernelINS0_14default_configENS1_38merge_sort_block_merge_config_selectorIiiEEZZNS1_27merge_sort_block_merge_implIS3_N6thrust23THRUST_200600_302600_NS6detail15normal_iteratorINS8_10device_ptrIiEEEESD_jNS1_19radix_merge_compareILb1ELb1EiNS0_19identity_decomposerEEEEE10hipError_tT0_T1_T2_jT3_P12ihipStream_tbPNSt15iterator_traitsISI_E10value_typeEPNSO_ISJ_E10value_typeEPSK_NS1_7vsmem_tEENKUlT_SI_SJ_SK_E_clIPiSD_S10_SD_EESH_SX_SI_SJ_SK_EUlSX_E1_NS1_11comp_targetILNS1_3genE0ELNS1_11target_archE4294967295ELNS1_3gpuE0ELNS1_3repE0EEENS1_36merge_oddeven_config_static_selectorELNS0_4arch9wavefront6targetE1EEEvSJ_
    .private_segment_fixed_size: 0
    .sgpr_count:     30
    .sgpr_spill_count: 0
    .symbol:         _ZN7rocprim17ROCPRIM_400000_NS6detail17trampoline_kernelINS0_14default_configENS1_38merge_sort_block_merge_config_selectorIiiEEZZNS1_27merge_sort_block_merge_implIS3_N6thrust23THRUST_200600_302600_NS6detail15normal_iteratorINS8_10device_ptrIiEEEESD_jNS1_19radix_merge_compareILb1ELb1EiNS0_19identity_decomposerEEEEE10hipError_tT0_T1_T2_jT3_P12ihipStream_tbPNSt15iterator_traitsISI_E10value_typeEPNSO_ISJ_E10value_typeEPSK_NS1_7vsmem_tEENKUlT_SI_SJ_SK_E_clIPiSD_S10_SD_EESH_SX_SI_SJ_SK_EUlSX_E1_NS1_11comp_targetILNS1_3genE0ELNS1_11target_archE4294967295ELNS1_3gpuE0ELNS1_3repE0EEENS1_36merge_oddeven_config_static_selectorELNS0_4arch9wavefront6targetE1EEEvSJ_.kd
    .uniform_work_group_size: 1
    .uses_dynamic_stack: false
    .vgpr_count:     11
    .vgpr_spill_count: 0
    .wavefront_size: 64
  - .agpr_count:     0
    .args:
      - .offset:         0
        .size:           48
        .value_kind:     by_value
    .group_segment_fixed_size: 0
    .kernarg_segment_align: 8
    .kernarg_segment_size: 48
    .language:       OpenCL C
    .language_version:
      - 2
      - 0
    .max_flat_workgroup_size: 256
    .name:           _ZN7rocprim17ROCPRIM_400000_NS6detail17trampoline_kernelINS0_14default_configENS1_38merge_sort_block_merge_config_selectorIiiEEZZNS1_27merge_sort_block_merge_implIS3_N6thrust23THRUST_200600_302600_NS6detail15normal_iteratorINS8_10device_ptrIiEEEESD_jNS1_19radix_merge_compareILb1ELb1EiNS0_19identity_decomposerEEEEE10hipError_tT0_T1_T2_jT3_P12ihipStream_tbPNSt15iterator_traitsISI_E10value_typeEPNSO_ISJ_E10value_typeEPSK_NS1_7vsmem_tEENKUlT_SI_SJ_SK_E_clIPiSD_S10_SD_EESH_SX_SI_SJ_SK_EUlSX_E1_NS1_11comp_targetILNS1_3genE10ELNS1_11target_archE1201ELNS1_3gpuE5ELNS1_3repE0EEENS1_36merge_oddeven_config_static_selectorELNS0_4arch9wavefront6targetE1EEEvSJ_
    .private_segment_fixed_size: 0
    .sgpr_count:     6
    .sgpr_spill_count: 0
    .symbol:         _ZN7rocprim17ROCPRIM_400000_NS6detail17trampoline_kernelINS0_14default_configENS1_38merge_sort_block_merge_config_selectorIiiEEZZNS1_27merge_sort_block_merge_implIS3_N6thrust23THRUST_200600_302600_NS6detail15normal_iteratorINS8_10device_ptrIiEEEESD_jNS1_19radix_merge_compareILb1ELb1EiNS0_19identity_decomposerEEEEE10hipError_tT0_T1_T2_jT3_P12ihipStream_tbPNSt15iterator_traitsISI_E10value_typeEPNSO_ISJ_E10value_typeEPSK_NS1_7vsmem_tEENKUlT_SI_SJ_SK_E_clIPiSD_S10_SD_EESH_SX_SI_SJ_SK_EUlSX_E1_NS1_11comp_targetILNS1_3genE10ELNS1_11target_archE1201ELNS1_3gpuE5ELNS1_3repE0EEENS1_36merge_oddeven_config_static_selectorELNS0_4arch9wavefront6targetE1EEEvSJ_.kd
    .uniform_work_group_size: 1
    .uses_dynamic_stack: false
    .vgpr_count:     0
    .vgpr_spill_count: 0
    .wavefront_size: 64
  - .agpr_count:     0
    .args:
      - .offset:         0
        .size:           48
        .value_kind:     by_value
    .group_segment_fixed_size: 0
    .kernarg_segment_align: 8
    .kernarg_segment_size: 48
    .language:       OpenCL C
    .language_version:
      - 2
      - 0
    .max_flat_workgroup_size: 256
    .name:           _ZN7rocprim17ROCPRIM_400000_NS6detail17trampoline_kernelINS0_14default_configENS1_38merge_sort_block_merge_config_selectorIiiEEZZNS1_27merge_sort_block_merge_implIS3_N6thrust23THRUST_200600_302600_NS6detail15normal_iteratorINS8_10device_ptrIiEEEESD_jNS1_19radix_merge_compareILb1ELb1EiNS0_19identity_decomposerEEEEE10hipError_tT0_T1_T2_jT3_P12ihipStream_tbPNSt15iterator_traitsISI_E10value_typeEPNSO_ISJ_E10value_typeEPSK_NS1_7vsmem_tEENKUlT_SI_SJ_SK_E_clIPiSD_S10_SD_EESH_SX_SI_SJ_SK_EUlSX_E1_NS1_11comp_targetILNS1_3genE5ELNS1_11target_archE942ELNS1_3gpuE9ELNS1_3repE0EEENS1_36merge_oddeven_config_static_selectorELNS0_4arch9wavefront6targetE1EEEvSJ_
    .private_segment_fixed_size: 0
    .sgpr_count:     6
    .sgpr_spill_count: 0
    .symbol:         _ZN7rocprim17ROCPRIM_400000_NS6detail17trampoline_kernelINS0_14default_configENS1_38merge_sort_block_merge_config_selectorIiiEEZZNS1_27merge_sort_block_merge_implIS3_N6thrust23THRUST_200600_302600_NS6detail15normal_iteratorINS8_10device_ptrIiEEEESD_jNS1_19radix_merge_compareILb1ELb1EiNS0_19identity_decomposerEEEEE10hipError_tT0_T1_T2_jT3_P12ihipStream_tbPNSt15iterator_traitsISI_E10value_typeEPNSO_ISJ_E10value_typeEPSK_NS1_7vsmem_tEENKUlT_SI_SJ_SK_E_clIPiSD_S10_SD_EESH_SX_SI_SJ_SK_EUlSX_E1_NS1_11comp_targetILNS1_3genE5ELNS1_11target_archE942ELNS1_3gpuE9ELNS1_3repE0EEENS1_36merge_oddeven_config_static_selectorELNS0_4arch9wavefront6targetE1EEEvSJ_.kd
    .uniform_work_group_size: 1
    .uses_dynamic_stack: false
    .vgpr_count:     0
    .vgpr_spill_count: 0
    .wavefront_size: 64
  - .agpr_count:     0
    .args:
      - .offset:         0
        .size:           48
        .value_kind:     by_value
    .group_segment_fixed_size: 0
    .kernarg_segment_align: 8
    .kernarg_segment_size: 48
    .language:       OpenCL C
    .language_version:
      - 2
      - 0
    .max_flat_workgroup_size: 256
    .name:           _ZN7rocprim17ROCPRIM_400000_NS6detail17trampoline_kernelINS0_14default_configENS1_38merge_sort_block_merge_config_selectorIiiEEZZNS1_27merge_sort_block_merge_implIS3_N6thrust23THRUST_200600_302600_NS6detail15normal_iteratorINS8_10device_ptrIiEEEESD_jNS1_19radix_merge_compareILb1ELb1EiNS0_19identity_decomposerEEEEE10hipError_tT0_T1_T2_jT3_P12ihipStream_tbPNSt15iterator_traitsISI_E10value_typeEPNSO_ISJ_E10value_typeEPSK_NS1_7vsmem_tEENKUlT_SI_SJ_SK_E_clIPiSD_S10_SD_EESH_SX_SI_SJ_SK_EUlSX_E1_NS1_11comp_targetILNS1_3genE4ELNS1_11target_archE910ELNS1_3gpuE8ELNS1_3repE0EEENS1_36merge_oddeven_config_static_selectorELNS0_4arch9wavefront6targetE1EEEvSJ_
    .private_segment_fixed_size: 0
    .sgpr_count:     6
    .sgpr_spill_count: 0
    .symbol:         _ZN7rocprim17ROCPRIM_400000_NS6detail17trampoline_kernelINS0_14default_configENS1_38merge_sort_block_merge_config_selectorIiiEEZZNS1_27merge_sort_block_merge_implIS3_N6thrust23THRUST_200600_302600_NS6detail15normal_iteratorINS8_10device_ptrIiEEEESD_jNS1_19radix_merge_compareILb1ELb1EiNS0_19identity_decomposerEEEEE10hipError_tT0_T1_T2_jT3_P12ihipStream_tbPNSt15iterator_traitsISI_E10value_typeEPNSO_ISJ_E10value_typeEPSK_NS1_7vsmem_tEENKUlT_SI_SJ_SK_E_clIPiSD_S10_SD_EESH_SX_SI_SJ_SK_EUlSX_E1_NS1_11comp_targetILNS1_3genE4ELNS1_11target_archE910ELNS1_3gpuE8ELNS1_3repE0EEENS1_36merge_oddeven_config_static_selectorELNS0_4arch9wavefront6targetE1EEEvSJ_.kd
    .uniform_work_group_size: 1
    .uses_dynamic_stack: false
    .vgpr_count:     0
    .vgpr_spill_count: 0
    .wavefront_size: 64
  - .agpr_count:     0
    .args:
      - .offset:         0
        .size:           48
        .value_kind:     by_value
    .group_segment_fixed_size: 0
    .kernarg_segment_align: 8
    .kernarg_segment_size: 48
    .language:       OpenCL C
    .language_version:
      - 2
      - 0
    .max_flat_workgroup_size: 256
    .name:           _ZN7rocprim17ROCPRIM_400000_NS6detail17trampoline_kernelINS0_14default_configENS1_38merge_sort_block_merge_config_selectorIiiEEZZNS1_27merge_sort_block_merge_implIS3_N6thrust23THRUST_200600_302600_NS6detail15normal_iteratorINS8_10device_ptrIiEEEESD_jNS1_19radix_merge_compareILb1ELb1EiNS0_19identity_decomposerEEEEE10hipError_tT0_T1_T2_jT3_P12ihipStream_tbPNSt15iterator_traitsISI_E10value_typeEPNSO_ISJ_E10value_typeEPSK_NS1_7vsmem_tEENKUlT_SI_SJ_SK_E_clIPiSD_S10_SD_EESH_SX_SI_SJ_SK_EUlSX_E1_NS1_11comp_targetILNS1_3genE3ELNS1_11target_archE908ELNS1_3gpuE7ELNS1_3repE0EEENS1_36merge_oddeven_config_static_selectorELNS0_4arch9wavefront6targetE1EEEvSJ_
    .private_segment_fixed_size: 0
    .sgpr_count:     6
    .sgpr_spill_count: 0
    .symbol:         _ZN7rocprim17ROCPRIM_400000_NS6detail17trampoline_kernelINS0_14default_configENS1_38merge_sort_block_merge_config_selectorIiiEEZZNS1_27merge_sort_block_merge_implIS3_N6thrust23THRUST_200600_302600_NS6detail15normal_iteratorINS8_10device_ptrIiEEEESD_jNS1_19radix_merge_compareILb1ELb1EiNS0_19identity_decomposerEEEEE10hipError_tT0_T1_T2_jT3_P12ihipStream_tbPNSt15iterator_traitsISI_E10value_typeEPNSO_ISJ_E10value_typeEPSK_NS1_7vsmem_tEENKUlT_SI_SJ_SK_E_clIPiSD_S10_SD_EESH_SX_SI_SJ_SK_EUlSX_E1_NS1_11comp_targetILNS1_3genE3ELNS1_11target_archE908ELNS1_3gpuE7ELNS1_3repE0EEENS1_36merge_oddeven_config_static_selectorELNS0_4arch9wavefront6targetE1EEEvSJ_.kd
    .uniform_work_group_size: 1
    .uses_dynamic_stack: false
    .vgpr_count:     0
    .vgpr_spill_count: 0
    .wavefront_size: 64
  - .agpr_count:     0
    .args:
      - .offset:         0
        .size:           48
        .value_kind:     by_value
    .group_segment_fixed_size: 0
    .kernarg_segment_align: 8
    .kernarg_segment_size: 48
    .language:       OpenCL C
    .language_version:
      - 2
      - 0
    .max_flat_workgroup_size: 256
    .name:           _ZN7rocprim17ROCPRIM_400000_NS6detail17trampoline_kernelINS0_14default_configENS1_38merge_sort_block_merge_config_selectorIiiEEZZNS1_27merge_sort_block_merge_implIS3_N6thrust23THRUST_200600_302600_NS6detail15normal_iteratorINS8_10device_ptrIiEEEESD_jNS1_19radix_merge_compareILb1ELb1EiNS0_19identity_decomposerEEEEE10hipError_tT0_T1_T2_jT3_P12ihipStream_tbPNSt15iterator_traitsISI_E10value_typeEPNSO_ISJ_E10value_typeEPSK_NS1_7vsmem_tEENKUlT_SI_SJ_SK_E_clIPiSD_S10_SD_EESH_SX_SI_SJ_SK_EUlSX_E1_NS1_11comp_targetILNS1_3genE2ELNS1_11target_archE906ELNS1_3gpuE6ELNS1_3repE0EEENS1_36merge_oddeven_config_static_selectorELNS0_4arch9wavefront6targetE1EEEvSJ_
    .private_segment_fixed_size: 0
    .sgpr_count:     6
    .sgpr_spill_count: 0
    .symbol:         _ZN7rocprim17ROCPRIM_400000_NS6detail17trampoline_kernelINS0_14default_configENS1_38merge_sort_block_merge_config_selectorIiiEEZZNS1_27merge_sort_block_merge_implIS3_N6thrust23THRUST_200600_302600_NS6detail15normal_iteratorINS8_10device_ptrIiEEEESD_jNS1_19radix_merge_compareILb1ELb1EiNS0_19identity_decomposerEEEEE10hipError_tT0_T1_T2_jT3_P12ihipStream_tbPNSt15iterator_traitsISI_E10value_typeEPNSO_ISJ_E10value_typeEPSK_NS1_7vsmem_tEENKUlT_SI_SJ_SK_E_clIPiSD_S10_SD_EESH_SX_SI_SJ_SK_EUlSX_E1_NS1_11comp_targetILNS1_3genE2ELNS1_11target_archE906ELNS1_3gpuE6ELNS1_3repE0EEENS1_36merge_oddeven_config_static_selectorELNS0_4arch9wavefront6targetE1EEEvSJ_.kd
    .uniform_work_group_size: 1
    .uses_dynamic_stack: false
    .vgpr_count:     0
    .vgpr_spill_count: 0
    .wavefront_size: 64
  - .agpr_count:     0
    .args:
      - .offset:         0
        .size:           48
        .value_kind:     by_value
    .group_segment_fixed_size: 0
    .kernarg_segment_align: 8
    .kernarg_segment_size: 48
    .language:       OpenCL C
    .language_version:
      - 2
      - 0
    .max_flat_workgroup_size: 256
    .name:           _ZN7rocprim17ROCPRIM_400000_NS6detail17trampoline_kernelINS0_14default_configENS1_38merge_sort_block_merge_config_selectorIiiEEZZNS1_27merge_sort_block_merge_implIS3_N6thrust23THRUST_200600_302600_NS6detail15normal_iteratorINS8_10device_ptrIiEEEESD_jNS1_19radix_merge_compareILb1ELb1EiNS0_19identity_decomposerEEEEE10hipError_tT0_T1_T2_jT3_P12ihipStream_tbPNSt15iterator_traitsISI_E10value_typeEPNSO_ISJ_E10value_typeEPSK_NS1_7vsmem_tEENKUlT_SI_SJ_SK_E_clIPiSD_S10_SD_EESH_SX_SI_SJ_SK_EUlSX_E1_NS1_11comp_targetILNS1_3genE9ELNS1_11target_archE1100ELNS1_3gpuE3ELNS1_3repE0EEENS1_36merge_oddeven_config_static_selectorELNS0_4arch9wavefront6targetE1EEEvSJ_
    .private_segment_fixed_size: 0
    .sgpr_count:     6
    .sgpr_spill_count: 0
    .symbol:         _ZN7rocprim17ROCPRIM_400000_NS6detail17trampoline_kernelINS0_14default_configENS1_38merge_sort_block_merge_config_selectorIiiEEZZNS1_27merge_sort_block_merge_implIS3_N6thrust23THRUST_200600_302600_NS6detail15normal_iteratorINS8_10device_ptrIiEEEESD_jNS1_19radix_merge_compareILb1ELb1EiNS0_19identity_decomposerEEEEE10hipError_tT0_T1_T2_jT3_P12ihipStream_tbPNSt15iterator_traitsISI_E10value_typeEPNSO_ISJ_E10value_typeEPSK_NS1_7vsmem_tEENKUlT_SI_SJ_SK_E_clIPiSD_S10_SD_EESH_SX_SI_SJ_SK_EUlSX_E1_NS1_11comp_targetILNS1_3genE9ELNS1_11target_archE1100ELNS1_3gpuE3ELNS1_3repE0EEENS1_36merge_oddeven_config_static_selectorELNS0_4arch9wavefront6targetE1EEEvSJ_.kd
    .uniform_work_group_size: 1
    .uses_dynamic_stack: false
    .vgpr_count:     0
    .vgpr_spill_count: 0
    .wavefront_size: 64
  - .agpr_count:     0
    .args:
      - .offset:         0
        .size:           48
        .value_kind:     by_value
    .group_segment_fixed_size: 0
    .kernarg_segment_align: 8
    .kernarg_segment_size: 48
    .language:       OpenCL C
    .language_version:
      - 2
      - 0
    .max_flat_workgroup_size: 256
    .name:           _ZN7rocprim17ROCPRIM_400000_NS6detail17trampoline_kernelINS0_14default_configENS1_38merge_sort_block_merge_config_selectorIiiEEZZNS1_27merge_sort_block_merge_implIS3_N6thrust23THRUST_200600_302600_NS6detail15normal_iteratorINS8_10device_ptrIiEEEESD_jNS1_19radix_merge_compareILb1ELb1EiNS0_19identity_decomposerEEEEE10hipError_tT0_T1_T2_jT3_P12ihipStream_tbPNSt15iterator_traitsISI_E10value_typeEPNSO_ISJ_E10value_typeEPSK_NS1_7vsmem_tEENKUlT_SI_SJ_SK_E_clIPiSD_S10_SD_EESH_SX_SI_SJ_SK_EUlSX_E1_NS1_11comp_targetILNS1_3genE8ELNS1_11target_archE1030ELNS1_3gpuE2ELNS1_3repE0EEENS1_36merge_oddeven_config_static_selectorELNS0_4arch9wavefront6targetE1EEEvSJ_
    .private_segment_fixed_size: 0
    .sgpr_count:     6
    .sgpr_spill_count: 0
    .symbol:         _ZN7rocprim17ROCPRIM_400000_NS6detail17trampoline_kernelINS0_14default_configENS1_38merge_sort_block_merge_config_selectorIiiEEZZNS1_27merge_sort_block_merge_implIS3_N6thrust23THRUST_200600_302600_NS6detail15normal_iteratorINS8_10device_ptrIiEEEESD_jNS1_19radix_merge_compareILb1ELb1EiNS0_19identity_decomposerEEEEE10hipError_tT0_T1_T2_jT3_P12ihipStream_tbPNSt15iterator_traitsISI_E10value_typeEPNSO_ISJ_E10value_typeEPSK_NS1_7vsmem_tEENKUlT_SI_SJ_SK_E_clIPiSD_S10_SD_EESH_SX_SI_SJ_SK_EUlSX_E1_NS1_11comp_targetILNS1_3genE8ELNS1_11target_archE1030ELNS1_3gpuE2ELNS1_3repE0EEENS1_36merge_oddeven_config_static_selectorELNS0_4arch9wavefront6targetE1EEEvSJ_.kd
    .uniform_work_group_size: 1
    .uses_dynamic_stack: false
    .vgpr_count:     0
    .vgpr_spill_count: 0
    .wavefront_size: 64
  - .agpr_count:     0
    .args:
      - .offset:         0
        .size:           40
        .value_kind:     by_value
    .group_segment_fixed_size: 0
    .kernarg_segment_align: 8
    .kernarg_segment_size: 40
    .language:       OpenCL C
    .language_version:
      - 2
      - 0
    .max_flat_workgroup_size: 128
    .name:           _ZN7rocprim17ROCPRIM_400000_NS6detail17trampoline_kernelINS0_14default_configENS1_38merge_sort_block_merge_config_selectorIiiEEZZNS1_27merge_sort_block_merge_implIS3_N6thrust23THRUST_200600_302600_NS6detail15normal_iteratorINS8_10device_ptrIiEEEESD_jNS1_19radix_merge_compareILb1ELb1EiNS0_19identity_decomposerEEEEE10hipError_tT0_T1_T2_jT3_P12ihipStream_tbPNSt15iterator_traitsISI_E10value_typeEPNSO_ISJ_E10value_typeEPSK_NS1_7vsmem_tEENKUlT_SI_SJ_SK_E_clISD_PiSD_S10_EESH_SX_SI_SJ_SK_EUlSX_E_NS1_11comp_targetILNS1_3genE0ELNS1_11target_archE4294967295ELNS1_3gpuE0ELNS1_3repE0EEENS1_48merge_mergepath_partition_config_static_selectorELNS0_4arch9wavefront6targetE1EEEvSJ_
    .private_segment_fixed_size: 0
    .sgpr_count:     16
    .sgpr_spill_count: 0
    .symbol:         _ZN7rocprim17ROCPRIM_400000_NS6detail17trampoline_kernelINS0_14default_configENS1_38merge_sort_block_merge_config_selectorIiiEEZZNS1_27merge_sort_block_merge_implIS3_N6thrust23THRUST_200600_302600_NS6detail15normal_iteratorINS8_10device_ptrIiEEEESD_jNS1_19radix_merge_compareILb1ELb1EiNS0_19identity_decomposerEEEEE10hipError_tT0_T1_T2_jT3_P12ihipStream_tbPNSt15iterator_traitsISI_E10value_typeEPNSO_ISJ_E10value_typeEPSK_NS1_7vsmem_tEENKUlT_SI_SJ_SK_E_clISD_PiSD_S10_EESH_SX_SI_SJ_SK_EUlSX_E_NS1_11comp_targetILNS1_3genE0ELNS1_11target_archE4294967295ELNS1_3gpuE0ELNS1_3repE0EEENS1_48merge_mergepath_partition_config_static_selectorELNS0_4arch9wavefront6targetE1EEEvSJ_.kd
    .uniform_work_group_size: 1
    .uses_dynamic_stack: false
    .vgpr_count:     17
    .vgpr_spill_count: 0
    .wavefront_size: 64
  - .agpr_count:     0
    .args:
      - .offset:         0
        .size:           40
        .value_kind:     by_value
    .group_segment_fixed_size: 0
    .kernarg_segment_align: 8
    .kernarg_segment_size: 40
    .language:       OpenCL C
    .language_version:
      - 2
      - 0
    .max_flat_workgroup_size: 128
    .name:           _ZN7rocprim17ROCPRIM_400000_NS6detail17trampoline_kernelINS0_14default_configENS1_38merge_sort_block_merge_config_selectorIiiEEZZNS1_27merge_sort_block_merge_implIS3_N6thrust23THRUST_200600_302600_NS6detail15normal_iteratorINS8_10device_ptrIiEEEESD_jNS1_19radix_merge_compareILb1ELb1EiNS0_19identity_decomposerEEEEE10hipError_tT0_T1_T2_jT3_P12ihipStream_tbPNSt15iterator_traitsISI_E10value_typeEPNSO_ISJ_E10value_typeEPSK_NS1_7vsmem_tEENKUlT_SI_SJ_SK_E_clISD_PiSD_S10_EESH_SX_SI_SJ_SK_EUlSX_E_NS1_11comp_targetILNS1_3genE10ELNS1_11target_archE1201ELNS1_3gpuE5ELNS1_3repE0EEENS1_48merge_mergepath_partition_config_static_selectorELNS0_4arch9wavefront6targetE1EEEvSJ_
    .private_segment_fixed_size: 0
    .sgpr_count:     6
    .sgpr_spill_count: 0
    .symbol:         _ZN7rocprim17ROCPRIM_400000_NS6detail17trampoline_kernelINS0_14default_configENS1_38merge_sort_block_merge_config_selectorIiiEEZZNS1_27merge_sort_block_merge_implIS3_N6thrust23THRUST_200600_302600_NS6detail15normal_iteratorINS8_10device_ptrIiEEEESD_jNS1_19radix_merge_compareILb1ELb1EiNS0_19identity_decomposerEEEEE10hipError_tT0_T1_T2_jT3_P12ihipStream_tbPNSt15iterator_traitsISI_E10value_typeEPNSO_ISJ_E10value_typeEPSK_NS1_7vsmem_tEENKUlT_SI_SJ_SK_E_clISD_PiSD_S10_EESH_SX_SI_SJ_SK_EUlSX_E_NS1_11comp_targetILNS1_3genE10ELNS1_11target_archE1201ELNS1_3gpuE5ELNS1_3repE0EEENS1_48merge_mergepath_partition_config_static_selectorELNS0_4arch9wavefront6targetE1EEEvSJ_.kd
    .uniform_work_group_size: 1
    .uses_dynamic_stack: false
    .vgpr_count:     0
    .vgpr_spill_count: 0
    .wavefront_size: 64
  - .agpr_count:     0
    .args:
      - .offset:         0
        .size:           40
        .value_kind:     by_value
    .group_segment_fixed_size: 0
    .kernarg_segment_align: 8
    .kernarg_segment_size: 40
    .language:       OpenCL C
    .language_version:
      - 2
      - 0
    .max_flat_workgroup_size: 128
    .name:           _ZN7rocprim17ROCPRIM_400000_NS6detail17trampoline_kernelINS0_14default_configENS1_38merge_sort_block_merge_config_selectorIiiEEZZNS1_27merge_sort_block_merge_implIS3_N6thrust23THRUST_200600_302600_NS6detail15normal_iteratorINS8_10device_ptrIiEEEESD_jNS1_19radix_merge_compareILb1ELb1EiNS0_19identity_decomposerEEEEE10hipError_tT0_T1_T2_jT3_P12ihipStream_tbPNSt15iterator_traitsISI_E10value_typeEPNSO_ISJ_E10value_typeEPSK_NS1_7vsmem_tEENKUlT_SI_SJ_SK_E_clISD_PiSD_S10_EESH_SX_SI_SJ_SK_EUlSX_E_NS1_11comp_targetILNS1_3genE5ELNS1_11target_archE942ELNS1_3gpuE9ELNS1_3repE0EEENS1_48merge_mergepath_partition_config_static_selectorELNS0_4arch9wavefront6targetE1EEEvSJ_
    .private_segment_fixed_size: 0
    .sgpr_count:     6
    .sgpr_spill_count: 0
    .symbol:         _ZN7rocprim17ROCPRIM_400000_NS6detail17trampoline_kernelINS0_14default_configENS1_38merge_sort_block_merge_config_selectorIiiEEZZNS1_27merge_sort_block_merge_implIS3_N6thrust23THRUST_200600_302600_NS6detail15normal_iteratorINS8_10device_ptrIiEEEESD_jNS1_19radix_merge_compareILb1ELb1EiNS0_19identity_decomposerEEEEE10hipError_tT0_T1_T2_jT3_P12ihipStream_tbPNSt15iterator_traitsISI_E10value_typeEPNSO_ISJ_E10value_typeEPSK_NS1_7vsmem_tEENKUlT_SI_SJ_SK_E_clISD_PiSD_S10_EESH_SX_SI_SJ_SK_EUlSX_E_NS1_11comp_targetILNS1_3genE5ELNS1_11target_archE942ELNS1_3gpuE9ELNS1_3repE0EEENS1_48merge_mergepath_partition_config_static_selectorELNS0_4arch9wavefront6targetE1EEEvSJ_.kd
    .uniform_work_group_size: 1
    .uses_dynamic_stack: false
    .vgpr_count:     0
    .vgpr_spill_count: 0
    .wavefront_size: 64
  - .agpr_count:     0
    .args:
      - .offset:         0
        .size:           40
        .value_kind:     by_value
    .group_segment_fixed_size: 0
    .kernarg_segment_align: 8
    .kernarg_segment_size: 40
    .language:       OpenCL C
    .language_version:
      - 2
      - 0
    .max_flat_workgroup_size: 128
    .name:           _ZN7rocprim17ROCPRIM_400000_NS6detail17trampoline_kernelINS0_14default_configENS1_38merge_sort_block_merge_config_selectorIiiEEZZNS1_27merge_sort_block_merge_implIS3_N6thrust23THRUST_200600_302600_NS6detail15normal_iteratorINS8_10device_ptrIiEEEESD_jNS1_19radix_merge_compareILb1ELb1EiNS0_19identity_decomposerEEEEE10hipError_tT0_T1_T2_jT3_P12ihipStream_tbPNSt15iterator_traitsISI_E10value_typeEPNSO_ISJ_E10value_typeEPSK_NS1_7vsmem_tEENKUlT_SI_SJ_SK_E_clISD_PiSD_S10_EESH_SX_SI_SJ_SK_EUlSX_E_NS1_11comp_targetILNS1_3genE4ELNS1_11target_archE910ELNS1_3gpuE8ELNS1_3repE0EEENS1_48merge_mergepath_partition_config_static_selectorELNS0_4arch9wavefront6targetE1EEEvSJ_
    .private_segment_fixed_size: 0
    .sgpr_count:     6
    .sgpr_spill_count: 0
    .symbol:         _ZN7rocprim17ROCPRIM_400000_NS6detail17trampoline_kernelINS0_14default_configENS1_38merge_sort_block_merge_config_selectorIiiEEZZNS1_27merge_sort_block_merge_implIS3_N6thrust23THRUST_200600_302600_NS6detail15normal_iteratorINS8_10device_ptrIiEEEESD_jNS1_19radix_merge_compareILb1ELb1EiNS0_19identity_decomposerEEEEE10hipError_tT0_T1_T2_jT3_P12ihipStream_tbPNSt15iterator_traitsISI_E10value_typeEPNSO_ISJ_E10value_typeEPSK_NS1_7vsmem_tEENKUlT_SI_SJ_SK_E_clISD_PiSD_S10_EESH_SX_SI_SJ_SK_EUlSX_E_NS1_11comp_targetILNS1_3genE4ELNS1_11target_archE910ELNS1_3gpuE8ELNS1_3repE0EEENS1_48merge_mergepath_partition_config_static_selectorELNS0_4arch9wavefront6targetE1EEEvSJ_.kd
    .uniform_work_group_size: 1
    .uses_dynamic_stack: false
    .vgpr_count:     0
    .vgpr_spill_count: 0
    .wavefront_size: 64
  - .agpr_count:     0
    .args:
      - .offset:         0
        .size:           40
        .value_kind:     by_value
    .group_segment_fixed_size: 0
    .kernarg_segment_align: 8
    .kernarg_segment_size: 40
    .language:       OpenCL C
    .language_version:
      - 2
      - 0
    .max_flat_workgroup_size: 128
    .name:           _ZN7rocprim17ROCPRIM_400000_NS6detail17trampoline_kernelINS0_14default_configENS1_38merge_sort_block_merge_config_selectorIiiEEZZNS1_27merge_sort_block_merge_implIS3_N6thrust23THRUST_200600_302600_NS6detail15normal_iteratorINS8_10device_ptrIiEEEESD_jNS1_19radix_merge_compareILb1ELb1EiNS0_19identity_decomposerEEEEE10hipError_tT0_T1_T2_jT3_P12ihipStream_tbPNSt15iterator_traitsISI_E10value_typeEPNSO_ISJ_E10value_typeEPSK_NS1_7vsmem_tEENKUlT_SI_SJ_SK_E_clISD_PiSD_S10_EESH_SX_SI_SJ_SK_EUlSX_E_NS1_11comp_targetILNS1_3genE3ELNS1_11target_archE908ELNS1_3gpuE7ELNS1_3repE0EEENS1_48merge_mergepath_partition_config_static_selectorELNS0_4arch9wavefront6targetE1EEEvSJ_
    .private_segment_fixed_size: 0
    .sgpr_count:     6
    .sgpr_spill_count: 0
    .symbol:         _ZN7rocprim17ROCPRIM_400000_NS6detail17trampoline_kernelINS0_14default_configENS1_38merge_sort_block_merge_config_selectorIiiEEZZNS1_27merge_sort_block_merge_implIS3_N6thrust23THRUST_200600_302600_NS6detail15normal_iteratorINS8_10device_ptrIiEEEESD_jNS1_19radix_merge_compareILb1ELb1EiNS0_19identity_decomposerEEEEE10hipError_tT0_T1_T2_jT3_P12ihipStream_tbPNSt15iterator_traitsISI_E10value_typeEPNSO_ISJ_E10value_typeEPSK_NS1_7vsmem_tEENKUlT_SI_SJ_SK_E_clISD_PiSD_S10_EESH_SX_SI_SJ_SK_EUlSX_E_NS1_11comp_targetILNS1_3genE3ELNS1_11target_archE908ELNS1_3gpuE7ELNS1_3repE0EEENS1_48merge_mergepath_partition_config_static_selectorELNS0_4arch9wavefront6targetE1EEEvSJ_.kd
    .uniform_work_group_size: 1
    .uses_dynamic_stack: false
    .vgpr_count:     0
    .vgpr_spill_count: 0
    .wavefront_size: 64
  - .agpr_count:     0
    .args:
      - .offset:         0
        .size:           40
        .value_kind:     by_value
    .group_segment_fixed_size: 0
    .kernarg_segment_align: 8
    .kernarg_segment_size: 40
    .language:       OpenCL C
    .language_version:
      - 2
      - 0
    .max_flat_workgroup_size: 128
    .name:           _ZN7rocprim17ROCPRIM_400000_NS6detail17trampoline_kernelINS0_14default_configENS1_38merge_sort_block_merge_config_selectorIiiEEZZNS1_27merge_sort_block_merge_implIS3_N6thrust23THRUST_200600_302600_NS6detail15normal_iteratorINS8_10device_ptrIiEEEESD_jNS1_19radix_merge_compareILb1ELb1EiNS0_19identity_decomposerEEEEE10hipError_tT0_T1_T2_jT3_P12ihipStream_tbPNSt15iterator_traitsISI_E10value_typeEPNSO_ISJ_E10value_typeEPSK_NS1_7vsmem_tEENKUlT_SI_SJ_SK_E_clISD_PiSD_S10_EESH_SX_SI_SJ_SK_EUlSX_E_NS1_11comp_targetILNS1_3genE2ELNS1_11target_archE906ELNS1_3gpuE6ELNS1_3repE0EEENS1_48merge_mergepath_partition_config_static_selectorELNS0_4arch9wavefront6targetE1EEEvSJ_
    .private_segment_fixed_size: 0
    .sgpr_count:     6
    .sgpr_spill_count: 0
    .symbol:         _ZN7rocprim17ROCPRIM_400000_NS6detail17trampoline_kernelINS0_14default_configENS1_38merge_sort_block_merge_config_selectorIiiEEZZNS1_27merge_sort_block_merge_implIS3_N6thrust23THRUST_200600_302600_NS6detail15normal_iteratorINS8_10device_ptrIiEEEESD_jNS1_19radix_merge_compareILb1ELb1EiNS0_19identity_decomposerEEEEE10hipError_tT0_T1_T2_jT3_P12ihipStream_tbPNSt15iterator_traitsISI_E10value_typeEPNSO_ISJ_E10value_typeEPSK_NS1_7vsmem_tEENKUlT_SI_SJ_SK_E_clISD_PiSD_S10_EESH_SX_SI_SJ_SK_EUlSX_E_NS1_11comp_targetILNS1_3genE2ELNS1_11target_archE906ELNS1_3gpuE6ELNS1_3repE0EEENS1_48merge_mergepath_partition_config_static_selectorELNS0_4arch9wavefront6targetE1EEEvSJ_.kd
    .uniform_work_group_size: 1
    .uses_dynamic_stack: false
    .vgpr_count:     0
    .vgpr_spill_count: 0
    .wavefront_size: 64
  - .agpr_count:     0
    .args:
      - .offset:         0
        .size:           40
        .value_kind:     by_value
    .group_segment_fixed_size: 0
    .kernarg_segment_align: 8
    .kernarg_segment_size: 40
    .language:       OpenCL C
    .language_version:
      - 2
      - 0
    .max_flat_workgroup_size: 128
    .name:           _ZN7rocprim17ROCPRIM_400000_NS6detail17trampoline_kernelINS0_14default_configENS1_38merge_sort_block_merge_config_selectorIiiEEZZNS1_27merge_sort_block_merge_implIS3_N6thrust23THRUST_200600_302600_NS6detail15normal_iteratorINS8_10device_ptrIiEEEESD_jNS1_19radix_merge_compareILb1ELb1EiNS0_19identity_decomposerEEEEE10hipError_tT0_T1_T2_jT3_P12ihipStream_tbPNSt15iterator_traitsISI_E10value_typeEPNSO_ISJ_E10value_typeEPSK_NS1_7vsmem_tEENKUlT_SI_SJ_SK_E_clISD_PiSD_S10_EESH_SX_SI_SJ_SK_EUlSX_E_NS1_11comp_targetILNS1_3genE9ELNS1_11target_archE1100ELNS1_3gpuE3ELNS1_3repE0EEENS1_48merge_mergepath_partition_config_static_selectorELNS0_4arch9wavefront6targetE1EEEvSJ_
    .private_segment_fixed_size: 0
    .sgpr_count:     6
    .sgpr_spill_count: 0
    .symbol:         _ZN7rocprim17ROCPRIM_400000_NS6detail17trampoline_kernelINS0_14default_configENS1_38merge_sort_block_merge_config_selectorIiiEEZZNS1_27merge_sort_block_merge_implIS3_N6thrust23THRUST_200600_302600_NS6detail15normal_iteratorINS8_10device_ptrIiEEEESD_jNS1_19radix_merge_compareILb1ELb1EiNS0_19identity_decomposerEEEEE10hipError_tT0_T1_T2_jT3_P12ihipStream_tbPNSt15iterator_traitsISI_E10value_typeEPNSO_ISJ_E10value_typeEPSK_NS1_7vsmem_tEENKUlT_SI_SJ_SK_E_clISD_PiSD_S10_EESH_SX_SI_SJ_SK_EUlSX_E_NS1_11comp_targetILNS1_3genE9ELNS1_11target_archE1100ELNS1_3gpuE3ELNS1_3repE0EEENS1_48merge_mergepath_partition_config_static_selectorELNS0_4arch9wavefront6targetE1EEEvSJ_.kd
    .uniform_work_group_size: 1
    .uses_dynamic_stack: false
    .vgpr_count:     0
    .vgpr_spill_count: 0
    .wavefront_size: 64
  - .agpr_count:     0
    .args:
      - .offset:         0
        .size:           40
        .value_kind:     by_value
    .group_segment_fixed_size: 0
    .kernarg_segment_align: 8
    .kernarg_segment_size: 40
    .language:       OpenCL C
    .language_version:
      - 2
      - 0
    .max_flat_workgroup_size: 128
    .name:           _ZN7rocprim17ROCPRIM_400000_NS6detail17trampoline_kernelINS0_14default_configENS1_38merge_sort_block_merge_config_selectorIiiEEZZNS1_27merge_sort_block_merge_implIS3_N6thrust23THRUST_200600_302600_NS6detail15normal_iteratorINS8_10device_ptrIiEEEESD_jNS1_19radix_merge_compareILb1ELb1EiNS0_19identity_decomposerEEEEE10hipError_tT0_T1_T2_jT3_P12ihipStream_tbPNSt15iterator_traitsISI_E10value_typeEPNSO_ISJ_E10value_typeEPSK_NS1_7vsmem_tEENKUlT_SI_SJ_SK_E_clISD_PiSD_S10_EESH_SX_SI_SJ_SK_EUlSX_E_NS1_11comp_targetILNS1_3genE8ELNS1_11target_archE1030ELNS1_3gpuE2ELNS1_3repE0EEENS1_48merge_mergepath_partition_config_static_selectorELNS0_4arch9wavefront6targetE1EEEvSJ_
    .private_segment_fixed_size: 0
    .sgpr_count:     6
    .sgpr_spill_count: 0
    .symbol:         _ZN7rocprim17ROCPRIM_400000_NS6detail17trampoline_kernelINS0_14default_configENS1_38merge_sort_block_merge_config_selectorIiiEEZZNS1_27merge_sort_block_merge_implIS3_N6thrust23THRUST_200600_302600_NS6detail15normal_iteratorINS8_10device_ptrIiEEEESD_jNS1_19radix_merge_compareILb1ELb1EiNS0_19identity_decomposerEEEEE10hipError_tT0_T1_T2_jT3_P12ihipStream_tbPNSt15iterator_traitsISI_E10value_typeEPNSO_ISJ_E10value_typeEPSK_NS1_7vsmem_tEENKUlT_SI_SJ_SK_E_clISD_PiSD_S10_EESH_SX_SI_SJ_SK_EUlSX_E_NS1_11comp_targetILNS1_3genE8ELNS1_11target_archE1030ELNS1_3gpuE2ELNS1_3repE0EEENS1_48merge_mergepath_partition_config_static_selectorELNS0_4arch9wavefront6targetE1EEEvSJ_.kd
    .uniform_work_group_size: 1
    .uses_dynamic_stack: false
    .vgpr_count:     0
    .vgpr_spill_count: 0
    .wavefront_size: 64
  - .agpr_count:     0
    .args:
      - .offset:         0
        .size:           64
        .value_kind:     by_value
      - .offset:         64
        .size:           4
        .value_kind:     hidden_block_count_x
      - .offset:         68
        .size:           4
        .value_kind:     hidden_block_count_y
      - .offset:         72
        .size:           4
        .value_kind:     hidden_block_count_z
      - .offset:         76
        .size:           2
        .value_kind:     hidden_group_size_x
      - .offset:         78
        .size:           2
        .value_kind:     hidden_group_size_y
      - .offset:         80
        .size:           2
        .value_kind:     hidden_group_size_z
      - .offset:         82
        .size:           2
        .value_kind:     hidden_remainder_x
      - .offset:         84
        .size:           2
        .value_kind:     hidden_remainder_y
      - .offset:         86
        .size:           2
        .value_kind:     hidden_remainder_z
      - .offset:         104
        .size:           8
        .value_kind:     hidden_global_offset_x
      - .offset:         112
        .size:           8
        .value_kind:     hidden_global_offset_y
      - .offset:         120
        .size:           8
        .value_kind:     hidden_global_offset_z
      - .offset:         128
        .size:           2
        .value_kind:     hidden_grid_dims
    .group_segment_fixed_size: 4224
    .kernarg_segment_align: 8
    .kernarg_segment_size: 320
    .language:       OpenCL C
    .language_version:
      - 2
      - 0
    .max_flat_workgroup_size: 256
    .name:           _ZN7rocprim17ROCPRIM_400000_NS6detail17trampoline_kernelINS0_14default_configENS1_38merge_sort_block_merge_config_selectorIiiEEZZNS1_27merge_sort_block_merge_implIS3_N6thrust23THRUST_200600_302600_NS6detail15normal_iteratorINS8_10device_ptrIiEEEESD_jNS1_19radix_merge_compareILb1ELb1EiNS0_19identity_decomposerEEEEE10hipError_tT0_T1_T2_jT3_P12ihipStream_tbPNSt15iterator_traitsISI_E10value_typeEPNSO_ISJ_E10value_typeEPSK_NS1_7vsmem_tEENKUlT_SI_SJ_SK_E_clISD_PiSD_S10_EESH_SX_SI_SJ_SK_EUlSX_E0_NS1_11comp_targetILNS1_3genE0ELNS1_11target_archE4294967295ELNS1_3gpuE0ELNS1_3repE0EEENS1_38merge_mergepath_config_static_selectorELNS0_4arch9wavefront6targetE1EEEvSJ_
    .private_segment_fixed_size: 0
    .sgpr_count:     37
    .sgpr_spill_count: 0
    .symbol:         _ZN7rocprim17ROCPRIM_400000_NS6detail17trampoline_kernelINS0_14default_configENS1_38merge_sort_block_merge_config_selectorIiiEEZZNS1_27merge_sort_block_merge_implIS3_N6thrust23THRUST_200600_302600_NS6detail15normal_iteratorINS8_10device_ptrIiEEEESD_jNS1_19radix_merge_compareILb1ELb1EiNS0_19identity_decomposerEEEEE10hipError_tT0_T1_T2_jT3_P12ihipStream_tbPNSt15iterator_traitsISI_E10value_typeEPNSO_ISJ_E10value_typeEPSK_NS1_7vsmem_tEENKUlT_SI_SJ_SK_E_clISD_PiSD_S10_EESH_SX_SI_SJ_SK_EUlSX_E0_NS1_11comp_targetILNS1_3genE0ELNS1_11target_archE4294967295ELNS1_3gpuE0ELNS1_3repE0EEENS1_38merge_mergepath_config_static_selectorELNS0_4arch9wavefront6targetE1EEEvSJ_.kd
    .uniform_work_group_size: 1
    .uses_dynamic_stack: false
    .vgpr_count:     21
    .vgpr_spill_count: 0
    .wavefront_size: 64
  - .agpr_count:     0
    .args:
      - .offset:         0
        .size:           64
        .value_kind:     by_value
    .group_segment_fixed_size: 0
    .kernarg_segment_align: 8
    .kernarg_segment_size: 64
    .language:       OpenCL C
    .language_version:
      - 2
      - 0
    .max_flat_workgroup_size: 256
    .name:           _ZN7rocprim17ROCPRIM_400000_NS6detail17trampoline_kernelINS0_14default_configENS1_38merge_sort_block_merge_config_selectorIiiEEZZNS1_27merge_sort_block_merge_implIS3_N6thrust23THRUST_200600_302600_NS6detail15normal_iteratorINS8_10device_ptrIiEEEESD_jNS1_19radix_merge_compareILb1ELb1EiNS0_19identity_decomposerEEEEE10hipError_tT0_T1_T2_jT3_P12ihipStream_tbPNSt15iterator_traitsISI_E10value_typeEPNSO_ISJ_E10value_typeEPSK_NS1_7vsmem_tEENKUlT_SI_SJ_SK_E_clISD_PiSD_S10_EESH_SX_SI_SJ_SK_EUlSX_E0_NS1_11comp_targetILNS1_3genE10ELNS1_11target_archE1201ELNS1_3gpuE5ELNS1_3repE0EEENS1_38merge_mergepath_config_static_selectorELNS0_4arch9wavefront6targetE1EEEvSJ_
    .private_segment_fixed_size: 0
    .sgpr_count:     6
    .sgpr_spill_count: 0
    .symbol:         _ZN7rocprim17ROCPRIM_400000_NS6detail17trampoline_kernelINS0_14default_configENS1_38merge_sort_block_merge_config_selectorIiiEEZZNS1_27merge_sort_block_merge_implIS3_N6thrust23THRUST_200600_302600_NS6detail15normal_iteratorINS8_10device_ptrIiEEEESD_jNS1_19radix_merge_compareILb1ELb1EiNS0_19identity_decomposerEEEEE10hipError_tT0_T1_T2_jT3_P12ihipStream_tbPNSt15iterator_traitsISI_E10value_typeEPNSO_ISJ_E10value_typeEPSK_NS1_7vsmem_tEENKUlT_SI_SJ_SK_E_clISD_PiSD_S10_EESH_SX_SI_SJ_SK_EUlSX_E0_NS1_11comp_targetILNS1_3genE10ELNS1_11target_archE1201ELNS1_3gpuE5ELNS1_3repE0EEENS1_38merge_mergepath_config_static_selectorELNS0_4arch9wavefront6targetE1EEEvSJ_.kd
    .uniform_work_group_size: 1
    .uses_dynamic_stack: false
    .vgpr_count:     0
    .vgpr_spill_count: 0
    .wavefront_size: 64
  - .agpr_count:     0
    .args:
      - .offset:         0
        .size:           64
        .value_kind:     by_value
    .group_segment_fixed_size: 0
    .kernarg_segment_align: 8
    .kernarg_segment_size: 64
    .language:       OpenCL C
    .language_version:
      - 2
      - 0
    .max_flat_workgroup_size: 128
    .name:           _ZN7rocprim17ROCPRIM_400000_NS6detail17trampoline_kernelINS0_14default_configENS1_38merge_sort_block_merge_config_selectorIiiEEZZNS1_27merge_sort_block_merge_implIS3_N6thrust23THRUST_200600_302600_NS6detail15normal_iteratorINS8_10device_ptrIiEEEESD_jNS1_19radix_merge_compareILb1ELb1EiNS0_19identity_decomposerEEEEE10hipError_tT0_T1_T2_jT3_P12ihipStream_tbPNSt15iterator_traitsISI_E10value_typeEPNSO_ISJ_E10value_typeEPSK_NS1_7vsmem_tEENKUlT_SI_SJ_SK_E_clISD_PiSD_S10_EESH_SX_SI_SJ_SK_EUlSX_E0_NS1_11comp_targetILNS1_3genE5ELNS1_11target_archE942ELNS1_3gpuE9ELNS1_3repE0EEENS1_38merge_mergepath_config_static_selectorELNS0_4arch9wavefront6targetE1EEEvSJ_
    .private_segment_fixed_size: 0
    .sgpr_count:     6
    .sgpr_spill_count: 0
    .symbol:         _ZN7rocprim17ROCPRIM_400000_NS6detail17trampoline_kernelINS0_14default_configENS1_38merge_sort_block_merge_config_selectorIiiEEZZNS1_27merge_sort_block_merge_implIS3_N6thrust23THRUST_200600_302600_NS6detail15normal_iteratorINS8_10device_ptrIiEEEESD_jNS1_19radix_merge_compareILb1ELb1EiNS0_19identity_decomposerEEEEE10hipError_tT0_T1_T2_jT3_P12ihipStream_tbPNSt15iterator_traitsISI_E10value_typeEPNSO_ISJ_E10value_typeEPSK_NS1_7vsmem_tEENKUlT_SI_SJ_SK_E_clISD_PiSD_S10_EESH_SX_SI_SJ_SK_EUlSX_E0_NS1_11comp_targetILNS1_3genE5ELNS1_11target_archE942ELNS1_3gpuE9ELNS1_3repE0EEENS1_38merge_mergepath_config_static_selectorELNS0_4arch9wavefront6targetE1EEEvSJ_.kd
    .uniform_work_group_size: 1
    .uses_dynamic_stack: false
    .vgpr_count:     0
    .vgpr_spill_count: 0
    .wavefront_size: 64
  - .agpr_count:     0
    .args:
      - .offset:         0
        .size:           64
        .value_kind:     by_value
    .group_segment_fixed_size: 0
    .kernarg_segment_align: 8
    .kernarg_segment_size: 64
    .language:       OpenCL C
    .language_version:
      - 2
      - 0
    .max_flat_workgroup_size: 256
    .name:           _ZN7rocprim17ROCPRIM_400000_NS6detail17trampoline_kernelINS0_14default_configENS1_38merge_sort_block_merge_config_selectorIiiEEZZNS1_27merge_sort_block_merge_implIS3_N6thrust23THRUST_200600_302600_NS6detail15normal_iteratorINS8_10device_ptrIiEEEESD_jNS1_19radix_merge_compareILb1ELb1EiNS0_19identity_decomposerEEEEE10hipError_tT0_T1_T2_jT3_P12ihipStream_tbPNSt15iterator_traitsISI_E10value_typeEPNSO_ISJ_E10value_typeEPSK_NS1_7vsmem_tEENKUlT_SI_SJ_SK_E_clISD_PiSD_S10_EESH_SX_SI_SJ_SK_EUlSX_E0_NS1_11comp_targetILNS1_3genE4ELNS1_11target_archE910ELNS1_3gpuE8ELNS1_3repE0EEENS1_38merge_mergepath_config_static_selectorELNS0_4arch9wavefront6targetE1EEEvSJ_
    .private_segment_fixed_size: 0
    .sgpr_count:     6
    .sgpr_spill_count: 0
    .symbol:         _ZN7rocprim17ROCPRIM_400000_NS6detail17trampoline_kernelINS0_14default_configENS1_38merge_sort_block_merge_config_selectorIiiEEZZNS1_27merge_sort_block_merge_implIS3_N6thrust23THRUST_200600_302600_NS6detail15normal_iteratorINS8_10device_ptrIiEEEESD_jNS1_19radix_merge_compareILb1ELb1EiNS0_19identity_decomposerEEEEE10hipError_tT0_T1_T2_jT3_P12ihipStream_tbPNSt15iterator_traitsISI_E10value_typeEPNSO_ISJ_E10value_typeEPSK_NS1_7vsmem_tEENKUlT_SI_SJ_SK_E_clISD_PiSD_S10_EESH_SX_SI_SJ_SK_EUlSX_E0_NS1_11comp_targetILNS1_3genE4ELNS1_11target_archE910ELNS1_3gpuE8ELNS1_3repE0EEENS1_38merge_mergepath_config_static_selectorELNS0_4arch9wavefront6targetE1EEEvSJ_.kd
    .uniform_work_group_size: 1
    .uses_dynamic_stack: false
    .vgpr_count:     0
    .vgpr_spill_count: 0
    .wavefront_size: 64
  - .agpr_count:     0
    .args:
      - .offset:         0
        .size:           64
        .value_kind:     by_value
    .group_segment_fixed_size: 0
    .kernarg_segment_align: 8
    .kernarg_segment_size: 64
    .language:       OpenCL C
    .language_version:
      - 2
      - 0
    .max_flat_workgroup_size: 256
    .name:           _ZN7rocprim17ROCPRIM_400000_NS6detail17trampoline_kernelINS0_14default_configENS1_38merge_sort_block_merge_config_selectorIiiEEZZNS1_27merge_sort_block_merge_implIS3_N6thrust23THRUST_200600_302600_NS6detail15normal_iteratorINS8_10device_ptrIiEEEESD_jNS1_19radix_merge_compareILb1ELb1EiNS0_19identity_decomposerEEEEE10hipError_tT0_T1_T2_jT3_P12ihipStream_tbPNSt15iterator_traitsISI_E10value_typeEPNSO_ISJ_E10value_typeEPSK_NS1_7vsmem_tEENKUlT_SI_SJ_SK_E_clISD_PiSD_S10_EESH_SX_SI_SJ_SK_EUlSX_E0_NS1_11comp_targetILNS1_3genE3ELNS1_11target_archE908ELNS1_3gpuE7ELNS1_3repE0EEENS1_38merge_mergepath_config_static_selectorELNS0_4arch9wavefront6targetE1EEEvSJ_
    .private_segment_fixed_size: 0
    .sgpr_count:     6
    .sgpr_spill_count: 0
    .symbol:         _ZN7rocprim17ROCPRIM_400000_NS6detail17trampoline_kernelINS0_14default_configENS1_38merge_sort_block_merge_config_selectorIiiEEZZNS1_27merge_sort_block_merge_implIS3_N6thrust23THRUST_200600_302600_NS6detail15normal_iteratorINS8_10device_ptrIiEEEESD_jNS1_19radix_merge_compareILb1ELb1EiNS0_19identity_decomposerEEEEE10hipError_tT0_T1_T2_jT3_P12ihipStream_tbPNSt15iterator_traitsISI_E10value_typeEPNSO_ISJ_E10value_typeEPSK_NS1_7vsmem_tEENKUlT_SI_SJ_SK_E_clISD_PiSD_S10_EESH_SX_SI_SJ_SK_EUlSX_E0_NS1_11comp_targetILNS1_3genE3ELNS1_11target_archE908ELNS1_3gpuE7ELNS1_3repE0EEENS1_38merge_mergepath_config_static_selectorELNS0_4arch9wavefront6targetE1EEEvSJ_.kd
    .uniform_work_group_size: 1
    .uses_dynamic_stack: false
    .vgpr_count:     0
    .vgpr_spill_count: 0
    .wavefront_size: 64
  - .agpr_count:     0
    .args:
      - .offset:         0
        .size:           64
        .value_kind:     by_value
    .group_segment_fixed_size: 0
    .kernarg_segment_align: 8
    .kernarg_segment_size: 64
    .language:       OpenCL C
    .language_version:
      - 2
      - 0
    .max_flat_workgroup_size: 256
    .name:           _ZN7rocprim17ROCPRIM_400000_NS6detail17trampoline_kernelINS0_14default_configENS1_38merge_sort_block_merge_config_selectorIiiEEZZNS1_27merge_sort_block_merge_implIS3_N6thrust23THRUST_200600_302600_NS6detail15normal_iteratorINS8_10device_ptrIiEEEESD_jNS1_19radix_merge_compareILb1ELb1EiNS0_19identity_decomposerEEEEE10hipError_tT0_T1_T2_jT3_P12ihipStream_tbPNSt15iterator_traitsISI_E10value_typeEPNSO_ISJ_E10value_typeEPSK_NS1_7vsmem_tEENKUlT_SI_SJ_SK_E_clISD_PiSD_S10_EESH_SX_SI_SJ_SK_EUlSX_E0_NS1_11comp_targetILNS1_3genE2ELNS1_11target_archE906ELNS1_3gpuE6ELNS1_3repE0EEENS1_38merge_mergepath_config_static_selectorELNS0_4arch9wavefront6targetE1EEEvSJ_
    .private_segment_fixed_size: 0
    .sgpr_count:     6
    .sgpr_spill_count: 0
    .symbol:         _ZN7rocprim17ROCPRIM_400000_NS6detail17trampoline_kernelINS0_14default_configENS1_38merge_sort_block_merge_config_selectorIiiEEZZNS1_27merge_sort_block_merge_implIS3_N6thrust23THRUST_200600_302600_NS6detail15normal_iteratorINS8_10device_ptrIiEEEESD_jNS1_19radix_merge_compareILb1ELb1EiNS0_19identity_decomposerEEEEE10hipError_tT0_T1_T2_jT3_P12ihipStream_tbPNSt15iterator_traitsISI_E10value_typeEPNSO_ISJ_E10value_typeEPSK_NS1_7vsmem_tEENKUlT_SI_SJ_SK_E_clISD_PiSD_S10_EESH_SX_SI_SJ_SK_EUlSX_E0_NS1_11comp_targetILNS1_3genE2ELNS1_11target_archE906ELNS1_3gpuE6ELNS1_3repE0EEENS1_38merge_mergepath_config_static_selectorELNS0_4arch9wavefront6targetE1EEEvSJ_.kd
    .uniform_work_group_size: 1
    .uses_dynamic_stack: false
    .vgpr_count:     0
    .vgpr_spill_count: 0
    .wavefront_size: 64
  - .agpr_count:     0
    .args:
      - .offset:         0
        .size:           64
        .value_kind:     by_value
    .group_segment_fixed_size: 0
    .kernarg_segment_align: 8
    .kernarg_segment_size: 64
    .language:       OpenCL C
    .language_version:
      - 2
      - 0
    .max_flat_workgroup_size: 512
    .name:           _ZN7rocprim17ROCPRIM_400000_NS6detail17trampoline_kernelINS0_14default_configENS1_38merge_sort_block_merge_config_selectorIiiEEZZNS1_27merge_sort_block_merge_implIS3_N6thrust23THRUST_200600_302600_NS6detail15normal_iteratorINS8_10device_ptrIiEEEESD_jNS1_19radix_merge_compareILb1ELb1EiNS0_19identity_decomposerEEEEE10hipError_tT0_T1_T2_jT3_P12ihipStream_tbPNSt15iterator_traitsISI_E10value_typeEPNSO_ISJ_E10value_typeEPSK_NS1_7vsmem_tEENKUlT_SI_SJ_SK_E_clISD_PiSD_S10_EESH_SX_SI_SJ_SK_EUlSX_E0_NS1_11comp_targetILNS1_3genE9ELNS1_11target_archE1100ELNS1_3gpuE3ELNS1_3repE0EEENS1_38merge_mergepath_config_static_selectorELNS0_4arch9wavefront6targetE1EEEvSJ_
    .private_segment_fixed_size: 0
    .sgpr_count:     6
    .sgpr_spill_count: 0
    .symbol:         _ZN7rocprim17ROCPRIM_400000_NS6detail17trampoline_kernelINS0_14default_configENS1_38merge_sort_block_merge_config_selectorIiiEEZZNS1_27merge_sort_block_merge_implIS3_N6thrust23THRUST_200600_302600_NS6detail15normal_iteratorINS8_10device_ptrIiEEEESD_jNS1_19radix_merge_compareILb1ELb1EiNS0_19identity_decomposerEEEEE10hipError_tT0_T1_T2_jT3_P12ihipStream_tbPNSt15iterator_traitsISI_E10value_typeEPNSO_ISJ_E10value_typeEPSK_NS1_7vsmem_tEENKUlT_SI_SJ_SK_E_clISD_PiSD_S10_EESH_SX_SI_SJ_SK_EUlSX_E0_NS1_11comp_targetILNS1_3genE9ELNS1_11target_archE1100ELNS1_3gpuE3ELNS1_3repE0EEENS1_38merge_mergepath_config_static_selectorELNS0_4arch9wavefront6targetE1EEEvSJ_.kd
    .uniform_work_group_size: 1
    .uses_dynamic_stack: false
    .vgpr_count:     0
    .vgpr_spill_count: 0
    .wavefront_size: 64
  - .agpr_count:     0
    .args:
      - .offset:         0
        .size:           64
        .value_kind:     by_value
    .group_segment_fixed_size: 0
    .kernarg_segment_align: 8
    .kernarg_segment_size: 64
    .language:       OpenCL C
    .language_version:
      - 2
      - 0
    .max_flat_workgroup_size: 1024
    .name:           _ZN7rocprim17ROCPRIM_400000_NS6detail17trampoline_kernelINS0_14default_configENS1_38merge_sort_block_merge_config_selectorIiiEEZZNS1_27merge_sort_block_merge_implIS3_N6thrust23THRUST_200600_302600_NS6detail15normal_iteratorINS8_10device_ptrIiEEEESD_jNS1_19radix_merge_compareILb1ELb1EiNS0_19identity_decomposerEEEEE10hipError_tT0_T1_T2_jT3_P12ihipStream_tbPNSt15iterator_traitsISI_E10value_typeEPNSO_ISJ_E10value_typeEPSK_NS1_7vsmem_tEENKUlT_SI_SJ_SK_E_clISD_PiSD_S10_EESH_SX_SI_SJ_SK_EUlSX_E0_NS1_11comp_targetILNS1_3genE8ELNS1_11target_archE1030ELNS1_3gpuE2ELNS1_3repE0EEENS1_38merge_mergepath_config_static_selectorELNS0_4arch9wavefront6targetE1EEEvSJ_
    .private_segment_fixed_size: 0
    .sgpr_count:     6
    .sgpr_spill_count: 0
    .symbol:         _ZN7rocprim17ROCPRIM_400000_NS6detail17trampoline_kernelINS0_14default_configENS1_38merge_sort_block_merge_config_selectorIiiEEZZNS1_27merge_sort_block_merge_implIS3_N6thrust23THRUST_200600_302600_NS6detail15normal_iteratorINS8_10device_ptrIiEEEESD_jNS1_19radix_merge_compareILb1ELb1EiNS0_19identity_decomposerEEEEE10hipError_tT0_T1_T2_jT3_P12ihipStream_tbPNSt15iterator_traitsISI_E10value_typeEPNSO_ISJ_E10value_typeEPSK_NS1_7vsmem_tEENKUlT_SI_SJ_SK_E_clISD_PiSD_S10_EESH_SX_SI_SJ_SK_EUlSX_E0_NS1_11comp_targetILNS1_3genE8ELNS1_11target_archE1030ELNS1_3gpuE2ELNS1_3repE0EEENS1_38merge_mergepath_config_static_selectorELNS0_4arch9wavefront6targetE1EEEvSJ_.kd
    .uniform_work_group_size: 1
    .uses_dynamic_stack: false
    .vgpr_count:     0
    .vgpr_spill_count: 0
    .wavefront_size: 64
  - .agpr_count:     0
    .args:
      - .offset:         0
        .size:           48
        .value_kind:     by_value
    .group_segment_fixed_size: 0
    .kernarg_segment_align: 8
    .kernarg_segment_size: 48
    .language:       OpenCL C
    .language_version:
      - 2
      - 0
    .max_flat_workgroup_size: 256
    .name:           _ZN7rocprim17ROCPRIM_400000_NS6detail17trampoline_kernelINS0_14default_configENS1_38merge_sort_block_merge_config_selectorIiiEEZZNS1_27merge_sort_block_merge_implIS3_N6thrust23THRUST_200600_302600_NS6detail15normal_iteratorINS8_10device_ptrIiEEEESD_jNS1_19radix_merge_compareILb1ELb1EiNS0_19identity_decomposerEEEEE10hipError_tT0_T1_T2_jT3_P12ihipStream_tbPNSt15iterator_traitsISI_E10value_typeEPNSO_ISJ_E10value_typeEPSK_NS1_7vsmem_tEENKUlT_SI_SJ_SK_E_clISD_PiSD_S10_EESH_SX_SI_SJ_SK_EUlSX_E1_NS1_11comp_targetILNS1_3genE0ELNS1_11target_archE4294967295ELNS1_3gpuE0ELNS1_3repE0EEENS1_36merge_oddeven_config_static_selectorELNS0_4arch9wavefront6targetE1EEEvSJ_
    .private_segment_fixed_size: 0
    .sgpr_count:     30
    .sgpr_spill_count: 0
    .symbol:         _ZN7rocprim17ROCPRIM_400000_NS6detail17trampoline_kernelINS0_14default_configENS1_38merge_sort_block_merge_config_selectorIiiEEZZNS1_27merge_sort_block_merge_implIS3_N6thrust23THRUST_200600_302600_NS6detail15normal_iteratorINS8_10device_ptrIiEEEESD_jNS1_19radix_merge_compareILb1ELb1EiNS0_19identity_decomposerEEEEE10hipError_tT0_T1_T2_jT3_P12ihipStream_tbPNSt15iterator_traitsISI_E10value_typeEPNSO_ISJ_E10value_typeEPSK_NS1_7vsmem_tEENKUlT_SI_SJ_SK_E_clISD_PiSD_S10_EESH_SX_SI_SJ_SK_EUlSX_E1_NS1_11comp_targetILNS1_3genE0ELNS1_11target_archE4294967295ELNS1_3gpuE0ELNS1_3repE0EEENS1_36merge_oddeven_config_static_selectorELNS0_4arch9wavefront6targetE1EEEvSJ_.kd
    .uniform_work_group_size: 1
    .uses_dynamic_stack: false
    .vgpr_count:     11
    .vgpr_spill_count: 0
    .wavefront_size: 64
  - .agpr_count:     0
    .args:
      - .offset:         0
        .size:           48
        .value_kind:     by_value
    .group_segment_fixed_size: 0
    .kernarg_segment_align: 8
    .kernarg_segment_size: 48
    .language:       OpenCL C
    .language_version:
      - 2
      - 0
    .max_flat_workgroup_size: 256
    .name:           _ZN7rocprim17ROCPRIM_400000_NS6detail17trampoline_kernelINS0_14default_configENS1_38merge_sort_block_merge_config_selectorIiiEEZZNS1_27merge_sort_block_merge_implIS3_N6thrust23THRUST_200600_302600_NS6detail15normal_iteratorINS8_10device_ptrIiEEEESD_jNS1_19radix_merge_compareILb1ELb1EiNS0_19identity_decomposerEEEEE10hipError_tT0_T1_T2_jT3_P12ihipStream_tbPNSt15iterator_traitsISI_E10value_typeEPNSO_ISJ_E10value_typeEPSK_NS1_7vsmem_tEENKUlT_SI_SJ_SK_E_clISD_PiSD_S10_EESH_SX_SI_SJ_SK_EUlSX_E1_NS1_11comp_targetILNS1_3genE10ELNS1_11target_archE1201ELNS1_3gpuE5ELNS1_3repE0EEENS1_36merge_oddeven_config_static_selectorELNS0_4arch9wavefront6targetE1EEEvSJ_
    .private_segment_fixed_size: 0
    .sgpr_count:     6
    .sgpr_spill_count: 0
    .symbol:         _ZN7rocprim17ROCPRIM_400000_NS6detail17trampoline_kernelINS0_14default_configENS1_38merge_sort_block_merge_config_selectorIiiEEZZNS1_27merge_sort_block_merge_implIS3_N6thrust23THRUST_200600_302600_NS6detail15normal_iteratorINS8_10device_ptrIiEEEESD_jNS1_19radix_merge_compareILb1ELb1EiNS0_19identity_decomposerEEEEE10hipError_tT0_T1_T2_jT3_P12ihipStream_tbPNSt15iterator_traitsISI_E10value_typeEPNSO_ISJ_E10value_typeEPSK_NS1_7vsmem_tEENKUlT_SI_SJ_SK_E_clISD_PiSD_S10_EESH_SX_SI_SJ_SK_EUlSX_E1_NS1_11comp_targetILNS1_3genE10ELNS1_11target_archE1201ELNS1_3gpuE5ELNS1_3repE0EEENS1_36merge_oddeven_config_static_selectorELNS0_4arch9wavefront6targetE1EEEvSJ_.kd
    .uniform_work_group_size: 1
    .uses_dynamic_stack: false
    .vgpr_count:     0
    .vgpr_spill_count: 0
    .wavefront_size: 64
  - .agpr_count:     0
    .args:
      - .offset:         0
        .size:           48
        .value_kind:     by_value
    .group_segment_fixed_size: 0
    .kernarg_segment_align: 8
    .kernarg_segment_size: 48
    .language:       OpenCL C
    .language_version:
      - 2
      - 0
    .max_flat_workgroup_size: 256
    .name:           _ZN7rocprim17ROCPRIM_400000_NS6detail17trampoline_kernelINS0_14default_configENS1_38merge_sort_block_merge_config_selectorIiiEEZZNS1_27merge_sort_block_merge_implIS3_N6thrust23THRUST_200600_302600_NS6detail15normal_iteratorINS8_10device_ptrIiEEEESD_jNS1_19radix_merge_compareILb1ELb1EiNS0_19identity_decomposerEEEEE10hipError_tT0_T1_T2_jT3_P12ihipStream_tbPNSt15iterator_traitsISI_E10value_typeEPNSO_ISJ_E10value_typeEPSK_NS1_7vsmem_tEENKUlT_SI_SJ_SK_E_clISD_PiSD_S10_EESH_SX_SI_SJ_SK_EUlSX_E1_NS1_11comp_targetILNS1_3genE5ELNS1_11target_archE942ELNS1_3gpuE9ELNS1_3repE0EEENS1_36merge_oddeven_config_static_selectorELNS0_4arch9wavefront6targetE1EEEvSJ_
    .private_segment_fixed_size: 0
    .sgpr_count:     6
    .sgpr_spill_count: 0
    .symbol:         _ZN7rocprim17ROCPRIM_400000_NS6detail17trampoline_kernelINS0_14default_configENS1_38merge_sort_block_merge_config_selectorIiiEEZZNS1_27merge_sort_block_merge_implIS3_N6thrust23THRUST_200600_302600_NS6detail15normal_iteratorINS8_10device_ptrIiEEEESD_jNS1_19radix_merge_compareILb1ELb1EiNS0_19identity_decomposerEEEEE10hipError_tT0_T1_T2_jT3_P12ihipStream_tbPNSt15iterator_traitsISI_E10value_typeEPNSO_ISJ_E10value_typeEPSK_NS1_7vsmem_tEENKUlT_SI_SJ_SK_E_clISD_PiSD_S10_EESH_SX_SI_SJ_SK_EUlSX_E1_NS1_11comp_targetILNS1_3genE5ELNS1_11target_archE942ELNS1_3gpuE9ELNS1_3repE0EEENS1_36merge_oddeven_config_static_selectorELNS0_4arch9wavefront6targetE1EEEvSJ_.kd
    .uniform_work_group_size: 1
    .uses_dynamic_stack: false
    .vgpr_count:     0
    .vgpr_spill_count: 0
    .wavefront_size: 64
  - .agpr_count:     0
    .args:
      - .offset:         0
        .size:           48
        .value_kind:     by_value
    .group_segment_fixed_size: 0
    .kernarg_segment_align: 8
    .kernarg_segment_size: 48
    .language:       OpenCL C
    .language_version:
      - 2
      - 0
    .max_flat_workgroup_size: 256
    .name:           _ZN7rocprim17ROCPRIM_400000_NS6detail17trampoline_kernelINS0_14default_configENS1_38merge_sort_block_merge_config_selectorIiiEEZZNS1_27merge_sort_block_merge_implIS3_N6thrust23THRUST_200600_302600_NS6detail15normal_iteratorINS8_10device_ptrIiEEEESD_jNS1_19radix_merge_compareILb1ELb1EiNS0_19identity_decomposerEEEEE10hipError_tT0_T1_T2_jT3_P12ihipStream_tbPNSt15iterator_traitsISI_E10value_typeEPNSO_ISJ_E10value_typeEPSK_NS1_7vsmem_tEENKUlT_SI_SJ_SK_E_clISD_PiSD_S10_EESH_SX_SI_SJ_SK_EUlSX_E1_NS1_11comp_targetILNS1_3genE4ELNS1_11target_archE910ELNS1_3gpuE8ELNS1_3repE0EEENS1_36merge_oddeven_config_static_selectorELNS0_4arch9wavefront6targetE1EEEvSJ_
    .private_segment_fixed_size: 0
    .sgpr_count:     6
    .sgpr_spill_count: 0
    .symbol:         _ZN7rocprim17ROCPRIM_400000_NS6detail17trampoline_kernelINS0_14default_configENS1_38merge_sort_block_merge_config_selectorIiiEEZZNS1_27merge_sort_block_merge_implIS3_N6thrust23THRUST_200600_302600_NS6detail15normal_iteratorINS8_10device_ptrIiEEEESD_jNS1_19radix_merge_compareILb1ELb1EiNS0_19identity_decomposerEEEEE10hipError_tT0_T1_T2_jT3_P12ihipStream_tbPNSt15iterator_traitsISI_E10value_typeEPNSO_ISJ_E10value_typeEPSK_NS1_7vsmem_tEENKUlT_SI_SJ_SK_E_clISD_PiSD_S10_EESH_SX_SI_SJ_SK_EUlSX_E1_NS1_11comp_targetILNS1_3genE4ELNS1_11target_archE910ELNS1_3gpuE8ELNS1_3repE0EEENS1_36merge_oddeven_config_static_selectorELNS0_4arch9wavefront6targetE1EEEvSJ_.kd
    .uniform_work_group_size: 1
    .uses_dynamic_stack: false
    .vgpr_count:     0
    .vgpr_spill_count: 0
    .wavefront_size: 64
  - .agpr_count:     0
    .args:
      - .offset:         0
        .size:           48
        .value_kind:     by_value
    .group_segment_fixed_size: 0
    .kernarg_segment_align: 8
    .kernarg_segment_size: 48
    .language:       OpenCL C
    .language_version:
      - 2
      - 0
    .max_flat_workgroup_size: 256
    .name:           _ZN7rocprim17ROCPRIM_400000_NS6detail17trampoline_kernelINS0_14default_configENS1_38merge_sort_block_merge_config_selectorIiiEEZZNS1_27merge_sort_block_merge_implIS3_N6thrust23THRUST_200600_302600_NS6detail15normal_iteratorINS8_10device_ptrIiEEEESD_jNS1_19radix_merge_compareILb1ELb1EiNS0_19identity_decomposerEEEEE10hipError_tT0_T1_T2_jT3_P12ihipStream_tbPNSt15iterator_traitsISI_E10value_typeEPNSO_ISJ_E10value_typeEPSK_NS1_7vsmem_tEENKUlT_SI_SJ_SK_E_clISD_PiSD_S10_EESH_SX_SI_SJ_SK_EUlSX_E1_NS1_11comp_targetILNS1_3genE3ELNS1_11target_archE908ELNS1_3gpuE7ELNS1_3repE0EEENS1_36merge_oddeven_config_static_selectorELNS0_4arch9wavefront6targetE1EEEvSJ_
    .private_segment_fixed_size: 0
    .sgpr_count:     6
    .sgpr_spill_count: 0
    .symbol:         _ZN7rocprim17ROCPRIM_400000_NS6detail17trampoline_kernelINS0_14default_configENS1_38merge_sort_block_merge_config_selectorIiiEEZZNS1_27merge_sort_block_merge_implIS3_N6thrust23THRUST_200600_302600_NS6detail15normal_iteratorINS8_10device_ptrIiEEEESD_jNS1_19radix_merge_compareILb1ELb1EiNS0_19identity_decomposerEEEEE10hipError_tT0_T1_T2_jT3_P12ihipStream_tbPNSt15iterator_traitsISI_E10value_typeEPNSO_ISJ_E10value_typeEPSK_NS1_7vsmem_tEENKUlT_SI_SJ_SK_E_clISD_PiSD_S10_EESH_SX_SI_SJ_SK_EUlSX_E1_NS1_11comp_targetILNS1_3genE3ELNS1_11target_archE908ELNS1_3gpuE7ELNS1_3repE0EEENS1_36merge_oddeven_config_static_selectorELNS0_4arch9wavefront6targetE1EEEvSJ_.kd
    .uniform_work_group_size: 1
    .uses_dynamic_stack: false
    .vgpr_count:     0
    .vgpr_spill_count: 0
    .wavefront_size: 64
  - .agpr_count:     0
    .args:
      - .offset:         0
        .size:           48
        .value_kind:     by_value
    .group_segment_fixed_size: 0
    .kernarg_segment_align: 8
    .kernarg_segment_size: 48
    .language:       OpenCL C
    .language_version:
      - 2
      - 0
    .max_flat_workgroup_size: 256
    .name:           _ZN7rocprim17ROCPRIM_400000_NS6detail17trampoline_kernelINS0_14default_configENS1_38merge_sort_block_merge_config_selectorIiiEEZZNS1_27merge_sort_block_merge_implIS3_N6thrust23THRUST_200600_302600_NS6detail15normal_iteratorINS8_10device_ptrIiEEEESD_jNS1_19radix_merge_compareILb1ELb1EiNS0_19identity_decomposerEEEEE10hipError_tT0_T1_T2_jT3_P12ihipStream_tbPNSt15iterator_traitsISI_E10value_typeEPNSO_ISJ_E10value_typeEPSK_NS1_7vsmem_tEENKUlT_SI_SJ_SK_E_clISD_PiSD_S10_EESH_SX_SI_SJ_SK_EUlSX_E1_NS1_11comp_targetILNS1_3genE2ELNS1_11target_archE906ELNS1_3gpuE6ELNS1_3repE0EEENS1_36merge_oddeven_config_static_selectorELNS0_4arch9wavefront6targetE1EEEvSJ_
    .private_segment_fixed_size: 0
    .sgpr_count:     6
    .sgpr_spill_count: 0
    .symbol:         _ZN7rocprim17ROCPRIM_400000_NS6detail17trampoline_kernelINS0_14default_configENS1_38merge_sort_block_merge_config_selectorIiiEEZZNS1_27merge_sort_block_merge_implIS3_N6thrust23THRUST_200600_302600_NS6detail15normal_iteratorINS8_10device_ptrIiEEEESD_jNS1_19radix_merge_compareILb1ELb1EiNS0_19identity_decomposerEEEEE10hipError_tT0_T1_T2_jT3_P12ihipStream_tbPNSt15iterator_traitsISI_E10value_typeEPNSO_ISJ_E10value_typeEPSK_NS1_7vsmem_tEENKUlT_SI_SJ_SK_E_clISD_PiSD_S10_EESH_SX_SI_SJ_SK_EUlSX_E1_NS1_11comp_targetILNS1_3genE2ELNS1_11target_archE906ELNS1_3gpuE6ELNS1_3repE0EEENS1_36merge_oddeven_config_static_selectorELNS0_4arch9wavefront6targetE1EEEvSJ_.kd
    .uniform_work_group_size: 1
    .uses_dynamic_stack: false
    .vgpr_count:     0
    .vgpr_spill_count: 0
    .wavefront_size: 64
  - .agpr_count:     0
    .args:
      - .offset:         0
        .size:           48
        .value_kind:     by_value
    .group_segment_fixed_size: 0
    .kernarg_segment_align: 8
    .kernarg_segment_size: 48
    .language:       OpenCL C
    .language_version:
      - 2
      - 0
    .max_flat_workgroup_size: 256
    .name:           _ZN7rocprim17ROCPRIM_400000_NS6detail17trampoline_kernelINS0_14default_configENS1_38merge_sort_block_merge_config_selectorIiiEEZZNS1_27merge_sort_block_merge_implIS3_N6thrust23THRUST_200600_302600_NS6detail15normal_iteratorINS8_10device_ptrIiEEEESD_jNS1_19radix_merge_compareILb1ELb1EiNS0_19identity_decomposerEEEEE10hipError_tT0_T1_T2_jT3_P12ihipStream_tbPNSt15iterator_traitsISI_E10value_typeEPNSO_ISJ_E10value_typeEPSK_NS1_7vsmem_tEENKUlT_SI_SJ_SK_E_clISD_PiSD_S10_EESH_SX_SI_SJ_SK_EUlSX_E1_NS1_11comp_targetILNS1_3genE9ELNS1_11target_archE1100ELNS1_3gpuE3ELNS1_3repE0EEENS1_36merge_oddeven_config_static_selectorELNS0_4arch9wavefront6targetE1EEEvSJ_
    .private_segment_fixed_size: 0
    .sgpr_count:     6
    .sgpr_spill_count: 0
    .symbol:         _ZN7rocprim17ROCPRIM_400000_NS6detail17trampoline_kernelINS0_14default_configENS1_38merge_sort_block_merge_config_selectorIiiEEZZNS1_27merge_sort_block_merge_implIS3_N6thrust23THRUST_200600_302600_NS6detail15normal_iteratorINS8_10device_ptrIiEEEESD_jNS1_19radix_merge_compareILb1ELb1EiNS0_19identity_decomposerEEEEE10hipError_tT0_T1_T2_jT3_P12ihipStream_tbPNSt15iterator_traitsISI_E10value_typeEPNSO_ISJ_E10value_typeEPSK_NS1_7vsmem_tEENKUlT_SI_SJ_SK_E_clISD_PiSD_S10_EESH_SX_SI_SJ_SK_EUlSX_E1_NS1_11comp_targetILNS1_3genE9ELNS1_11target_archE1100ELNS1_3gpuE3ELNS1_3repE0EEENS1_36merge_oddeven_config_static_selectorELNS0_4arch9wavefront6targetE1EEEvSJ_.kd
    .uniform_work_group_size: 1
    .uses_dynamic_stack: false
    .vgpr_count:     0
    .vgpr_spill_count: 0
    .wavefront_size: 64
  - .agpr_count:     0
    .args:
      - .offset:         0
        .size:           48
        .value_kind:     by_value
    .group_segment_fixed_size: 0
    .kernarg_segment_align: 8
    .kernarg_segment_size: 48
    .language:       OpenCL C
    .language_version:
      - 2
      - 0
    .max_flat_workgroup_size: 256
    .name:           _ZN7rocprim17ROCPRIM_400000_NS6detail17trampoline_kernelINS0_14default_configENS1_38merge_sort_block_merge_config_selectorIiiEEZZNS1_27merge_sort_block_merge_implIS3_N6thrust23THRUST_200600_302600_NS6detail15normal_iteratorINS8_10device_ptrIiEEEESD_jNS1_19radix_merge_compareILb1ELb1EiNS0_19identity_decomposerEEEEE10hipError_tT0_T1_T2_jT3_P12ihipStream_tbPNSt15iterator_traitsISI_E10value_typeEPNSO_ISJ_E10value_typeEPSK_NS1_7vsmem_tEENKUlT_SI_SJ_SK_E_clISD_PiSD_S10_EESH_SX_SI_SJ_SK_EUlSX_E1_NS1_11comp_targetILNS1_3genE8ELNS1_11target_archE1030ELNS1_3gpuE2ELNS1_3repE0EEENS1_36merge_oddeven_config_static_selectorELNS0_4arch9wavefront6targetE1EEEvSJ_
    .private_segment_fixed_size: 0
    .sgpr_count:     6
    .sgpr_spill_count: 0
    .symbol:         _ZN7rocprim17ROCPRIM_400000_NS6detail17trampoline_kernelINS0_14default_configENS1_38merge_sort_block_merge_config_selectorIiiEEZZNS1_27merge_sort_block_merge_implIS3_N6thrust23THRUST_200600_302600_NS6detail15normal_iteratorINS8_10device_ptrIiEEEESD_jNS1_19radix_merge_compareILb1ELb1EiNS0_19identity_decomposerEEEEE10hipError_tT0_T1_T2_jT3_P12ihipStream_tbPNSt15iterator_traitsISI_E10value_typeEPNSO_ISJ_E10value_typeEPSK_NS1_7vsmem_tEENKUlT_SI_SJ_SK_E_clISD_PiSD_S10_EESH_SX_SI_SJ_SK_EUlSX_E1_NS1_11comp_targetILNS1_3genE8ELNS1_11target_archE1030ELNS1_3gpuE2ELNS1_3repE0EEENS1_36merge_oddeven_config_static_selectorELNS0_4arch9wavefront6targetE1EEEvSJ_.kd
    .uniform_work_group_size: 1
    .uses_dynamic_stack: false
    .vgpr_count:     0
    .vgpr_spill_count: 0
    .wavefront_size: 64
  - .agpr_count:     0
    .args:
      - .offset:         0
        .size:           40
        .value_kind:     by_value
    .group_segment_fixed_size: 0
    .kernarg_segment_align: 8
    .kernarg_segment_size: 40
    .language:       OpenCL C
    .language_version:
      - 2
      - 0
    .max_flat_workgroup_size: 256
    .name:           _ZN7rocprim17ROCPRIM_400000_NS6detail17trampoline_kernelINS0_14default_configENS1_35radix_sort_onesweep_config_selectorIiiEEZNS1_34radix_sort_onesweep_global_offsetsIS3_Lb1EN6thrust23THRUST_200600_302600_NS6detail15normal_iteratorINS8_10device_ptrIiEEEESD_jNS0_19identity_decomposerEEE10hipError_tT1_T2_PT3_SI_jT4_jjP12ihipStream_tbEUlT_E_NS1_11comp_targetILNS1_3genE0ELNS1_11target_archE4294967295ELNS1_3gpuE0ELNS1_3repE0EEENS1_52radix_sort_onesweep_histogram_config_static_selectorELNS0_4arch9wavefront6targetE1EEEvSG_
    .private_segment_fixed_size: 0
    .sgpr_count:     6
    .sgpr_spill_count: 0
    .symbol:         _ZN7rocprim17ROCPRIM_400000_NS6detail17trampoline_kernelINS0_14default_configENS1_35radix_sort_onesweep_config_selectorIiiEEZNS1_34radix_sort_onesweep_global_offsetsIS3_Lb1EN6thrust23THRUST_200600_302600_NS6detail15normal_iteratorINS8_10device_ptrIiEEEESD_jNS0_19identity_decomposerEEE10hipError_tT1_T2_PT3_SI_jT4_jjP12ihipStream_tbEUlT_E_NS1_11comp_targetILNS1_3genE0ELNS1_11target_archE4294967295ELNS1_3gpuE0ELNS1_3repE0EEENS1_52radix_sort_onesweep_histogram_config_static_selectorELNS0_4arch9wavefront6targetE1EEEvSG_.kd
    .uniform_work_group_size: 1
    .uses_dynamic_stack: false
    .vgpr_count:     0
    .vgpr_spill_count: 0
    .wavefront_size: 64
  - .agpr_count:     0
    .args:
      - .offset:         0
        .size:           40
        .value_kind:     by_value
    .group_segment_fixed_size: 16384
    .kernarg_segment_align: 8
    .kernarg_segment_size: 40
    .language:       OpenCL C
    .language_version:
      - 2
      - 0
    .max_flat_workgroup_size: 1024
    .name:           _ZN7rocprim17ROCPRIM_400000_NS6detail17trampoline_kernelINS0_14default_configENS1_35radix_sort_onesweep_config_selectorIiiEEZNS1_34radix_sort_onesweep_global_offsetsIS3_Lb1EN6thrust23THRUST_200600_302600_NS6detail15normal_iteratorINS8_10device_ptrIiEEEESD_jNS0_19identity_decomposerEEE10hipError_tT1_T2_PT3_SI_jT4_jjP12ihipStream_tbEUlT_E_NS1_11comp_targetILNS1_3genE6ELNS1_11target_archE950ELNS1_3gpuE13ELNS1_3repE0EEENS1_52radix_sort_onesweep_histogram_config_static_selectorELNS0_4arch9wavefront6targetE1EEEvSG_
    .private_segment_fixed_size: 0
    .sgpr_count:     25
    .sgpr_spill_count: 0
    .symbol:         _ZN7rocprim17ROCPRIM_400000_NS6detail17trampoline_kernelINS0_14default_configENS1_35radix_sort_onesweep_config_selectorIiiEEZNS1_34radix_sort_onesweep_global_offsetsIS3_Lb1EN6thrust23THRUST_200600_302600_NS6detail15normal_iteratorINS8_10device_ptrIiEEEESD_jNS0_19identity_decomposerEEE10hipError_tT1_T2_PT3_SI_jT4_jjP12ihipStream_tbEUlT_E_NS1_11comp_targetILNS1_3genE6ELNS1_11target_archE950ELNS1_3gpuE13ELNS1_3repE0EEENS1_52radix_sort_onesweep_histogram_config_static_selectorELNS0_4arch9wavefront6targetE1EEEvSG_.kd
    .uniform_work_group_size: 1
    .uses_dynamic_stack: false
    .vgpr_count:     36
    .vgpr_spill_count: 0
    .wavefront_size: 64
  - .agpr_count:     0
    .args:
      - .offset:         0
        .size:           40
        .value_kind:     by_value
    .group_segment_fixed_size: 0
    .kernarg_segment_align: 8
    .kernarg_segment_size: 40
    .language:       OpenCL C
    .language_version:
      - 2
      - 0
    .max_flat_workgroup_size: 1024
    .name:           _ZN7rocprim17ROCPRIM_400000_NS6detail17trampoline_kernelINS0_14default_configENS1_35radix_sort_onesweep_config_selectorIiiEEZNS1_34radix_sort_onesweep_global_offsetsIS3_Lb1EN6thrust23THRUST_200600_302600_NS6detail15normal_iteratorINS8_10device_ptrIiEEEESD_jNS0_19identity_decomposerEEE10hipError_tT1_T2_PT3_SI_jT4_jjP12ihipStream_tbEUlT_E_NS1_11comp_targetILNS1_3genE5ELNS1_11target_archE942ELNS1_3gpuE9ELNS1_3repE0EEENS1_52radix_sort_onesweep_histogram_config_static_selectorELNS0_4arch9wavefront6targetE1EEEvSG_
    .private_segment_fixed_size: 0
    .sgpr_count:     6
    .sgpr_spill_count: 0
    .symbol:         _ZN7rocprim17ROCPRIM_400000_NS6detail17trampoline_kernelINS0_14default_configENS1_35radix_sort_onesweep_config_selectorIiiEEZNS1_34radix_sort_onesweep_global_offsetsIS3_Lb1EN6thrust23THRUST_200600_302600_NS6detail15normal_iteratorINS8_10device_ptrIiEEEESD_jNS0_19identity_decomposerEEE10hipError_tT1_T2_PT3_SI_jT4_jjP12ihipStream_tbEUlT_E_NS1_11comp_targetILNS1_3genE5ELNS1_11target_archE942ELNS1_3gpuE9ELNS1_3repE0EEENS1_52radix_sort_onesweep_histogram_config_static_selectorELNS0_4arch9wavefront6targetE1EEEvSG_.kd
    .uniform_work_group_size: 1
    .uses_dynamic_stack: false
    .vgpr_count:     0
    .vgpr_spill_count: 0
    .wavefront_size: 64
  - .agpr_count:     0
    .args:
      - .offset:         0
        .size:           40
        .value_kind:     by_value
    .group_segment_fixed_size: 0
    .kernarg_segment_align: 8
    .kernarg_segment_size: 40
    .language:       OpenCL C
    .language_version:
      - 2
      - 0
    .max_flat_workgroup_size: 512
    .name:           _ZN7rocprim17ROCPRIM_400000_NS6detail17trampoline_kernelINS0_14default_configENS1_35radix_sort_onesweep_config_selectorIiiEEZNS1_34radix_sort_onesweep_global_offsetsIS3_Lb1EN6thrust23THRUST_200600_302600_NS6detail15normal_iteratorINS8_10device_ptrIiEEEESD_jNS0_19identity_decomposerEEE10hipError_tT1_T2_PT3_SI_jT4_jjP12ihipStream_tbEUlT_E_NS1_11comp_targetILNS1_3genE2ELNS1_11target_archE906ELNS1_3gpuE6ELNS1_3repE0EEENS1_52radix_sort_onesweep_histogram_config_static_selectorELNS0_4arch9wavefront6targetE1EEEvSG_
    .private_segment_fixed_size: 0
    .sgpr_count:     6
    .sgpr_spill_count: 0
    .symbol:         _ZN7rocprim17ROCPRIM_400000_NS6detail17trampoline_kernelINS0_14default_configENS1_35radix_sort_onesweep_config_selectorIiiEEZNS1_34radix_sort_onesweep_global_offsetsIS3_Lb1EN6thrust23THRUST_200600_302600_NS6detail15normal_iteratorINS8_10device_ptrIiEEEESD_jNS0_19identity_decomposerEEE10hipError_tT1_T2_PT3_SI_jT4_jjP12ihipStream_tbEUlT_E_NS1_11comp_targetILNS1_3genE2ELNS1_11target_archE906ELNS1_3gpuE6ELNS1_3repE0EEENS1_52radix_sort_onesweep_histogram_config_static_selectorELNS0_4arch9wavefront6targetE1EEEvSG_.kd
    .uniform_work_group_size: 1
    .uses_dynamic_stack: false
    .vgpr_count:     0
    .vgpr_spill_count: 0
    .wavefront_size: 64
  - .agpr_count:     0
    .args:
      - .offset:         0
        .size:           40
        .value_kind:     by_value
    .group_segment_fixed_size: 0
    .kernarg_segment_align: 8
    .kernarg_segment_size: 40
    .language:       OpenCL C
    .language_version:
      - 2
      - 0
    .max_flat_workgroup_size: 512
    .name:           _ZN7rocprim17ROCPRIM_400000_NS6detail17trampoline_kernelINS0_14default_configENS1_35radix_sort_onesweep_config_selectorIiiEEZNS1_34radix_sort_onesweep_global_offsetsIS3_Lb1EN6thrust23THRUST_200600_302600_NS6detail15normal_iteratorINS8_10device_ptrIiEEEESD_jNS0_19identity_decomposerEEE10hipError_tT1_T2_PT3_SI_jT4_jjP12ihipStream_tbEUlT_E_NS1_11comp_targetILNS1_3genE4ELNS1_11target_archE910ELNS1_3gpuE8ELNS1_3repE0EEENS1_52radix_sort_onesweep_histogram_config_static_selectorELNS0_4arch9wavefront6targetE1EEEvSG_
    .private_segment_fixed_size: 0
    .sgpr_count:     6
    .sgpr_spill_count: 0
    .symbol:         _ZN7rocprim17ROCPRIM_400000_NS6detail17trampoline_kernelINS0_14default_configENS1_35radix_sort_onesweep_config_selectorIiiEEZNS1_34radix_sort_onesweep_global_offsetsIS3_Lb1EN6thrust23THRUST_200600_302600_NS6detail15normal_iteratorINS8_10device_ptrIiEEEESD_jNS0_19identity_decomposerEEE10hipError_tT1_T2_PT3_SI_jT4_jjP12ihipStream_tbEUlT_E_NS1_11comp_targetILNS1_3genE4ELNS1_11target_archE910ELNS1_3gpuE8ELNS1_3repE0EEENS1_52radix_sort_onesweep_histogram_config_static_selectorELNS0_4arch9wavefront6targetE1EEEvSG_.kd
    .uniform_work_group_size: 1
    .uses_dynamic_stack: false
    .vgpr_count:     0
    .vgpr_spill_count: 0
    .wavefront_size: 64
  - .agpr_count:     0
    .args:
      - .offset:         0
        .size:           40
        .value_kind:     by_value
    .group_segment_fixed_size: 0
    .kernarg_segment_align: 8
    .kernarg_segment_size: 40
    .language:       OpenCL C
    .language_version:
      - 2
      - 0
    .max_flat_workgroup_size: 256
    .name:           _ZN7rocprim17ROCPRIM_400000_NS6detail17trampoline_kernelINS0_14default_configENS1_35radix_sort_onesweep_config_selectorIiiEEZNS1_34radix_sort_onesweep_global_offsetsIS3_Lb1EN6thrust23THRUST_200600_302600_NS6detail15normal_iteratorINS8_10device_ptrIiEEEESD_jNS0_19identity_decomposerEEE10hipError_tT1_T2_PT3_SI_jT4_jjP12ihipStream_tbEUlT_E_NS1_11comp_targetILNS1_3genE3ELNS1_11target_archE908ELNS1_3gpuE7ELNS1_3repE0EEENS1_52radix_sort_onesweep_histogram_config_static_selectorELNS0_4arch9wavefront6targetE1EEEvSG_
    .private_segment_fixed_size: 0
    .sgpr_count:     6
    .sgpr_spill_count: 0
    .symbol:         _ZN7rocprim17ROCPRIM_400000_NS6detail17trampoline_kernelINS0_14default_configENS1_35radix_sort_onesweep_config_selectorIiiEEZNS1_34radix_sort_onesweep_global_offsetsIS3_Lb1EN6thrust23THRUST_200600_302600_NS6detail15normal_iteratorINS8_10device_ptrIiEEEESD_jNS0_19identity_decomposerEEE10hipError_tT1_T2_PT3_SI_jT4_jjP12ihipStream_tbEUlT_E_NS1_11comp_targetILNS1_3genE3ELNS1_11target_archE908ELNS1_3gpuE7ELNS1_3repE0EEENS1_52radix_sort_onesweep_histogram_config_static_selectorELNS0_4arch9wavefront6targetE1EEEvSG_.kd
    .uniform_work_group_size: 1
    .uses_dynamic_stack: false
    .vgpr_count:     0
    .vgpr_spill_count: 0
    .wavefront_size: 64
  - .agpr_count:     0
    .args:
      - .offset:         0
        .size:           40
        .value_kind:     by_value
    .group_segment_fixed_size: 0
    .kernarg_segment_align: 8
    .kernarg_segment_size: 40
    .language:       OpenCL C
    .language_version:
      - 2
      - 0
    .max_flat_workgroup_size: 1024
    .name:           _ZN7rocprim17ROCPRIM_400000_NS6detail17trampoline_kernelINS0_14default_configENS1_35radix_sort_onesweep_config_selectorIiiEEZNS1_34radix_sort_onesweep_global_offsetsIS3_Lb1EN6thrust23THRUST_200600_302600_NS6detail15normal_iteratorINS8_10device_ptrIiEEEESD_jNS0_19identity_decomposerEEE10hipError_tT1_T2_PT3_SI_jT4_jjP12ihipStream_tbEUlT_E_NS1_11comp_targetILNS1_3genE10ELNS1_11target_archE1201ELNS1_3gpuE5ELNS1_3repE0EEENS1_52radix_sort_onesweep_histogram_config_static_selectorELNS0_4arch9wavefront6targetE1EEEvSG_
    .private_segment_fixed_size: 0
    .sgpr_count:     6
    .sgpr_spill_count: 0
    .symbol:         _ZN7rocprim17ROCPRIM_400000_NS6detail17trampoline_kernelINS0_14default_configENS1_35radix_sort_onesweep_config_selectorIiiEEZNS1_34radix_sort_onesweep_global_offsetsIS3_Lb1EN6thrust23THRUST_200600_302600_NS6detail15normal_iteratorINS8_10device_ptrIiEEEESD_jNS0_19identity_decomposerEEE10hipError_tT1_T2_PT3_SI_jT4_jjP12ihipStream_tbEUlT_E_NS1_11comp_targetILNS1_3genE10ELNS1_11target_archE1201ELNS1_3gpuE5ELNS1_3repE0EEENS1_52radix_sort_onesweep_histogram_config_static_selectorELNS0_4arch9wavefront6targetE1EEEvSG_.kd
    .uniform_work_group_size: 1
    .uses_dynamic_stack: false
    .vgpr_count:     0
    .vgpr_spill_count: 0
    .wavefront_size: 64
  - .agpr_count:     0
    .args:
      - .offset:         0
        .size:           40
        .value_kind:     by_value
    .group_segment_fixed_size: 0
    .kernarg_segment_align: 8
    .kernarg_segment_size: 40
    .language:       OpenCL C
    .language_version:
      - 2
      - 0
    .max_flat_workgroup_size: 1024
    .name:           _ZN7rocprim17ROCPRIM_400000_NS6detail17trampoline_kernelINS0_14default_configENS1_35radix_sort_onesweep_config_selectorIiiEEZNS1_34radix_sort_onesweep_global_offsetsIS3_Lb1EN6thrust23THRUST_200600_302600_NS6detail15normal_iteratorINS8_10device_ptrIiEEEESD_jNS0_19identity_decomposerEEE10hipError_tT1_T2_PT3_SI_jT4_jjP12ihipStream_tbEUlT_E_NS1_11comp_targetILNS1_3genE9ELNS1_11target_archE1100ELNS1_3gpuE3ELNS1_3repE0EEENS1_52radix_sort_onesweep_histogram_config_static_selectorELNS0_4arch9wavefront6targetE1EEEvSG_
    .private_segment_fixed_size: 0
    .sgpr_count:     6
    .sgpr_spill_count: 0
    .symbol:         _ZN7rocprim17ROCPRIM_400000_NS6detail17trampoline_kernelINS0_14default_configENS1_35radix_sort_onesweep_config_selectorIiiEEZNS1_34radix_sort_onesweep_global_offsetsIS3_Lb1EN6thrust23THRUST_200600_302600_NS6detail15normal_iteratorINS8_10device_ptrIiEEEESD_jNS0_19identity_decomposerEEE10hipError_tT1_T2_PT3_SI_jT4_jjP12ihipStream_tbEUlT_E_NS1_11comp_targetILNS1_3genE9ELNS1_11target_archE1100ELNS1_3gpuE3ELNS1_3repE0EEENS1_52radix_sort_onesweep_histogram_config_static_selectorELNS0_4arch9wavefront6targetE1EEEvSG_.kd
    .uniform_work_group_size: 1
    .uses_dynamic_stack: false
    .vgpr_count:     0
    .vgpr_spill_count: 0
    .wavefront_size: 64
  - .agpr_count:     0
    .args:
      - .offset:         0
        .size:           40
        .value_kind:     by_value
    .group_segment_fixed_size: 0
    .kernarg_segment_align: 8
    .kernarg_segment_size: 40
    .language:       OpenCL C
    .language_version:
      - 2
      - 0
    .max_flat_workgroup_size: 1024
    .name:           _ZN7rocprim17ROCPRIM_400000_NS6detail17trampoline_kernelINS0_14default_configENS1_35radix_sort_onesweep_config_selectorIiiEEZNS1_34radix_sort_onesweep_global_offsetsIS3_Lb1EN6thrust23THRUST_200600_302600_NS6detail15normal_iteratorINS8_10device_ptrIiEEEESD_jNS0_19identity_decomposerEEE10hipError_tT1_T2_PT3_SI_jT4_jjP12ihipStream_tbEUlT_E_NS1_11comp_targetILNS1_3genE8ELNS1_11target_archE1030ELNS1_3gpuE2ELNS1_3repE0EEENS1_52radix_sort_onesweep_histogram_config_static_selectorELNS0_4arch9wavefront6targetE1EEEvSG_
    .private_segment_fixed_size: 0
    .sgpr_count:     6
    .sgpr_spill_count: 0
    .symbol:         _ZN7rocprim17ROCPRIM_400000_NS6detail17trampoline_kernelINS0_14default_configENS1_35radix_sort_onesweep_config_selectorIiiEEZNS1_34radix_sort_onesweep_global_offsetsIS3_Lb1EN6thrust23THRUST_200600_302600_NS6detail15normal_iteratorINS8_10device_ptrIiEEEESD_jNS0_19identity_decomposerEEE10hipError_tT1_T2_PT3_SI_jT4_jjP12ihipStream_tbEUlT_E_NS1_11comp_targetILNS1_3genE8ELNS1_11target_archE1030ELNS1_3gpuE2ELNS1_3repE0EEENS1_52radix_sort_onesweep_histogram_config_static_selectorELNS0_4arch9wavefront6targetE1EEEvSG_.kd
    .uniform_work_group_size: 1
    .uses_dynamic_stack: false
    .vgpr_count:     0
    .vgpr_spill_count: 0
    .wavefront_size: 64
  - .agpr_count:     0
    .args:
      - .address_space:  global
        .offset:         0
        .size:           8
        .value_kind:     global_buffer
    .group_segment_fixed_size: 0
    .kernarg_segment_align: 8
    .kernarg_segment_size: 8
    .language:       OpenCL C
    .language_version:
      - 2
      - 0
    .max_flat_workgroup_size: 256
    .name:           _ZN7rocprim17ROCPRIM_400000_NS6detail17trampoline_kernelINS0_14default_configENS1_35radix_sort_onesweep_config_selectorIiiEEZNS1_34radix_sort_onesweep_global_offsetsIS3_Lb1EN6thrust23THRUST_200600_302600_NS6detail15normal_iteratorINS8_10device_ptrIiEEEESD_jNS0_19identity_decomposerEEE10hipError_tT1_T2_PT3_SI_jT4_jjP12ihipStream_tbEUlT_E0_NS1_11comp_targetILNS1_3genE0ELNS1_11target_archE4294967295ELNS1_3gpuE0ELNS1_3repE0EEENS1_52radix_sort_onesweep_histogram_config_static_selectorELNS0_4arch9wavefront6targetE1EEEvSG_
    .private_segment_fixed_size: 0
    .sgpr_count:     6
    .sgpr_spill_count: 0
    .symbol:         _ZN7rocprim17ROCPRIM_400000_NS6detail17trampoline_kernelINS0_14default_configENS1_35radix_sort_onesweep_config_selectorIiiEEZNS1_34radix_sort_onesweep_global_offsetsIS3_Lb1EN6thrust23THRUST_200600_302600_NS6detail15normal_iteratorINS8_10device_ptrIiEEEESD_jNS0_19identity_decomposerEEE10hipError_tT1_T2_PT3_SI_jT4_jjP12ihipStream_tbEUlT_E0_NS1_11comp_targetILNS1_3genE0ELNS1_11target_archE4294967295ELNS1_3gpuE0ELNS1_3repE0EEENS1_52radix_sort_onesweep_histogram_config_static_selectorELNS0_4arch9wavefront6targetE1EEEvSG_.kd
    .uniform_work_group_size: 1
    .uses_dynamic_stack: false
    .vgpr_count:     0
    .vgpr_spill_count: 0
    .wavefront_size: 64
  - .agpr_count:     0
    .args:
      - .address_space:  global
        .offset:         0
        .size:           8
        .value_kind:     global_buffer
    .group_segment_fixed_size: 64
    .kernarg_segment_align: 8
    .kernarg_segment_size: 8
    .language:       OpenCL C
    .language_version:
      - 2
      - 0
    .max_flat_workgroup_size: 1024
    .name:           _ZN7rocprim17ROCPRIM_400000_NS6detail17trampoline_kernelINS0_14default_configENS1_35radix_sort_onesweep_config_selectorIiiEEZNS1_34radix_sort_onesweep_global_offsetsIS3_Lb1EN6thrust23THRUST_200600_302600_NS6detail15normal_iteratorINS8_10device_ptrIiEEEESD_jNS0_19identity_decomposerEEE10hipError_tT1_T2_PT3_SI_jT4_jjP12ihipStream_tbEUlT_E0_NS1_11comp_targetILNS1_3genE6ELNS1_11target_archE950ELNS1_3gpuE13ELNS1_3repE0EEENS1_52radix_sort_onesweep_histogram_config_static_selectorELNS0_4arch9wavefront6targetE1EEEvSG_
    .private_segment_fixed_size: 0
    .sgpr_count:     20
    .sgpr_spill_count: 0
    .symbol:         _ZN7rocprim17ROCPRIM_400000_NS6detail17trampoline_kernelINS0_14default_configENS1_35radix_sort_onesweep_config_selectorIiiEEZNS1_34radix_sort_onesweep_global_offsetsIS3_Lb1EN6thrust23THRUST_200600_302600_NS6detail15normal_iteratorINS8_10device_ptrIiEEEESD_jNS0_19identity_decomposerEEE10hipError_tT1_T2_PT3_SI_jT4_jjP12ihipStream_tbEUlT_E0_NS1_11comp_targetILNS1_3genE6ELNS1_11target_archE950ELNS1_3gpuE13ELNS1_3repE0EEENS1_52radix_sort_onesweep_histogram_config_static_selectorELNS0_4arch9wavefront6targetE1EEEvSG_.kd
    .uniform_work_group_size: 1
    .uses_dynamic_stack: false
    .vgpr_count:     7
    .vgpr_spill_count: 0
    .wavefront_size: 64
  - .agpr_count:     0
    .args:
      - .address_space:  global
        .offset:         0
        .size:           8
        .value_kind:     global_buffer
    .group_segment_fixed_size: 0
    .kernarg_segment_align: 8
    .kernarg_segment_size: 8
    .language:       OpenCL C
    .language_version:
      - 2
      - 0
    .max_flat_workgroup_size: 1024
    .name:           _ZN7rocprim17ROCPRIM_400000_NS6detail17trampoline_kernelINS0_14default_configENS1_35radix_sort_onesweep_config_selectorIiiEEZNS1_34radix_sort_onesweep_global_offsetsIS3_Lb1EN6thrust23THRUST_200600_302600_NS6detail15normal_iteratorINS8_10device_ptrIiEEEESD_jNS0_19identity_decomposerEEE10hipError_tT1_T2_PT3_SI_jT4_jjP12ihipStream_tbEUlT_E0_NS1_11comp_targetILNS1_3genE5ELNS1_11target_archE942ELNS1_3gpuE9ELNS1_3repE0EEENS1_52radix_sort_onesweep_histogram_config_static_selectorELNS0_4arch9wavefront6targetE1EEEvSG_
    .private_segment_fixed_size: 0
    .sgpr_count:     6
    .sgpr_spill_count: 0
    .symbol:         _ZN7rocprim17ROCPRIM_400000_NS6detail17trampoline_kernelINS0_14default_configENS1_35radix_sort_onesweep_config_selectorIiiEEZNS1_34radix_sort_onesweep_global_offsetsIS3_Lb1EN6thrust23THRUST_200600_302600_NS6detail15normal_iteratorINS8_10device_ptrIiEEEESD_jNS0_19identity_decomposerEEE10hipError_tT1_T2_PT3_SI_jT4_jjP12ihipStream_tbEUlT_E0_NS1_11comp_targetILNS1_3genE5ELNS1_11target_archE942ELNS1_3gpuE9ELNS1_3repE0EEENS1_52radix_sort_onesweep_histogram_config_static_selectorELNS0_4arch9wavefront6targetE1EEEvSG_.kd
    .uniform_work_group_size: 1
    .uses_dynamic_stack: false
    .vgpr_count:     0
    .vgpr_spill_count: 0
    .wavefront_size: 64
  - .agpr_count:     0
    .args:
      - .address_space:  global
        .offset:         0
        .size:           8
        .value_kind:     global_buffer
    .group_segment_fixed_size: 0
    .kernarg_segment_align: 8
    .kernarg_segment_size: 8
    .language:       OpenCL C
    .language_version:
      - 2
      - 0
    .max_flat_workgroup_size: 512
    .name:           _ZN7rocprim17ROCPRIM_400000_NS6detail17trampoline_kernelINS0_14default_configENS1_35radix_sort_onesweep_config_selectorIiiEEZNS1_34radix_sort_onesweep_global_offsetsIS3_Lb1EN6thrust23THRUST_200600_302600_NS6detail15normal_iteratorINS8_10device_ptrIiEEEESD_jNS0_19identity_decomposerEEE10hipError_tT1_T2_PT3_SI_jT4_jjP12ihipStream_tbEUlT_E0_NS1_11comp_targetILNS1_3genE2ELNS1_11target_archE906ELNS1_3gpuE6ELNS1_3repE0EEENS1_52radix_sort_onesweep_histogram_config_static_selectorELNS0_4arch9wavefront6targetE1EEEvSG_
    .private_segment_fixed_size: 0
    .sgpr_count:     6
    .sgpr_spill_count: 0
    .symbol:         _ZN7rocprim17ROCPRIM_400000_NS6detail17trampoline_kernelINS0_14default_configENS1_35radix_sort_onesweep_config_selectorIiiEEZNS1_34radix_sort_onesweep_global_offsetsIS3_Lb1EN6thrust23THRUST_200600_302600_NS6detail15normal_iteratorINS8_10device_ptrIiEEEESD_jNS0_19identity_decomposerEEE10hipError_tT1_T2_PT3_SI_jT4_jjP12ihipStream_tbEUlT_E0_NS1_11comp_targetILNS1_3genE2ELNS1_11target_archE906ELNS1_3gpuE6ELNS1_3repE0EEENS1_52radix_sort_onesweep_histogram_config_static_selectorELNS0_4arch9wavefront6targetE1EEEvSG_.kd
    .uniform_work_group_size: 1
    .uses_dynamic_stack: false
    .vgpr_count:     0
    .vgpr_spill_count: 0
    .wavefront_size: 64
  - .agpr_count:     0
    .args:
      - .address_space:  global
        .offset:         0
        .size:           8
        .value_kind:     global_buffer
    .group_segment_fixed_size: 0
    .kernarg_segment_align: 8
    .kernarg_segment_size: 8
    .language:       OpenCL C
    .language_version:
      - 2
      - 0
    .max_flat_workgroup_size: 512
    .name:           _ZN7rocprim17ROCPRIM_400000_NS6detail17trampoline_kernelINS0_14default_configENS1_35radix_sort_onesweep_config_selectorIiiEEZNS1_34radix_sort_onesweep_global_offsetsIS3_Lb1EN6thrust23THRUST_200600_302600_NS6detail15normal_iteratorINS8_10device_ptrIiEEEESD_jNS0_19identity_decomposerEEE10hipError_tT1_T2_PT3_SI_jT4_jjP12ihipStream_tbEUlT_E0_NS1_11comp_targetILNS1_3genE4ELNS1_11target_archE910ELNS1_3gpuE8ELNS1_3repE0EEENS1_52radix_sort_onesweep_histogram_config_static_selectorELNS0_4arch9wavefront6targetE1EEEvSG_
    .private_segment_fixed_size: 0
    .sgpr_count:     6
    .sgpr_spill_count: 0
    .symbol:         _ZN7rocprim17ROCPRIM_400000_NS6detail17trampoline_kernelINS0_14default_configENS1_35radix_sort_onesweep_config_selectorIiiEEZNS1_34radix_sort_onesweep_global_offsetsIS3_Lb1EN6thrust23THRUST_200600_302600_NS6detail15normal_iteratorINS8_10device_ptrIiEEEESD_jNS0_19identity_decomposerEEE10hipError_tT1_T2_PT3_SI_jT4_jjP12ihipStream_tbEUlT_E0_NS1_11comp_targetILNS1_3genE4ELNS1_11target_archE910ELNS1_3gpuE8ELNS1_3repE0EEENS1_52radix_sort_onesweep_histogram_config_static_selectorELNS0_4arch9wavefront6targetE1EEEvSG_.kd
    .uniform_work_group_size: 1
    .uses_dynamic_stack: false
    .vgpr_count:     0
    .vgpr_spill_count: 0
    .wavefront_size: 64
  - .agpr_count:     0
    .args:
      - .address_space:  global
        .offset:         0
        .size:           8
        .value_kind:     global_buffer
    .group_segment_fixed_size: 0
    .kernarg_segment_align: 8
    .kernarg_segment_size: 8
    .language:       OpenCL C
    .language_version:
      - 2
      - 0
    .max_flat_workgroup_size: 256
    .name:           _ZN7rocprim17ROCPRIM_400000_NS6detail17trampoline_kernelINS0_14default_configENS1_35radix_sort_onesweep_config_selectorIiiEEZNS1_34radix_sort_onesweep_global_offsetsIS3_Lb1EN6thrust23THRUST_200600_302600_NS6detail15normal_iteratorINS8_10device_ptrIiEEEESD_jNS0_19identity_decomposerEEE10hipError_tT1_T2_PT3_SI_jT4_jjP12ihipStream_tbEUlT_E0_NS1_11comp_targetILNS1_3genE3ELNS1_11target_archE908ELNS1_3gpuE7ELNS1_3repE0EEENS1_52radix_sort_onesweep_histogram_config_static_selectorELNS0_4arch9wavefront6targetE1EEEvSG_
    .private_segment_fixed_size: 0
    .sgpr_count:     6
    .sgpr_spill_count: 0
    .symbol:         _ZN7rocprim17ROCPRIM_400000_NS6detail17trampoline_kernelINS0_14default_configENS1_35radix_sort_onesweep_config_selectorIiiEEZNS1_34radix_sort_onesweep_global_offsetsIS3_Lb1EN6thrust23THRUST_200600_302600_NS6detail15normal_iteratorINS8_10device_ptrIiEEEESD_jNS0_19identity_decomposerEEE10hipError_tT1_T2_PT3_SI_jT4_jjP12ihipStream_tbEUlT_E0_NS1_11comp_targetILNS1_3genE3ELNS1_11target_archE908ELNS1_3gpuE7ELNS1_3repE0EEENS1_52radix_sort_onesweep_histogram_config_static_selectorELNS0_4arch9wavefront6targetE1EEEvSG_.kd
    .uniform_work_group_size: 1
    .uses_dynamic_stack: false
    .vgpr_count:     0
    .vgpr_spill_count: 0
    .wavefront_size: 64
  - .agpr_count:     0
    .args:
      - .address_space:  global
        .offset:         0
        .size:           8
        .value_kind:     global_buffer
    .group_segment_fixed_size: 0
    .kernarg_segment_align: 8
    .kernarg_segment_size: 8
    .language:       OpenCL C
    .language_version:
      - 2
      - 0
    .max_flat_workgroup_size: 1024
    .name:           _ZN7rocprim17ROCPRIM_400000_NS6detail17trampoline_kernelINS0_14default_configENS1_35radix_sort_onesweep_config_selectorIiiEEZNS1_34radix_sort_onesweep_global_offsetsIS3_Lb1EN6thrust23THRUST_200600_302600_NS6detail15normal_iteratorINS8_10device_ptrIiEEEESD_jNS0_19identity_decomposerEEE10hipError_tT1_T2_PT3_SI_jT4_jjP12ihipStream_tbEUlT_E0_NS1_11comp_targetILNS1_3genE10ELNS1_11target_archE1201ELNS1_3gpuE5ELNS1_3repE0EEENS1_52radix_sort_onesweep_histogram_config_static_selectorELNS0_4arch9wavefront6targetE1EEEvSG_
    .private_segment_fixed_size: 0
    .sgpr_count:     6
    .sgpr_spill_count: 0
    .symbol:         _ZN7rocprim17ROCPRIM_400000_NS6detail17trampoline_kernelINS0_14default_configENS1_35radix_sort_onesweep_config_selectorIiiEEZNS1_34radix_sort_onesweep_global_offsetsIS3_Lb1EN6thrust23THRUST_200600_302600_NS6detail15normal_iteratorINS8_10device_ptrIiEEEESD_jNS0_19identity_decomposerEEE10hipError_tT1_T2_PT3_SI_jT4_jjP12ihipStream_tbEUlT_E0_NS1_11comp_targetILNS1_3genE10ELNS1_11target_archE1201ELNS1_3gpuE5ELNS1_3repE0EEENS1_52radix_sort_onesweep_histogram_config_static_selectorELNS0_4arch9wavefront6targetE1EEEvSG_.kd
    .uniform_work_group_size: 1
    .uses_dynamic_stack: false
    .vgpr_count:     0
    .vgpr_spill_count: 0
    .wavefront_size: 64
  - .agpr_count:     0
    .args:
      - .address_space:  global
        .offset:         0
        .size:           8
        .value_kind:     global_buffer
    .group_segment_fixed_size: 0
    .kernarg_segment_align: 8
    .kernarg_segment_size: 8
    .language:       OpenCL C
    .language_version:
      - 2
      - 0
    .max_flat_workgroup_size: 1024
    .name:           _ZN7rocprim17ROCPRIM_400000_NS6detail17trampoline_kernelINS0_14default_configENS1_35radix_sort_onesweep_config_selectorIiiEEZNS1_34radix_sort_onesweep_global_offsetsIS3_Lb1EN6thrust23THRUST_200600_302600_NS6detail15normal_iteratorINS8_10device_ptrIiEEEESD_jNS0_19identity_decomposerEEE10hipError_tT1_T2_PT3_SI_jT4_jjP12ihipStream_tbEUlT_E0_NS1_11comp_targetILNS1_3genE9ELNS1_11target_archE1100ELNS1_3gpuE3ELNS1_3repE0EEENS1_52radix_sort_onesweep_histogram_config_static_selectorELNS0_4arch9wavefront6targetE1EEEvSG_
    .private_segment_fixed_size: 0
    .sgpr_count:     6
    .sgpr_spill_count: 0
    .symbol:         _ZN7rocprim17ROCPRIM_400000_NS6detail17trampoline_kernelINS0_14default_configENS1_35radix_sort_onesweep_config_selectorIiiEEZNS1_34radix_sort_onesweep_global_offsetsIS3_Lb1EN6thrust23THRUST_200600_302600_NS6detail15normal_iteratorINS8_10device_ptrIiEEEESD_jNS0_19identity_decomposerEEE10hipError_tT1_T2_PT3_SI_jT4_jjP12ihipStream_tbEUlT_E0_NS1_11comp_targetILNS1_3genE9ELNS1_11target_archE1100ELNS1_3gpuE3ELNS1_3repE0EEENS1_52radix_sort_onesweep_histogram_config_static_selectorELNS0_4arch9wavefront6targetE1EEEvSG_.kd
    .uniform_work_group_size: 1
    .uses_dynamic_stack: false
    .vgpr_count:     0
    .vgpr_spill_count: 0
    .wavefront_size: 64
  - .agpr_count:     0
    .args:
      - .address_space:  global
        .offset:         0
        .size:           8
        .value_kind:     global_buffer
    .group_segment_fixed_size: 0
    .kernarg_segment_align: 8
    .kernarg_segment_size: 8
    .language:       OpenCL C
    .language_version:
      - 2
      - 0
    .max_flat_workgroup_size: 1024
    .name:           _ZN7rocprim17ROCPRIM_400000_NS6detail17trampoline_kernelINS0_14default_configENS1_35radix_sort_onesweep_config_selectorIiiEEZNS1_34radix_sort_onesweep_global_offsetsIS3_Lb1EN6thrust23THRUST_200600_302600_NS6detail15normal_iteratorINS8_10device_ptrIiEEEESD_jNS0_19identity_decomposerEEE10hipError_tT1_T2_PT3_SI_jT4_jjP12ihipStream_tbEUlT_E0_NS1_11comp_targetILNS1_3genE8ELNS1_11target_archE1030ELNS1_3gpuE2ELNS1_3repE0EEENS1_52radix_sort_onesweep_histogram_config_static_selectorELNS0_4arch9wavefront6targetE1EEEvSG_
    .private_segment_fixed_size: 0
    .sgpr_count:     6
    .sgpr_spill_count: 0
    .symbol:         _ZN7rocprim17ROCPRIM_400000_NS6detail17trampoline_kernelINS0_14default_configENS1_35radix_sort_onesweep_config_selectorIiiEEZNS1_34radix_sort_onesweep_global_offsetsIS3_Lb1EN6thrust23THRUST_200600_302600_NS6detail15normal_iteratorINS8_10device_ptrIiEEEESD_jNS0_19identity_decomposerEEE10hipError_tT1_T2_PT3_SI_jT4_jjP12ihipStream_tbEUlT_E0_NS1_11comp_targetILNS1_3genE8ELNS1_11target_archE1030ELNS1_3gpuE2ELNS1_3repE0EEENS1_52radix_sort_onesweep_histogram_config_static_selectorELNS0_4arch9wavefront6targetE1EEEvSG_.kd
    .uniform_work_group_size: 1
    .uses_dynamic_stack: false
    .vgpr_count:     0
    .vgpr_spill_count: 0
    .wavefront_size: 64
  - .agpr_count:     0
    .args:
      - .offset:         0
        .size:           88
        .value_kind:     by_value
    .group_segment_fixed_size: 0
    .kernarg_segment_align: 8
    .kernarg_segment_size: 88
    .language:       OpenCL C
    .language_version:
      - 2
      - 0
    .max_flat_workgroup_size: 256
    .name:           _ZN7rocprim17ROCPRIM_400000_NS6detail17trampoline_kernelINS0_14default_configENS1_35radix_sort_onesweep_config_selectorIiiEEZZNS1_29radix_sort_onesweep_iterationIS3_Lb1EN6thrust23THRUST_200600_302600_NS6detail15normal_iteratorINS8_10device_ptrIiEEEESD_SD_SD_jNS0_19identity_decomposerENS1_16block_id_wrapperIjLb1EEEEE10hipError_tT1_PNSt15iterator_traitsISI_E10value_typeET2_T3_PNSJ_ISO_E10value_typeET4_T5_PST_SU_PNS1_23onesweep_lookback_stateEbbT6_jjT7_P12ihipStream_tbENKUlT_T0_SI_SN_E_clISD_SD_SD_SD_EEDaS11_S12_SI_SN_EUlS11_E_NS1_11comp_targetILNS1_3genE0ELNS1_11target_archE4294967295ELNS1_3gpuE0ELNS1_3repE0EEENS1_47radix_sort_onesweep_sort_config_static_selectorELNS0_4arch9wavefront6targetE1EEEvSI_
    .private_segment_fixed_size: 0
    .sgpr_count:     6
    .sgpr_spill_count: 0
    .symbol:         _ZN7rocprim17ROCPRIM_400000_NS6detail17trampoline_kernelINS0_14default_configENS1_35radix_sort_onesweep_config_selectorIiiEEZZNS1_29radix_sort_onesweep_iterationIS3_Lb1EN6thrust23THRUST_200600_302600_NS6detail15normal_iteratorINS8_10device_ptrIiEEEESD_SD_SD_jNS0_19identity_decomposerENS1_16block_id_wrapperIjLb1EEEEE10hipError_tT1_PNSt15iterator_traitsISI_E10value_typeET2_T3_PNSJ_ISO_E10value_typeET4_T5_PST_SU_PNS1_23onesweep_lookback_stateEbbT6_jjT7_P12ihipStream_tbENKUlT_T0_SI_SN_E_clISD_SD_SD_SD_EEDaS11_S12_SI_SN_EUlS11_E_NS1_11comp_targetILNS1_3genE0ELNS1_11target_archE4294967295ELNS1_3gpuE0ELNS1_3repE0EEENS1_47radix_sort_onesweep_sort_config_static_selectorELNS0_4arch9wavefront6targetE1EEEvSI_.kd
    .uniform_work_group_size: 1
    .uses_dynamic_stack: false
    .vgpr_count:     0
    .vgpr_spill_count: 0
    .wavefront_size: 64
  - .agpr_count:     0
    .args:
      - .offset:         0
        .size:           88
        .value_kind:     by_value
      - .offset:         88
        .size:           4
        .value_kind:     hidden_block_count_x
      - .offset:         92
        .size:           4
        .value_kind:     hidden_block_count_y
      - .offset:         96
        .size:           4
        .value_kind:     hidden_block_count_z
      - .offset:         100
        .size:           2
        .value_kind:     hidden_group_size_x
      - .offset:         102
        .size:           2
        .value_kind:     hidden_group_size_y
      - .offset:         104
        .size:           2
        .value_kind:     hidden_group_size_z
      - .offset:         106
        .size:           2
        .value_kind:     hidden_remainder_x
      - .offset:         108
        .size:           2
        .value_kind:     hidden_remainder_y
      - .offset:         110
        .size:           2
        .value_kind:     hidden_remainder_z
      - .offset:         128
        .size:           8
        .value_kind:     hidden_global_offset_x
      - .offset:         136
        .size:           8
        .value_kind:     hidden_global_offset_y
      - .offset:         144
        .size:           8
        .value_kind:     hidden_global_offset_z
      - .offset:         152
        .size:           2
        .value_kind:     hidden_grid_dims
    .group_segment_fixed_size: 20552
    .kernarg_segment_align: 8
    .kernarg_segment_size: 344
    .language:       OpenCL C
    .language_version:
      - 2
      - 0
    .max_flat_workgroup_size: 1024
    .name:           _ZN7rocprim17ROCPRIM_400000_NS6detail17trampoline_kernelINS0_14default_configENS1_35radix_sort_onesweep_config_selectorIiiEEZZNS1_29radix_sort_onesweep_iterationIS3_Lb1EN6thrust23THRUST_200600_302600_NS6detail15normal_iteratorINS8_10device_ptrIiEEEESD_SD_SD_jNS0_19identity_decomposerENS1_16block_id_wrapperIjLb1EEEEE10hipError_tT1_PNSt15iterator_traitsISI_E10value_typeET2_T3_PNSJ_ISO_E10value_typeET4_T5_PST_SU_PNS1_23onesweep_lookback_stateEbbT6_jjT7_P12ihipStream_tbENKUlT_T0_SI_SN_E_clISD_SD_SD_SD_EEDaS11_S12_SI_SN_EUlS11_E_NS1_11comp_targetILNS1_3genE6ELNS1_11target_archE950ELNS1_3gpuE13ELNS1_3repE0EEENS1_47radix_sort_onesweep_sort_config_static_selectorELNS0_4arch9wavefront6targetE1EEEvSI_
    .private_segment_fixed_size: 80
    .sgpr_count:     79
    .sgpr_spill_count: 0
    .symbol:         _ZN7rocprim17ROCPRIM_400000_NS6detail17trampoline_kernelINS0_14default_configENS1_35radix_sort_onesweep_config_selectorIiiEEZZNS1_29radix_sort_onesweep_iterationIS3_Lb1EN6thrust23THRUST_200600_302600_NS6detail15normal_iteratorINS8_10device_ptrIiEEEESD_SD_SD_jNS0_19identity_decomposerENS1_16block_id_wrapperIjLb1EEEEE10hipError_tT1_PNSt15iterator_traitsISI_E10value_typeET2_T3_PNSJ_ISO_E10value_typeET4_T5_PST_SU_PNS1_23onesweep_lookback_stateEbbT6_jjT7_P12ihipStream_tbENKUlT_T0_SI_SN_E_clISD_SD_SD_SD_EEDaS11_S12_SI_SN_EUlS11_E_NS1_11comp_targetILNS1_3genE6ELNS1_11target_archE950ELNS1_3gpuE13ELNS1_3repE0EEENS1_47radix_sort_onesweep_sort_config_static_selectorELNS0_4arch9wavefront6targetE1EEEvSI_.kd
    .uniform_work_group_size: 1
    .uses_dynamic_stack: false
    .vgpr_count:     89
    .vgpr_spill_count: 0
    .wavefront_size: 64
  - .agpr_count:     0
    .args:
      - .offset:         0
        .size:           88
        .value_kind:     by_value
    .group_segment_fixed_size: 0
    .kernarg_segment_align: 8
    .kernarg_segment_size: 88
    .language:       OpenCL C
    .language_version:
      - 2
      - 0
    .max_flat_workgroup_size: 1024
    .name:           _ZN7rocprim17ROCPRIM_400000_NS6detail17trampoline_kernelINS0_14default_configENS1_35radix_sort_onesweep_config_selectorIiiEEZZNS1_29radix_sort_onesweep_iterationIS3_Lb1EN6thrust23THRUST_200600_302600_NS6detail15normal_iteratorINS8_10device_ptrIiEEEESD_SD_SD_jNS0_19identity_decomposerENS1_16block_id_wrapperIjLb1EEEEE10hipError_tT1_PNSt15iterator_traitsISI_E10value_typeET2_T3_PNSJ_ISO_E10value_typeET4_T5_PST_SU_PNS1_23onesweep_lookback_stateEbbT6_jjT7_P12ihipStream_tbENKUlT_T0_SI_SN_E_clISD_SD_SD_SD_EEDaS11_S12_SI_SN_EUlS11_E_NS1_11comp_targetILNS1_3genE5ELNS1_11target_archE942ELNS1_3gpuE9ELNS1_3repE0EEENS1_47radix_sort_onesweep_sort_config_static_selectorELNS0_4arch9wavefront6targetE1EEEvSI_
    .private_segment_fixed_size: 0
    .sgpr_count:     6
    .sgpr_spill_count: 0
    .symbol:         _ZN7rocprim17ROCPRIM_400000_NS6detail17trampoline_kernelINS0_14default_configENS1_35radix_sort_onesweep_config_selectorIiiEEZZNS1_29radix_sort_onesweep_iterationIS3_Lb1EN6thrust23THRUST_200600_302600_NS6detail15normal_iteratorINS8_10device_ptrIiEEEESD_SD_SD_jNS0_19identity_decomposerENS1_16block_id_wrapperIjLb1EEEEE10hipError_tT1_PNSt15iterator_traitsISI_E10value_typeET2_T3_PNSJ_ISO_E10value_typeET4_T5_PST_SU_PNS1_23onesweep_lookback_stateEbbT6_jjT7_P12ihipStream_tbENKUlT_T0_SI_SN_E_clISD_SD_SD_SD_EEDaS11_S12_SI_SN_EUlS11_E_NS1_11comp_targetILNS1_3genE5ELNS1_11target_archE942ELNS1_3gpuE9ELNS1_3repE0EEENS1_47radix_sort_onesweep_sort_config_static_selectorELNS0_4arch9wavefront6targetE1EEEvSI_.kd
    .uniform_work_group_size: 1
    .uses_dynamic_stack: false
    .vgpr_count:     0
    .vgpr_spill_count: 0
    .wavefront_size: 64
  - .agpr_count:     0
    .args:
      - .offset:         0
        .size:           88
        .value_kind:     by_value
    .group_segment_fixed_size: 0
    .kernarg_segment_align: 8
    .kernarg_segment_size: 88
    .language:       OpenCL C
    .language_version:
      - 2
      - 0
    .max_flat_workgroup_size: 512
    .name:           _ZN7rocprim17ROCPRIM_400000_NS6detail17trampoline_kernelINS0_14default_configENS1_35radix_sort_onesweep_config_selectorIiiEEZZNS1_29radix_sort_onesweep_iterationIS3_Lb1EN6thrust23THRUST_200600_302600_NS6detail15normal_iteratorINS8_10device_ptrIiEEEESD_SD_SD_jNS0_19identity_decomposerENS1_16block_id_wrapperIjLb1EEEEE10hipError_tT1_PNSt15iterator_traitsISI_E10value_typeET2_T3_PNSJ_ISO_E10value_typeET4_T5_PST_SU_PNS1_23onesweep_lookback_stateEbbT6_jjT7_P12ihipStream_tbENKUlT_T0_SI_SN_E_clISD_SD_SD_SD_EEDaS11_S12_SI_SN_EUlS11_E_NS1_11comp_targetILNS1_3genE2ELNS1_11target_archE906ELNS1_3gpuE6ELNS1_3repE0EEENS1_47radix_sort_onesweep_sort_config_static_selectorELNS0_4arch9wavefront6targetE1EEEvSI_
    .private_segment_fixed_size: 0
    .sgpr_count:     6
    .sgpr_spill_count: 0
    .symbol:         _ZN7rocprim17ROCPRIM_400000_NS6detail17trampoline_kernelINS0_14default_configENS1_35radix_sort_onesweep_config_selectorIiiEEZZNS1_29radix_sort_onesweep_iterationIS3_Lb1EN6thrust23THRUST_200600_302600_NS6detail15normal_iteratorINS8_10device_ptrIiEEEESD_SD_SD_jNS0_19identity_decomposerENS1_16block_id_wrapperIjLb1EEEEE10hipError_tT1_PNSt15iterator_traitsISI_E10value_typeET2_T3_PNSJ_ISO_E10value_typeET4_T5_PST_SU_PNS1_23onesweep_lookback_stateEbbT6_jjT7_P12ihipStream_tbENKUlT_T0_SI_SN_E_clISD_SD_SD_SD_EEDaS11_S12_SI_SN_EUlS11_E_NS1_11comp_targetILNS1_3genE2ELNS1_11target_archE906ELNS1_3gpuE6ELNS1_3repE0EEENS1_47radix_sort_onesweep_sort_config_static_selectorELNS0_4arch9wavefront6targetE1EEEvSI_.kd
    .uniform_work_group_size: 1
    .uses_dynamic_stack: false
    .vgpr_count:     0
    .vgpr_spill_count: 0
    .wavefront_size: 64
  - .agpr_count:     0
    .args:
      - .offset:         0
        .size:           88
        .value_kind:     by_value
    .group_segment_fixed_size: 0
    .kernarg_segment_align: 8
    .kernarg_segment_size: 88
    .language:       OpenCL C
    .language_version:
      - 2
      - 0
    .max_flat_workgroup_size: 512
    .name:           _ZN7rocprim17ROCPRIM_400000_NS6detail17trampoline_kernelINS0_14default_configENS1_35radix_sort_onesweep_config_selectorIiiEEZZNS1_29radix_sort_onesweep_iterationIS3_Lb1EN6thrust23THRUST_200600_302600_NS6detail15normal_iteratorINS8_10device_ptrIiEEEESD_SD_SD_jNS0_19identity_decomposerENS1_16block_id_wrapperIjLb1EEEEE10hipError_tT1_PNSt15iterator_traitsISI_E10value_typeET2_T3_PNSJ_ISO_E10value_typeET4_T5_PST_SU_PNS1_23onesweep_lookback_stateEbbT6_jjT7_P12ihipStream_tbENKUlT_T0_SI_SN_E_clISD_SD_SD_SD_EEDaS11_S12_SI_SN_EUlS11_E_NS1_11comp_targetILNS1_3genE4ELNS1_11target_archE910ELNS1_3gpuE8ELNS1_3repE0EEENS1_47radix_sort_onesweep_sort_config_static_selectorELNS0_4arch9wavefront6targetE1EEEvSI_
    .private_segment_fixed_size: 0
    .sgpr_count:     6
    .sgpr_spill_count: 0
    .symbol:         _ZN7rocprim17ROCPRIM_400000_NS6detail17trampoline_kernelINS0_14default_configENS1_35radix_sort_onesweep_config_selectorIiiEEZZNS1_29radix_sort_onesweep_iterationIS3_Lb1EN6thrust23THRUST_200600_302600_NS6detail15normal_iteratorINS8_10device_ptrIiEEEESD_SD_SD_jNS0_19identity_decomposerENS1_16block_id_wrapperIjLb1EEEEE10hipError_tT1_PNSt15iterator_traitsISI_E10value_typeET2_T3_PNSJ_ISO_E10value_typeET4_T5_PST_SU_PNS1_23onesweep_lookback_stateEbbT6_jjT7_P12ihipStream_tbENKUlT_T0_SI_SN_E_clISD_SD_SD_SD_EEDaS11_S12_SI_SN_EUlS11_E_NS1_11comp_targetILNS1_3genE4ELNS1_11target_archE910ELNS1_3gpuE8ELNS1_3repE0EEENS1_47radix_sort_onesweep_sort_config_static_selectorELNS0_4arch9wavefront6targetE1EEEvSI_.kd
    .uniform_work_group_size: 1
    .uses_dynamic_stack: false
    .vgpr_count:     0
    .vgpr_spill_count: 0
    .wavefront_size: 64
  - .agpr_count:     0
    .args:
      - .offset:         0
        .size:           88
        .value_kind:     by_value
    .group_segment_fixed_size: 0
    .kernarg_segment_align: 8
    .kernarg_segment_size: 88
    .language:       OpenCL C
    .language_version:
      - 2
      - 0
    .max_flat_workgroup_size: 256
    .name:           _ZN7rocprim17ROCPRIM_400000_NS6detail17trampoline_kernelINS0_14default_configENS1_35radix_sort_onesweep_config_selectorIiiEEZZNS1_29radix_sort_onesweep_iterationIS3_Lb1EN6thrust23THRUST_200600_302600_NS6detail15normal_iteratorINS8_10device_ptrIiEEEESD_SD_SD_jNS0_19identity_decomposerENS1_16block_id_wrapperIjLb1EEEEE10hipError_tT1_PNSt15iterator_traitsISI_E10value_typeET2_T3_PNSJ_ISO_E10value_typeET4_T5_PST_SU_PNS1_23onesweep_lookback_stateEbbT6_jjT7_P12ihipStream_tbENKUlT_T0_SI_SN_E_clISD_SD_SD_SD_EEDaS11_S12_SI_SN_EUlS11_E_NS1_11comp_targetILNS1_3genE3ELNS1_11target_archE908ELNS1_3gpuE7ELNS1_3repE0EEENS1_47radix_sort_onesweep_sort_config_static_selectorELNS0_4arch9wavefront6targetE1EEEvSI_
    .private_segment_fixed_size: 0
    .sgpr_count:     6
    .sgpr_spill_count: 0
    .symbol:         _ZN7rocprim17ROCPRIM_400000_NS6detail17trampoline_kernelINS0_14default_configENS1_35radix_sort_onesweep_config_selectorIiiEEZZNS1_29radix_sort_onesweep_iterationIS3_Lb1EN6thrust23THRUST_200600_302600_NS6detail15normal_iteratorINS8_10device_ptrIiEEEESD_SD_SD_jNS0_19identity_decomposerENS1_16block_id_wrapperIjLb1EEEEE10hipError_tT1_PNSt15iterator_traitsISI_E10value_typeET2_T3_PNSJ_ISO_E10value_typeET4_T5_PST_SU_PNS1_23onesweep_lookback_stateEbbT6_jjT7_P12ihipStream_tbENKUlT_T0_SI_SN_E_clISD_SD_SD_SD_EEDaS11_S12_SI_SN_EUlS11_E_NS1_11comp_targetILNS1_3genE3ELNS1_11target_archE908ELNS1_3gpuE7ELNS1_3repE0EEENS1_47radix_sort_onesweep_sort_config_static_selectorELNS0_4arch9wavefront6targetE1EEEvSI_.kd
    .uniform_work_group_size: 1
    .uses_dynamic_stack: false
    .vgpr_count:     0
    .vgpr_spill_count: 0
    .wavefront_size: 64
  - .agpr_count:     0
    .args:
      - .offset:         0
        .size:           88
        .value_kind:     by_value
    .group_segment_fixed_size: 0
    .kernarg_segment_align: 8
    .kernarg_segment_size: 88
    .language:       OpenCL C
    .language_version:
      - 2
      - 0
    .max_flat_workgroup_size: 1024
    .name:           _ZN7rocprim17ROCPRIM_400000_NS6detail17trampoline_kernelINS0_14default_configENS1_35radix_sort_onesweep_config_selectorIiiEEZZNS1_29radix_sort_onesweep_iterationIS3_Lb1EN6thrust23THRUST_200600_302600_NS6detail15normal_iteratorINS8_10device_ptrIiEEEESD_SD_SD_jNS0_19identity_decomposerENS1_16block_id_wrapperIjLb1EEEEE10hipError_tT1_PNSt15iterator_traitsISI_E10value_typeET2_T3_PNSJ_ISO_E10value_typeET4_T5_PST_SU_PNS1_23onesweep_lookback_stateEbbT6_jjT7_P12ihipStream_tbENKUlT_T0_SI_SN_E_clISD_SD_SD_SD_EEDaS11_S12_SI_SN_EUlS11_E_NS1_11comp_targetILNS1_3genE10ELNS1_11target_archE1201ELNS1_3gpuE5ELNS1_3repE0EEENS1_47radix_sort_onesweep_sort_config_static_selectorELNS0_4arch9wavefront6targetE1EEEvSI_
    .private_segment_fixed_size: 0
    .sgpr_count:     6
    .sgpr_spill_count: 0
    .symbol:         _ZN7rocprim17ROCPRIM_400000_NS6detail17trampoline_kernelINS0_14default_configENS1_35radix_sort_onesweep_config_selectorIiiEEZZNS1_29radix_sort_onesweep_iterationIS3_Lb1EN6thrust23THRUST_200600_302600_NS6detail15normal_iteratorINS8_10device_ptrIiEEEESD_SD_SD_jNS0_19identity_decomposerENS1_16block_id_wrapperIjLb1EEEEE10hipError_tT1_PNSt15iterator_traitsISI_E10value_typeET2_T3_PNSJ_ISO_E10value_typeET4_T5_PST_SU_PNS1_23onesweep_lookback_stateEbbT6_jjT7_P12ihipStream_tbENKUlT_T0_SI_SN_E_clISD_SD_SD_SD_EEDaS11_S12_SI_SN_EUlS11_E_NS1_11comp_targetILNS1_3genE10ELNS1_11target_archE1201ELNS1_3gpuE5ELNS1_3repE0EEENS1_47radix_sort_onesweep_sort_config_static_selectorELNS0_4arch9wavefront6targetE1EEEvSI_.kd
    .uniform_work_group_size: 1
    .uses_dynamic_stack: false
    .vgpr_count:     0
    .vgpr_spill_count: 0
    .wavefront_size: 64
  - .agpr_count:     0
    .args:
      - .offset:         0
        .size:           88
        .value_kind:     by_value
    .group_segment_fixed_size: 0
    .kernarg_segment_align: 8
    .kernarg_segment_size: 88
    .language:       OpenCL C
    .language_version:
      - 2
      - 0
    .max_flat_workgroup_size: 1024
    .name:           _ZN7rocprim17ROCPRIM_400000_NS6detail17trampoline_kernelINS0_14default_configENS1_35radix_sort_onesweep_config_selectorIiiEEZZNS1_29radix_sort_onesweep_iterationIS3_Lb1EN6thrust23THRUST_200600_302600_NS6detail15normal_iteratorINS8_10device_ptrIiEEEESD_SD_SD_jNS0_19identity_decomposerENS1_16block_id_wrapperIjLb1EEEEE10hipError_tT1_PNSt15iterator_traitsISI_E10value_typeET2_T3_PNSJ_ISO_E10value_typeET4_T5_PST_SU_PNS1_23onesweep_lookback_stateEbbT6_jjT7_P12ihipStream_tbENKUlT_T0_SI_SN_E_clISD_SD_SD_SD_EEDaS11_S12_SI_SN_EUlS11_E_NS1_11comp_targetILNS1_3genE9ELNS1_11target_archE1100ELNS1_3gpuE3ELNS1_3repE0EEENS1_47radix_sort_onesweep_sort_config_static_selectorELNS0_4arch9wavefront6targetE1EEEvSI_
    .private_segment_fixed_size: 0
    .sgpr_count:     6
    .sgpr_spill_count: 0
    .symbol:         _ZN7rocprim17ROCPRIM_400000_NS6detail17trampoline_kernelINS0_14default_configENS1_35radix_sort_onesweep_config_selectorIiiEEZZNS1_29radix_sort_onesweep_iterationIS3_Lb1EN6thrust23THRUST_200600_302600_NS6detail15normal_iteratorINS8_10device_ptrIiEEEESD_SD_SD_jNS0_19identity_decomposerENS1_16block_id_wrapperIjLb1EEEEE10hipError_tT1_PNSt15iterator_traitsISI_E10value_typeET2_T3_PNSJ_ISO_E10value_typeET4_T5_PST_SU_PNS1_23onesweep_lookback_stateEbbT6_jjT7_P12ihipStream_tbENKUlT_T0_SI_SN_E_clISD_SD_SD_SD_EEDaS11_S12_SI_SN_EUlS11_E_NS1_11comp_targetILNS1_3genE9ELNS1_11target_archE1100ELNS1_3gpuE3ELNS1_3repE0EEENS1_47radix_sort_onesweep_sort_config_static_selectorELNS0_4arch9wavefront6targetE1EEEvSI_.kd
    .uniform_work_group_size: 1
    .uses_dynamic_stack: false
    .vgpr_count:     0
    .vgpr_spill_count: 0
    .wavefront_size: 64
  - .agpr_count:     0
    .args:
      - .offset:         0
        .size:           88
        .value_kind:     by_value
    .group_segment_fixed_size: 0
    .kernarg_segment_align: 8
    .kernarg_segment_size: 88
    .language:       OpenCL C
    .language_version:
      - 2
      - 0
    .max_flat_workgroup_size: 1024
    .name:           _ZN7rocprim17ROCPRIM_400000_NS6detail17trampoline_kernelINS0_14default_configENS1_35radix_sort_onesweep_config_selectorIiiEEZZNS1_29radix_sort_onesweep_iterationIS3_Lb1EN6thrust23THRUST_200600_302600_NS6detail15normal_iteratorINS8_10device_ptrIiEEEESD_SD_SD_jNS0_19identity_decomposerENS1_16block_id_wrapperIjLb1EEEEE10hipError_tT1_PNSt15iterator_traitsISI_E10value_typeET2_T3_PNSJ_ISO_E10value_typeET4_T5_PST_SU_PNS1_23onesweep_lookback_stateEbbT6_jjT7_P12ihipStream_tbENKUlT_T0_SI_SN_E_clISD_SD_SD_SD_EEDaS11_S12_SI_SN_EUlS11_E_NS1_11comp_targetILNS1_3genE8ELNS1_11target_archE1030ELNS1_3gpuE2ELNS1_3repE0EEENS1_47radix_sort_onesweep_sort_config_static_selectorELNS0_4arch9wavefront6targetE1EEEvSI_
    .private_segment_fixed_size: 0
    .sgpr_count:     6
    .sgpr_spill_count: 0
    .symbol:         _ZN7rocprim17ROCPRIM_400000_NS6detail17trampoline_kernelINS0_14default_configENS1_35radix_sort_onesweep_config_selectorIiiEEZZNS1_29radix_sort_onesweep_iterationIS3_Lb1EN6thrust23THRUST_200600_302600_NS6detail15normal_iteratorINS8_10device_ptrIiEEEESD_SD_SD_jNS0_19identity_decomposerENS1_16block_id_wrapperIjLb1EEEEE10hipError_tT1_PNSt15iterator_traitsISI_E10value_typeET2_T3_PNSJ_ISO_E10value_typeET4_T5_PST_SU_PNS1_23onesweep_lookback_stateEbbT6_jjT7_P12ihipStream_tbENKUlT_T0_SI_SN_E_clISD_SD_SD_SD_EEDaS11_S12_SI_SN_EUlS11_E_NS1_11comp_targetILNS1_3genE8ELNS1_11target_archE1030ELNS1_3gpuE2ELNS1_3repE0EEENS1_47radix_sort_onesweep_sort_config_static_selectorELNS0_4arch9wavefront6targetE1EEEvSI_.kd
    .uniform_work_group_size: 1
    .uses_dynamic_stack: false
    .vgpr_count:     0
    .vgpr_spill_count: 0
    .wavefront_size: 64
  - .agpr_count:     0
    .args:
      - .offset:         0
        .size:           88
        .value_kind:     by_value
    .group_segment_fixed_size: 0
    .kernarg_segment_align: 8
    .kernarg_segment_size: 88
    .language:       OpenCL C
    .language_version:
      - 2
      - 0
    .max_flat_workgroup_size: 256
    .name:           _ZN7rocprim17ROCPRIM_400000_NS6detail17trampoline_kernelINS0_14default_configENS1_35radix_sort_onesweep_config_selectorIiiEEZZNS1_29radix_sort_onesweep_iterationIS3_Lb1EN6thrust23THRUST_200600_302600_NS6detail15normal_iteratorINS8_10device_ptrIiEEEESD_SD_SD_jNS0_19identity_decomposerENS1_16block_id_wrapperIjLb1EEEEE10hipError_tT1_PNSt15iterator_traitsISI_E10value_typeET2_T3_PNSJ_ISO_E10value_typeET4_T5_PST_SU_PNS1_23onesweep_lookback_stateEbbT6_jjT7_P12ihipStream_tbENKUlT_T0_SI_SN_E_clISD_PiSD_S15_EEDaS11_S12_SI_SN_EUlS11_E_NS1_11comp_targetILNS1_3genE0ELNS1_11target_archE4294967295ELNS1_3gpuE0ELNS1_3repE0EEENS1_47radix_sort_onesweep_sort_config_static_selectorELNS0_4arch9wavefront6targetE1EEEvSI_
    .private_segment_fixed_size: 0
    .sgpr_count:     6
    .sgpr_spill_count: 0
    .symbol:         _ZN7rocprim17ROCPRIM_400000_NS6detail17trampoline_kernelINS0_14default_configENS1_35radix_sort_onesweep_config_selectorIiiEEZZNS1_29radix_sort_onesweep_iterationIS3_Lb1EN6thrust23THRUST_200600_302600_NS6detail15normal_iteratorINS8_10device_ptrIiEEEESD_SD_SD_jNS0_19identity_decomposerENS1_16block_id_wrapperIjLb1EEEEE10hipError_tT1_PNSt15iterator_traitsISI_E10value_typeET2_T3_PNSJ_ISO_E10value_typeET4_T5_PST_SU_PNS1_23onesweep_lookback_stateEbbT6_jjT7_P12ihipStream_tbENKUlT_T0_SI_SN_E_clISD_PiSD_S15_EEDaS11_S12_SI_SN_EUlS11_E_NS1_11comp_targetILNS1_3genE0ELNS1_11target_archE4294967295ELNS1_3gpuE0ELNS1_3repE0EEENS1_47radix_sort_onesweep_sort_config_static_selectorELNS0_4arch9wavefront6targetE1EEEvSI_.kd
    .uniform_work_group_size: 1
    .uses_dynamic_stack: false
    .vgpr_count:     0
    .vgpr_spill_count: 0
    .wavefront_size: 64
  - .agpr_count:     0
    .args:
      - .offset:         0
        .size:           88
        .value_kind:     by_value
      - .offset:         88
        .size:           4
        .value_kind:     hidden_block_count_x
      - .offset:         92
        .size:           4
        .value_kind:     hidden_block_count_y
      - .offset:         96
        .size:           4
        .value_kind:     hidden_block_count_z
      - .offset:         100
        .size:           2
        .value_kind:     hidden_group_size_x
      - .offset:         102
        .size:           2
        .value_kind:     hidden_group_size_y
      - .offset:         104
        .size:           2
        .value_kind:     hidden_group_size_z
      - .offset:         106
        .size:           2
        .value_kind:     hidden_remainder_x
      - .offset:         108
        .size:           2
        .value_kind:     hidden_remainder_y
      - .offset:         110
        .size:           2
        .value_kind:     hidden_remainder_z
      - .offset:         128
        .size:           8
        .value_kind:     hidden_global_offset_x
      - .offset:         136
        .size:           8
        .value_kind:     hidden_global_offset_y
      - .offset:         144
        .size:           8
        .value_kind:     hidden_global_offset_z
      - .offset:         152
        .size:           2
        .value_kind:     hidden_grid_dims
    .group_segment_fixed_size: 20552
    .kernarg_segment_align: 8
    .kernarg_segment_size: 344
    .language:       OpenCL C
    .language_version:
      - 2
      - 0
    .max_flat_workgroup_size: 1024
    .name:           _ZN7rocprim17ROCPRIM_400000_NS6detail17trampoline_kernelINS0_14default_configENS1_35radix_sort_onesweep_config_selectorIiiEEZZNS1_29radix_sort_onesweep_iterationIS3_Lb1EN6thrust23THRUST_200600_302600_NS6detail15normal_iteratorINS8_10device_ptrIiEEEESD_SD_SD_jNS0_19identity_decomposerENS1_16block_id_wrapperIjLb1EEEEE10hipError_tT1_PNSt15iterator_traitsISI_E10value_typeET2_T3_PNSJ_ISO_E10value_typeET4_T5_PST_SU_PNS1_23onesweep_lookback_stateEbbT6_jjT7_P12ihipStream_tbENKUlT_T0_SI_SN_E_clISD_PiSD_S15_EEDaS11_S12_SI_SN_EUlS11_E_NS1_11comp_targetILNS1_3genE6ELNS1_11target_archE950ELNS1_3gpuE13ELNS1_3repE0EEENS1_47radix_sort_onesweep_sort_config_static_selectorELNS0_4arch9wavefront6targetE1EEEvSI_
    .private_segment_fixed_size: 80
    .sgpr_count:     79
    .sgpr_spill_count: 0
    .symbol:         _ZN7rocprim17ROCPRIM_400000_NS6detail17trampoline_kernelINS0_14default_configENS1_35radix_sort_onesweep_config_selectorIiiEEZZNS1_29radix_sort_onesweep_iterationIS3_Lb1EN6thrust23THRUST_200600_302600_NS6detail15normal_iteratorINS8_10device_ptrIiEEEESD_SD_SD_jNS0_19identity_decomposerENS1_16block_id_wrapperIjLb1EEEEE10hipError_tT1_PNSt15iterator_traitsISI_E10value_typeET2_T3_PNSJ_ISO_E10value_typeET4_T5_PST_SU_PNS1_23onesweep_lookback_stateEbbT6_jjT7_P12ihipStream_tbENKUlT_T0_SI_SN_E_clISD_PiSD_S15_EEDaS11_S12_SI_SN_EUlS11_E_NS1_11comp_targetILNS1_3genE6ELNS1_11target_archE950ELNS1_3gpuE13ELNS1_3repE0EEENS1_47radix_sort_onesweep_sort_config_static_selectorELNS0_4arch9wavefront6targetE1EEEvSI_.kd
    .uniform_work_group_size: 1
    .uses_dynamic_stack: false
    .vgpr_count:     89
    .vgpr_spill_count: 0
    .wavefront_size: 64
  - .agpr_count:     0
    .args:
      - .offset:         0
        .size:           88
        .value_kind:     by_value
    .group_segment_fixed_size: 0
    .kernarg_segment_align: 8
    .kernarg_segment_size: 88
    .language:       OpenCL C
    .language_version:
      - 2
      - 0
    .max_flat_workgroup_size: 1024
    .name:           _ZN7rocprim17ROCPRIM_400000_NS6detail17trampoline_kernelINS0_14default_configENS1_35radix_sort_onesweep_config_selectorIiiEEZZNS1_29radix_sort_onesweep_iterationIS3_Lb1EN6thrust23THRUST_200600_302600_NS6detail15normal_iteratorINS8_10device_ptrIiEEEESD_SD_SD_jNS0_19identity_decomposerENS1_16block_id_wrapperIjLb1EEEEE10hipError_tT1_PNSt15iterator_traitsISI_E10value_typeET2_T3_PNSJ_ISO_E10value_typeET4_T5_PST_SU_PNS1_23onesweep_lookback_stateEbbT6_jjT7_P12ihipStream_tbENKUlT_T0_SI_SN_E_clISD_PiSD_S15_EEDaS11_S12_SI_SN_EUlS11_E_NS1_11comp_targetILNS1_3genE5ELNS1_11target_archE942ELNS1_3gpuE9ELNS1_3repE0EEENS1_47radix_sort_onesweep_sort_config_static_selectorELNS0_4arch9wavefront6targetE1EEEvSI_
    .private_segment_fixed_size: 0
    .sgpr_count:     6
    .sgpr_spill_count: 0
    .symbol:         _ZN7rocprim17ROCPRIM_400000_NS6detail17trampoline_kernelINS0_14default_configENS1_35radix_sort_onesweep_config_selectorIiiEEZZNS1_29radix_sort_onesweep_iterationIS3_Lb1EN6thrust23THRUST_200600_302600_NS6detail15normal_iteratorINS8_10device_ptrIiEEEESD_SD_SD_jNS0_19identity_decomposerENS1_16block_id_wrapperIjLb1EEEEE10hipError_tT1_PNSt15iterator_traitsISI_E10value_typeET2_T3_PNSJ_ISO_E10value_typeET4_T5_PST_SU_PNS1_23onesweep_lookback_stateEbbT6_jjT7_P12ihipStream_tbENKUlT_T0_SI_SN_E_clISD_PiSD_S15_EEDaS11_S12_SI_SN_EUlS11_E_NS1_11comp_targetILNS1_3genE5ELNS1_11target_archE942ELNS1_3gpuE9ELNS1_3repE0EEENS1_47radix_sort_onesweep_sort_config_static_selectorELNS0_4arch9wavefront6targetE1EEEvSI_.kd
    .uniform_work_group_size: 1
    .uses_dynamic_stack: false
    .vgpr_count:     0
    .vgpr_spill_count: 0
    .wavefront_size: 64
  - .agpr_count:     0
    .args:
      - .offset:         0
        .size:           88
        .value_kind:     by_value
    .group_segment_fixed_size: 0
    .kernarg_segment_align: 8
    .kernarg_segment_size: 88
    .language:       OpenCL C
    .language_version:
      - 2
      - 0
    .max_flat_workgroup_size: 512
    .name:           _ZN7rocprim17ROCPRIM_400000_NS6detail17trampoline_kernelINS0_14default_configENS1_35radix_sort_onesweep_config_selectorIiiEEZZNS1_29radix_sort_onesweep_iterationIS3_Lb1EN6thrust23THRUST_200600_302600_NS6detail15normal_iteratorINS8_10device_ptrIiEEEESD_SD_SD_jNS0_19identity_decomposerENS1_16block_id_wrapperIjLb1EEEEE10hipError_tT1_PNSt15iterator_traitsISI_E10value_typeET2_T3_PNSJ_ISO_E10value_typeET4_T5_PST_SU_PNS1_23onesweep_lookback_stateEbbT6_jjT7_P12ihipStream_tbENKUlT_T0_SI_SN_E_clISD_PiSD_S15_EEDaS11_S12_SI_SN_EUlS11_E_NS1_11comp_targetILNS1_3genE2ELNS1_11target_archE906ELNS1_3gpuE6ELNS1_3repE0EEENS1_47radix_sort_onesweep_sort_config_static_selectorELNS0_4arch9wavefront6targetE1EEEvSI_
    .private_segment_fixed_size: 0
    .sgpr_count:     6
    .sgpr_spill_count: 0
    .symbol:         _ZN7rocprim17ROCPRIM_400000_NS6detail17trampoline_kernelINS0_14default_configENS1_35radix_sort_onesweep_config_selectorIiiEEZZNS1_29radix_sort_onesweep_iterationIS3_Lb1EN6thrust23THRUST_200600_302600_NS6detail15normal_iteratorINS8_10device_ptrIiEEEESD_SD_SD_jNS0_19identity_decomposerENS1_16block_id_wrapperIjLb1EEEEE10hipError_tT1_PNSt15iterator_traitsISI_E10value_typeET2_T3_PNSJ_ISO_E10value_typeET4_T5_PST_SU_PNS1_23onesweep_lookback_stateEbbT6_jjT7_P12ihipStream_tbENKUlT_T0_SI_SN_E_clISD_PiSD_S15_EEDaS11_S12_SI_SN_EUlS11_E_NS1_11comp_targetILNS1_3genE2ELNS1_11target_archE906ELNS1_3gpuE6ELNS1_3repE0EEENS1_47radix_sort_onesweep_sort_config_static_selectorELNS0_4arch9wavefront6targetE1EEEvSI_.kd
    .uniform_work_group_size: 1
    .uses_dynamic_stack: false
    .vgpr_count:     0
    .vgpr_spill_count: 0
    .wavefront_size: 64
  - .agpr_count:     0
    .args:
      - .offset:         0
        .size:           88
        .value_kind:     by_value
    .group_segment_fixed_size: 0
    .kernarg_segment_align: 8
    .kernarg_segment_size: 88
    .language:       OpenCL C
    .language_version:
      - 2
      - 0
    .max_flat_workgroup_size: 512
    .name:           _ZN7rocprim17ROCPRIM_400000_NS6detail17trampoline_kernelINS0_14default_configENS1_35radix_sort_onesweep_config_selectorIiiEEZZNS1_29radix_sort_onesweep_iterationIS3_Lb1EN6thrust23THRUST_200600_302600_NS6detail15normal_iteratorINS8_10device_ptrIiEEEESD_SD_SD_jNS0_19identity_decomposerENS1_16block_id_wrapperIjLb1EEEEE10hipError_tT1_PNSt15iterator_traitsISI_E10value_typeET2_T3_PNSJ_ISO_E10value_typeET4_T5_PST_SU_PNS1_23onesweep_lookback_stateEbbT6_jjT7_P12ihipStream_tbENKUlT_T0_SI_SN_E_clISD_PiSD_S15_EEDaS11_S12_SI_SN_EUlS11_E_NS1_11comp_targetILNS1_3genE4ELNS1_11target_archE910ELNS1_3gpuE8ELNS1_3repE0EEENS1_47radix_sort_onesweep_sort_config_static_selectorELNS0_4arch9wavefront6targetE1EEEvSI_
    .private_segment_fixed_size: 0
    .sgpr_count:     6
    .sgpr_spill_count: 0
    .symbol:         _ZN7rocprim17ROCPRIM_400000_NS6detail17trampoline_kernelINS0_14default_configENS1_35radix_sort_onesweep_config_selectorIiiEEZZNS1_29radix_sort_onesweep_iterationIS3_Lb1EN6thrust23THRUST_200600_302600_NS6detail15normal_iteratorINS8_10device_ptrIiEEEESD_SD_SD_jNS0_19identity_decomposerENS1_16block_id_wrapperIjLb1EEEEE10hipError_tT1_PNSt15iterator_traitsISI_E10value_typeET2_T3_PNSJ_ISO_E10value_typeET4_T5_PST_SU_PNS1_23onesweep_lookback_stateEbbT6_jjT7_P12ihipStream_tbENKUlT_T0_SI_SN_E_clISD_PiSD_S15_EEDaS11_S12_SI_SN_EUlS11_E_NS1_11comp_targetILNS1_3genE4ELNS1_11target_archE910ELNS1_3gpuE8ELNS1_3repE0EEENS1_47radix_sort_onesweep_sort_config_static_selectorELNS0_4arch9wavefront6targetE1EEEvSI_.kd
    .uniform_work_group_size: 1
    .uses_dynamic_stack: false
    .vgpr_count:     0
    .vgpr_spill_count: 0
    .wavefront_size: 64
  - .agpr_count:     0
    .args:
      - .offset:         0
        .size:           88
        .value_kind:     by_value
    .group_segment_fixed_size: 0
    .kernarg_segment_align: 8
    .kernarg_segment_size: 88
    .language:       OpenCL C
    .language_version:
      - 2
      - 0
    .max_flat_workgroup_size: 256
    .name:           _ZN7rocprim17ROCPRIM_400000_NS6detail17trampoline_kernelINS0_14default_configENS1_35radix_sort_onesweep_config_selectorIiiEEZZNS1_29radix_sort_onesweep_iterationIS3_Lb1EN6thrust23THRUST_200600_302600_NS6detail15normal_iteratorINS8_10device_ptrIiEEEESD_SD_SD_jNS0_19identity_decomposerENS1_16block_id_wrapperIjLb1EEEEE10hipError_tT1_PNSt15iterator_traitsISI_E10value_typeET2_T3_PNSJ_ISO_E10value_typeET4_T5_PST_SU_PNS1_23onesweep_lookback_stateEbbT6_jjT7_P12ihipStream_tbENKUlT_T0_SI_SN_E_clISD_PiSD_S15_EEDaS11_S12_SI_SN_EUlS11_E_NS1_11comp_targetILNS1_3genE3ELNS1_11target_archE908ELNS1_3gpuE7ELNS1_3repE0EEENS1_47radix_sort_onesweep_sort_config_static_selectorELNS0_4arch9wavefront6targetE1EEEvSI_
    .private_segment_fixed_size: 0
    .sgpr_count:     6
    .sgpr_spill_count: 0
    .symbol:         _ZN7rocprim17ROCPRIM_400000_NS6detail17trampoline_kernelINS0_14default_configENS1_35radix_sort_onesweep_config_selectorIiiEEZZNS1_29radix_sort_onesweep_iterationIS3_Lb1EN6thrust23THRUST_200600_302600_NS6detail15normal_iteratorINS8_10device_ptrIiEEEESD_SD_SD_jNS0_19identity_decomposerENS1_16block_id_wrapperIjLb1EEEEE10hipError_tT1_PNSt15iterator_traitsISI_E10value_typeET2_T3_PNSJ_ISO_E10value_typeET4_T5_PST_SU_PNS1_23onesweep_lookback_stateEbbT6_jjT7_P12ihipStream_tbENKUlT_T0_SI_SN_E_clISD_PiSD_S15_EEDaS11_S12_SI_SN_EUlS11_E_NS1_11comp_targetILNS1_3genE3ELNS1_11target_archE908ELNS1_3gpuE7ELNS1_3repE0EEENS1_47radix_sort_onesweep_sort_config_static_selectorELNS0_4arch9wavefront6targetE1EEEvSI_.kd
    .uniform_work_group_size: 1
    .uses_dynamic_stack: false
    .vgpr_count:     0
    .vgpr_spill_count: 0
    .wavefront_size: 64
  - .agpr_count:     0
    .args:
      - .offset:         0
        .size:           88
        .value_kind:     by_value
    .group_segment_fixed_size: 0
    .kernarg_segment_align: 8
    .kernarg_segment_size: 88
    .language:       OpenCL C
    .language_version:
      - 2
      - 0
    .max_flat_workgroup_size: 1024
    .name:           _ZN7rocprim17ROCPRIM_400000_NS6detail17trampoline_kernelINS0_14default_configENS1_35radix_sort_onesweep_config_selectorIiiEEZZNS1_29radix_sort_onesweep_iterationIS3_Lb1EN6thrust23THRUST_200600_302600_NS6detail15normal_iteratorINS8_10device_ptrIiEEEESD_SD_SD_jNS0_19identity_decomposerENS1_16block_id_wrapperIjLb1EEEEE10hipError_tT1_PNSt15iterator_traitsISI_E10value_typeET2_T3_PNSJ_ISO_E10value_typeET4_T5_PST_SU_PNS1_23onesweep_lookback_stateEbbT6_jjT7_P12ihipStream_tbENKUlT_T0_SI_SN_E_clISD_PiSD_S15_EEDaS11_S12_SI_SN_EUlS11_E_NS1_11comp_targetILNS1_3genE10ELNS1_11target_archE1201ELNS1_3gpuE5ELNS1_3repE0EEENS1_47radix_sort_onesweep_sort_config_static_selectorELNS0_4arch9wavefront6targetE1EEEvSI_
    .private_segment_fixed_size: 0
    .sgpr_count:     6
    .sgpr_spill_count: 0
    .symbol:         _ZN7rocprim17ROCPRIM_400000_NS6detail17trampoline_kernelINS0_14default_configENS1_35radix_sort_onesweep_config_selectorIiiEEZZNS1_29radix_sort_onesweep_iterationIS3_Lb1EN6thrust23THRUST_200600_302600_NS6detail15normal_iteratorINS8_10device_ptrIiEEEESD_SD_SD_jNS0_19identity_decomposerENS1_16block_id_wrapperIjLb1EEEEE10hipError_tT1_PNSt15iterator_traitsISI_E10value_typeET2_T3_PNSJ_ISO_E10value_typeET4_T5_PST_SU_PNS1_23onesweep_lookback_stateEbbT6_jjT7_P12ihipStream_tbENKUlT_T0_SI_SN_E_clISD_PiSD_S15_EEDaS11_S12_SI_SN_EUlS11_E_NS1_11comp_targetILNS1_3genE10ELNS1_11target_archE1201ELNS1_3gpuE5ELNS1_3repE0EEENS1_47radix_sort_onesweep_sort_config_static_selectorELNS0_4arch9wavefront6targetE1EEEvSI_.kd
    .uniform_work_group_size: 1
    .uses_dynamic_stack: false
    .vgpr_count:     0
    .vgpr_spill_count: 0
    .wavefront_size: 64
  - .agpr_count:     0
    .args:
      - .offset:         0
        .size:           88
        .value_kind:     by_value
    .group_segment_fixed_size: 0
    .kernarg_segment_align: 8
    .kernarg_segment_size: 88
    .language:       OpenCL C
    .language_version:
      - 2
      - 0
    .max_flat_workgroup_size: 1024
    .name:           _ZN7rocprim17ROCPRIM_400000_NS6detail17trampoline_kernelINS0_14default_configENS1_35radix_sort_onesweep_config_selectorIiiEEZZNS1_29radix_sort_onesweep_iterationIS3_Lb1EN6thrust23THRUST_200600_302600_NS6detail15normal_iteratorINS8_10device_ptrIiEEEESD_SD_SD_jNS0_19identity_decomposerENS1_16block_id_wrapperIjLb1EEEEE10hipError_tT1_PNSt15iterator_traitsISI_E10value_typeET2_T3_PNSJ_ISO_E10value_typeET4_T5_PST_SU_PNS1_23onesweep_lookback_stateEbbT6_jjT7_P12ihipStream_tbENKUlT_T0_SI_SN_E_clISD_PiSD_S15_EEDaS11_S12_SI_SN_EUlS11_E_NS1_11comp_targetILNS1_3genE9ELNS1_11target_archE1100ELNS1_3gpuE3ELNS1_3repE0EEENS1_47radix_sort_onesweep_sort_config_static_selectorELNS0_4arch9wavefront6targetE1EEEvSI_
    .private_segment_fixed_size: 0
    .sgpr_count:     6
    .sgpr_spill_count: 0
    .symbol:         _ZN7rocprim17ROCPRIM_400000_NS6detail17trampoline_kernelINS0_14default_configENS1_35radix_sort_onesweep_config_selectorIiiEEZZNS1_29radix_sort_onesweep_iterationIS3_Lb1EN6thrust23THRUST_200600_302600_NS6detail15normal_iteratorINS8_10device_ptrIiEEEESD_SD_SD_jNS0_19identity_decomposerENS1_16block_id_wrapperIjLb1EEEEE10hipError_tT1_PNSt15iterator_traitsISI_E10value_typeET2_T3_PNSJ_ISO_E10value_typeET4_T5_PST_SU_PNS1_23onesweep_lookback_stateEbbT6_jjT7_P12ihipStream_tbENKUlT_T0_SI_SN_E_clISD_PiSD_S15_EEDaS11_S12_SI_SN_EUlS11_E_NS1_11comp_targetILNS1_3genE9ELNS1_11target_archE1100ELNS1_3gpuE3ELNS1_3repE0EEENS1_47radix_sort_onesweep_sort_config_static_selectorELNS0_4arch9wavefront6targetE1EEEvSI_.kd
    .uniform_work_group_size: 1
    .uses_dynamic_stack: false
    .vgpr_count:     0
    .vgpr_spill_count: 0
    .wavefront_size: 64
  - .agpr_count:     0
    .args:
      - .offset:         0
        .size:           88
        .value_kind:     by_value
    .group_segment_fixed_size: 0
    .kernarg_segment_align: 8
    .kernarg_segment_size: 88
    .language:       OpenCL C
    .language_version:
      - 2
      - 0
    .max_flat_workgroup_size: 1024
    .name:           _ZN7rocprim17ROCPRIM_400000_NS6detail17trampoline_kernelINS0_14default_configENS1_35radix_sort_onesweep_config_selectorIiiEEZZNS1_29radix_sort_onesweep_iterationIS3_Lb1EN6thrust23THRUST_200600_302600_NS6detail15normal_iteratorINS8_10device_ptrIiEEEESD_SD_SD_jNS0_19identity_decomposerENS1_16block_id_wrapperIjLb1EEEEE10hipError_tT1_PNSt15iterator_traitsISI_E10value_typeET2_T3_PNSJ_ISO_E10value_typeET4_T5_PST_SU_PNS1_23onesweep_lookback_stateEbbT6_jjT7_P12ihipStream_tbENKUlT_T0_SI_SN_E_clISD_PiSD_S15_EEDaS11_S12_SI_SN_EUlS11_E_NS1_11comp_targetILNS1_3genE8ELNS1_11target_archE1030ELNS1_3gpuE2ELNS1_3repE0EEENS1_47radix_sort_onesweep_sort_config_static_selectorELNS0_4arch9wavefront6targetE1EEEvSI_
    .private_segment_fixed_size: 0
    .sgpr_count:     6
    .sgpr_spill_count: 0
    .symbol:         _ZN7rocprim17ROCPRIM_400000_NS6detail17trampoline_kernelINS0_14default_configENS1_35radix_sort_onesweep_config_selectorIiiEEZZNS1_29radix_sort_onesweep_iterationIS3_Lb1EN6thrust23THRUST_200600_302600_NS6detail15normal_iteratorINS8_10device_ptrIiEEEESD_SD_SD_jNS0_19identity_decomposerENS1_16block_id_wrapperIjLb1EEEEE10hipError_tT1_PNSt15iterator_traitsISI_E10value_typeET2_T3_PNSJ_ISO_E10value_typeET4_T5_PST_SU_PNS1_23onesweep_lookback_stateEbbT6_jjT7_P12ihipStream_tbENKUlT_T0_SI_SN_E_clISD_PiSD_S15_EEDaS11_S12_SI_SN_EUlS11_E_NS1_11comp_targetILNS1_3genE8ELNS1_11target_archE1030ELNS1_3gpuE2ELNS1_3repE0EEENS1_47radix_sort_onesweep_sort_config_static_selectorELNS0_4arch9wavefront6targetE1EEEvSI_.kd
    .uniform_work_group_size: 1
    .uses_dynamic_stack: false
    .vgpr_count:     0
    .vgpr_spill_count: 0
    .wavefront_size: 64
  - .agpr_count:     0
    .args:
      - .offset:         0
        .size:           88
        .value_kind:     by_value
    .group_segment_fixed_size: 0
    .kernarg_segment_align: 8
    .kernarg_segment_size: 88
    .language:       OpenCL C
    .language_version:
      - 2
      - 0
    .max_flat_workgroup_size: 256
    .name:           _ZN7rocprim17ROCPRIM_400000_NS6detail17trampoline_kernelINS0_14default_configENS1_35radix_sort_onesweep_config_selectorIiiEEZZNS1_29radix_sort_onesweep_iterationIS3_Lb1EN6thrust23THRUST_200600_302600_NS6detail15normal_iteratorINS8_10device_ptrIiEEEESD_SD_SD_jNS0_19identity_decomposerENS1_16block_id_wrapperIjLb1EEEEE10hipError_tT1_PNSt15iterator_traitsISI_E10value_typeET2_T3_PNSJ_ISO_E10value_typeET4_T5_PST_SU_PNS1_23onesweep_lookback_stateEbbT6_jjT7_P12ihipStream_tbENKUlT_T0_SI_SN_E_clIPiSD_S15_SD_EEDaS11_S12_SI_SN_EUlS11_E_NS1_11comp_targetILNS1_3genE0ELNS1_11target_archE4294967295ELNS1_3gpuE0ELNS1_3repE0EEENS1_47radix_sort_onesweep_sort_config_static_selectorELNS0_4arch9wavefront6targetE1EEEvSI_
    .private_segment_fixed_size: 0
    .sgpr_count:     6
    .sgpr_spill_count: 0
    .symbol:         _ZN7rocprim17ROCPRIM_400000_NS6detail17trampoline_kernelINS0_14default_configENS1_35radix_sort_onesweep_config_selectorIiiEEZZNS1_29radix_sort_onesweep_iterationIS3_Lb1EN6thrust23THRUST_200600_302600_NS6detail15normal_iteratorINS8_10device_ptrIiEEEESD_SD_SD_jNS0_19identity_decomposerENS1_16block_id_wrapperIjLb1EEEEE10hipError_tT1_PNSt15iterator_traitsISI_E10value_typeET2_T3_PNSJ_ISO_E10value_typeET4_T5_PST_SU_PNS1_23onesweep_lookback_stateEbbT6_jjT7_P12ihipStream_tbENKUlT_T0_SI_SN_E_clIPiSD_S15_SD_EEDaS11_S12_SI_SN_EUlS11_E_NS1_11comp_targetILNS1_3genE0ELNS1_11target_archE4294967295ELNS1_3gpuE0ELNS1_3repE0EEENS1_47radix_sort_onesweep_sort_config_static_selectorELNS0_4arch9wavefront6targetE1EEEvSI_.kd
    .uniform_work_group_size: 1
    .uses_dynamic_stack: false
    .vgpr_count:     0
    .vgpr_spill_count: 0
    .wavefront_size: 64
  - .agpr_count:     0
    .args:
      - .offset:         0
        .size:           88
        .value_kind:     by_value
      - .offset:         88
        .size:           4
        .value_kind:     hidden_block_count_x
      - .offset:         92
        .size:           4
        .value_kind:     hidden_block_count_y
      - .offset:         96
        .size:           4
        .value_kind:     hidden_block_count_z
      - .offset:         100
        .size:           2
        .value_kind:     hidden_group_size_x
      - .offset:         102
        .size:           2
        .value_kind:     hidden_group_size_y
      - .offset:         104
        .size:           2
        .value_kind:     hidden_group_size_z
      - .offset:         106
        .size:           2
        .value_kind:     hidden_remainder_x
      - .offset:         108
        .size:           2
        .value_kind:     hidden_remainder_y
      - .offset:         110
        .size:           2
        .value_kind:     hidden_remainder_z
      - .offset:         128
        .size:           8
        .value_kind:     hidden_global_offset_x
      - .offset:         136
        .size:           8
        .value_kind:     hidden_global_offset_y
      - .offset:         144
        .size:           8
        .value_kind:     hidden_global_offset_z
      - .offset:         152
        .size:           2
        .value_kind:     hidden_grid_dims
    .group_segment_fixed_size: 20552
    .kernarg_segment_align: 8
    .kernarg_segment_size: 344
    .language:       OpenCL C
    .language_version:
      - 2
      - 0
    .max_flat_workgroup_size: 1024
    .name:           _ZN7rocprim17ROCPRIM_400000_NS6detail17trampoline_kernelINS0_14default_configENS1_35radix_sort_onesweep_config_selectorIiiEEZZNS1_29radix_sort_onesweep_iterationIS3_Lb1EN6thrust23THRUST_200600_302600_NS6detail15normal_iteratorINS8_10device_ptrIiEEEESD_SD_SD_jNS0_19identity_decomposerENS1_16block_id_wrapperIjLb1EEEEE10hipError_tT1_PNSt15iterator_traitsISI_E10value_typeET2_T3_PNSJ_ISO_E10value_typeET4_T5_PST_SU_PNS1_23onesweep_lookback_stateEbbT6_jjT7_P12ihipStream_tbENKUlT_T0_SI_SN_E_clIPiSD_S15_SD_EEDaS11_S12_SI_SN_EUlS11_E_NS1_11comp_targetILNS1_3genE6ELNS1_11target_archE950ELNS1_3gpuE13ELNS1_3repE0EEENS1_47radix_sort_onesweep_sort_config_static_selectorELNS0_4arch9wavefront6targetE1EEEvSI_
    .private_segment_fixed_size: 80
    .sgpr_count:     79
    .sgpr_spill_count: 0
    .symbol:         _ZN7rocprim17ROCPRIM_400000_NS6detail17trampoline_kernelINS0_14default_configENS1_35radix_sort_onesweep_config_selectorIiiEEZZNS1_29radix_sort_onesweep_iterationIS3_Lb1EN6thrust23THRUST_200600_302600_NS6detail15normal_iteratorINS8_10device_ptrIiEEEESD_SD_SD_jNS0_19identity_decomposerENS1_16block_id_wrapperIjLb1EEEEE10hipError_tT1_PNSt15iterator_traitsISI_E10value_typeET2_T3_PNSJ_ISO_E10value_typeET4_T5_PST_SU_PNS1_23onesweep_lookback_stateEbbT6_jjT7_P12ihipStream_tbENKUlT_T0_SI_SN_E_clIPiSD_S15_SD_EEDaS11_S12_SI_SN_EUlS11_E_NS1_11comp_targetILNS1_3genE6ELNS1_11target_archE950ELNS1_3gpuE13ELNS1_3repE0EEENS1_47radix_sort_onesweep_sort_config_static_selectorELNS0_4arch9wavefront6targetE1EEEvSI_.kd
    .uniform_work_group_size: 1
    .uses_dynamic_stack: false
    .vgpr_count:     89
    .vgpr_spill_count: 0
    .wavefront_size: 64
  - .agpr_count:     0
    .args:
      - .offset:         0
        .size:           88
        .value_kind:     by_value
    .group_segment_fixed_size: 0
    .kernarg_segment_align: 8
    .kernarg_segment_size: 88
    .language:       OpenCL C
    .language_version:
      - 2
      - 0
    .max_flat_workgroup_size: 1024
    .name:           _ZN7rocprim17ROCPRIM_400000_NS6detail17trampoline_kernelINS0_14default_configENS1_35radix_sort_onesweep_config_selectorIiiEEZZNS1_29radix_sort_onesweep_iterationIS3_Lb1EN6thrust23THRUST_200600_302600_NS6detail15normal_iteratorINS8_10device_ptrIiEEEESD_SD_SD_jNS0_19identity_decomposerENS1_16block_id_wrapperIjLb1EEEEE10hipError_tT1_PNSt15iterator_traitsISI_E10value_typeET2_T3_PNSJ_ISO_E10value_typeET4_T5_PST_SU_PNS1_23onesweep_lookback_stateEbbT6_jjT7_P12ihipStream_tbENKUlT_T0_SI_SN_E_clIPiSD_S15_SD_EEDaS11_S12_SI_SN_EUlS11_E_NS1_11comp_targetILNS1_3genE5ELNS1_11target_archE942ELNS1_3gpuE9ELNS1_3repE0EEENS1_47radix_sort_onesweep_sort_config_static_selectorELNS0_4arch9wavefront6targetE1EEEvSI_
    .private_segment_fixed_size: 0
    .sgpr_count:     6
    .sgpr_spill_count: 0
    .symbol:         _ZN7rocprim17ROCPRIM_400000_NS6detail17trampoline_kernelINS0_14default_configENS1_35radix_sort_onesweep_config_selectorIiiEEZZNS1_29radix_sort_onesweep_iterationIS3_Lb1EN6thrust23THRUST_200600_302600_NS6detail15normal_iteratorINS8_10device_ptrIiEEEESD_SD_SD_jNS0_19identity_decomposerENS1_16block_id_wrapperIjLb1EEEEE10hipError_tT1_PNSt15iterator_traitsISI_E10value_typeET2_T3_PNSJ_ISO_E10value_typeET4_T5_PST_SU_PNS1_23onesweep_lookback_stateEbbT6_jjT7_P12ihipStream_tbENKUlT_T0_SI_SN_E_clIPiSD_S15_SD_EEDaS11_S12_SI_SN_EUlS11_E_NS1_11comp_targetILNS1_3genE5ELNS1_11target_archE942ELNS1_3gpuE9ELNS1_3repE0EEENS1_47radix_sort_onesweep_sort_config_static_selectorELNS0_4arch9wavefront6targetE1EEEvSI_.kd
    .uniform_work_group_size: 1
    .uses_dynamic_stack: false
    .vgpr_count:     0
    .vgpr_spill_count: 0
    .wavefront_size: 64
  - .agpr_count:     0
    .args:
      - .offset:         0
        .size:           88
        .value_kind:     by_value
    .group_segment_fixed_size: 0
    .kernarg_segment_align: 8
    .kernarg_segment_size: 88
    .language:       OpenCL C
    .language_version:
      - 2
      - 0
    .max_flat_workgroup_size: 512
    .name:           _ZN7rocprim17ROCPRIM_400000_NS6detail17trampoline_kernelINS0_14default_configENS1_35radix_sort_onesweep_config_selectorIiiEEZZNS1_29radix_sort_onesweep_iterationIS3_Lb1EN6thrust23THRUST_200600_302600_NS6detail15normal_iteratorINS8_10device_ptrIiEEEESD_SD_SD_jNS0_19identity_decomposerENS1_16block_id_wrapperIjLb1EEEEE10hipError_tT1_PNSt15iterator_traitsISI_E10value_typeET2_T3_PNSJ_ISO_E10value_typeET4_T5_PST_SU_PNS1_23onesweep_lookback_stateEbbT6_jjT7_P12ihipStream_tbENKUlT_T0_SI_SN_E_clIPiSD_S15_SD_EEDaS11_S12_SI_SN_EUlS11_E_NS1_11comp_targetILNS1_3genE2ELNS1_11target_archE906ELNS1_3gpuE6ELNS1_3repE0EEENS1_47radix_sort_onesweep_sort_config_static_selectorELNS0_4arch9wavefront6targetE1EEEvSI_
    .private_segment_fixed_size: 0
    .sgpr_count:     6
    .sgpr_spill_count: 0
    .symbol:         _ZN7rocprim17ROCPRIM_400000_NS6detail17trampoline_kernelINS0_14default_configENS1_35radix_sort_onesweep_config_selectorIiiEEZZNS1_29radix_sort_onesweep_iterationIS3_Lb1EN6thrust23THRUST_200600_302600_NS6detail15normal_iteratorINS8_10device_ptrIiEEEESD_SD_SD_jNS0_19identity_decomposerENS1_16block_id_wrapperIjLb1EEEEE10hipError_tT1_PNSt15iterator_traitsISI_E10value_typeET2_T3_PNSJ_ISO_E10value_typeET4_T5_PST_SU_PNS1_23onesweep_lookback_stateEbbT6_jjT7_P12ihipStream_tbENKUlT_T0_SI_SN_E_clIPiSD_S15_SD_EEDaS11_S12_SI_SN_EUlS11_E_NS1_11comp_targetILNS1_3genE2ELNS1_11target_archE906ELNS1_3gpuE6ELNS1_3repE0EEENS1_47radix_sort_onesweep_sort_config_static_selectorELNS0_4arch9wavefront6targetE1EEEvSI_.kd
    .uniform_work_group_size: 1
    .uses_dynamic_stack: false
    .vgpr_count:     0
    .vgpr_spill_count: 0
    .wavefront_size: 64
  - .agpr_count:     0
    .args:
      - .offset:         0
        .size:           88
        .value_kind:     by_value
    .group_segment_fixed_size: 0
    .kernarg_segment_align: 8
    .kernarg_segment_size: 88
    .language:       OpenCL C
    .language_version:
      - 2
      - 0
    .max_flat_workgroup_size: 512
    .name:           _ZN7rocprim17ROCPRIM_400000_NS6detail17trampoline_kernelINS0_14default_configENS1_35radix_sort_onesweep_config_selectorIiiEEZZNS1_29radix_sort_onesweep_iterationIS3_Lb1EN6thrust23THRUST_200600_302600_NS6detail15normal_iteratorINS8_10device_ptrIiEEEESD_SD_SD_jNS0_19identity_decomposerENS1_16block_id_wrapperIjLb1EEEEE10hipError_tT1_PNSt15iterator_traitsISI_E10value_typeET2_T3_PNSJ_ISO_E10value_typeET4_T5_PST_SU_PNS1_23onesweep_lookback_stateEbbT6_jjT7_P12ihipStream_tbENKUlT_T0_SI_SN_E_clIPiSD_S15_SD_EEDaS11_S12_SI_SN_EUlS11_E_NS1_11comp_targetILNS1_3genE4ELNS1_11target_archE910ELNS1_3gpuE8ELNS1_3repE0EEENS1_47radix_sort_onesweep_sort_config_static_selectorELNS0_4arch9wavefront6targetE1EEEvSI_
    .private_segment_fixed_size: 0
    .sgpr_count:     6
    .sgpr_spill_count: 0
    .symbol:         _ZN7rocprim17ROCPRIM_400000_NS6detail17trampoline_kernelINS0_14default_configENS1_35radix_sort_onesweep_config_selectorIiiEEZZNS1_29radix_sort_onesweep_iterationIS3_Lb1EN6thrust23THRUST_200600_302600_NS6detail15normal_iteratorINS8_10device_ptrIiEEEESD_SD_SD_jNS0_19identity_decomposerENS1_16block_id_wrapperIjLb1EEEEE10hipError_tT1_PNSt15iterator_traitsISI_E10value_typeET2_T3_PNSJ_ISO_E10value_typeET4_T5_PST_SU_PNS1_23onesweep_lookback_stateEbbT6_jjT7_P12ihipStream_tbENKUlT_T0_SI_SN_E_clIPiSD_S15_SD_EEDaS11_S12_SI_SN_EUlS11_E_NS1_11comp_targetILNS1_3genE4ELNS1_11target_archE910ELNS1_3gpuE8ELNS1_3repE0EEENS1_47radix_sort_onesweep_sort_config_static_selectorELNS0_4arch9wavefront6targetE1EEEvSI_.kd
    .uniform_work_group_size: 1
    .uses_dynamic_stack: false
    .vgpr_count:     0
    .vgpr_spill_count: 0
    .wavefront_size: 64
  - .agpr_count:     0
    .args:
      - .offset:         0
        .size:           88
        .value_kind:     by_value
    .group_segment_fixed_size: 0
    .kernarg_segment_align: 8
    .kernarg_segment_size: 88
    .language:       OpenCL C
    .language_version:
      - 2
      - 0
    .max_flat_workgroup_size: 256
    .name:           _ZN7rocprim17ROCPRIM_400000_NS6detail17trampoline_kernelINS0_14default_configENS1_35radix_sort_onesweep_config_selectorIiiEEZZNS1_29radix_sort_onesweep_iterationIS3_Lb1EN6thrust23THRUST_200600_302600_NS6detail15normal_iteratorINS8_10device_ptrIiEEEESD_SD_SD_jNS0_19identity_decomposerENS1_16block_id_wrapperIjLb1EEEEE10hipError_tT1_PNSt15iterator_traitsISI_E10value_typeET2_T3_PNSJ_ISO_E10value_typeET4_T5_PST_SU_PNS1_23onesweep_lookback_stateEbbT6_jjT7_P12ihipStream_tbENKUlT_T0_SI_SN_E_clIPiSD_S15_SD_EEDaS11_S12_SI_SN_EUlS11_E_NS1_11comp_targetILNS1_3genE3ELNS1_11target_archE908ELNS1_3gpuE7ELNS1_3repE0EEENS1_47radix_sort_onesweep_sort_config_static_selectorELNS0_4arch9wavefront6targetE1EEEvSI_
    .private_segment_fixed_size: 0
    .sgpr_count:     6
    .sgpr_spill_count: 0
    .symbol:         _ZN7rocprim17ROCPRIM_400000_NS6detail17trampoline_kernelINS0_14default_configENS1_35radix_sort_onesweep_config_selectorIiiEEZZNS1_29radix_sort_onesweep_iterationIS3_Lb1EN6thrust23THRUST_200600_302600_NS6detail15normal_iteratorINS8_10device_ptrIiEEEESD_SD_SD_jNS0_19identity_decomposerENS1_16block_id_wrapperIjLb1EEEEE10hipError_tT1_PNSt15iterator_traitsISI_E10value_typeET2_T3_PNSJ_ISO_E10value_typeET4_T5_PST_SU_PNS1_23onesweep_lookback_stateEbbT6_jjT7_P12ihipStream_tbENKUlT_T0_SI_SN_E_clIPiSD_S15_SD_EEDaS11_S12_SI_SN_EUlS11_E_NS1_11comp_targetILNS1_3genE3ELNS1_11target_archE908ELNS1_3gpuE7ELNS1_3repE0EEENS1_47radix_sort_onesweep_sort_config_static_selectorELNS0_4arch9wavefront6targetE1EEEvSI_.kd
    .uniform_work_group_size: 1
    .uses_dynamic_stack: false
    .vgpr_count:     0
    .vgpr_spill_count: 0
    .wavefront_size: 64
  - .agpr_count:     0
    .args:
      - .offset:         0
        .size:           88
        .value_kind:     by_value
    .group_segment_fixed_size: 0
    .kernarg_segment_align: 8
    .kernarg_segment_size: 88
    .language:       OpenCL C
    .language_version:
      - 2
      - 0
    .max_flat_workgroup_size: 1024
    .name:           _ZN7rocprim17ROCPRIM_400000_NS6detail17trampoline_kernelINS0_14default_configENS1_35radix_sort_onesweep_config_selectorIiiEEZZNS1_29radix_sort_onesweep_iterationIS3_Lb1EN6thrust23THRUST_200600_302600_NS6detail15normal_iteratorINS8_10device_ptrIiEEEESD_SD_SD_jNS0_19identity_decomposerENS1_16block_id_wrapperIjLb1EEEEE10hipError_tT1_PNSt15iterator_traitsISI_E10value_typeET2_T3_PNSJ_ISO_E10value_typeET4_T5_PST_SU_PNS1_23onesweep_lookback_stateEbbT6_jjT7_P12ihipStream_tbENKUlT_T0_SI_SN_E_clIPiSD_S15_SD_EEDaS11_S12_SI_SN_EUlS11_E_NS1_11comp_targetILNS1_3genE10ELNS1_11target_archE1201ELNS1_3gpuE5ELNS1_3repE0EEENS1_47radix_sort_onesweep_sort_config_static_selectorELNS0_4arch9wavefront6targetE1EEEvSI_
    .private_segment_fixed_size: 0
    .sgpr_count:     6
    .sgpr_spill_count: 0
    .symbol:         _ZN7rocprim17ROCPRIM_400000_NS6detail17trampoline_kernelINS0_14default_configENS1_35radix_sort_onesweep_config_selectorIiiEEZZNS1_29radix_sort_onesweep_iterationIS3_Lb1EN6thrust23THRUST_200600_302600_NS6detail15normal_iteratorINS8_10device_ptrIiEEEESD_SD_SD_jNS0_19identity_decomposerENS1_16block_id_wrapperIjLb1EEEEE10hipError_tT1_PNSt15iterator_traitsISI_E10value_typeET2_T3_PNSJ_ISO_E10value_typeET4_T5_PST_SU_PNS1_23onesweep_lookback_stateEbbT6_jjT7_P12ihipStream_tbENKUlT_T0_SI_SN_E_clIPiSD_S15_SD_EEDaS11_S12_SI_SN_EUlS11_E_NS1_11comp_targetILNS1_3genE10ELNS1_11target_archE1201ELNS1_3gpuE5ELNS1_3repE0EEENS1_47radix_sort_onesweep_sort_config_static_selectorELNS0_4arch9wavefront6targetE1EEEvSI_.kd
    .uniform_work_group_size: 1
    .uses_dynamic_stack: false
    .vgpr_count:     0
    .vgpr_spill_count: 0
    .wavefront_size: 64
  - .agpr_count:     0
    .args:
      - .offset:         0
        .size:           88
        .value_kind:     by_value
    .group_segment_fixed_size: 0
    .kernarg_segment_align: 8
    .kernarg_segment_size: 88
    .language:       OpenCL C
    .language_version:
      - 2
      - 0
    .max_flat_workgroup_size: 1024
    .name:           _ZN7rocprim17ROCPRIM_400000_NS6detail17trampoline_kernelINS0_14default_configENS1_35radix_sort_onesweep_config_selectorIiiEEZZNS1_29radix_sort_onesweep_iterationIS3_Lb1EN6thrust23THRUST_200600_302600_NS6detail15normal_iteratorINS8_10device_ptrIiEEEESD_SD_SD_jNS0_19identity_decomposerENS1_16block_id_wrapperIjLb1EEEEE10hipError_tT1_PNSt15iterator_traitsISI_E10value_typeET2_T3_PNSJ_ISO_E10value_typeET4_T5_PST_SU_PNS1_23onesweep_lookback_stateEbbT6_jjT7_P12ihipStream_tbENKUlT_T0_SI_SN_E_clIPiSD_S15_SD_EEDaS11_S12_SI_SN_EUlS11_E_NS1_11comp_targetILNS1_3genE9ELNS1_11target_archE1100ELNS1_3gpuE3ELNS1_3repE0EEENS1_47radix_sort_onesweep_sort_config_static_selectorELNS0_4arch9wavefront6targetE1EEEvSI_
    .private_segment_fixed_size: 0
    .sgpr_count:     6
    .sgpr_spill_count: 0
    .symbol:         _ZN7rocprim17ROCPRIM_400000_NS6detail17trampoline_kernelINS0_14default_configENS1_35radix_sort_onesweep_config_selectorIiiEEZZNS1_29radix_sort_onesweep_iterationIS3_Lb1EN6thrust23THRUST_200600_302600_NS6detail15normal_iteratorINS8_10device_ptrIiEEEESD_SD_SD_jNS0_19identity_decomposerENS1_16block_id_wrapperIjLb1EEEEE10hipError_tT1_PNSt15iterator_traitsISI_E10value_typeET2_T3_PNSJ_ISO_E10value_typeET4_T5_PST_SU_PNS1_23onesweep_lookback_stateEbbT6_jjT7_P12ihipStream_tbENKUlT_T0_SI_SN_E_clIPiSD_S15_SD_EEDaS11_S12_SI_SN_EUlS11_E_NS1_11comp_targetILNS1_3genE9ELNS1_11target_archE1100ELNS1_3gpuE3ELNS1_3repE0EEENS1_47radix_sort_onesweep_sort_config_static_selectorELNS0_4arch9wavefront6targetE1EEEvSI_.kd
    .uniform_work_group_size: 1
    .uses_dynamic_stack: false
    .vgpr_count:     0
    .vgpr_spill_count: 0
    .wavefront_size: 64
  - .agpr_count:     0
    .args:
      - .offset:         0
        .size:           88
        .value_kind:     by_value
    .group_segment_fixed_size: 0
    .kernarg_segment_align: 8
    .kernarg_segment_size: 88
    .language:       OpenCL C
    .language_version:
      - 2
      - 0
    .max_flat_workgroup_size: 1024
    .name:           _ZN7rocprim17ROCPRIM_400000_NS6detail17trampoline_kernelINS0_14default_configENS1_35radix_sort_onesweep_config_selectorIiiEEZZNS1_29radix_sort_onesweep_iterationIS3_Lb1EN6thrust23THRUST_200600_302600_NS6detail15normal_iteratorINS8_10device_ptrIiEEEESD_SD_SD_jNS0_19identity_decomposerENS1_16block_id_wrapperIjLb1EEEEE10hipError_tT1_PNSt15iterator_traitsISI_E10value_typeET2_T3_PNSJ_ISO_E10value_typeET4_T5_PST_SU_PNS1_23onesweep_lookback_stateEbbT6_jjT7_P12ihipStream_tbENKUlT_T0_SI_SN_E_clIPiSD_S15_SD_EEDaS11_S12_SI_SN_EUlS11_E_NS1_11comp_targetILNS1_3genE8ELNS1_11target_archE1030ELNS1_3gpuE2ELNS1_3repE0EEENS1_47radix_sort_onesweep_sort_config_static_selectorELNS0_4arch9wavefront6targetE1EEEvSI_
    .private_segment_fixed_size: 0
    .sgpr_count:     6
    .sgpr_spill_count: 0
    .symbol:         _ZN7rocprim17ROCPRIM_400000_NS6detail17trampoline_kernelINS0_14default_configENS1_35radix_sort_onesweep_config_selectorIiiEEZZNS1_29radix_sort_onesweep_iterationIS3_Lb1EN6thrust23THRUST_200600_302600_NS6detail15normal_iteratorINS8_10device_ptrIiEEEESD_SD_SD_jNS0_19identity_decomposerENS1_16block_id_wrapperIjLb1EEEEE10hipError_tT1_PNSt15iterator_traitsISI_E10value_typeET2_T3_PNSJ_ISO_E10value_typeET4_T5_PST_SU_PNS1_23onesweep_lookback_stateEbbT6_jjT7_P12ihipStream_tbENKUlT_T0_SI_SN_E_clIPiSD_S15_SD_EEDaS11_S12_SI_SN_EUlS11_E_NS1_11comp_targetILNS1_3genE8ELNS1_11target_archE1030ELNS1_3gpuE2ELNS1_3repE0EEENS1_47radix_sort_onesweep_sort_config_static_selectorELNS0_4arch9wavefront6targetE1EEEvSI_.kd
    .uniform_work_group_size: 1
    .uses_dynamic_stack: false
    .vgpr_count:     0
    .vgpr_spill_count: 0
    .wavefront_size: 64
  - .agpr_count:     0
    .args:
      - .offset:         0
        .size:           88
        .value_kind:     by_value
    .group_segment_fixed_size: 0
    .kernarg_segment_align: 8
    .kernarg_segment_size: 88
    .language:       OpenCL C
    .language_version:
      - 2
      - 0
    .max_flat_workgroup_size: 256
    .name:           _ZN7rocprim17ROCPRIM_400000_NS6detail17trampoline_kernelINS0_14default_configENS1_35radix_sort_onesweep_config_selectorIiiEEZZNS1_29radix_sort_onesweep_iterationIS3_Lb1EN6thrust23THRUST_200600_302600_NS6detail15normal_iteratorINS8_10device_ptrIiEEEESD_SD_SD_jNS0_19identity_decomposerENS1_16block_id_wrapperIjLb0EEEEE10hipError_tT1_PNSt15iterator_traitsISI_E10value_typeET2_T3_PNSJ_ISO_E10value_typeET4_T5_PST_SU_PNS1_23onesweep_lookback_stateEbbT6_jjT7_P12ihipStream_tbENKUlT_T0_SI_SN_E_clISD_SD_SD_SD_EEDaS11_S12_SI_SN_EUlS11_E_NS1_11comp_targetILNS1_3genE0ELNS1_11target_archE4294967295ELNS1_3gpuE0ELNS1_3repE0EEENS1_47radix_sort_onesweep_sort_config_static_selectorELNS0_4arch9wavefront6targetE1EEEvSI_
    .private_segment_fixed_size: 0
    .sgpr_count:     6
    .sgpr_spill_count: 0
    .symbol:         _ZN7rocprim17ROCPRIM_400000_NS6detail17trampoline_kernelINS0_14default_configENS1_35radix_sort_onesweep_config_selectorIiiEEZZNS1_29radix_sort_onesweep_iterationIS3_Lb1EN6thrust23THRUST_200600_302600_NS6detail15normal_iteratorINS8_10device_ptrIiEEEESD_SD_SD_jNS0_19identity_decomposerENS1_16block_id_wrapperIjLb0EEEEE10hipError_tT1_PNSt15iterator_traitsISI_E10value_typeET2_T3_PNSJ_ISO_E10value_typeET4_T5_PST_SU_PNS1_23onesweep_lookback_stateEbbT6_jjT7_P12ihipStream_tbENKUlT_T0_SI_SN_E_clISD_SD_SD_SD_EEDaS11_S12_SI_SN_EUlS11_E_NS1_11comp_targetILNS1_3genE0ELNS1_11target_archE4294967295ELNS1_3gpuE0ELNS1_3repE0EEENS1_47radix_sort_onesweep_sort_config_static_selectorELNS0_4arch9wavefront6targetE1EEEvSI_.kd
    .uniform_work_group_size: 1
    .uses_dynamic_stack: false
    .vgpr_count:     0
    .vgpr_spill_count: 0
    .wavefront_size: 64
  - .agpr_count:     0
    .args:
      - .offset:         0
        .size:           88
        .value_kind:     by_value
      - .offset:         88
        .size:           4
        .value_kind:     hidden_block_count_x
      - .offset:         92
        .size:           4
        .value_kind:     hidden_block_count_y
      - .offset:         96
        .size:           4
        .value_kind:     hidden_block_count_z
      - .offset:         100
        .size:           2
        .value_kind:     hidden_group_size_x
      - .offset:         102
        .size:           2
        .value_kind:     hidden_group_size_y
      - .offset:         104
        .size:           2
        .value_kind:     hidden_group_size_z
      - .offset:         106
        .size:           2
        .value_kind:     hidden_remainder_x
      - .offset:         108
        .size:           2
        .value_kind:     hidden_remainder_y
      - .offset:         110
        .size:           2
        .value_kind:     hidden_remainder_z
      - .offset:         128
        .size:           8
        .value_kind:     hidden_global_offset_x
      - .offset:         136
        .size:           8
        .value_kind:     hidden_global_offset_y
      - .offset:         144
        .size:           8
        .value_kind:     hidden_global_offset_z
      - .offset:         152
        .size:           2
        .value_kind:     hidden_grid_dims
    .group_segment_fixed_size: 20552
    .kernarg_segment_align: 8
    .kernarg_segment_size: 344
    .language:       OpenCL C
    .language_version:
      - 2
      - 0
    .max_flat_workgroup_size: 1024
    .name:           _ZN7rocprim17ROCPRIM_400000_NS6detail17trampoline_kernelINS0_14default_configENS1_35radix_sort_onesweep_config_selectorIiiEEZZNS1_29radix_sort_onesweep_iterationIS3_Lb1EN6thrust23THRUST_200600_302600_NS6detail15normal_iteratorINS8_10device_ptrIiEEEESD_SD_SD_jNS0_19identity_decomposerENS1_16block_id_wrapperIjLb0EEEEE10hipError_tT1_PNSt15iterator_traitsISI_E10value_typeET2_T3_PNSJ_ISO_E10value_typeET4_T5_PST_SU_PNS1_23onesweep_lookback_stateEbbT6_jjT7_P12ihipStream_tbENKUlT_T0_SI_SN_E_clISD_SD_SD_SD_EEDaS11_S12_SI_SN_EUlS11_E_NS1_11comp_targetILNS1_3genE6ELNS1_11target_archE950ELNS1_3gpuE13ELNS1_3repE0EEENS1_47radix_sort_onesweep_sort_config_static_selectorELNS0_4arch9wavefront6targetE1EEEvSI_
    .private_segment_fixed_size: 80
    .sgpr_count:     76
    .sgpr_spill_count: 0
    .symbol:         _ZN7rocprim17ROCPRIM_400000_NS6detail17trampoline_kernelINS0_14default_configENS1_35radix_sort_onesweep_config_selectorIiiEEZZNS1_29radix_sort_onesweep_iterationIS3_Lb1EN6thrust23THRUST_200600_302600_NS6detail15normal_iteratorINS8_10device_ptrIiEEEESD_SD_SD_jNS0_19identity_decomposerENS1_16block_id_wrapperIjLb0EEEEE10hipError_tT1_PNSt15iterator_traitsISI_E10value_typeET2_T3_PNSJ_ISO_E10value_typeET4_T5_PST_SU_PNS1_23onesweep_lookback_stateEbbT6_jjT7_P12ihipStream_tbENKUlT_T0_SI_SN_E_clISD_SD_SD_SD_EEDaS11_S12_SI_SN_EUlS11_E_NS1_11comp_targetILNS1_3genE6ELNS1_11target_archE950ELNS1_3gpuE13ELNS1_3repE0EEENS1_47radix_sort_onesweep_sort_config_static_selectorELNS0_4arch9wavefront6targetE1EEEvSI_.kd
    .uniform_work_group_size: 1
    .uses_dynamic_stack: false
    .vgpr_count:     88
    .vgpr_spill_count: 0
    .wavefront_size: 64
  - .agpr_count:     0
    .args:
      - .offset:         0
        .size:           88
        .value_kind:     by_value
    .group_segment_fixed_size: 0
    .kernarg_segment_align: 8
    .kernarg_segment_size: 88
    .language:       OpenCL C
    .language_version:
      - 2
      - 0
    .max_flat_workgroup_size: 1024
    .name:           _ZN7rocprim17ROCPRIM_400000_NS6detail17trampoline_kernelINS0_14default_configENS1_35radix_sort_onesweep_config_selectorIiiEEZZNS1_29radix_sort_onesweep_iterationIS3_Lb1EN6thrust23THRUST_200600_302600_NS6detail15normal_iteratorINS8_10device_ptrIiEEEESD_SD_SD_jNS0_19identity_decomposerENS1_16block_id_wrapperIjLb0EEEEE10hipError_tT1_PNSt15iterator_traitsISI_E10value_typeET2_T3_PNSJ_ISO_E10value_typeET4_T5_PST_SU_PNS1_23onesweep_lookback_stateEbbT6_jjT7_P12ihipStream_tbENKUlT_T0_SI_SN_E_clISD_SD_SD_SD_EEDaS11_S12_SI_SN_EUlS11_E_NS1_11comp_targetILNS1_3genE5ELNS1_11target_archE942ELNS1_3gpuE9ELNS1_3repE0EEENS1_47radix_sort_onesweep_sort_config_static_selectorELNS0_4arch9wavefront6targetE1EEEvSI_
    .private_segment_fixed_size: 0
    .sgpr_count:     6
    .sgpr_spill_count: 0
    .symbol:         _ZN7rocprim17ROCPRIM_400000_NS6detail17trampoline_kernelINS0_14default_configENS1_35radix_sort_onesweep_config_selectorIiiEEZZNS1_29radix_sort_onesweep_iterationIS3_Lb1EN6thrust23THRUST_200600_302600_NS6detail15normal_iteratorINS8_10device_ptrIiEEEESD_SD_SD_jNS0_19identity_decomposerENS1_16block_id_wrapperIjLb0EEEEE10hipError_tT1_PNSt15iterator_traitsISI_E10value_typeET2_T3_PNSJ_ISO_E10value_typeET4_T5_PST_SU_PNS1_23onesweep_lookback_stateEbbT6_jjT7_P12ihipStream_tbENKUlT_T0_SI_SN_E_clISD_SD_SD_SD_EEDaS11_S12_SI_SN_EUlS11_E_NS1_11comp_targetILNS1_3genE5ELNS1_11target_archE942ELNS1_3gpuE9ELNS1_3repE0EEENS1_47radix_sort_onesweep_sort_config_static_selectorELNS0_4arch9wavefront6targetE1EEEvSI_.kd
    .uniform_work_group_size: 1
    .uses_dynamic_stack: false
    .vgpr_count:     0
    .vgpr_spill_count: 0
    .wavefront_size: 64
  - .agpr_count:     0
    .args:
      - .offset:         0
        .size:           88
        .value_kind:     by_value
    .group_segment_fixed_size: 0
    .kernarg_segment_align: 8
    .kernarg_segment_size: 88
    .language:       OpenCL C
    .language_version:
      - 2
      - 0
    .max_flat_workgroup_size: 512
    .name:           _ZN7rocprim17ROCPRIM_400000_NS6detail17trampoline_kernelINS0_14default_configENS1_35radix_sort_onesweep_config_selectorIiiEEZZNS1_29radix_sort_onesweep_iterationIS3_Lb1EN6thrust23THRUST_200600_302600_NS6detail15normal_iteratorINS8_10device_ptrIiEEEESD_SD_SD_jNS0_19identity_decomposerENS1_16block_id_wrapperIjLb0EEEEE10hipError_tT1_PNSt15iterator_traitsISI_E10value_typeET2_T3_PNSJ_ISO_E10value_typeET4_T5_PST_SU_PNS1_23onesweep_lookback_stateEbbT6_jjT7_P12ihipStream_tbENKUlT_T0_SI_SN_E_clISD_SD_SD_SD_EEDaS11_S12_SI_SN_EUlS11_E_NS1_11comp_targetILNS1_3genE2ELNS1_11target_archE906ELNS1_3gpuE6ELNS1_3repE0EEENS1_47radix_sort_onesweep_sort_config_static_selectorELNS0_4arch9wavefront6targetE1EEEvSI_
    .private_segment_fixed_size: 0
    .sgpr_count:     6
    .sgpr_spill_count: 0
    .symbol:         _ZN7rocprim17ROCPRIM_400000_NS6detail17trampoline_kernelINS0_14default_configENS1_35radix_sort_onesweep_config_selectorIiiEEZZNS1_29radix_sort_onesweep_iterationIS3_Lb1EN6thrust23THRUST_200600_302600_NS6detail15normal_iteratorINS8_10device_ptrIiEEEESD_SD_SD_jNS0_19identity_decomposerENS1_16block_id_wrapperIjLb0EEEEE10hipError_tT1_PNSt15iterator_traitsISI_E10value_typeET2_T3_PNSJ_ISO_E10value_typeET4_T5_PST_SU_PNS1_23onesweep_lookback_stateEbbT6_jjT7_P12ihipStream_tbENKUlT_T0_SI_SN_E_clISD_SD_SD_SD_EEDaS11_S12_SI_SN_EUlS11_E_NS1_11comp_targetILNS1_3genE2ELNS1_11target_archE906ELNS1_3gpuE6ELNS1_3repE0EEENS1_47radix_sort_onesweep_sort_config_static_selectorELNS0_4arch9wavefront6targetE1EEEvSI_.kd
    .uniform_work_group_size: 1
    .uses_dynamic_stack: false
    .vgpr_count:     0
    .vgpr_spill_count: 0
    .wavefront_size: 64
  - .agpr_count:     0
    .args:
      - .offset:         0
        .size:           88
        .value_kind:     by_value
    .group_segment_fixed_size: 0
    .kernarg_segment_align: 8
    .kernarg_segment_size: 88
    .language:       OpenCL C
    .language_version:
      - 2
      - 0
    .max_flat_workgroup_size: 512
    .name:           _ZN7rocprim17ROCPRIM_400000_NS6detail17trampoline_kernelINS0_14default_configENS1_35radix_sort_onesweep_config_selectorIiiEEZZNS1_29radix_sort_onesweep_iterationIS3_Lb1EN6thrust23THRUST_200600_302600_NS6detail15normal_iteratorINS8_10device_ptrIiEEEESD_SD_SD_jNS0_19identity_decomposerENS1_16block_id_wrapperIjLb0EEEEE10hipError_tT1_PNSt15iterator_traitsISI_E10value_typeET2_T3_PNSJ_ISO_E10value_typeET4_T5_PST_SU_PNS1_23onesweep_lookback_stateEbbT6_jjT7_P12ihipStream_tbENKUlT_T0_SI_SN_E_clISD_SD_SD_SD_EEDaS11_S12_SI_SN_EUlS11_E_NS1_11comp_targetILNS1_3genE4ELNS1_11target_archE910ELNS1_3gpuE8ELNS1_3repE0EEENS1_47radix_sort_onesweep_sort_config_static_selectorELNS0_4arch9wavefront6targetE1EEEvSI_
    .private_segment_fixed_size: 0
    .sgpr_count:     6
    .sgpr_spill_count: 0
    .symbol:         _ZN7rocprim17ROCPRIM_400000_NS6detail17trampoline_kernelINS0_14default_configENS1_35radix_sort_onesweep_config_selectorIiiEEZZNS1_29radix_sort_onesweep_iterationIS3_Lb1EN6thrust23THRUST_200600_302600_NS6detail15normal_iteratorINS8_10device_ptrIiEEEESD_SD_SD_jNS0_19identity_decomposerENS1_16block_id_wrapperIjLb0EEEEE10hipError_tT1_PNSt15iterator_traitsISI_E10value_typeET2_T3_PNSJ_ISO_E10value_typeET4_T5_PST_SU_PNS1_23onesweep_lookback_stateEbbT6_jjT7_P12ihipStream_tbENKUlT_T0_SI_SN_E_clISD_SD_SD_SD_EEDaS11_S12_SI_SN_EUlS11_E_NS1_11comp_targetILNS1_3genE4ELNS1_11target_archE910ELNS1_3gpuE8ELNS1_3repE0EEENS1_47radix_sort_onesweep_sort_config_static_selectorELNS0_4arch9wavefront6targetE1EEEvSI_.kd
    .uniform_work_group_size: 1
    .uses_dynamic_stack: false
    .vgpr_count:     0
    .vgpr_spill_count: 0
    .wavefront_size: 64
  - .agpr_count:     0
    .args:
      - .offset:         0
        .size:           88
        .value_kind:     by_value
    .group_segment_fixed_size: 0
    .kernarg_segment_align: 8
    .kernarg_segment_size: 88
    .language:       OpenCL C
    .language_version:
      - 2
      - 0
    .max_flat_workgroup_size: 256
    .name:           _ZN7rocprim17ROCPRIM_400000_NS6detail17trampoline_kernelINS0_14default_configENS1_35radix_sort_onesweep_config_selectorIiiEEZZNS1_29radix_sort_onesweep_iterationIS3_Lb1EN6thrust23THRUST_200600_302600_NS6detail15normal_iteratorINS8_10device_ptrIiEEEESD_SD_SD_jNS0_19identity_decomposerENS1_16block_id_wrapperIjLb0EEEEE10hipError_tT1_PNSt15iterator_traitsISI_E10value_typeET2_T3_PNSJ_ISO_E10value_typeET4_T5_PST_SU_PNS1_23onesweep_lookback_stateEbbT6_jjT7_P12ihipStream_tbENKUlT_T0_SI_SN_E_clISD_SD_SD_SD_EEDaS11_S12_SI_SN_EUlS11_E_NS1_11comp_targetILNS1_3genE3ELNS1_11target_archE908ELNS1_3gpuE7ELNS1_3repE0EEENS1_47radix_sort_onesweep_sort_config_static_selectorELNS0_4arch9wavefront6targetE1EEEvSI_
    .private_segment_fixed_size: 0
    .sgpr_count:     6
    .sgpr_spill_count: 0
    .symbol:         _ZN7rocprim17ROCPRIM_400000_NS6detail17trampoline_kernelINS0_14default_configENS1_35radix_sort_onesweep_config_selectorIiiEEZZNS1_29radix_sort_onesweep_iterationIS3_Lb1EN6thrust23THRUST_200600_302600_NS6detail15normal_iteratorINS8_10device_ptrIiEEEESD_SD_SD_jNS0_19identity_decomposerENS1_16block_id_wrapperIjLb0EEEEE10hipError_tT1_PNSt15iterator_traitsISI_E10value_typeET2_T3_PNSJ_ISO_E10value_typeET4_T5_PST_SU_PNS1_23onesweep_lookback_stateEbbT6_jjT7_P12ihipStream_tbENKUlT_T0_SI_SN_E_clISD_SD_SD_SD_EEDaS11_S12_SI_SN_EUlS11_E_NS1_11comp_targetILNS1_3genE3ELNS1_11target_archE908ELNS1_3gpuE7ELNS1_3repE0EEENS1_47radix_sort_onesweep_sort_config_static_selectorELNS0_4arch9wavefront6targetE1EEEvSI_.kd
    .uniform_work_group_size: 1
    .uses_dynamic_stack: false
    .vgpr_count:     0
    .vgpr_spill_count: 0
    .wavefront_size: 64
  - .agpr_count:     0
    .args:
      - .offset:         0
        .size:           88
        .value_kind:     by_value
    .group_segment_fixed_size: 0
    .kernarg_segment_align: 8
    .kernarg_segment_size: 88
    .language:       OpenCL C
    .language_version:
      - 2
      - 0
    .max_flat_workgroup_size: 1024
    .name:           _ZN7rocprim17ROCPRIM_400000_NS6detail17trampoline_kernelINS0_14default_configENS1_35radix_sort_onesweep_config_selectorIiiEEZZNS1_29radix_sort_onesweep_iterationIS3_Lb1EN6thrust23THRUST_200600_302600_NS6detail15normal_iteratorINS8_10device_ptrIiEEEESD_SD_SD_jNS0_19identity_decomposerENS1_16block_id_wrapperIjLb0EEEEE10hipError_tT1_PNSt15iterator_traitsISI_E10value_typeET2_T3_PNSJ_ISO_E10value_typeET4_T5_PST_SU_PNS1_23onesweep_lookback_stateEbbT6_jjT7_P12ihipStream_tbENKUlT_T0_SI_SN_E_clISD_SD_SD_SD_EEDaS11_S12_SI_SN_EUlS11_E_NS1_11comp_targetILNS1_3genE10ELNS1_11target_archE1201ELNS1_3gpuE5ELNS1_3repE0EEENS1_47radix_sort_onesweep_sort_config_static_selectorELNS0_4arch9wavefront6targetE1EEEvSI_
    .private_segment_fixed_size: 0
    .sgpr_count:     6
    .sgpr_spill_count: 0
    .symbol:         _ZN7rocprim17ROCPRIM_400000_NS6detail17trampoline_kernelINS0_14default_configENS1_35radix_sort_onesweep_config_selectorIiiEEZZNS1_29radix_sort_onesweep_iterationIS3_Lb1EN6thrust23THRUST_200600_302600_NS6detail15normal_iteratorINS8_10device_ptrIiEEEESD_SD_SD_jNS0_19identity_decomposerENS1_16block_id_wrapperIjLb0EEEEE10hipError_tT1_PNSt15iterator_traitsISI_E10value_typeET2_T3_PNSJ_ISO_E10value_typeET4_T5_PST_SU_PNS1_23onesweep_lookback_stateEbbT6_jjT7_P12ihipStream_tbENKUlT_T0_SI_SN_E_clISD_SD_SD_SD_EEDaS11_S12_SI_SN_EUlS11_E_NS1_11comp_targetILNS1_3genE10ELNS1_11target_archE1201ELNS1_3gpuE5ELNS1_3repE0EEENS1_47radix_sort_onesweep_sort_config_static_selectorELNS0_4arch9wavefront6targetE1EEEvSI_.kd
    .uniform_work_group_size: 1
    .uses_dynamic_stack: false
    .vgpr_count:     0
    .vgpr_spill_count: 0
    .wavefront_size: 64
  - .agpr_count:     0
    .args:
      - .offset:         0
        .size:           88
        .value_kind:     by_value
    .group_segment_fixed_size: 0
    .kernarg_segment_align: 8
    .kernarg_segment_size: 88
    .language:       OpenCL C
    .language_version:
      - 2
      - 0
    .max_flat_workgroup_size: 1024
    .name:           _ZN7rocprim17ROCPRIM_400000_NS6detail17trampoline_kernelINS0_14default_configENS1_35radix_sort_onesweep_config_selectorIiiEEZZNS1_29radix_sort_onesweep_iterationIS3_Lb1EN6thrust23THRUST_200600_302600_NS6detail15normal_iteratorINS8_10device_ptrIiEEEESD_SD_SD_jNS0_19identity_decomposerENS1_16block_id_wrapperIjLb0EEEEE10hipError_tT1_PNSt15iterator_traitsISI_E10value_typeET2_T3_PNSJ_ISO_E10value_typeET4_T5_PST_SU_PNS1_23onesweep_lookback_stateEbbT6_jjT7_P12ihipStream_tbENKUlT_T0_SI_SN_E_clISD_SD_SD_SD_EEDaS11_S12_SI_SN_EUlS11_E_NS1_11comp_targetILNS1_3genE9ELNS1_11target_archE1100ELNS1_3gpuE3ELNS1_3repE0EEENS1_47radix_sort_onesweep_sort_config_static_selectorELNS0_4arch9wavefront6targetE1EEEvSI_
    .private_segment_fixed_size: 0
    .sgpr_count:     6
    .sgpr_spill_count: 0
    .symbol:         _ZN7rocprim17ROCPRIM_400000_NS6detail17trampoline_kernelINS0_14default_configENS1_35radix_sort_onesweep_config_selectorIiiEEZZNS1_29radix_sort_onesweep_iterationIS3_Lb1EN6thrust23THRUST_200600_302600_NS6detail15normal_iteratorINS8_10device_ptrIiEEEESD_SD_SD_jNS0_19identity_decomposerENS1_16block_id_wrapperIjLb0EEEEE10hipError_tT1_PNSt15iterator_traitsISI_E10value_typeET2_T3_PNSJ_ISO_E10value_typeET4_T5_PST_SU_PNS1_23onesweep_lookback_stateEbbT6_jjT7_P12ihipStream_tbENKUlT_T0_SI_SN_E_clISD_SD_SD_SD_EEDaS11_S12_SI_SN_EUlS11_E_NS1_11comp_targetILNS1_3genE9ELNS1_11target_archE1100ELNS1_3gpuE3ELNS1_3repE0EEENS1_47radix_sort_onesweep_sort_config_static_selectorELNS0_4arch9wavefront6targetE1EEEvSI_.kd
    .uniform_work_group_size: 1
    .uses_dynamic_stack: false
    .vgpr_count:     0
    .vgpr_spill_count: 0
    .wavefront_size: 64
  - .agpr_count:     0
    .args:
      - .offset:         0
        .size:           88
        .value_kind:     by_value
    .group_segment_fixed_size: 0
    .kernarg_segment_align: 8
    .kernarg_segment_size: 88
    .language:       OpenCL C
    .language_version:
      - 2
      - 0
    .max_flat_workgroup_size: 1024
    .name:           _ZN7rocprim17ROCPRIM_400000_NS6detail17trampoline_kernelINS0_14default_configENS1_35radix_sort_onesweep_config_selectorIiiEEZZNS1_29radix_sort_onesweep_iterationIS3_Lb1EN6thrust23THRUST_200600_302600_NS6detail15normal_iteratorINS8_10device_ptrIiEEEESD_SD_SD_jNS0_19identity_decomposerENS1_16block_id_wrapperIjLb0EEEEE10hipError_tT1_PNSt15iterator_traitsISI_E10value_typeET2_T3_PNSJ_ISO_E10value_typeET4_T5_PST_SU_PNS1_23onesweep_lookback_stateEbbT6_jjT7_P12ihipStream_tbENKUlT_T0_SI_SN_E_clISD_SD_SD_SD_EEDaS11_S12_SI_SN_EUlS11_E_NS1_11comp_targetILNS1_3genE8ELNS1_11target_archE1030ELNS1_3gpuE2ELNS1_3repE0EEENS1_47radix_sort_onesweep_sort_config_static_selectorELNS0_4arch9wavefront6targetE1EEEvSI_
    .private_segment_fixed_size: 0
    .sgpr_count:     6
    .sgpr_spill_count: 0
    .symbol:         _ZN7rocprim17ROCPRIM_400000_NS6detail17trampoline_kernelINS0_14default_configENS1_35radix_sort_onesweep_config_selectorIiiEEZZNS1_29radix_sort_onesweep_iterationIS3_Lb1EN6thrust23THRUST_200600_302600_NS6detail15normal_iteratorINS8_10device_ptrIiEEEESD_SD_SD_jNS0_19identity_decomposerENS1_16block_id_wrapperIjLb0EEEEE10hipError_tT1_PNSt15iterator_traitsISI_E10value_typeET2_T3_PNSJ_ISO_E10value_typeET4_T5_PST_SU_PNS1_23onesweep_lookback_stateEbbT6_jjT7_P12ihipStream_tbENKUlT_T0_SI_SN_E_clISD_SD_SD_SD_EEDaS11_S12_SI_SN_EUlS11_E_NS1_11comp_targetILNS1_3genE8ELNS1_11target_archE1030ELNS1_3gpuE2ELNS1_3repE0EEENS1_47radix_sort_onesweep_sort_config_static_selectorELNS0_4arch9wavefront6targetE1EEEvSI_.kd
    .uniform_work_group_size: 1
    .uses_dynamic_stack: false
    .vgpr_count:     0
    .vgpr_spill_count: 0
    .wavefront_size: 64
  - .agpr_count:     0
    .args:
      - .offset:         0
        .size:           88
        .value_kind:     by_value
    .group_segment_fixed_size: 0
    .kernarg_segment_align: 8
    .kernarg_segment_size: 88
    .language:       OpenCL C
    .language_version:
      - 2
      - 0
    .max_flat_workgroup_size: 256
    .name:           _ZN7rocprim17ROCPRIM_400000_NS6detail17trampoline_kernelINS0_14default_configENS1_35radix_sort_onesweep_config_selectorIiiEEZZNS1_29radix_sort_onesweep_iterationIS3_Lb1EN6thrust23THRUST_200600_302600_NS6detail15normal_iteratorINS8_10device_ptrIiEEEESD_SD_SD_jNS0_19identity_decomposerENS1_16block_id_wrapperIjLb0EEEEE10hipError_tT1_PNSt15iterator_traitsISI_E10value_typeET2_T3_PNSJ_ISO_E10value_typeET4_T5_PST_SU_PNS1_23onesweep_lookback_stateEbbT6_jjT7_P12ihipStream_tbENKUlT_T0_SI_SN_E_clISD_PiSD_S15_EEDaS11_S12_SI_SN_EUlS11_E_NS1_11comp_targetILNS1_3genE0ELNS1_11target_archE4294967295ELNS1_3gpuE0ELNS1_3repE0EEENS1_47radix_sort_onesweep_sort_config_static_selectorELNS0_4arch9wavefront6targetE1EEEvSI_
    .private_segment_fixed_size: 0
    .sgpr_count:     6
    .sgpr_spill_count: 0
    .symbol:         _ZN7rocprim17ROCPRIM_400000_NS6detail17trampoline_kernelINS0_14default_configENS1_35radix_sort_onesweep_config_selectorIiiEEZZNS1_29radix_sort_onesweep_iterationIS3_Lb1EN6thrust23THRUST_200600_302600_NS6detail15normal_iteratorINS8_10device_ptrIiEEEESD_SD_SD_jNS0_19identity_decomposerENS1_16block_id_wrapperIjLb0EEEEE10hipError_tT1_PNSt15iterator_traitsISI_E10value_typeET2_T3_PNSJ_ISO_E10value_typeET4_T5_PST_SU_PNS1_23onesweep_lookback_stateEbbT6_jjT7_P12ihipStream_tbENKUlT_T0_SI_SN_E_clISD_PiSD_S15_EEDaS11_S12_SI_SN_EUlS11_E_NS1_11comp_targetILNS1_3genE0ELNS1_11target_archE4294967295ELNS1_3gpuE0ELNS1_3repE0EEENS1_47radix_sort_onesweep_sort_config_static_selectorELNS0_4arch9wavefront6targetE1EEEvSI_.kd
    .uniform_work_group_size: 1
    .uses_dynamic_stack: false
    .vgpr_count:     0
    .vgpr_spill_count: 0
    .wavefront_size: 64
  - .agpr_count:     0
    .args:
      - .offset:         0
        .size:           88
        .value_kind:     by_value
      - .offset:         88
        .size:           4
        .value_kind:     hidden_block_count_x
      - .offset:         92
        .size:           4
        .value_kind:     hidden_block_count_y
      - .offset:         96
        .size:           4
        .value_kind:     hidden_block_count_z
      - .offset:         100
        .size:           2
        .value_kind:     hidden_group_size_x
      - .offset:         102
        .size:           2
        .value_kind:     hidden_group_size_y
      - .offset:         104
        .size:           2
        .value_kind:     hidden_group_size_z
      - .offset:         106
        .size:           2
        .value_kind:     hidden_remainder_x
      - .offset:         108
        .size:           2
        .value_kind:     hidden_remainder_y
      - .offset:         110
        .size:           2
        .value_kind:     hidden_remainder_z
      - .offset:         128
        .size:           8
        .value_kind:     hidden_global_offset_x
      - .offset:         136
        .size:           8
        .value_kind:     hidden_global_offset_y
      - .offset:         144
        .size:           8
        .value_kind:     hidden_global_offset_z
      - .offset:         152
        .size:           2
        .value_kind:     hidden_grid_dims
    .group_segment_fixed_size: 20552
    .kernarg_segment_align: 8
    .kernarg_segment_size: 344
    .language:       OpenCL C
    .language_version:
      - 2
      - 0
    .max_flat_workgroup_size: 1024
    .name:           _ZN7rocprim17ROCPRIM_400000_NS6detail17trampoline_kernelINS0_14default_configENS1_35radix_sort_onesweep_config_selectorIiiEEZZNS1_29radix_sort_onesweep_iterationIS3_Lb1EN6thrust23THRUST_200600_302600_NS6detail15normal_iteratorINS8_10device_ptrIiEEEESD_SD_SD_jNS0_19identity_decomposerENS1_16block_id_wrapperIjLb0EEEEE10hipError_tT1_PNSt15iterator_traitsISI_E10value_typeET2_T3_PNSJ_ISO_E10value_typeET4_T5_PST_SU_PNS1_23onesweep_lookback_stateEbbT6_jjT7_P12ihipStream_tbENKUlT_T0_SI_SN_E_clISD_PiSD_S15_EEDaS11_S12_SI_SN_EUlS11_E_NS1_11comp_targetILNS1_3genE6ELNS1_11target_archE950ELNS1_3gpuE13ELNS1_3repE0EEENS1_47radix_sort_onesweep_sort_config_static_selectorELNS0_4arch9wavefront6targetE1EEEvSI_
    .private_segment_fixed_size: 80
    .sgpr_count:     76
    .sgpr_spill_count: 0
    .symbol:         _ZN7rocprim17ROCPRIM_400000_NS6detail17trampoline_kernelINS0_14default_configENS1_35radix_sort_onesweep_config_selectorIiiEEZZNS1_29radix_sort_onesweep_iterationIS3_Lb1EN6thrust23THRUST_200600_302600_NS6detail15normal_iteratorINS8_10device_ptrIiEEEESD_SD_SD_jNS0_19identity_decomposerENS1_16block_id_wrapperIjLb0EEEEE10hipError_tT1_PNSt15iterator_traitsISI_E10value_typeET2_T3_PNSJ_ISO_E10value_typeET4_T5_PST_SU_PNS1_23onesweep_lookback_stateEbbT6_jjT7_P12ihipStream_tbENKUlT_T0_SI_SN_E_clISD_PiSD_S15_EEDaS11_S12_SI_SN_EUlS11_E_NS1_11comp_targetILNS1_3genE6ELNS1_11target_archE950ELNS1_3gpuE13ELNS1_3repE0EEENS1_47radix_sort_onesweep_sort_config_static_selectorELNS0_4arch9wavefront6targetE1EEEvSI_.kd
    .uniform_work_group_size: 1
    .uses_dynamic_stack: false
    .vgpr_count:     88
    .vgpr_spill_count: 0
    .wavefront_size: 64
  - .agpr_count:     0
    .args:
      - .offset:         0
        .size:           88
        .value_kind:     by_value
    .group_segment_fixed_size: 0
    .kernarg_segment_align: 8
    .kernarg_segment_size: 88
    .language:       OpenCL C
    .language_version:
      - 2
      - 0
    .max_flat_workgroup_size: 1024
    .name:           _ZN7rocprim17ROCPRIM_400000_NS6detail17trampoline_kernelINS0_14default_configENS1_35radix_sort_onesweep_config_selectorIiiEEZZNS1_29radix_sort_onesweep_iterationIS3_Lb1EN6thrust23THRUST_200600_302600_NS6detail15normal_iteratorINS8_10device_ptrIiEEEESD_SD_SD_jNS0_19identity_decomposerENS1_16block_id_wrapperIjLb0EEEEE10hipError_tT1_PNSt15iterator_traitsISI_E10value_typeET2_T3_PNSJ_ISO_E10value_typeET4_T5_PST_SU_PNS1_23onesweep_lookback_stateEbbT6_jjT7_P12ihipStream_tbENKUlT_T0_SI_SN_E_clISD_PiSD_S15_EEDaS11_S12_SI_SN_EUlS11_E_NS1_11comp_targetILNS1_3genE5ELNS1_11target_archE942ELNS1_3gpuE9ELNS1_3repE0EEENS1_47radix_sort_onesweep_sort_config_static_selectorELNS0_4arch9wavefront6targetE1EEEvSI_
    .private_segment_fixed_size: 0
    .sgpr_count:     6
    .sgpr_spill_count: 0
    .symbol:         _ZN7rocprim17ROCPRIM_400000_NS6detail17trampoline_kernelINS0_14default_configENS1_35radix_sort_onesweep_config_selectorIiiEEZZNS1_29radix_sort_onesweep_iterationIS3_Lb1EN6thrust23THRUST_200600_302600_NS6detail15normal_iteratorINS8_10device_ptrIiEEEESD_SD_SD_jNS0_19identity_decomposerENS1_16block_id_wrapperIjLb0EEEEE10hipError_tT1_PNSt15iterator_traitsISI_E10value_typeET2_T3_PNSJ_ISO_E10value_typeET4_T5_PST_SU_PNS1_23onesweep_lookback_stateEbbT6_jjT7_P12ihipStream_tbENKUlT_T0_SI_SN_E_clISD_PiSD_S15_EEDaS11_S12_SI_SN_EUlS11_E_NS1_11comp_targetILNS1_3genE5ELNS1_11target_archE942ELNS1_3gpuE9ELNS1_3repE0EEENS1_47radix_sort_onesweep_sort_config_static_selectorELNS0_4arch9wavefront6targetE1EEEvSI_.kd
    .uniform_work_group_size: 1
    .uses_dynamic_stack: false
    .vgpr_count:     0
    .vgpr_spill_count: 0
    .wavefront_size: 64
  - .agpr_count:     0
    .args:
      - .offset:         0
        .size:           88
        .value_kind:     by_value
    .group_segment_fixed_size: 0
    .kernarg_segment_align: 8
    .kernarg_segment_size: 88
    .language:       OpenCL C
    .language_version:
      - 2
      - 0
    .max_flat_workgroup_size: 512
    .name:           _ZN7rocprim17ROCPRIM_400000_NS6detail17trampoline_kernelINS0_14default_configENS1_35radix_sort_onesweep_config_selectorIiiEEZZNS1_29radix_sort_onesweep_iterationIS3_Lb1EN6thrust23THRUST_200600_302600_NS6detail15normal_iteratorINS8_10device_ptrIiEEEESD_SD_SD_jNS0_19identity_decomposerENS1_16block_id_wrapperIjLb0EEEEE10hipError_tT1_PNSt15iterator_traitsISI_E10value_typeET2_T3_PNSJ_ISO_E10value_typeET4_T5_PST_SU_PNS1_23onesweep_lookback_stateEbbT6_jjT7_P12ihipStream_tbENKUlT_T0_SI_SN_E_clISD_PiSD_S15_EEDaS11_S12_SI_SN_EUlS11_E_NS1_11comp_targetILNS1_3genE2ELNS1_11target_archE906ELNS1_3gpuE6ELNS1_3repE0EEENS1_47radix_sort_onesweep_sort_config_static_selectorELNS0_4arch9wavefront6targetE1EEEvSI_
    .private_segment_fixed_size: 0
    .sgpr_count:     6
    .sgpr_spill_count: 0
    .symbol:         _ZN7rocprim17ROCPRIM_400000_NS6detail17trampoline_kernelINS0_14default_configENS1_35radix_sort_onesweep_config_selectorIiiEEZZNS1_29radix_sort_onesweep_iterationIS3_Lb1EN6thrust23THRUST_200600_302600_NS6detail15normal_iteratorINS8_10device_ptrIiEEEESD_SD_SD_jNS0_19identity_decomposerENS1_16block_id_wrapperIjLb0EEEEE10hipError_tT1_PNSt15iterator_traitsISI_E10value_typeET2_T3_PNSJ_ISO_E10value_typeET4_T5_PST_SU_PNS1_23onesweep_lookback_stateEbbT6_jjT7_P12ihipStream_tbENKUlT_T0_SI_SN_E_clISD_PiSD_S15_EEDaS11_S12_SI_SN_EUlS11_E_NS1_11comp_targetILNS1_3genE2ELNS1_11target_archE906ELNS1_3gpuE6ELNS1_3repE0EEENS1_47radix_sort_onesweep_sort_config_static_selectorELNS0_4arch9wavefront6targetE1EEEvSI_.kd
    .uniform_work_group_size: 1
    .uses_dynamic_stack: false
    .vgpr_count:     0
    .vgpr_spill_count: 0
    .wavefront_size: 64
  - .agpr_count:     0
    .args:
      - .offset:         0
        .size:           88
        .value_kind:     by_value
    .group_segment_fixed_size: 0
    .kernarg_segment_align: 8
    .kernarg_segment_size: 88
    .language:       OpenCL C
    .language_version:
      - 2
      - 0
    .max_flat_workgroup_size: 512
    .name:           _ZN7rocprim17ROCPRIM_400000_NS6detail17trampoline_kernelINS0_14default_configENS1_35radix_sort_onesweep_config_selectorIiiEEZZNS1_29radix_sort_onesweep_iterationIS3_Lb1EN6thrust23THRUST_200600_302600_NS6detail15normal_iteratorINS8_10device_ptrIiEEEESD_SD_SD_jNS0_19identity_decomposerENS1_16block_id_wrapperIjLb0EEEEE10hipError_tT1_PNSt15iterator_traitsISI_E10value_typeET2_T3_PNSJ_ISO_E10value_typeET4_T5_PST_SU_PNS1_23onesweep_lookback_stateEbbT6_jjT7_P12ihipStream_tbENKUlT_T0_SI_SN_E_clISD_PiSD_S15_EEDaS11_S12_SI_SN_EUlS11_E_NS1_11comp_targetILNS1_3genE4ELNS1_11target_archE910ELNS1_3gpuE8ELNS1_3repE0EEENS1_47radix_sort_onesweep_sort_config_static_selectorELNS0_4arch9wavefront6targetE1EEEvSI_
    .private_segment_fixed_size: 0
    .sgpr_count:     6
    .sgpr_spill_count: 0
    .symbol:         _ZN7rocprim17ROCPRIM_400000_NS6detail17trampoline_kernelINS0_14default_configENS1_35radix_sort_onesweep_config_selectorIiiEEZZNS1_29radix_sort_onesweep_iterationIS3_Lb1EN6thrust23THRUST_200600_302600_NS6detail15normal_iteratorINS8_10device_ptrIiEEEESD_SD_SD_jNS0_19identity_decomposerENS1_16block_id_wrapperIjLb0EEEEE10hipError_tT1_PNSt15iterator_traitsISI_E10value_typeET2_T3_PNSJ_ISO_E10value_typeET4_T5_PST_SU_PNS1_23onesweep_lookback_stateEbbT6_jjT7_P12ihipStream_tbENKUlT_T0_SI_SN_E_clISD_PiSD_S15_EEDaS11_S12_SI_SN_EUlS11_E_NS1_11comp_targetILNS1_3genE4ELNS1_11target_archE910ELNS1_3gpuE8ELNS1_3repE0EEENS1_47radix_sort_onesweep_sort_config_static_selectorELNS0_4arch9wavefront6targetE1EEEvSI_.kd
    .uniform_work_group_size: 1
    .uses_dynamic_stack: false
    .vgpr_count:     0
    .vgpr_spill_count: 0
    .wavefront_size: 64
  - .agpr_count:     0
    .args:
      - .offset:         0
        .size:           88
        .value_kind:     by_value
    .group_segment_fixed_size: 0
    .kernarg_segment_align: 8
    .kernarg_segment_size: 88
    .language:       OpenCL C
    .language_version:
      - 2
      - 0
    .max_flat_workgroup_size: 256
    .name:           _ZN7rocprim17ROCPRIM_400000_NS6detail17trampoline_kernelINS0_14default_configENS1_35radix_sort_onesweep_config_selectorIiiEEZZNS1_29radix_sort_onesweep_iterationIS3_Lb1EN6thrust23THRUST_200600_302600_NS6detail15normal_iteratorINS8_10device_ptrIiEEEESD_SD_SD_jNS0_19identity_decomposerENS1_16block_id_wrapperIjLb0EEEEE10hipError_tT1_PNSt15iterator_traitsISI_E10value_typeET2_T3_PNSJ_ISO_E10value_typeET4_T5_PST_SU_PNS1_23onesweep_lookback_stateEbbT6_jjT7_P12ihipStream_tbENKUlT_T0_SI_SN_E_clISD_PiSD_S15_EEDaS11_S12_SI_SN_EUlS11_E_NS1_11comp_targetILNS1_3genE3ELNS1_11target_archE908ELNS1_3gpuE7ELNS1_3repE0EEENS1_47radix_sort_onesweep_sort_config_static_selectorELNS0_4arch9wavefront6targetE1EEEvSI_
    .private_segment_fixed_size: 0
    .sgpr_count:     6
    .sgpr_spill_count: 0
    .symbol:         _ZN7rocprim17ROCPRIM_400000_NS6detail17trampoline_kernelINS0_14default_configENS1_35radix_sort_onesweep_config_selectorIiiEEZZNS1_29radix_sort_onesweep_iterationIS3_Lb1EN6thrust23THRUST_200600_302600_NS6detail15normal_iteratorINS8_10device_ptrIiEEEESD_SD_SD_jNS0_19identity_decomposerENS1_16block_id_wrapperIjLb0EEEEE10hipError_tT1_PNSt15iterator_traitsISI_E10value_typeET2_T3_PNSJ_ISO_E10value_typeET4_T5_PST_SU_PNS1_23onesweep_lookback_stateEbbT6_jjT7_P12ihipStream_tbENKUlT_T0_SI_SN_E_clISD_PiSD_S15_EEDaS11_S12_SI_SN_EUlS11_E_NS1_11comp_targetILNS1_3genE3ELNS1_11target_archE908ELNS1_3gpuE7ELNS1_3repE0EEENS1_47radix_sort_onesweep_sort_config_static_selectorELNS0_4arch9wavefront6targetE1EEEvSI_.kd
    .uniform_work_group_size: 1
    .uses_dynamic_stack: false
    .vgpr_count:     0
    .vgpr_spill_count: 0
    .wavefront_size: 64
  - .agpr_count:     0
    .args:
      - .offset:         0
        .size:           88
        .value_kind:     by_value
    .group_segment_fixed_size: 0
    .kernarg_segment_align: 8
    .kernarg_segment_size: 88
    .language:       OpenCL C
    .language_version:
      - 2
      - 0
    .max_flat_workgroup_size: 1024
    .name:           _ZN7rocprim17ROCPRIM_400000_NS6detail17trampoline_kernelINS0_14default_configENS1_35radix_sort_onesweep_config_selectorIiiEEZZNS1_29radix_sort_onesweep_iterationIS3_Lb1EN6thrust23THRUST_200600_302600_NS6detail15normal_iteratorINS8_10device_ptrIiEEEESD_SD_SD_jNS0_19identity_decomposerENS1_16block_id_wrapperIjLb0EEEEE10hipError_tT1_PNSt15iterator_traitsISI_E10value_typeET2_T3_PNSJ_ISO_E10value_typeET4_T5_PST_SU_PNS1_23onesweep_lookback_stateEbbT6_jjT7_P12ihipStream_tbENKUlT_T0_SI_SN_E_clISD_PiSD_S15_EEDaS11_S12_SI_SN_EUlS11_E_NS1_11comp_targetILNS1_3genE10ELNS1_11target_archE1201ELNS1_3gpuE5ELNS1_3repE0EEENS1_47radix_sort_onesweep_sort_config_static_selectorELNS0_4arch9wavefront6targetE1EEEvSI_
    .private_segment_fixed_size: 0
    .sgpr_count:     6
    .sgpr_spill_count: 0
    .symbol:         _ZN7rocprim17ROCPRIM_400000_NS6detail17trampoline_kernelINS0_14default_configENS1_35radix_sort_onesweep_config_selectorIiiEEZZNS1_29radix_sort_onesweep_iterationIS3_Lb1EN6thrust23THRUST_200600_302600_NS6detail15normal_iteratorINS8_10device_ptrIiEEEESD_SD_SD_jNS0_19identity_decomposerENS1_16block_id_wrapperIjLb0EEEEE10hipError_tT1_PNSt15iterator_traitsISI_E10value_typeET2_T3_PNSJ_ISO_E10value_typeET4_T5_PST_SU_PNS1_23onesweep_lookback_stateEbbT6_jjT7_P12ihipStream_tbENKUlT_T0_SI_SN_E_clISD_PiSD_S15_EEDaS11_S12_SI_SN_EUlS11_E_NS1_11comp_targetILNS1_3genE10ELNS1_11target_archE1201ELNS1_3gpuE5ELNS1_3repE0EEENS1_47radix_sort_onesweep_sort_config_static_selectorELNS0_4arch9wavefront6targetE1EEEvSI_.kd
    .uniform_work_group_size: 1
    .uses_dynamic_stack: false
    .vgpr_count:     0
    .vgpr_spill_count: 0
    .wavefront_size: 64
  - .agpr_count:     0
    .args:
      - .offset:         0
        .size:           88
        .value_kind:     by_value
    .group_segment_fixed_size: 0
    .kernarg_segment_align: 8
    .kernarg_segment_size: 88
    .language:       OpenCL C
    .language_version:
      - 2
      - 0
    .max_flat_workgroup_size: 1024
    .name:           _ZN7rocprim17ROCPRIM_400000_NS6detail17trampoline_kernelINS0_14default_configENS1_35radix_sort_onesweep_config_selectorIiiEEZZNS1_29radix_sort_onesweep_iterationIS3_Lb1EN6thrust23THRUST_200600_302600_NS6detail15normal_iteratorINS8_10device_ptrIiEEEESD_SD_SD_jNS0_19identity_decomposerENS1_16block_id_wrapperIjLb0EEEEE10hipError_tT1_PNSt15iterator_traitsISI_E10value_typeET2_T3_PNSJ_ISO_E10value_typeET4_T5_PST_SU_PNS1_23onesweep_lookback_stateEbbT6_jjT7_P12ihipStream_tbENKUlT_T0_SI_SN_E_clISD_PiSD_S15_EEDaS11_S12_SI_SN_EUlS11_E_NS1_11comp_targetILNS1_3genE9ELNS1_11target_archE1100ELNS1_3gpuE3ELNS1_3repE0EEENS1_47radix_sort_onesweep_sort_config_static_selectorELNS0_4arch9wavefront6targetE1EEEvSI_
    .private_segment_fixed_size: 0
    .sgpr_count:     6
    .sgpr_spill_count: 0
    .symbol:         _ZN7rocprim17ROCPRIM_400000_NS6detail17trampoline_kernelINS0_14default_configENS1_35radix_sort_onesweep_config_selectorIiiEEZZNS1_29radix_sort_onesweep_iterationIS3_Lb1EN6thrust23THRUST_200600_302600_NS6detail15normal_iteratorINS8_10device_ptrIiEEEESD_SD_SD_jNS0_19identity_decomposerENS1_16block_id_wrapperIjLb0EEEEE10hipError_tT1_PNSt15iterator_traitsISI_E10value_typeET2_T3_PNSJ_ISO_E10value_typeET4_T5_PST_SU_PNS1_23onesweep_lookback_stateEbbT6_jjT7_P12ihipStream_tbENKUlT_T0_SI_SN_E_clISD_PiSD_S15_EEDaS11_S12_SI_SN_EUlS11_E_NS1_11comp_targetILNS1_3genE9ELNS1_11target_archE1100ELNS1_3gpuE3ELNS1_3repE0EEENS1_47radix_sort_onesweep_sort_config_static_selectorELNS0_4arch9wavefront6targetE1EEEvSI_.kd
    .uniform_work_group_size: 1
    .uses_dynamic_stack: false
    .vgpr_count:     0
    .vgpr_spill_count: 0
    .wavefront_size: 64
  - .agpr_count:     0
    .args:
      - .offset:         0
        .size:           88
        .value_kind:     by_value
    .group_segment_fixed_size: 0
    .kernarg_segment_align: 8
    .kernarg_segment_size: 88
    .language:       OpenCL C
    .language_version:
      - 2
      - 0
    .max_flat_workgroup_size: 1024
    .name:           _ZN7rocprim17ROCPRIM_400000_NS6detail17trampoline_kernelINS0_14default_configENS1_35radix_sort_onesweep_config_selectorIiiEEZZNS1_29radix_sort_onesweep_iterationIS3_Lb1EN6thrust23THRUST_200600_302600_NS6detail15normal_iteratorINS8_10device_ptrIiEEEESD_SD_SD_jNS0_19identity_decomposerENS1_16block_id_wrapperIjLb0EEEEE10hipError_tT1_PNSt15iterator_traitsISI_E10value_typeET2_T3_PNSJ_ISO_E10value_typeET4_T5_PST_SU_PNS1_23onesweep_lookback_stateEbbT6_jjT7_P12ihipStream_tbENKUlT_T0_SI_SN_E_clISD_PiSD_S15_EEDaS11_S12_SI_SN_EUlS11_E_NS1_11comp_targetILNS1_3genE8ELNS1_11target_archE1030ELNS1_3gpuE2ELNS1_3repE0EEENS1_47radix_sort_onesweep_sort_config_static_selectorELNS0_4arch9wavefront6targetE1EEEvSI_
    .private_segment_fixed_size: 0
    .sgpr_count:     6
    .sgpr_spill_count: 0
    .symbol:         _ZN7rocprim17ROCPRIM_400000_NS6detail17trampoline_kernelINS0_14default_configENS1_35radix_sort_onesweep_config_selectorIiiEEZZNS1_29radix_sort_onesweep_iterationIS3_Lb1EN6thrust23THRUST_200600_302600_NS6detail15normal_iteratorINS8_10device_ptrIiEEEESD_SD_SD_jNS0_19identity_decomposerENS1_16block_id_wrapperIjLb0EEEEE10hipError_tT1_PNSt15iterator_traitsISI_E10value_typeET2_T3_PNSJ_ISO_E10value_typeET4_T5_PST_SU_PNS1_23onesweep_lookback_stateEbbT6_jjT7_P12ihipStream_tbENKUlT_T0_SI_SN_E_clISD_PiSD_S15_EEDaS11_S12_SI_SN_EUlS11_E_NS1_11comp_targetILNS1_3genE8ELNS1_11target_archE1030ELNS1_3gpuE2ELNS1_3repE0EEENS1_47radix_sort_onesweep_sort_config_static_selectorELNS0_4arch9wavefront6targetE1EEEvSI_.kd
    .uniform_work_group_size: 1
    .uses_dynamic_stack: false
    .vgpr_count:     0
    .vgpr_spill_count: 0
    .wavefront_size: 64
  - .agpr_count:     0
    .args:
      - .offset:         0
        .size:           88
        .value_kind:     by_value
    .group_segment_fixed_size: 0
    .kernarg_segment_align: 8
    .kernarg_segment_size: 88
    .language:       OpenCL C
    .language_version:
      - 2
      - 0
    .max_flat_workgroup_size: 256
    .name:           _ZN7rocprim17ROCPRIM_400000_NS6detail17trampoline_kernelINS0_14default_configENS1_35radix_sort_onesweep_config_selectorIiiEEZZNS1_29radix_sort_onesweep_iterationIS3_Lb1EN6thrust23THRUST_200600_302600_NS6detail15normal_iteratorINS8_10device_ptrIiEEEESD_SD_SD_jNS0_19identity_decomposerENS1_16block_id_wrapperIjLb0EEEEE10hipError_tT1_PNSt15iterator_traitsISI_E10value_typeET2_T3_PNSJ_ISO_E10value_typeET4_T5_PST_SU_PNS1_23onesweep_lookback_stateEbbT6_jjT7_P12ihipStream_tbENKUlT_T0_SI_SN_E_clIPiSD_S15_SD_EEDaS11_S12_SI_SN_EUlS11_E_NS1_11comp_targetILNS1_3genE0ELNS1_11target_archE4294967295ELNS1_3gpuE0ELNS1_3repE0EEENS1_47radix_sort_onesweep_sort_config_static_selectorELNS0_4arch9wavefront6targetE1EEEvSI_
    .private_segment_fixed_size: 0
    .sgpr_count:     6
    .sgpr_spill_count: 0
    .symbol:         _ZN7rocprim17ROCPRIM_400000_NS6detail17trampoline_kernelINS0_14default_configENS1_35radix_sort_onesweep_config_selectorIiiEEZZNS1_29radix_sort_onesweep_iterationIS3_Lb1EN6thrust23THRUST_200600_302600_NS6detail15normal_iteratorINS8_10device_ptrIiEEEESD_SD_SD_jNS0_19identity_decomposerENS1_16block_id_wrapperIjLb0EEEEE10hipError_tT1_PNSt15iterator_traitsISI_E10value_typeET2_T3_PNSJ_ISO_E10value_typeET4_T5_PST_SU_PNS1_23onesweep_lookback_stateEbbT6_jjT7_P12ihipStream_tbENKUlT_T0_SI_SN_E_clIPiSD_S15_SD_EEDaS11_S12_SI_SN_EUlS11_E_NS1_11comp_targetILNS1_3genE0ELNS1_11target_archE4294967295ELNS1_3gpuE0ELNS1_3repE0EEENS1_47radix_sort_onesweep_sort_config_static_selectorELNS0_4arch9wavefront6targetE1EEEvSI_.kd
    .uniform_work_group_size: 1
    .uses_dynamic_stack: false
    .vgpr_count:     0
    .vgpr_spill_count: 0
    .wavefront_size: 64
  - .agpr_count:     0
    .args:
      - .offset:         0
        .size:           88
        .value_kind:     by_value
      - .offset:         88
        .size:           4
        .value_kind:     hidden_block_count_x
      - .offset:         92
        .size:           4
        .value_kind:     hidden_block_count_y
      - .offset:         96
        .size:           4
        .value_kind:     hidden_block_count_z
      - .offset:         100
        .size:           2
        .value_kind:     hidden_group_size_x
      - .offset:         102
        .size:           2
        .value_kind:     hidden_group_size_y
      - .offset:         104
        .size:           2
        .value_kind:     hidden_group_size_z
      - .offset:         106
        .size:           2
        .value_kind:     hidden_remainder_x
      - .offset:         108
        .size:           2
        .value_kind:     hidden_remainder_y
      - .offset:         110
        .size:           2
        .value_kind:     hidden_remainder_z
      - .offset:         128
        .size:           8
        .value_kind:     hidden_global_offset_x
      - .offset:         136
        .size:           8
        .value_kind:     hidden_global_offset_y
      - .offset:         144
        .size:           8
        .value_kind:     hidden_global_offset_z
      - .offset:         152
        .size:           2
        .value_kind:     hidden_grid_dims
    .group_segment_fixed_size: 20552
    .kernarg_segment_align: 8
    .kernarg_segment_size: 344
    .language:       OpenCL C
    .language_version:
      - 2
      - 0
    .max_flat_workgroup_size: 1024
    .name:           _ZN7rocprim17ROCPRIM_400000_NS6detail17trampoline_kernelINS0_14default_configENS1_35radix_sort_onesweep_config_selectorIiiEEZZNS1_29radix_sort_onesweep_iterationIS3_Lb1EN6thrust23THRUST_200600_302600_NS6detail15normal_iteratorINS8_10device_ptrIiEEEESD_SD_SD_jNS0_19identity_decomposerENS1_16block_id_wrapperIjLb0EEEEE10hipError_tT1_PNSt15iterator_traitsISI_E10value_typeET2_T3_PNSJ_ISO_E10value_typeET4_T5_PST_SU_PNS1_23onesweep_lookback_stateEbbT6_jjT7_P12ihipStream_tbENKUlT_T0_SI_SN_E_clIPiSD_S15_SD_EEDaS11_S12_SI_SN_EUlS11_E_NS1_11comp_targetILNS1_3genE6ELNS1_11target_archE950ELNS1_3gpuE13ELNS1_3repE0EEENS1_47radix_sort_onesweep_sort_config_static_selectorELNS0_4arch9wavefront6targetE1EEEvSI_
    .private_segment_fixed_size: 80
    .sgpr_count:     76
    .sgpr_spill_count: 0
    .symbol:         _ZN7rocprim17ROCPRIM_400000_NS6detail17trampoline_kernelINS0_14default_configENS1_35radix_sort_onesweep_config_selectorIiiEEZZNS1_29radix_sort_onesweep_iterationIS3_Lb1EN6thrust23THRUST_200600_302600_NS6detail15normal_iteratorINS8_10device_ptrIiEEEESD_SD_SD_jNS0_19identity_decomposerENS1_16block_id_wrapperIjLb0EEEEE10hipError_tT1_PNSt15iterator_traitsISI_E10value_typeET2_T3_PNSJ_ISO_E10value_typeET4_T5_PST_SU_PNS1_23onesweep_lookback_stateEbbT6_jjT7_P12ihipStream_tbENKUlT_T0_SI_SN_E_clIPiSD_S15_SD_EEDaS11_S12_SI_SN_EUlS11_E_NS1_11comp_targetILNS1_3genE6ELNS1_11target_archE950ELNS1_3gpuE13ELNS1_3repE0EEENS1_47radix_sort_onesweep_sort_config_static_selectorELNS0_4arch9wavefront6targetE1EEEvSI_.kd
    .uniform_work_group_size: 1
    .uses_dynamic_stack: false
    .vgpr_count:     88
    .vgpr_spill_count: 0
    .wavefront_size: 64
  - .agpr_count:     0
    .args:
      - .offset:         0
        .size:           88
        .value_kind:     by_value
    .group_segment_fixed_size: 0
    .kernarg_segment_align: 8
    .kernarg_segment_size: 88
    .language:       OpenCL C
    .language_version:
      - 2
      - 0
    .max_flat_workgroup_size: 1024
    .name:           _ZN7rocprim17ROCPRIM_400000_NS6detail17trampoline_kernelINS0_14default_configENS1_35radix_sort_onesweep_config_selectorIiiEEZZNS1_29radix_sort_onesweep_iterationIS3_Lb1EN6thrust23THRUST_200600_302600_NS6detail15normal_iteratorINS8_10device_ptrIiEEEESD_SD_SD_jNS0_19identity_decomposerENS1_16block_id_wrapperIjLb0EEEEE10hipError_tT1_PNSt15iterator_traitsISI_E10value_typeET2_T3_PNSJ_ISO_E10value_typeET4_T5_PST_SU_PNS1_23onesweep_lookback_stateEbbT6_jjT7_P12ihipStream_tbENKUlT_T0_SI_SN_E_clIPiSD_S15_SD_EEDaS11_S12_SI_SN_EUlS11_E_NS1_11comp_targetILNS1_3genE5ELNS1_11target_archE942ELNS1_3gpuE9ELNS1_3repE0EEENS1_47radix_sort_onesweep_sort_config_static_selectorELNS0_4arch9wavefront6targetE1EEEvSI_
    .private_segment_fixed_size: 0
    .sgpr_count:     6
    .sgpr_spill_count: 0
    .symbol:         _ZN7rocprim17ROCPRIM_400000_NS6detail17trampoline_kernelINS0_14default_configENS1_35radix_sort_onesweep_config_selectorIiiEEZZNS1_29radix_sort_onesweep_iterationIS3_Lb1EN6thrust23THRUST_200600_302600_NS6detail15normal_iteratorINS8_10device_ptrIiEEEESD_SD_SD_jNS0_19identity_decomposerENS1_16block_id_wrapperIjLb0EEEEE10hipError_tT1_PNSt15iterator_traitsISI_E10value_typeET2_T3_PNSJ_ISO_E10value_typeET4_T5_PST_SU_PNS1_23onesweep_lookback_stateEbbT6_jjT7_P12ihipStream_tbENKUlT_T0_SI_SN_E_clIPiSD_S15_SD_EEDaS11_S12_SI_SN_EUlS11_E_NS1_11comp_targetILNS1_3genE5ELNS1_11target_archE942ELNS1_3gpuE9ELNS1_3repE0EEENS1_47radix_sort_onesweep_sort_config_static_selectorELNS0_4arch9wavefront6targetE1EEEvSI_.kd
    .uniform_work_group_size: 1
    .uses_dynamic_stack: false
    .vgpr_count:     0
    .vgpr_spill_count: 0
    .wavefront_size: 64
  - .agpr_count:     0
    .args:
      - .offset:         0
        .size:           88
        .value_kind:     by_value
    .group_segment_fixed_size: 0
    .kernarg_segment_align: 8
    .kernarg_segment_size: 88
    .language:       OpenCL C
    .language_version:
      - 2
      - 0
    .max_flat_workgroup_size: 512
    .name:           _ZN7rocprim17ROCPRIM_400000_NS6detail17trampoline_kernelINS0_14default_configENS1_35radix_sort_onesweep_config_selectorIiiEEZZNS1_29radix_sort_onesweep_iterationIS3_Lb1EN6thrust23THRUST_200600_302600_NS6detail15normal_iteratorINS8_10device_ptrIiEEEESD_SD_SD_jNS0_19identity_decomposerENS1_16block_id_wrapperIjLb0EEEEE10hipError_tT1_PNSt15iterator_traitsISI_E10value_typeET2_T3_PNSJ_ISO_E10value_typeET4_T5_PST_SU_PNS1_23onesweep_lookback_stateEbbT6_jjT7_P12ihipStream_tbENKUlT_T0_SI_SN_E_clIPiSD_S15_SD_EEDaS11_S12_SI_SN_EUlS11_E_NS1_11comp_targetILNS1_3genE2ELNS1_11target_archE906ELNS1_3gpuE6ELNS1_3repE0EEENS1_47radix_sort_onesweep_sort_config_static_selectorELNS0_4arch9wavefront6targetE1EEEvSI_
    .private_segment_fixed_size: 0
    .sgpr_count:     6
    .sgpr_spill_count: 0
    .symbol:         _ZN7rocprim17ROCPRIM_400000_NS6detail17trampoline_kernelINS0_14default_configENS1_35radix_sort_onesweep_config_selectorIiiEEZZNS1_29radix_sort_onesweep_iterationIS3_Lb1EN6thrust23THRUST_200600_302600_NS6detail15normal_iteratorINS8_10device_ptrIiEEEESD_SD_SD_jNS0_19identity_decomposerENS1_16block_id_wrapperIjLb0EEEEE10hipError_tT1_PNSt15iterator_traitsISI_E10value_typeET2_T3_PNSJ_ISO_E10value_typeET4_T5_PST_SU_PNS1_23onesweep_lookback_stateEbbT6_jjT7_P12ihipStream_tbENKUlT_T0_SI_SN_E_clIPiSD_S15_SD_EEDaS11_S12_SI_SN_EUlS11_E_NS1_11comp_targetILNS1_3genE2ELNS1_11target_archE906ELNS1_3gpuE6ELNS1_3repE0EEENS1_47radix_sort_onesweep_sort_config_static_selectorELNS0_4arch9wavefront6targetE1EEEvSI_.kd
    .uniform_work_group_size: 1
    .uses_dynamic_stack: false
    .vgpr_count:     0
    .vgpr_spill_count: 0
    .wavefront_size: 64
  - .agpr_count:     0
    .args:
      - .offset:         0
        .size:           88
        .value_kind:     by_value
    .group_segment_fixed_size: 0
    .kernarg_segment_align: 8
    .kernarg_segment_size: 88
    .language:       OpenCL C
    .language_version:
      - 2
      - 0
    .max_flat_workgroup_size: 512
    .name:           _ZN7rocprim17ROCPRIM_400000_NS6detail17trampoline_kernelINS0_14default_configENS1_35radix_sort_onesweep_config_selectorIiiEEZZNS1_29radix_sort_onesweep_iterationIS3_Lb1EN6thrust23THRUST_200600_302600_NS6detail15normal_iteratorINS8_10device_ptrIiEEEESD_SD_SD_jNS0_19identity_decomposerENS1_16block_id_wrapperIjLb0EEEEE10hipError_tT1_PNSt15iterator_traitsISI_E10value_typeET2_T3_PNSJ_ISO_E10value_typeET4_T5_PST_SU_PNS1_23onesweep_lookback_stateEbbT6_jjT7_P12ihipStream_tbENKUlT_T0_SI_SN_E_clIPiSD_S15_SD_EEDaS11_S12_SI_SN_EUlS11_E_NS1_11comp_targetILNS1_3genE4ELNS1_11target_archE910ELNS1_3gpuE8ELNS1_3repE0EEENS1_47radix_sort_onesweep_sort_config_static_selectorELNS0_4arch9wavefront6targetE1EEEvSI_
    .private_segment_fixed_size: 0
    .sgpr_count:     6
    .sgpr_spill_count: 0
    .symbol:         _ZN7rocprim17ROCPRIM_400000_NS6detail17trampoline_kernelINS0_14default_configENS1_35radix_sort_onesweep_config_selectorIiiEEZZNS1_29radix_sort_onesweep_iterationIS3_Lb1EN6thrust23THRUST_200600_302600_NS6detail15normal_iteratorINS8_10device_ptrIiEEEESD_SD_SD_jNS0_19identity_decomposerENS1_16block_id_wrapperIjLb0EEEEE10hipError_tT1_PNSt15iterator_traitsISI_E10value_typeET2_T3_PNSJ_ISO_E10value_typeET4_T5_PST_SU_PNS1_23onesweep_lookback_stateEbbT6_jjT7_P12ihipStream_tbENKUlT_T0_SI_SN_E_clIPiSD_S15_SD_EEDaS11_S12_SI_SN_EUlS11_E_NS1_11comp_targetILNS1_3genE4ELNS1_11target_archE910ELNS1_3gpuE8ELNS1_3repE0EEENS1_47radix_sort_onesweep_sort_config_static_selectorELNS0_4arch9wavefront6targetE1EEEvSI_.kd
    .uniform_work_group_size: 1
    .uses_dynamic_stack: false
    .vgpr_count:     0
    .vgpr_spill_count: 0
    .wavefront_size: 64
  - .agpr_count:     0
    .args:
      - .offset:         0
        .size:           88
        .value_kind:     by_value
    .group_segment_fixed_size: 0
    .kernarg_segment_align: 8
    .kernarg_segment_size: 88
    .language:       OpenCL C
    .language_version:
      - 2
      - 0
    .max_flat_workgroup_size: 256
    .name:           _ZN7rocprim17ROCPRIM_400000_NS6detail17trampoline_kernelINS0_14default_configENS1_35radix_sort_onesweep_config_selectorIiiEEZZNS1_29radix_sort_onesweep_iterationIS3_Lb1EN6thrust23THRUST_200600_302600_NS6detail15normal_iteratorINS8_10device_ptrIiEEEESD_SD_SD_jNS0_19identity_decomposerENS1_16block_id_wrapperIjLb0EEEEE10hipError_tT1_PNSt15iterator_traitsISI_E10value_typeET2_T3_PNSJ_ISO_E10value_typeET4_T5_PST_SU_PNS1_23onesweep_lookback_stateEbbT6_jjT7_P12ihipStream_tbENKUlT_T0_SI_SN_E_clIPiSD_S15_SD_EEDaS11_S12_SI_SN_EUlS11_E_NS1_11comp_targetILNS1_3genE3ELNS1_11target_archE908ELNS1_3gpuE7ELNS1_3repE0EEENS1_47radix_sort_onesweep_sort_config_static_selectorELNS0_4arch9wavefront6targetE1EEEvSI_
    .private_segment_fixed_size: 0
    .sgpr_count:     6
    .sgpr_spill_count: 0
    .symbol:         _ZN7rocprim17ROCPRIM_400000_NS6detail17trampoline_kernelINS0_14default_configENS1_35radix_sort_onesweep_config_selectorIiiEEZZNS1_29radix_sort_onesweep_iterationIS3_Lb1EN6thrust23THRUST_200600_302600_NS6detail15normal_iteratorINS8_10device_ptrIiEEEESD_SD_SD_jNS0_19identity_decomposerENS1_16block_id_wrapperIjLb0EEEEE10hipError_tT1_PNSt15iterator_traitsISI_E10value_typeET2_T3_PNSJ_ISO_E10value_typeET4_T5_PST_SU_PNS1_23onesweep_lookback_stateEbbT6_jjT7_P12ihipStream_tbENKUlT_T0_SI_SN_E_clIPiSD_S15_SD_EEDaS11_S12_SI_SN_EUlS11_E_NS1_11comp_targetILNS1_3genE3ELNS1_11target_archE908ELNS1_3gpuE7ELNS1_3repE0EEENS1_47radix_sort_onesweep_sort_config_static_selectorELNS0_4arch9wavefront6targetE1EEEvSI_.kd
    .uniform_work_group_size: 1
    .uses_dynamic_stack: false
    .vgpr_count:     0
    .vgpr_spill_count: 0
    .wavefront_size: 64
  - .agpr_count:     0
    .args:
      - .offset:         0
        .size:           88
        .value_kind:     by_value
    .group_segment_fixed_size: 0
    .kernarg_segment_align: 8
    .kernarg_segment_size: 88
    .language:       OpenCL C
    .language_version:
      - 2
      - 0
    .max_flat_workgroup_size: 1024
    .name:           _ZN7rocprim17ROCPRIM_400000_NS6detail17trampoline_kernelINS0_14default_configENS1_35radix_sort_onesweep_config_selectorIiiEEZZNS1_29radix_sort_onesweep_iterationIS3_Lb1EN6thrust23THRUST_200600_302600_NS6detail15normal_iteratorINS8_10device_ptrIiEEEESD_SD_SD_jNS0_19identity_decomposerENS1_16block_id_wrapperIjLb0EEEEE10hipError_tT1_PNSt15iterator_traitsISI_E10value_typeET2_T3_PNSJ_ISO_E10value_typeET4_T5_PST_SU_PNS1_23onesweep_lookback_stateEbbT6_jjT7_P12ihipStream_tbENKUlT_T0_SI_SN_E_clIPiSD_S15_SD_EEDaS11_S12_SI_SN_EUlS11_E_NS1_11comp_targetILNS1_3genE10ELNS1_11target_archE1201ELNS1_3gpuE5ELNS1_3repE0EEENS1_47radix_sort_onesweep_sort_config_static_selectorELNS0_4arch9wavefront6targetE1EEEvSI_
    .private_segment_fixed_size: 0
    .sgpr_count:     6
    .sgpr_spill_count: 0
    .symbol:         _ZN7rocprim17ROCPRIM_400000_NS6detail17trampoline_kernelINS0_14default_configENS1_35radix_sort_onesweep_config_selectorIiiEEZZNS1_29radix_sort_onesweep_iterationIS3_Lb1EN6thrust23THRUST_200600_302600_NS6detail15normal_iteratorINS8_10device_ptrIiEEEESD_SD_SD_jNS0_19identity_decomposerENS1_16block_id_wrapperIjLb0EEEEE10hipError_tT1_PNSt15iterator_traitsISI_E10value_typeET2_T3_PNSJ_ISO_E10value_typeET4_T5_PST_SU_PNS1_23onesweep_lookback_stateEbbT6_jjT7_P12ihipStream_tbENKUlT_T0_SI_SN_E_clIPiSD_S15_SD_EEDaS11_S12_SI_SN_EUlS11_E_NS1_11comp_targetILNS1_3genE10ELNS1_11target_archE1201ELNS1_3gpuE5ELNS1_3repE0EEENS1_47radix_sort_onesweep_sort_config_static_selectorELNS0_4arch9wavefront6targetE1EEEvSI_.kd
    .uniform_work_group_size: 1
    .uses_dynamic_stack: false
    .vgpr_count:     0
    .vgpr_spill_count: 0
    .wavefront_size: 64
  - .agpr_count:     0
    .args:
      - .offset:         0
        .size:           88
        .value_kind:     by_value
    .group_segment_fixed_size: 0
    .kernarg_segment_align: 8
    .kernarg_segment_size: 88
    .language:       OpenCL C
    .language_version:
      - 2
      - 0
    .max_flat_workgroup_size: 1024
    .name:           _ZN7rocprim17ROCPRIM_400000_NS6detail17trampoline_kernelINS0_14default_configENS1_35radix_sort_onesweep_config_selectorIiiEEZZNS1_29radix_sort_onesweep_iterationIS3_Lb1EN6thrust23THRUST_200600_302600_NS6detail15normal_iteratorINS8_10device_ptrIiEEEESD_SD_SD_jNS0_19identity_decomposerENS1_16block_id_wrapperIjLb0EEEEE10hipError_tT1_PNSt15iterator_traitsISI_E10value_typeET2_T3_PNSJ_ISO_E10value_typeET4_T5_PST_SU_PNS1_23onesweep_lookback_stateEbbT6_jjT7_P12ihipStream_tbENKUlT_T0_SI_SN_E_clIPiSD_S15_SD_EEDaS11_S12_SI_SN_EUlS11_E_NS1_11comp_targetILNS1_3genE9ELNS1_11target_archE1100ELNS1_3gpuE3ELNS1_3repE0EEENS1_47radix_sort_onesweep_sort_config_static_selectorELNS0_4arch9wavefront6targetE1EEEvSI_
    .private_segment_fixed_size: 0
    .sgpr_count:     6
    .sgpr_spill_count: 0
    .symbol:         _ZN7rocprim17ROCPRIM_400000_NS6detail17trampoline_kernelINS0_14default_configENS1_35radix_sort_onesweep_config_selectorIiiEEZZNS1_29radix_sort_onesweep_iterationIS3_Lb1EN6thrust23THRUST_200600_302600_NS6detail15normal_iteratorINS8_10device_ptrIiEEEESD_SD_SD_jNS0_19identity_decomposerENS1_16block_id_wrapperIjLb0EEEEE10hipError_tT1_PNSt15iterator_traitsISI_E10value_typeET2_T3_PNSJ_ISO_E10value_typeET4_T5_PST_SU_PNS1_23onesweep_lookback_stateEbbT6_jjT7_P12ihipStream_tbENKUlT_T0_SI_SN_E_clIPiSD_S15_SD_EEDaS11_S12_SI_SN_EUlS11_E_NS1_11comp_targetILNS1_3genE9ELNS1_11target_archE1100ELNS1_3gpuE3ELNS1_3repE0EEENS1_47radix_sort_onesweep_sort_config_static_selectorELNS0_4arch9wavefront6targetE1EEEvSI_.kd
    .uniform_work_group_size: 1
    .uses_dynamic_stack: false
    .vgpr_count:     0
    .vgpr_spill_count: 0
    .wavefront_size: 64
  - .agpr_count:     0
    .args:
      - .offset:         0
        .size:           88
        .value_kind:     by_value
    .group_segment_fixed_size: 0
    .kernarg_segment_align: 8
    .kernarg_segment_size: 88
    .language:       OpenCL C
    .language_version:
      - 2
      - 0
    .max_flat_workgroup_size: 1024
    .name:           _ZN7rocprim17ROCPRIM_400000_NS6detail17trampoline_kernelINS0_14default_configENS1_35radix_sort_onesweep_config_selectorIiiEEZZNS1_29radix_sort_onesweep_iterationIS3_Lb1EN6thrust23THRUST_200600_302600_NS6detail15normal_iteratorINS8_10device_ptrIiEEEESD_SD_SD_jNS0_19identity_decomposerENS1_16block_id_wrapperIjLb0EEEEE10hipError_tT1_PNSt15iterator_traitsISI_E10value_typeET2_T3_PNSJ_ISO_E10value_typeET4_T5_PST_SU_PNS1_23onesweep_lookback_stateEbbT6_jjT7_P12ihipStream_tbENKUlT_T0_SI_SN_E_clIPiSD_S15_SD_EEDaS11_S12_SI_SN_EUlS11_E_NS1_11comp_targetILNS1_3genE8ELNS1_11target_archE1030ELNS1_3gpuE2ELNS1_3repE0EEENS1_47radix_sort_onesweep_sort_config_static_selectorELNS0_4arch9wavefront6targetE1EEEvSI_
    .private_segment_fixed_size: 0
    .sgpr_count:     6
    .sgpr_spill_count: 0
    .symbol:         _ZN7rocprim17ROCPRIM_400000_NS6detail17trampoline_kernelINS0_14default_configENS1_35radix_sort_onesweep_config_selectorIiiEEZZNS1_29radix_sort_onesweep_iterationIS3_Lb1EN6thrust23THRUST_200600_302600_NS6detail15normal_iteratorINS8_10device_ptrIiEEEESD_SD_SD_jNS0_19identity_decomposerENS1_16block_id_wrapperIjLb0EEEEE10hipError_tT1_PNSt15iterator_traitsISI_E10value_typeET2_T3_PNSJ_ISO_E10value_typeET4_T5_PST_SU_PNS1_23onesweep_lookback_stateEbbT6_jjT7_P12ihipStream_tbENKUlT_T0_SI_SN_E_clIPiSD_S15_SD_EEDaS11_S12_SI_SN_EUlS11_E_NS1_11comp_targetILNS1_3genE8ELNS1_11target_archE1030ELNS1_3gpuE2ELNS1_3repE0EEENS1_47radix_sort_onesweep_sort_config_static_selectorELNS0_4arch9wavefront6targetE1EEEvSI_.kd
    .uniform_work_group_size: 1
    .uses_dynamic_stack: false
    .vgpr_count:     0
    .vgpr_spill_count: 0
    .wavefront_size: 64
amdhsa.target:   amdgcn-amd-amdhsa--gfx950
amdhsa.version:
  - 1
  - 2
...

	.end_amdgpu_metadata
